;; amdgpu-corpus repo=ROCm/vllm kind=compiled arch=gfx1250 opt=O3
	.amdgcn_target "amdgcn-amd-amdhsa--gfx1250"
	.amdhsa_code_object_version 6
	.text
	.p2align	2                               ; -- Begin function __ockl_fprintf_append_string_n
	.type	__ockl_fprintf_append_string_n,@function
__ockl_fprintf_append_string_n:         ; @__ockl_fprintf_append_string_n
; %bb.0:
	s_wait_loadcnt_dscnt 0x0
	s_wait_kmcnt 0x0
	v_or_b32_e32 v2, 2, v0
	v_cmp_eq_u32_e32 vcc_lo, 0, v6
	v_mbcnt_lo_u32_b32 v30, -1, 0
	s_get_pc_i64 s[0:1]
	s_add_nc_u64 s[0:1], s[0:1], .str@rel64+4
	s_mov_b32 s6, 0
	s_cmp_lg_u64 s[0:1], 0
	v_cndmask_b32_e32 v3, v2, v0, vcc_lo
	s_cbranch_scc0 .LBB0_113
; %bb.1:
	s_load_b64 s[2:3], s[8:9], 0x50
	s_delay_alu instid0(VALU_DEP_1) | instskip(SKIP_3) | instid1(VALU_DEP_4)
	v_dual_mov_b32 v7, 0 :: v_dual_bitop2_b32 v0, -3, v3 bitop3:0x40
	v_mov_b64_e32 v[8:9], 0x100000002
	v_mov_b64_e32 v[32:33], s[0:1]
	v_and_b32_e32 v2, 2, v3
	v_mov_b64_e32 v[10:11], v[0:1]
	s_mov_b32 s7, 0
	s_branch .LBB0_3
.LBB0_2:                                ;   in Loop: Header=BB0_3 Depth=1
	s_or_b32 exec_lo, exec_lo, s10
	v_sub_nc_u64_e32 v[4:5], v[4:5], v[34:35]
	v_add_nc_u64_e32 v[32:33], v[32:33], v[34:35]
	s_delay_alu instid0(VALU_DEP_2) | instskip(SKIP_1) | instid1(SALU_CYCLE_1)
	v_cmp_eq_u64_e32 vcc_lo, 0, v[4:5]
	s_or_b32 s7, vcc_lo, s7
	s_and_not1_b32 exec_lo, exec_lo, s7
	s_cbranch_execz .LBB0_85
.LBB0_3:                                ; =>This Loop Header: Depth=1
                                        ;     Child Loop BB0_6 Depth 2
                                        ;     Child Loop BB0_14 Depth 2
	;; [unrolled: 1-line block ×11, first 2 shown]
	v_min_u64 v[34:35], v[4:5], 56
	s_delay_alu instid0(VALU_DEP_3)
	v_add_nc_u64_e32 v[16:17], 8, v[32:33]
	s_mov_b32 s0, exec_lo
	v_cmpx_gt_u64_e32 8, v[4:5]
	s_xor_b32 s4, exec_lo, s0
	s_cbranch_execz .LBB0_9
; %bb.4:                                ;   in Loop: Header=BB0_3 Depth=1
	s_wait_loadcnt 0x0
	v_mov_b64_e32 v[12:13], 0
	s_mov_b32 s5, exec_lo
	v_cmpx_ne_u64_e32 0, v[4:5]
	s_cbranch_execz .LBB0_8
; %bb.5:                                ;   in Loop: Header=BB0_3 Depth=1
	v_mov_b64_e32 v[12:13], 0
	v_mov_b64_e32 v[14:15], v[32:33]
	v_lshlrev_b32_e32 v0, 3, v34
	s_mov_b64 s[0:1], 0
	s_mov_b32 s10, 0
.LBB0_6:                                ;   Parent Loop BB0_3 Depth=1
                                        ; =>  This Inner Loop Header: Depth=2
	global_load_u8 v6, v[14:15], off
	v_mov_b32_e32 v17, s6
	s_wait_xcnt 0x0
	v_add_nc_u64_e32 v[14:15], 1, v[14:15]
	s_wait_loadcnt 0x0
	v_and_b32_e32 v16, 0xffff, v6
	s_delay_alu instid0(VALU_DEP_1) | instskip(SKIP_1) | instid1(SALU_CYCLE_1)
	v_lshlrev_b64_e32 v[16:17], s0, v[16:17]
	s_add_nc_u64 s[0:1], s[0:1], 8
	v_cmp_eq_u32_e32 vcc_lo, s0, v0
	s_delay_alu instid0(VALU_DEP_2) | instskip(NEXT) | instid1(VALU_DEP_3)
	v_or_b32_e32 v13, v17, v13
	v_or_b32_e32 v12, v16, v12
	s_or_b32 s10, vcc_lo, s10
	s_delay_alu instid0(SALU_CYCLE_1)
	s_and_not1_b32 exec_lo, exec_lo, s10
	s_cbranch_execnz .LBB0_6
; %bb.7:                                ;   in Loop: Header=BB0_3 Depth=1
	s_or_b32 exec_lo, exec_lo, s10
.LBB0_8:                                ;   in Loop: Header=BB0_3 Depth=1
	s_delay_alu instid0(SALU_CYCLE_1)
	s_or_b32 exec_lo, exec_lo, s5
	v_mov_b64_e32 v[16:17], v[32:33]
.LBB0_9:                                ;   in Loop: Header=BB0_3 Depth=1
	s_or_saveexec_b32 s0, s4
	v_mov_b32_e32 v0, 0
	s_xor_b32 exec_lo, exec_lo, s0
	s_cbranch_execz .LBB0_11
; %bb.10:                               ;   in Loop: Header=BB0_3 Depth=1
	s_wait_loadcnt 0x0
	global_load_b64 v[12:13], v[32:33], off
	v_add_nc_u32_e32 v0, -8, v34
.LBB0_11:                               ;   in Loop: Header=BB0_3 Depth=1
	s_wait_xcnt 0x0
	s_or_b32 exec_lo, exec_lo, s0
	v_add_nc_u64_e32 v[18:19], 8, v[16:17]
                                        ; implicit-def: $vgpr14_vgpr15
	s_mov_b32 s0, exec_lo
	v_cmpx_gt_u32_e32 8, v0
	s_xor_b32 s10, exec_lo, s0
	s_cbranch_execz .LBB0_17
; %bb.12:                               ;   in Loop: Header=BB0_3 Depth=1
	v_mov_b64_e32 v[14:15], 0
	s_mov_b32 s11, exec_lo
	v_cmpx_ne_u32_e32 0, v0
	s_cbranch_execz .LBB0_16
; %bb.13:                               ;   in Loop: Header=BB0_3 Depth=1
	v_mov_b64_e32 v[14:15], 0
	s_mov_b64 s[0:1], 0
	s_mov_b32 s12, 0
	s_mov_b64 s[4:5], 0
.LBB0_14:                               ;   Parent Loop BB0_3 Depth=1
                                        ; =>  This Inner Loop Header: Depth=2
	s_delay_alu instid0(SALU_CYCLE_1) | instskip(SKIP_1) | instid1(SALU_CYCLE_1)
	v_add_nc_u64_e32 v[18:19], s[4:5], v[16:17]
	s_add_nc_u64 s[4:5], s[4:5], 1
	v_cmp_eq_u32_e32 vcc_lo, s4, v0
	global_load_u8 v6, v[18:19], off
	s_wait_xcnt 0x0
	v_mov_b32_e32 v19, s6
	s_or_b32 s12, vcc_lo, s12
	s_wait_loadcnt 0x0
	v_and_b32_e32 v18, 0xffff, v6
	s_delay_alu instid0(VALU_DEP_1) | instskip(SKIP_1) | instid1(VALU_DEP_1)
	v_lshlrev_b64_e32 v[18:19], s0, v[18:19]
	s_add_nc_u64 s[0:1], s[0:1], 8
	v_or_b32_e32 v15, v19, v15
	s_delay_alu instid0(VALU_DEP_2)
	v_or_b32_e32 v14, v18, v14
	s_and_not1_b32 exec_lo, exec_lo, s12
	s_cbranch_execnz .LBB0_14
; %bb.15:                               ;   in Loop: Header=BB0_3 Depth=1
	s_or_b32 exec_lo, exec_lo, s12
.LBB0_16:                               ;   in Loop: Header=BB0_3 Depth=1
	s_delay_alu instid0(SALU_CYCLE_1)
	s_or_b32 exec_lo, exec_lo, s11
	v_mov_b64_e32 v[18:19], v[16:17]
                                        ; implicit-def: $vgpr0
.LBB0_17:                               ;   in Loop: Header=BB0_3 Depth=1
	s_or_saveexec_b32 s0, s10
	v_mov_b32_e32 v6, 0
	s_xor_b32 exec_lo, exec_lo, s0
	s_cbranch_execz .LBB0_19
; %bb.18:                               ;   in Loop: Header=BB0_3 Depth=1
	global_load_b64 v[14:15], v[16:17], off
	v_add_nc_u32_e32 v6, -8, v0
.LBB0_19:                               ;   in Loop: Header=BB0_3 Depth=1
	s_wait_xcnt 0x0
	s_or_b32 exec_lo, exec_lo, s0
	v_add_nc_u64_e32 v[20:21], 8, v[18:19]
	s_mov_b32 s0, exec_lo
	v_cmpx_gt_u32_e32 8, v6
	s_xor_b32 s10, exec_lo, s0
	s_cbranch_execz .LBB0_25
; %bb.20:                               ;   in Loop: Header=BB0_3 Depth=1
	v_mov_b64_e32 v[16:17], 0
	s_mov_b32 s11, exec_lo
	v_cmpx_ne_u32_e32 0, v6
	s_cbranch_execz .LBB0_24
; %bb.21:                               ;   in Loop: Header=BB0_3 Depth=1
	v_mov_b64_e32 v[16:17], 0
	s_mov_b64 s[0:1], 0
	s_mov_b32 s12, 0
	s_mov_b64 s[4:5], 0
.LBB0_22:                               ;   Parent Loop BB0_3 Depth=1
                                        ; =>  This Inner Loop Header: Depth=2
	s_delay_alu instid0(SALU_CYCLE_1) | instskip(SKIP_1) | instid1(SALU_CYCLE_1)
	v_add_nc_u64_e32 v[20:21], s[4:5], v[18:19]
	s_add_nc_u64 s[4:5], s[4:5], 1
	v_cmp_eq_u32_e32 vcc_lo, s4, v6
	global_load_u8 v0, v[20:21], off
	s_wait_xcnt 0x0
	v_mov_b32_e32 v21, s6
	s_or_b32 s12, vcc_lo, s12
	s_wait_loadcnt 0x0
	v_and_b32_e32 v20, 0xffff, v0
	s_delay_alu instid0(VALU_DEP_1) | instskip(SKIP_1) | instid1(VALU_DEP_1)
	v_lshlrev_b64_e32 v[20:21], s0, v[20:21]
	s_add_nc_u64 s[0:1], s[0:1], 8
	v_or_b32_e32 v17, v21, v17
	s_delay_alu instid0(VALU_DEP_2)
	v_or_b32_e32 v16, v20, v16
	s_and_not1_b32 exec_lo, exec_lo, s12
	s_cbranch_execnz .LBB0_22
; %bb.23:                               ;   in Loop: Header=BB0_3 Depth=1
	s_or_b32 exec_lo, exec_lo, s12
.LBB0_24:                               ;   in Loop: Header=BB0_3 Depth=1
	s_delay_alu instid0(SALU_CYCLE_1)
	s_or_b32 exec_lo, exec_lo, s11
	v_mov_b64_e32 v[20:21], v[18:19]
                                        ; implicit-def: $vgpr6
.LBB0_25:                               ;   in Loop: Header=BB0_3 Depth=1
	s_or_saveexec_b32 s0, s10
	v_mov_b32_e32 v0, 0
	s_xor_b32 exec_lo, exec_lo, s0
	s_cbranch_execz .LBB0_27
; %bb.26:                               ;   in Loop: Header=BB0_3 Depth=1
	global_load_b64 v[16:17], v[18:19], off
	v_add_nc_u32_e32 v0, -8, v6
.LBB0_27:                               ;   in Loop: Header=BB0_3 Depth=1
	s_wait_xcnt 0x0
	s_or_b32 exec_lo, exec_lo, s0
	v_add_nc_u64_e32 v[22:23], 8, v[20:21]
                                        ; implicit-def: $vgpr18_vgpr19
	s_mov_b32 s0, exec_lo
	v_cmpx_gt_u32_e32 8, v0
	s_xor_b32 s10, exec_lo, s0
	s_cbranch_execz .LBB0_33
; %bb.28:                               ;   in Loop: Header=BB0_3 Depth=1
	v_mov_b64_e32 v[18:19], 0
	s_mov_b32 s11, exec_lo
	v_cmpx_ne_u32_e32 0, v0
	s_cbranch_execz .LBB0_32
; %bb.29:                               ;   in Loop: Header=BB0_3 Depth=1
	v_mov_b64_e32 v[18:19], 0
	s_mov_b64 s[0:1], 0
	s_mov_b32 s12, 0
	s_mov_b64 s[4:5], 0
.LBB0_30:                               ;   Parent Loop BB0_3 Depth=1
                                        ; =>  This Inner Loop Header: Depth=2
	s_delay_alu instid0(SALU_CYCLE_1) | instskip(SKIP_1) | instid1(SALU_CYCLE_1)
	v_add_nc_u64_e32 v[22:23], s[4:5], v[20:21]
	s_add_nc_u64 s[4:5], s[4:5], 1
	v_cmp_eq_u32_e32 vcc_lo, s4, v0
	global_load_u8 v6, v[22:23], off
	s_wait_xcnt 0x0
	v_mov_b32_e32 v23, s6
	s_or_b32 s12, vcc_lo, s12
	s_wait_loadcnt 0x0
	v_and_b32_e32 v22, 0xffff, v6
	s_delay_alu instid0(VALU_DEP_1) | instskip(SKIP_1) | instid1(VALU_DEP_1)
	v_lshlrev_b64_e32 v[22:23], s0, v[22:23]
	s_add_nc_u64 s[0:1], s[0:1], 8
	v_or_b32_e32 v19, v23, v19
	s_delay_alu instid0(VALU_DEP_2)
	v_or_b32_e32 v18, v22, v18
	s_and_not1_b32 exec_lo, exec_lo, s12
	s_cbranch_execnz .LBB0_30
; %bb.31:                               ;   in Loop: Header=BB0_3 Depth=1
	s_or_b32 exec_lo, exec_lo, s12
.LBB0_32:                               ;   in Loop: Header=BB0_3 Depth=1
	s_delay_alu instid0(SALU_CYCLE_1)
	s_or_b32 exec_lo, exec_lo, s11
	v_mov_b64_e32 v[22:23], v[20:21]
                                        ; implicit-def: $vgpr0
.LBB0_33:                               ;   in Loop: Header=BB0_3 Depth=1
	s_or_saveexec_b32 s0, s10
	v_mov_b32_e32 v6, 0
	s_xor_b32 exec_lo, exec_lo, s0
	s_cbranch_execz .LBB0_35
; %bb.34:                               ;   in Loop: Header=BB0_3 Depth=1
	global_load_b64 v[18:19], v[20:21], off
	v_add_nc_u32_e32 v6, -8, v0
.LBB0_35:                               ;   in Loop: Header=BB0_3 Depth=1
	s_wait_xcnt 0x0
	s_or_b32 exec_lo, exec_lo, s0
	v_add_nc_u64_e32 v[24:25], 8, v[22:23]
	s_mov_b32 s0, exec_lo
	v_cmpx_gt_u32_e32 8, v6
	s_xor_b32 s10, exec_lo, s0
	s_cbranch_execz .LBB0_41
; %bb.36:                               ;   in Loop: Header=BB0_3 Depth=1
	v_mov_b64_e32 v[20:21], 0
	s_mov_b32 s11, exec_lo
	v_cmpx_ne_u32_e32 0, v6
	s_cbranch_execz .LBB0_40
; %bb.37:                               ;   in Loop: Header=BB0_3 Depth=1
	v_mov_b64_e32 v[20:21], 0
	s_mov_b64 s[0:1], 0
	s_mov_b32 s12, 0
	s_mov_b64 s[4:5], 0
.LBB0_38:                               ;   Parent Loop BB0_3 Depth=1
                                        ; =>  This Inner Loop Header: Depth=2
	s_delay_alu instid0(SALU_CYCLE_1) | instskip(SKIP_1) | instid1(SALU_CYCLE_1)
	v_add_nc_u64_e32 v[24:25], s[4:5], v[22:23]
	s_add_nc_u64 s[4:5], s[4:5], 1
	v_cmp_eq_u32_e32 vcc_lo, s4, v6
	global_load_u8 v0, v[24:25], off
	s_wait_xcnt 0x0
	v_mov_b32_e32 v25, s6
	s_or_b32 s12, vcc_lo, s12
	s_wait_loadcnt 0x0
	v_and_b32_e32 v24, 0xffff, v0
	s_delay_alu instid0(VALU_DEP_1) | instskip(SKIP_1) | instid1(VALU_DEP_1)
	v_lshlrev_b64_e32 v[24:25], s0, v[24:25]
	s_add_nc_u64 s[0:1], s[0:1], 8
	v_or_b32_e32 v21, v25, v21
	s_delay_alu instid0(VALU_DEP_2)
	v_or_b32_e32 v20, v24, v20
	s_and_not1_b32 exec_lo, exec_lo, s12
	s_cbranch_execnz .LBB0_38
; %bb.39:                               ;   in Loop: Header=BB0_3 Depth=1
	s_or_b32 exec_lo, exec_lo, s12
.LBB0_40:                               ;   in Loop: Header=BB0_3 Depth=1
	s_delay_alu instid0(SALU_CYCLE_1)
	s_or_b32 exec_lo, exec_lo, s11
	v_mov_b64_e32 v[24:25], v[22:23]
                                        ; implicit-def: $vgpr6
.LBB0_41:                               ;   in Loop: Header=BB0_3 Depth=1
	s_or_saveexec_b32 s0, s10
	v_mov_b32_e32 v0, 0
	s_xor_b32 exec_lo, exec_lo, s0
	s_cbranch_execz .LBB0_43
; %bb.42:                               ;   in Loop: Header=BB0_3 Depth=1
	global_load_b64 v[20:21], v[22:23], off
	v_add_nc_u32_e32 v0, -8, v6
.LBB0_43:                               ;   in Loop: Header=BB0_3 Depth=1
	s_wait_xcnt 0x0
	s_or_b32 exec_lo, exec_lo, s0
	v_add_nc_u64_e32 v[26:27], 8, v[24:25]
                                        ; implicit-def: $vgpr22_vgpr23
	s_mov_b32 s0, exec_lo
	v_cmpx_gt_u32_e32 8, v0
	s_xor_b32 s10, exec_lo, s0
	s_cbranch_execz .LBB0_49
; %bb.44:                               ;   in Loop: Header=BB0_3 Depth=1
	v_mov_b64_e32 v[22:23], 0
	s_mov_b32 s11, exec_lo
	v_cmpx_ne_u32_e32 0, v0
	s_cbranch_execz .LBB0_48
; %bb.45:                               ;   in Loop: Header=BB0_3 Depth=1
	v_mov_b64_e32 v[22:23], 0
	s_mov_b64 s[0:1], 0
	s_mov_b32 s12, 0
	s_mov_b64 s[4:5], 0
.LBB0_46:                               ;   Parent Loop BB0_3 Depth=1
                                        ; =>  This Inner Loop Header: Depth=2
	s_delay_alu instid0(SALU_CYCLE_1) | instskip(SKIP_1) | instid1(SALU_CYCLE_1)
	v_add_nc_u64_e32 v[26:27], s[4:5], v[24:25]
	s_add_nc_u64 s[4:5], s[4:5], 1
	v_cmp_eq_u32_e32 vcc_lo, s4, v0
	global_load_u8 v6, v[26:27], off
	s_wait_xcnt 0x0
	v_mov_b32_e32 v27, s6
	s_or_b32 s12, vcc_lo, s12
	s_wait_loadcnt 0x0
	v_and_b32_e32 v26, 0xffff, v6
	s_delay_alu instid0(VALU_DEP_1) | instskip(SKIP_1) | instid1(VALU_DEP_1)
	v_lshlrev_b64_e32 v[26:27], s0, v[26:27]
	s_add_nc_u64 s[0:1], s[0:1], 8
	v_or_b32_e32 v23, v27, v23
	s_delay_alu instid0(VALU_DEP_2)
	v_or_b32_e32 v22, v26, v22
	s_and_not1_b32 exec_lo, exec_lo, s12
	s_cbranch_execnz .LBB0_46
; %bb.47:                               ;   in Loop: Header=BB0_3 Depth=1
	s_or_b32 exec_lo, exec_lo, s12
.LBB0_48:                               ;   in Loop: Header=BB0_3 Depth=1
	s_delay_alu instid0(SALU_CYCLE_1)
	s_or_b32 exec_lo, exec_lo, s11
	v_mov_b64_e32 v[26:27], v[24:25]
                                        ; implicit-def: $vgpr0
.LBB0_49:                               ;   in Loop: Header=BB0_3 Depth=1
	s_or_saveexec_b32 s0, s10
	v_mov_b32_e32 v6, 0
	s_xor_b32 exec_lo, exec_lo, s0
	s_cbranch_execz .LBB0_51
; %bb.50:                               ;   in Loop: Header=BB0_3 Depth=1
	global_load_b64 v[22:23], v[24:25], off
	v_add_nc_u32_e32 v6, -8, v0
.LBB0_51:                               ;   in Loop: Header=BB0_3 Depth=1
	s_wait_xcnt 0x0
	s_or_b32 exec_lo, exec_lo, s0
	s_delay_alu instid0(SALU_CYCLE_1) | instskip(NEXT) | instid1(VALU_DEP_1)
	s_mov_b32 s0, exec_lo
	v_cmpx_gt_u32_e32 8, v6
	s_xor_b32 s4, exec_lo, s0
	s_cbranch_execz .LBB0_57
; %bb.52:                               ;   in Loop: Header=BB0_3 Depth=1
	v_mov_b64_e32 v[24:25], 0
	s_mov_b32 s5, exec_lo
	v_cmpx_ne_u32_e32 0, v6
	s_cbranch_execz .LBB0_56
; %bb.53:                               ;   in Loop: Header=BB0_3 Depth=1
	v_mov_b64_e32 v[24:25], 0
	s_mov_b64 s[0:1], 0
	s_mov_b32 s10, 0
.LBB0_54:                               ;   Parent Loop BB0_3 Depth=1
                                        ; =>  This Inner Loop Header: Depth=2
	global_load_u8 v0, v[26:27], off
	v_dual_mov_b32 v29, s6 :: v_dual_add_nc_u32 v6, -1, v6
	s_wait_xcnt 0x0
	v_add_nc_u64_e32 v[26:27], 1, v[26:27]
	s_delay_alu instid0(VALU_DEP_2) | instskip(SKIP_3) | instid1(VALU_DEP_1)
	v_cmp_eq_u32_e32 vcc_lo, 0, v6
	s_or_b32 s10, vcc_lo, s10
	s_wait_loadcnt 0x0
	v_and_b32_e32 v28, 0xffff, v0
	v_lshlrev_b64_e32 v[28:29], s0, v[28:29]
	s_add_nc_u64 s[0:1], s[0:1], 8
	s_delay_alu instid0(VALU_DEP_1) | instskip(NEXT) | instid1(VALU_DEP_2)
	v_or_b32_e32 v25, v29, v25
	v_or_b32_e32 v24, v28, v24
	s_and_not1_b32 exec_lo, exec_lo, s10
	s_cbranch_execnz .LBB0_54
; %bb.55:                               ;   in Loop: Header=BB0_3 Depth=1
	s_or_b32 exec_lo, exec_lo, s10
.LBB0_56:                               ;   in Loop: Header=BB0_3 Depth=1
	s_delay_alu instid0(SALU_CYCLE_1)
	s_or_b32 exec_lo, exec_lo, s5
                                        ; implicit-def: $vgpr26_vgpr27
.LBB0_57:                               ;   in Loop: Header=BB0_3 Depth=1
	s_and_not1_saveexec_b32 s0, s4
	s_cbranch_execz .LBB0_59
; %bb.58:                               ;   in Loop: Header=BB0_3 Depth=1
	global_load_b64 v[24:25], v[26:27], off
.LBB0_59:                               ;   in Loop: Header=BB0_3 Depth=1
	s_wait_xcnt 0x0
	s_or_b32 exec_lo, exec_lo, s0
	v_readfirstlane_b32 s0, v30
	v_mov_b64_e32 v[36:37], 0
	s_delay_alu instid0(VALU_DEP_2)
	v_cmp_eq_u32_e64 s0, s0, v30
	s_and_saveexec_b32 s1, s0
	s_cbranch_execz .LBB0_65
; %bb.60:                               ;   in Loop: Header=BB0_3 Depth=1
	s_wait_kmcnt 0x0
	global_load_b64 v[28:29], v7, s[2:3] offset:24 scope:SCOPE_SYS
	s_wait_loadcnt 0x0
	global_inv scope:SCOPE_SYS
	s_clause 0x1
	global_load_b64 v[26:27], v7, s[2:3] offset:40
	global_load_b64 v[36:37], v7, s[2:3]
	s_mov_b32 s4, exec_lo
	s_wait_loadcnt 0x1
	v_and_b32_e32 v26, v26, v28
	v_and_b32_e32 v27, v27, v29
	s_delay_alu instid0(VALU_DEP_1) | instskip(SKIP_1) | instid1(VALU_DEP_1)
	v_mul_u64_e32 v[26:27], 24, v[26:27]
	s_wait_loadcnt 0x0
	v_add_nc_u64_e32 v[26:27], v[36:37], v[26:27]
	global_load_b64 v[26:27], v[26:27], off scope:SCOPE_SYS
	s_wait_xcnt 0x0
	s_wait_loadcnt 0x0
	global_atomic_cmpswap_b64 v[36:37], v7, v[26:29], s[2:3] offset:24 th:TH_ATOMIC_RETURN scope:SCOPE_SYS
	s_wait_loadcnt 0x0
	global_inv scope:SCOPE_SYS
	s_wait_xcnt 0x0
	v_cmpx_ne_u64_e64 v[36:37], v[28:29]
	s_cbranch_execz .LBB0_64
; %bb.61:                               ;   in Loop: Header=BB0_3 Depth=1
	s_mov_b32 s5, 0
.LBB0_62:                               ;   Parent Loop BB0_3 Depth=1
                                        ; =>  This Inner Loop Header: Depth=2
	s_sleep 1
	s_clause 0x1
	global_load_b64 v[26:27], v7, s[2:3] offset:40
	global_load_b64 v[38:39], v7, s[2:3]
	v_mov_b64_e32 v[28:29], v[36:37]
	s_wait_loadcnt 0x1
	s_delay_alu instid0(VALU_DEP_1) | instskip(SKIP_1) | instid1(VALU_DEP_1)
	v_and_b32_e32 v0, v26, v28
	s_wait_loadcnt 0x0
	v_mad_nc_u64_u32 v[36:37], v0, 24, v[38:39]
	s_delay_alu instid0(VALU_DEP_3) | instskip(NEXT) | instid1(VALU_DEP_1)
	v_and_b32_e32 v0, v27, v29
	v_mad_u32 v37, v0, 24, v37
	global_load_b64 v[26:27], v[36:37], off scope:SCOPE_SYS
	s_wait_xcnt 0x0
	s_wait_loadcnt 0x0
	global_atomic_cmpswap_b64 v[36:37], v7, v[26:29], s[2:3] offset:24 th:TH_ATOMIC_RETURN scope:SCOPE_SYS
	s_wait_loadcnt 0x0
	global_inv scope:SCOPE_SYS
	v_cmp_eq_u64_e32 vcc_lo, v[36:37], v[28:29]
	s_or_b32 s5, vcc_lo, s5
	s_wait_xcnt 0x0
	s_and_not1_b32 exec_lo, exec_lo, s5
	s_cbranch_execnz .LBB0_62
; %bb.63:                               ;   in Loop: Header=BB0_3 Depth=1
	s_or_b32 exec_lo, exec_lo, s5
.LBB0_64:                               ;   in Loop: Header=BB0_3 Depth=1
	s_delay_alu instid0(SALU_CYCLE_1)
	s_or_b32 exec_lo, exec_lo, s4
.LBB0_65:                               ;   in Loop: Header=BB0_3 Depth=1
	s_delay_alu instid0(SALU_CYCLE_1)
	s_or_b32 exec_lo, exec_lo, s1
	s_wait_kmcnt 0x0
	s_clause 0x1
	global_load_b64 v[38:39], v7, s[2:3] offset:40
	global_load_b128 v[26:29], v7, s[2:3]
	v_readfirstlane_b32 s4, v36
	v_readfirstlane_b32 s5, v37
	s_mov_b32 s1, exec_lo
	s_wait_loadcnt 0x1
	v_and_b32_e32 v38, s4, v38
	v_and_b32_e32 v39, s5, v39
	s_delay_alu instid0(VALU_DEP_1) | instskip(SKIP_1) | instid1(VALU_DEP_1)
	v_mul_u64_e32 v[36:37], 24, v[38:39]
	s_wait_loadcnt 0x0
	v_add_nc_u64_e32 v[36:37], v[26:27], v[36:37]
	s_wait_xcnt 0x0
	s_and_saveexec_b32 s10, s0
	s_cbranch_execz .LBB0_67
; %bb.66:                               ;   in Loop: Header=BB0_3 Depth=1
	v_mov_b32_e32 v6, s1
	global_store_b128 v[36:37], v[6:9], off offset:8
.LBB0_67:                               ;   in Loop: Header=BB0_3 Depth=1
	s_wait_xcnt 0x0
	s_or_b32 exec_lo, exec_lo, s10
	v_cmp_gt_u64_e32 vcc_lo, 57, v[4:5]
	v_lshlrev_b64_e32 v[38:39], 12, v[38:39]
	v_and_b32_e32 v6, 0xffffff1f, v10
	v_lshl_add_u32 v10, v34, 2, 28
	v_cndmask_b32_e32 v0, 0, v2, vcc_lo
	s_delay_alu instid0(VALU_DEP_4) | instskip(NEXT) | instid1(VALU_DEP_2)
	v_add_nc_u64_e32 v[28:29], v[28:29], v[38:39]
	v_dual_lshlrev_b32 v6, 6, v30 :: v_dual_bitop2_b32 v0, v6, v0 bitop3:0x54
	s_delay_alu instid0(VALU_DEP_2) | instskip(NEXT) | instid1(VALU_DEP_3)
	v_readfirstlane_b32 s10, v28
	v_readfirstlane_b32 s11, v29
	s_delay_alu instid0(VALU_DEP_3)
	v_and_or_b32 v10, 0x1e0, v10, v0
	s_clause 0x3
	global_store_b128 v6, v[10:13], s[10:11]
	global_store_b128 v6, v[14:17], s[10:11] offset:16
	global_store_b128 v6, v[18:21], s[10:11] offset:32
	;; [unrolled: 1-line block ×3, first 2 shown]
	s_wait_xcnt 0x0
	s_and_saveexec_b32 s1, s0
	s_cbranch_execz .LBB0_75
; %bb.68:                               ;   in Loop: Header=BB0_3 Depth=1
	s_clause 0x1
	global_load_b64 v[18:19], v7, s[2:3] offset:32 scope:SCOPE_SYS
	global_load_b64 v[10:11], v7, s[2:3] offset:40
	s_mov_b32 s10, exec_lo
	v_dual_mov_b32 v16, s4 :: v_dual_mov_b32 v17, s5
	s_wait_loadcnt 0x0
	v_and_b32_e32 v11, s5, v11
	v_and_b32_e32 v10, s4, v10
	s_delay_alu instid0(VALU_DEP_1) | instskip(NEXT) | instid1(VALU_DEP_1)
	v_mul_u64_e32 v[10:11], 24, v[10:11]
	v_add_nc_u64_e32 v[14:15], v[26:27], v[10:11]
	global_store_b64 v[14:15], v[18:19], off
	global_wb scope:SCOPE_SYS
	s_wait_storecnt 0x0
	s_wait_xcnt 0x0
	global_atomic_cmpswap_b64 v[12:13], v7, v[16:19], s[2:3] offset:32 th:TH_ATOMIC_RETURN scope:SCOPE_SYS
	s_wait_loadcnt 0x0
	v_cmpx_ne_u64_e64 v[12:13], v[18:19]
	s_cbranch_execz .LBB0_71
; %bb.69:                               ;   in Loop: Header=BB0_3 Depth=1
	s_mov_b32 s11, 0
.LBB0_70:                               ;   Parent Loop BB0_3 Depth=1
                                        ; =>  This Inner Loop Header: Depth=2
	v_dual_mov_b32 v10, s4 :: v_dual_mov_b32 v11, s5
	s_sleep 1
	global_store_b64 v[14:15], v[12:13], off
	global_wb scope:SCOPE_SYS
	s_wait_storecnt 0x0
	s_wait_xcnt 0x0
	global_atomic_cmpswap_b64 v[10:11], v7, v[10:13], s[2:3] offset:32 th:TH_ATOMIC_RETURN scope:SCOPE_SYS
	s_wait_loadcnt 0x0
	v_cmp_eq_u64_e32 vcc_lo, v[10:11], v[12:13]
	v_mov_b64_e32 v[12:13], v[10:11]
	s_or_b32 s11, vcc_lo, s11
	s_delay_alu instid0(SALU_CYCLE_1)
	s_and_not1_b32 exec_lo, exec_lo, s11
	s_cbranch_execnz .LBB0_70
.LBB0_71:                               ;   in Loop: Header=BB0_3 Depth=1
	s_or_b32 exec_lo, exec_lo, s10
	global_load_b64 v[10:11], v7, s[2:3] offset:16
	s_mov_b32 s11, exec_lo
	s_mov_b32 s10, exec_lo
	v_mbcnt_lo_u32_b32 v0, s11, 0
	s_wait_xcnt 0x0
	s_delay_alu instid0(VALU_DEP_1)
	v_cmpx_eq_u32_e32 0, v0
	s_cbranch_execz .LBB0_73
; %bb.72:                               ;   in Loop: Header=BB0_3 Depth=1
	s_bcnt1_i32_b32 s11, s11
	s_delay_alu instid0(SALU_CYCLE_1)
	v_dual_mov_b32 v13, v7 :: v_dual_mov_b32 v12, s11
	global_wb scope:SCOPE_SYS
	s_wait_loadcnt 0x0
	s_wait_storecnt 0x0
	global_atomic_add_u64 v[10:11], v[12:13], off offset:8 scope:SCOPE_SYS
.LBB0_73:                               ;   in Loop: Header=BB0_3 Depth=1
	s_wait_xcnt 0x0
	s_or_b32 exec_lo, exec_lo, s10
	s_wait_loadcnt 0x0
	global_load_b64 v[12:13], v[10:11], off offset:16
	s_wait_loadcnt 0x0
	v_cmp_eq_u64_e32 vcc_lo, 0, v[12:13]
	s_cbranch_vccnz .LBB0_75
; %bb.74:                               ;   in Loop: Header=BB0_3 Depth=1
	global_load_b32 v10, v[10:11], off offset:24
	s_wait_xcnt 0x0
	v_mov_b32_e32 v11, v7
	s_wait_loadcnt 0x0
	v_readfirstlane_b32 s10, v10
	global_wb scope:SCOPE_SYS
	s_wait_storecnt 0x0
	global_store_b64 v[12:13], v[10:11], off scope:SCOPE_SYS
	s_and_b32 m0, s10, 0xffffff
	s_sendmsg sendmsg(MSG_INTERRUPT)
.LBB0_75:                               ;   in Loop: Header=BB0_3 Depth=1
	s_wait_xcnt 0x0
	s_or_b32 exec_lo, exec_lo, s1
	v_add_nc_u64_e32 v[10:11], v[28:29], v[6:7]
	s_branch .LBB0_79
.LBB0_76:                               ;   in Loop: Header=BB0_79 Depth=2
	s_wait_xcnt 0x0
	s_or_b32 exec_lo, exec_lo, s1
	s_delay_alu instid0(VALU_DEP_1)
	v_readfirstlane_b32 s1, v0
	s_cmp_eq_u32 s1, 0
	s_cbranch_scc1 .LBB0_78
; %bb.77:                               ;   in Loop: Header=BB0_79 Depth=2
	s_sleep 1
	s_cbranch_execnz .LBB0_79
	s_branch .LBB0_81
.LBB0_78:                               ;   in Loop: Header=BB0_3 Depth=1
	s_branch .LBB0_81
.LBB0_79:                               ;   Parent Loop BB0_3 Depth=1
                                        ; =>  This Inner Loop Header: Depth=2
	v_mov_b32_e32 v0, 1
	s_and_saveexec_b32 s1, s0
	s_cbranch_execz .LBB0_76
; %bb.80:                               ;   in Loop: Header=BB0_79 Depth=2
	global_load_b32 v0, v[36:37], off offset:20 scope:SCOPE_SYS
	s_wait_loadcnt 0x0
	global_inv scope:SCOPE_SYS
	v_and_b32_e32 v0, 1, v0
	s_branch .LBB0_76
.LBB0_81:                               ;   in Loop: Header=BB0_3 Depth=1
	global_load_b128 v[10:13], v[10:11], off
	s_wait_xcnt 0x0
	s_and_saveexec_b32 s10, s0
	s_cbranch_execz .LBB0_2
; %bb.82:                               ;   in Loop: Header=BB0_3 Depth=1
	s_wait_loadcnt 0x0
	s_clause 0x2
	global_load_b64 v[12:13], v7, s[2:3] offset:40
	global_load_b64 v[20:21], v7, s[2:3] offset:24 scope:SCOPE_SYS
	global_load_b64 v[14:15], v7, s[2:3]
	s_wait_loadcnt 0x2
	v_readfirstlane_b32 s12, v12
	v_readfirstlane_b32 s13, v13
	s_add_nc_u64 s[0:1], s[12:13], 1
	s_delay_alu instid0(SALU_CYCLE_1) | instskip(NEXT) | instid1(SALU_CYCLE_1)
	s_add_nc_u64 s[4:5], s[0:1], s[4:5]
	s_cmp_eq_u64 s[4:5], 0
	s_cselect_b32 s1, s1, s5
	s_cselect_b32 s0, s0, s4
	s_delay_alu instid0(SALU_CYCLE_1) | instskip(SKIP_1) | instid1(SALU_CYCLE_1)
	v_dual_mov_b32 v19, s1 :: v_dual_mov_b32 v18, s0
	s_and_b64 s[4:5], s[0:1], s[12:13]
	s_mul_u64 s[4:5], s[4:5], 24
	s_wait_loadcnt 0x0
	v_add_nc_u64_e32 v[16:17], s[4:5], v[14:15]
	global_store_b64 v[16:17], v[20:21], off
	global_wb scope:SCOPE_SYS
	s_wait_storecnt 0x0
	s_wait_xcnt 0x0
	global_atomic_cmpswap_b64 v[14:15], v7, v[18:21], s[2:3] offset:24 th:TH_ATOMIC_RETURN scope:SCOPE_SYS
	s_wait_loadcnt 0x0
	v_cmp_ne_u64_e32 vcc_lo, v[14:15], v[20:21]
	s_and_b32 exec_lo, exec_lo, vcc_lo
	s_cbranch_execz .LBB0_2
; %bb.83:                               ;   in Loop: Header=BB0_3 Depth=1
	s_mov_b32 s4, 0
.LBB0_84:                               ;   Parent Loop BB0_3 Depth=1
                                        ; =>  This Inner Loop Header: Depth=2
	v_dual_mov_b32 v12, s0 :: v_dual_mov_b32 v13, s1
	s_sleep 1
	global_store_b64 v[16:17], v[14:15], off
	global_wb scope:SCOPE_SYS
	s_wait_storecnt 0x0
	s_wait_xcnt 0x0
	global_atomic_cmpswap_b64 v[12:13], v7, v[12:15], s[2:3] offset:24 th:TH_ATOMIC_RETURN scope:SCOPE_SYS
	s_wait_loadcnt 0x0
	v_cmp_eq_u64_e32 vcc_lo, v[12:13], v[14:15]
	v_mov_b64_e32 v[14:15], v[12:13]
	s_or_b32 s4, vcc_lo, s4
	s_delay_alu instid0(SALU_CYCLE_1)
	s_and_not1_b32 exec_lo, exec_lo, s4
	s_cbranch_execnz .LBB0_84
	s_branch .LBB0_2
.LBB0_85:
	s_or_b32 exec_lo, exec_lo, s7
	s_branch .LBB0_114
.LBB0_86:
	s_load_b64 s[2:3], s[8:9], 0x50
	v_readfirstlane_b32 s0, v30
	v_mov_b64_e32 v[8:9], 0
	s_delay_alu instid0(VALU_DEP_2)
	v_cmp_eq_u32_e64 s0, s0, v30
	s_and_saveexec_b32 s1, s0
	s_cbranch_execz .LBB0_92
; %bb.87:
	v_mov_b32_e32 v0, 0
	s_mov_b32 s4, exec_lo
	s_wait_kmcnt 0x0
	global_load_b64 v[6:7], v0, s[2:3] offset:24 scope:SCOPE_SYS
	s_wait_loadcnt 0x0
	global_inv scope:SCOPE_SYS
	s_clause 0x1
	global_load_b64 v[4:5], v0, s[2:3] offset:40
	global_load_b64 v[8:9], v0, s[2:3]
	s_wait_loadcnt 0x1
	v_and_b32_e32 v4, v4, v6
	v_and_b32_e32 v5, v5, v7
	s_delay_alu instid0(VALU_DEP_1) | instskip(SKIP_1) | instid1(VALU_DEP_1)
	v_mul_u64_e32 v[4:5], 24, v[4:5]
	s_wait_loadcnt 0x0
	v_add_nc_u64_e32 v[4:5], v[8:9], v[4:5]
	global_load_b64 v[4:5], v[4:5], off scope:SCOPE_SYS
	s_wait_xcnt 0x0
	s_wait_loadcnt 0x0
	global_atomic_cmpswap_b64 v[8:9], v0, v[4:7], s[2:3] offset:24 th:TH_ATOMIC_RETURN scope:SCOPE_SYS
	s_wait_loadcnt 0x0
	global_inv scope:SCOPE_SYS
	s_wait_xcnt 0x0
	v_cmpx_ne_u64_e64 v[8:9], v[6:7]
	s_cbranch_execz .LBB0_91
; %bb.88:
	s_mov_b32 s5, 0
.LBB0_89:                               ; =>This Inner Loop Header: Depth=1
	s_sleep 1
	s_clause 0x1
	global_load_b64 v[4:5], v0, s[2:3] offset:40
	global_load_b64 v[10:11], v0, s[2:3]
	v_mov_b64_e32 v[6:7], v[8:9]
	s_wait_loadcnt 0x1
	s_delay_alu instid0(VALU_DEP_1) | instskip(SKIP_1) | instid1(VALU_DEP_1)
	v_and_b32_e32 v2, v4, v6
	s_wait_loadcnt 0x0
	v_mad_nc_u64_u32 v[8:9], v2, 24, v[10:11]
	s_delay_alu instid0(VALU_DEP_3) | instskip(NEXT) | instid1(VALU_DEP_1)
	v_and_b32_e32 v2, v5, v7
	v_mad_u32 v9, v2, 24, v9
	global_load_b64 v[4:5], v[8:9], off scope:SCOPE_SYS
	s_wait_xcnt 0x0
	s_wait_loadcnt 0x0
	global_atomic_cmpswap_b64 v[8:9], v0, v[4:7], s[2:3] offset:24 th:TH_ATOMIC_RETURN scope:SCOPE_SYS
	s_wait_loadcnt 0x0
	global_inv scope:SCOPE_SYS
	v_cmp_eq_u64_e32 vcc_lo, v[8:9], v[6:7]
	s_or_b32 s5, vcc_lo, s5
	s_wait_xcnt 0x0
	s_and_not1_b32 exec_lo, exec_lo, s5
	s_cbranch_execnz .LBB0_89
; %bb.90:
	s_or_b32 exec_lo, exec_lo, s5
.LBB0_91:
	s_delay_alu instid0(SALU_CYCLE_1)
	s_or_b32 exec_lo, exec_lo, s4
.LBB0_92:
	s_delay_alu instid0(SALU_CYCLE_1)
	s_or_b32 exec_lo, exec_lo, s1
	v_readfirstlane_b32 s4, v8
	v_mov_b32_e32 v2, 0
	v_readfirstlane_b32 s5, v9
	s_mov_b32 s1, exec_lo
	s_wait_loadcnt 0x0
	s_wait_kmcnt 0x0
	s_clause 0x1
	global_load_b64 v[10:11], v2, s[2:3] offset:40
	global_load_b128 v[4:7], v2, s[2:3]
	s_wait_loadcnt 0x1
	v_and_b32_e32 v10, s4, v10
	v_and_b32_e32 v11, s5, v11
	s_delay_alu instid0(VALU_DEP_1) | instskip(SKIP_1) | instid1(VALU_DEP_1)
	v_mul_u64_e32 v[8:9], 24, v[10:11]
	s_wait_loadcnt 0x0
	v_add_nc_u64_e32 v[8:9], v[4:5], v[8:9]
	s_wait_xcnt 0x0
	s_and_saveexec_b32 s6, s0
	s_cbranch_execz .LBB0_94
; %bb.93:
	v_mov_b64_e32 v[14:15], 0x100000002
	v_dual_mov_b32 v12, s1 :: v_dual_mov_b32 v13, v2
	global_store_b128 v[8:9], v[12:15], off offset:8
.LBB0_94:
	s_wait_xcnt 0x0
	s_or_b32 exec_lo, exec_lo, s6
	v_lshlrev_b64_e32 v[10:11], 12, v[10:11]
	s_mov_b32 s8, 0
	v_and_or_b32 v0, 0xffffff1f, v3, 32
	s_mov_b32 s10, s8
	s_mov_b32 s11, s8
	;; [unrolled: 1-line block ×3, first 2 shown]
	v_dual_mov_b32 v3, v2 :: v_dual_lshlrev_b32 v14, 6, v30
	v_add_nc_u64_e32 v[6:7], v[6:7], v[10:11]
	v_mov_b64_e32 v[12:13], s[10:11]
	v_mov_b64_e32 v[10:11], s[8:9]
	s_delay_alu instid0(VALU_DEP_3) | instskip(NEXT) | instid1(VALU_DEP_4)
	v_readfirstlane_b32 s6, v6
	v_readfirstlane_b32 s7, v7
	s_clause 0x3
	global_store_b128 v14, v[0:3], s[6:7]
	global_store_b128 v14, v[10:13], s[6:7] offset:16
	global_store_b128 v14, v[10:13], s[6:7] offset:32
	;; [unrolled: 1-line block ×3, first 2 shown]
	s_wait_xcnt 0x0
	s_and_saveexec_b32 s1, s0
	s_cbranch_execz .LBB0_102
; %bb.95:
	v_dual_mov_b32 v6, 0 :: v_dual_mov_b32 v11, s5
	s_mov_b32 s6, exec_lo
	s_clause 0x1
	global_load_b64 v[12:13], v6, s[2:3] offset:32 scope:SCOPE_SYS
	global_load_b64 v[0:1], v6, s[2:3] offset:40
	s_wait_loadcnt 0x0
	v_dual_mov_b32 v10, s4 :: v_dual_bitop2_b32 v1, s5, v1 bitop3:0x40
	v_and_b32_e32 v0, s4, v0
	s_delay_alu instid0(VALU_DEP_1) | instskip(NEXT) | instid1(VALU_DEP_1)
	v_mul_u64_e32 v[0:1], 24, v[0:1]
	v_add_nc_u64_e32 v[4:5], v[4:5], v[0:1]
	global_store_b64 v[4:5], v[12:13], off
	global_wb scope:SCOPE_SYS
	s_wait_storecnt 0x0
	s_wait_xcnt 0x0
	global_atomic_cmpswap_b64 v[2:3], v6, v[10:13], s[2:3] offset:32 th:TH_ATOMIC_RETURN scope:SCOPE_SYS
	s_wait_loadcnt 0x0
	v_cmpx_ne_u64_e64 v[2:3], v[12:13]
	s_cbranch_execz .LBB0_98
; %bb.96:
	s_mov_b32 s7, 0
.LBB0_97:                               ; =>This Inner Loop Header: Depth=1
	v_dual_mov_b32 v0, s4 :: v_dual_mov_b32 v1, s5
	s_sleep 1
	global_store_b64 v[4:5], v[2:3], off
	global_wb scope:SCOPE_SYS
	s_wait_storecnt 0x0
	s_wait_xcnt 0x0
	global_atomic_cmpswap_b64 v[0:1], v6, v[0:3], s[2:3] offset:32 th:TH_ATOMIC_RETURN scope:SCOPE_SYS
	s_wait_loadcnt 0x0
	v_cmp_eq_u64_e32 vcc_lo, v[0:1], v[2:3]
	v_mov_b64_e32 v[2:3], v[0:1]
	s_or_b32 s7, vcc_lo, s7
	s_delay_alu instid0(SALU_CYCLE_1)
	s_and_not1_b32 exec_lo, exec_lo, s7
	s_cbranch_execnz .LBB0_97
.LBB0_98:
	s_or_b32 exec_lo, exec_lo, s6
	v_mov_b32_e32 v3, 0
	s_mov_b32 s7, exec_lo
	s_mov_b32 s6, exec_lo
	v_mbcnt_lo_u32_b32 v2, s7, 0
	global_load_b64 v[0:1], v3, s[2:3] offset:16
	s_wait_xcnt 0x0
	v_cmpx_eq_u32_e32 0, v2
	s_cbranch_execz .LBB0_100
; %bb.99:
	s_bcnt1_i32_b32 s7, s7
	s_delay_alu instid0(SALU_CYCLE_1)
	v_mov_b32_e32 v2, s7
	global_wb scope:SCOPE_SYS
	s_wait_loadcnt 0x0
	s_wait_storecnt 0x0
	global_atomic_add_u64 v[0:1], v[2:3], off offset:8 scope:SCOPE_SYS
.LBB0_100:
	s_wait_xcnt 0x0
	s_or_b32 exec_lo, exec_lo, s6
	s_wait_loadcnt 0x0
	global_load_b64 v[2:3], v[0:1], off offset:16
	s_wait_loadcnt 0x0
	v_cmp_eq_u64_e32 vcc_lo, 0, v[2:3]
	s_cbranch_vccnz .LBB0_102
; %bb.101:
	global_load_b32 v0, v[0:1], off offset:24
	s_wait_xcnt 0x0
	v_mov_b32_e32 v1, 0
	s_wait_loadcnt 0x0
	v_readfirstlane_b32 s6, v0
	global_wb scope:SCOPE_SYS
	s_wait_storecnt 0x0
	global_store_b64 v[2:3], v[0:1], off scope:SCOPE_SYS
	s_and_b32 m0, s6, 0xffffff
	s_sendmsg sendmsg(MSG_INTERRUPT)
.LBB0_102:
	s_wait_xcnt 0x0
	s_or_b32 exec_lo, exec_lo, s1
	s_branch .LBB0_106
.LBB0_103:                              ;   in Loop: Header=BB0_106 Depth=1
	s_wait_xcnt 0x0
	s_or_b32 exec_lo, exec_lo, s1
	s_delay_alu instid0(VALU_DEP_1)
	v_readfirstlane_b32 s1, v0
	s_cmp_eq_u32 s1, 0
	s_cbranch_scc1 .LBB0_105
; %bb.104:                              ;   in Loop: Header=BB0_106 Depth=1
	s_sleep 1
	s_cbranch_execnz .LBB0_106
	s_branch .LBB0_108
.LBB0_105:
	s_branch .LBB0_108
.LBB0_106:                              ; =>This Inner Loop Header: Depth=1
	v_mov_b32_e32 v0, 1
	s_and_saveexec_b32 s1, s0
	s_cbranch_execz .LBB0_103
; %bb.107:                              ;   in Loop: Header=BB0_106 Depth=1
	global_load_b32 v0, v[8:9], off offset:20 scope:SCOPE_SYS
	s_wait_loadcnt 0x0
	global_inv scope:SCOPE_SYS
	v_and_b32_e32 v0, 1, v0
	s_branch .LBB0_103
.LBB0_108:
	s_and_saveexec_b32 s6, s0
	s_cbranch_execz .LBB0_112
; %bb.109:
	v_mov_b32_e32 v6, 0
	s_clause 0x2
	global_load_b64 v[0:1], v6, s[2:3] offset:40
	global_load_b64 v[10:11], v6, s[2:3] offset:24 scope:SCOPE_SYS
	global_load_b64 v[2:3], v6, s[2:3]
	s_wait_loadcnt 0x2
	v_readfirstlane_b32 s8, v0
	v_readfirstlane_b32 s9, v1
	s_add_nc_u64 s[0:1], s[8:9], 1
	s_delay_alu instid0(SALU_CYCLE_1) | instskip(NEXT) | instid1(SALU_CYCLE_1)
	s_add_nc_u64 s[4:5], s[0:1], s[4:5]
	s_cmp_eq_u64 s[4:5], 0
	s_cselect_b32 s1, s1, s5
	s_cselect_b32 s0, s0, s4
	v_mov_b32_e32 v9, s1
	s_and_b64 s[4:5], s[0:1], s[8:9]
	v_mov_b32_e32 v8, s0
	s_mul_u64 s[4:5], s[4:5], 24
	s_wait_loadcnt 0x0
	v_add_nc_u64_e32 v[4:5], s[4:5], v[2:3]
	global_store_b64 v[4:5], v[10:11], off
	global_wb scope:SCOPE_SYS
	s_wait_storecnt 0x0
	s_wait_xcnt 0x0
	global_atomic_cmpswap_b64 v[2:3], v6, v[8:11], s[2:3] offset:24 th:TH_ATOMIC_RETURN scope:SCOPE_SYS
	s_wait_loadcnt 0x0
	v_cmp_ne_u64_e32 vcc_lo, v[2:3], v[10:11]
	s_and_b32 exec_lo, exec_lo, vcc_lo
	s_cbranch_execz .LBB0_112
; %bb.110:
	s_mov_b32 s4, 0
.LBB0_111:                              ; =>This Inner Loop Header: Depth=1
	v_dual_mov_b32 v0, s0 :: v_dual_mov_b32 v1, s1
	s_sleep 1
	global_store_b64 v[4:5], v[2:3], off
	global_wb scope:SCOPE_SYS
	s_wait_storecnt 0x0
	s_wait_xcnt 0x0
	global_atomic_cmpswap_b64 v[0:1], v6, v[0:3], s[2:3] offset:24 th:TH_ATOMIC_RETURN scope:SCOPE_SYS
	s_wait_loadcnt 0x0
	v_cmp_eq_u64_e32 vcc_lo, v[0:1], v[2:3]
	v_mov_b64_e32 v[2:3], v[0:1]
	s_or_b32 s4, vcc_lo, s4
	s_delay_alu instid0(SALU_CYCLE_1)
	s_and_not1_b32 exec_lo, exec_lo, s4
	s_cbranch_execnz .LBB0_111
.LBB0_112:
	s_or_b32 exec_lo, exec_lo, s6
	s_wait_loadcnt 0x0
	s_wait_kmcnt 0x0
	s_set_pc_i64 s[30:31]
.LBB0_113:
	s_cbranch_execnz .LBB0_86
.LBB0_114:
	s_wait_loadcnt 0x0
	s_wait_kmcnt 0x0
	s_set_pc_i64 s[30:31]
.Lfunc_end0:
	.size	__ockl_fprintf_append_string_n, .Lfunc_end0-__ockl_fprintf_append_string_n
                                        ; -- End function
	.set .L__ockl_fprintf_append_string_n.num_vgpr, 40
	.set .L__ockl_fprintf_append_string_n.num_agpr, 0
	.set .L__ockl_fprintf_append_string_n.numbered_sgpr, 32
	.set .L__ockl_fprintf_append_string_n.num_named_barrier, 0
	.set .L__ockl_fprintf_append_string_n.private_seg_size, 0
	.set .L__ockl_fprintf_append_string_n.uses_vcc, 1
	.set .L__ockl_fprintf_append_string_n.uses_flat_scratch, 0
	.set .L__ockl_fprintf_append_string_n.has_dyn_sized_stack, 0
	.set .L__ockl_fprintf_append_string_n.has_recursion, 0
	.set .L__ockl_fprintf_append_string_n.has_indirect_call, 0
	.section	.AMDGPU.csdata,"",@progbits
; Function info:
; codeLenInByte = 4324
; TotalNumSgprs: 34
; NumVgprs: 40
; ScratchSize: 0
; MemoryBound: 0
	.text
	.p2align	2                               ; -- Begin function __assert_fail
	.type	__assert_fail,@function
__assert_fail:                          ; @__assert_fail
; %bb.0:
	s_wait_loadcnt_dscnt 0x0
	s_wait_kmcnt 0x0
	s_mov_b32 s20, s33
	s_mov_b32 s33, s32
	s_or_saveexec_b32 s0, -1
	scratch_store_b32 off, v40, s33 offset:48 ; 4-byte Folded Spill
	s_wait_xcnt 0x0
	s_mov_b32 exec_lo, s0
	v_writelane_b32 v40, s30, 0
	s_add_co_i32 s32, s32, 64
	v_writelane_b32 v40, s31, 1
	v_dual_mov_b32 v31, v2 :: v_dual_mov_b32 v30, v1
	v_mov_b32_e32 v1, 0
	s_get_pc_i64 s[0:1]
	s_add_nc_u64 s[0:1], s[0:1], __const.__assert_fail.fmt@rel64+35
	s_get_pc_i64 s[10:11]
	s_add_nc_u64 s[10:11], s[10:11], __const.__assert_fail.fmt@rel64+20
	v_mbcnt_lo_u32_b32 v50, -1, 0
	v_mov_b64_e32 v[6:7], 0
	global_load_b128 v[2:5], v1, s[0:1]
	s_wait_xcnt 0x0
	s_get_pc_i64 s[0:1]
	s_add_nc_u64 s[0:1], s[0:1], __const.__assert_fail.fmt@rel64+4
	s_clause 0x1
	s_load_b128 s[4:7], s[0:1], 0x0
	s_load_b128 s[12:15], s[10:11], 0x0
	s_load_b64 s[2:3], s[8:9], 0x50
	s_wait_xcnt 0x0
	v_readfirstlane_b32 s0, v50
	s_delay_alu instid0(VALU_DEP_1)
	v_cmp_eq_u32_e64 s0, s0, v50
	s_wait_kmcnt 0x0
	v_mov_b64_e32 v[10:11], s[6:7]
	v_mov_b64_e32 v[8:9], s[4:5]
	;; [unrolled: 1-line block ×4, first 2 shown]
	s_clause 0x1
	scratch_store_b128 off, v[8:11], s33
	scratch_store_b128 off, v[12:15], s33 offset:16
	s_wait_loadcnt 0x0
	scratch_store_b128 off, v[2:5], s33 offset:31
	s_wait_xcnt 0x0
	s_and_saveexec_b32 s1, s0
	s_cbranch_execz .LBB1_6
; %bb.1:
	global_load_b64 v[4:5], v1, s[2:3] offset:24 scope:SCOPE_SYS
	s_wait_loadcnt 0x0
	global_inv scope:SCOPE_SYS
	s_clause 0x1
	global_load_b64 v[2:3], v1, s[2:3] offset:40
	global_load_b64 v[6:7], v1, s[2:3]
	s_mov_b32 s4, exec_lo
	s_wait_loadcnt 0x1
	v_and_b32_e32 v2, v2, v4
	v_and_b32_e32 v3, v3, v5
	s_delay_alu instid0(VALU_DEP_1) | instskip(SKIP_1) | instid1(VALU_DEP_1)
	v_mul_u64_e32 v[2:3], 24, v[2:3]
	s_wait_loadcnt 0x0
	v_add_nc_u64_e32 v[2:3], v[6:7], v[2:3]
	global_load_b64 v[2:3], v[2:3], off scope:SCOPE_SYS
	s_wait_xcnt 0x0
	s_wait_loadcnt 0x0
	global_atomic_cmpswap_b64 v[6:7], v1, v[2:5], s[2:3] offset:24 th:TH_ATOMIC_RETURN scope:SCOPE_SYS
	s_wait_loadcnt 0x0
	global_inv scope:SCOPE_SYS
	s_wait_xcnt 0x0
	v_cmpx_ne_u64_e64 v[6:7], v[4:5]
	s_cbranch_execz .LBB1_5
; %bb.2:
	v_mov_b32_e32 v2, 0
	s_mov_b32 s5, 0
.LBB1_3:                                ; =>This Inner Loop Header: Depth=1
	s_sleep 1
	s_clause 0x1
	global_load_b64 v[4:5], v2, s[2:3] offset:40
	global_load_b64 v[10:11], v2, s[2:3]
	v_mov_b64_e32 v[8:9], v[6:7]
	s_wait_loadcnt 0x1
	s_delay_alu instid0(VALU_DEP_1) | instskip(SKIP_1) | instid1(VALU_DEP_1)
	v_and_b32_e32 v3, v4, v8
	s_wait_loadcnt 0x0
	v_mad_nc_u64_u32 v[6:7], v3, 24, v[10:11]
	s_delay_alu instid0(VALU_DEP_3) | instskip(NEXT) | instid1(VALU_DEP_1)
	v_and_b32_e32 v3, v5, v9
	v_mad_u32 v7, v3, 24, v7
	global_load_b64 v[6:7], v[6:7], off scope:SCOPE_SYS
	s_wait_xcnt 0x0
	s_wait_loadcnt 0x0
	global_atomic_cmpswap_b64 v[6:7], v2, v[6:9], s[2:3] offset:24 th:TH_ATOMIC_RETURN scope:SCOPE_SYS
	s_wait_loadcnt 0x0
	global_inv scope:SCOPE_SYS
	v_cmp_eq_u64_e32 vcc_lo, v[6:7], v[8:9]
	s_or_b32 s5, vcc_lo, s5
	s_wait_xcnt 0x0
	s_and_not1_b32 exec_lo, exec_lo, s5
	s_cbranch_execnz .LBB1_3
; %bb.4:
	s_or_b32 exec_lo, exec_lo, s5
.LBB1_5:
	s_delay_alu instid0(SALU_CYCLE_1)
	s_or_b32 exec_lo, exec_lo, s4
.LBB1_6:
	s_delay_alu instid0(SALU_CYCLE_1)
	s_or_b32 exec_lo, exec_lo, s1
	s_clause 0x1
	global_load_b64 v[8:9], v1, s[2:3] offset:40
	global_load_b128 v[2:5], v1, s[2:3]
	v_readfirstlane_b32 s4, v6
	v_readfirstlane_b32 s5, v7
	s_mov_b32 s1, exec_lo
	s_wait_loadcnt 0x1
	v_and_b32_e32 v8, s4, v8
	v_and_b32_e32 v9, s5, v9
	s_delay_alu instid0(VALU_DEP_1) | instskip(SKIP_1) | instid1(VALU_DEP_1)
	v_mul_u64_e32 v[6:7], 24, v[8:9]
	s_wait_loadcnt 0x0
	v_add_nc_u64_e32 v[6:7], v[2:3], v[6:7]
	s_wait_xcnt 0x0
	s_and_saveexec_b32 s6, s0
	s_cbranch_execz .LBB1_8
; %bb.7:
	v_mov_b64_e32 v[12:13], 0x100000002
	v_dual_mov_b32 v10, s1 :: v_dual_mov_b32 v11, 0
	global_store_b128 v[6:7], v[10:13], off offset:8
.LBB1_8:
	s_wait_xcnt 0x0
	s_or_b32 exec_lo, exec_lo, s6
	v_lshlrev_b64_e32 v[8:9], 12, v[8:9]
	s_mov_b32 s12, 0
	v_dual_mov_b32 v29, 0 :: v_dual_lshlrev_b32 v28, 6, v50
	s_mov_b32 s14, s12
	s_mov_b32 s15, s12
	;; [unrolled: 1-line block ×3, first 2 shown]
	s_delay_alu instid0(VALU_DEP_2)
	v_add_nc_u64_e32 v[8:9], v[4:5], v[8:9]
	v_mov_b64_e32 v[16:17], s[14:15]
	v_mov_b64_e32 v[14:15], s[12:13]
	v_dual_mov_b32 v10, 33 :: v_dual_mov_b32 v12, 1
	v_dual_mov_b32 v11, v29 :: v_dual_mov_b32 v13, v29
	v_readfirstlane_b32 s6, v8
	v_readfirstlane_b32 s7, v9
	s_clause 0x3
	global_store_b128 v28, v[10:13], s[6:7]
	global_store_b128 v28, v[14:17], s[6:7] offset:16
	global_store_b128 v28, v[14:17], s[6:7] offset:32
	;; [unrolled: 1-line block ×3, first 2 shown]
	s_wait_xcnt 0x0
	s_and_saveexec_b32 s1, s0
	s_cbranch_execz .LBB1_16
; %bb.9:
	s_clause 0x1
	global_load_b64 v[14:15], v29, s[2:3] offset:32 scope:SCOPE_SYS
	global_load_b64 v[4:5], v29, s[2:3] offset:40
	s_mov_b32 s6, exec_lo
	v_dual_mov_b32 v12, s4 :: v_dual_mov_b32 v13, s5
	s_wait_loadcnt 0x0
	v_and_b32_e32 v5, s5, v5
	v_and_b32_e32 v4, s4, v4
	s_delay_alu instid0(VALU_DEP_1) | instskip(NEXT) | instid1(VALU_DEP_1)
	v_mul_u64_e32 v[4:5], 24, v[4:5]
	v_add_nc_u64_e32 v[10:11], v[2:3], v[4:5]
	global_store_b64 v[10:11], v[14:15], off
	global_wb scope:SCOPE_SYS
	s_wait_storecnt 0x0
	s_wait_xcnt 0x0
	global_atomic_cmpswap_b64 v[4:5], v29, v[12:15], s[2:3] offset:32 th:TH_ATOMIC_RETURN scope:SCOPE_SYS
	s_wait_loadcnt 0x0
	v_cmpx_ne_u64_e64 v[4:5], v[14:15]
	s_cbranch_execz .LBB1_12
; %bb.10:
	v_mov_b32_e32 v1, 0
	s_mov_b32 s7, 0
.LBB1_11:                               ; =>This Inner Loop Header: Depth=1
	v_dual_mov_b32 v2, s4 :: v_dual_mov_b32 v3, s5
	s_sleep 1
	global_store_b64 v[10:11], v[4:5], off
	global_wb scope:SCOPE_SYS
	s_wait_storecnt 0x0
	s_wait_xcnt 0x0
	global_atomic_cmpswap_b64 v[2:3], v1, v[2:5], s[2:3] offset:32 th:TH_ATOMIC_RETURN scope:SCOPE_SYS
	s_wait_loadcnt 0x0
	v_cmp_eq_u64_e32 vcc_lo, v[2:3], v[4:5]
	v_mov_b64_e32 v[4:5], v[2:3]
	s_or_b32 s7, vcc_lo, s7
	s_delay_alu instid0(SALU_CYCLE_1)
	s_and_not1_b32 exec_lo, exec_lo, s7
	s_cbranch_execnz .LBB1_11
.LBB1_12:
	s_or_b32 exec_lo, exec_lo, s6
	v_mov_b32_e32 v5, 0
	s_mov_b32 s7, exec_lo
	s_mov_b32 s6, exec_lo
	v_mbcnt_lo_u32_b32 v1, s7, 0
	global_load_b64 v[2:3], v5, s[2:3] offset:16
	s_wait_xcnt 0x0
	v_cmpx_eq_u32_e32 0, v1
	s_cbranch_execz .LBB1_14
; %bb.13:
	s_bcnt1_i32_b32 s7, s7
	s_delay_alu instid0(SALU_CYCLE_1)
	v_mov_b32_e32 v4, s7
	global_wb scope:SCOPE_SYS
	s_wait_loadcnt 0x0
	s_wait_storecnt 0x0
	global_atomic_add_u64 v[2:3], v[4:5], off offset:8 scope:SCOPE_SYS
.LBB1_14:
	s_wait_xcnt 0x0
	s_or_b32 exec_lo, exec_lo, s6
	s_wait_loadcnt 0x0
	global_load_b64 v[4:5], v[2:3], off offset:16
	s_wait_loadcnt 0x0
	v_cmp_eq_u64_e32 vcc_lo, 0, v[4:5]
	s_cbranch_vccnz .LBB1_16
; %bb.15:
	global_load_b32 v2, v[2:3], off offset:24
	s_wait_xcnt 0x0
	v_mov_b32_e32 v3, 0
	s_wait_loadcnt 0x0
	v_readfirstlane_b32 s6, v2
	global_wb scope:SCOPE_SYS
	s_wait_storecnt 0x0
	global_store_b64 v[4:5], v[2:3], off scope:SCOPE_SYS
	s_and_b32 m0, s6, 0xffffff
	s_sendmsg sendmsg(MSG_INTERRUPT)
.LBB1_16:
	s_wait_xcnt 0x0
	s_or_b32 exec_lo, exec_lo, s1
	v_add_nc_u64_e32 v[2:3], v[8:9], v[28:29]
	s_branch .LBB1_20
.LBB1_17:                               ;   in Loop: Header=BB1_20 Depth=1
	s_wait_xcnt 0x0
	s_or_b32 exec_lo, exec_lo, s1
	s_delay_alu instid0(VALU_DEP_1)
	v_readfirstlane_b32 s1, v1
	s_cmp_eq_u32 s1, 0
	s_cbranch_scc1 .LBB1_19
; %bb.18:                               ;   in Loop: Header=BB1_20 Depth=1
	s_sleep 1
	s_cbranch_execnz .LBB1_20
	s_branch .LBB1_22
.LBB1_19:
	s_branch .LBB1_22
.LBB1_20:                               ; =>This Inner Loop Header: Depth=1
	v_mov_b32_e32 v1, 1
	s_and_saveexec_b32 s1, s0
	s_cbranch_execz .LBB1_17
; %bb.21:                               ;   in Loop: Header=BB1_20 Depth=1
	global_load_b32 v1, v[6:7], off offset:20 scope:SCOPE_SYS
	s_wait_loadcnt 0x0
	global_inv scope:SCOPE_SYS
	v_and_b32_e32 v1, 1, v1
	s_branch .LBB1_17
.LBB1_22:
	global_load_b64 v[6:7], v[2:3], off
	s_wait_xcnt 0x0
	s_and_saveexec_b32 s6, s0
	s_cbranch_execz .LBB1_26
; %bb.23:
	v_mov_b32_e32 v1, 0
	s_clause 0x2
	global_load_b64 v[2:3], v1, s[2:3] offset:40
	global_load_b64 v[12:13], v1, s[2:3] offset:24 scope:SCOPE_SYS
	global_load_b64 v[4:5], v1, s[2:3]
	s_wait_loadcnt 0x2
	v_readfirstlane_b32 s10, v2
	v_readfirstlane_b32 s11, v3
	s_add_nc_u64 s[0:1], s[10:11], 1
	s_delay_alu instid0(SALU_CYCLE_1) | instskip(NEXT) | instid1(SALU_CYCLE_1)
	s_add_nc_u64 s[4:5], s[0:1], s[4:5]
	s_cmp_eq_u64 s[4:5], 0
	s_cselect_b32 s1, s1, s5
	s_cselect_b32 s0, s0, s4
	v_mov_b32_e32 v11, s1
	s_and_b64 s[4:5], s[0:1], s[10:11]
	v_mov_b32_e32 v10, s0
	s_mul_u64 s[4:5], s[4:5], 24
	s_wait_loadcnt 0x0
	v_add_nc_u64_e32 v[8:9], s[4:5], v[4:5]
	global_store_b64 v[8:9], v[12:13], off
	global_wb scope:SCOPE_SYS
	s_wait_storecnt 0x0
	s_wait_xcnt 0x0
	global_atomic_cmpswap_b64 v[4:5], v1, v[10:13], s[2:3] offset:24 th:TH_ATOMIC_RETURN scope:SCOPE_SYS
	s_wait_loadcnt 0x0
	v_cmp_ne_u64_e32 vcc_lo, v[4:5], v[12:13]
	s_and_b32 exec_lo, exec_lo, vcc_lo
	s_cbranch_execz .LBB1_26
; %bb.24:
	s_mov_b32 s4, 0
.LBB1_25:                               ; =>This Inner Loop Header: Depth=1
	v_dual_mov_b32 v2, s0 :: v_dual_mov_b32 v3, s1
	s_sleep 1
	global_store_b64 v[8:9], v[4:5], off
	global_wb scope:SCOPE_SYS
	s_wait_storecnt 0x0
	s_wait_xcnt 0x0
	global_atomic_cmpswap_b64 v[2:3], v1, v[2:5], s[2:3] offset:24 th:TH_ATOMIC_RETURN scope:SCOPE_SYS
	s_wait_loadcnt 0x0
	v_cmp_eq_u64_e32 vcc_lo, v[2:3], v[4:5]
	v_mov_b64_e32 v[4:5], v[2:3]
	s_or_b32 s4, vcc_lo, s4
	s_delay_alu instid0(SALU_CYCLE_1)
	s_and_not1_b32 exec_lo, exec_lo, s4
	s_cbranch_execnz .LBB1_25
.LBB1_26:
	s_or_b32 exec_lo, exec_lo, s6
	s_mov_b32 s1, s33
	s_mov_b32 s0, 0
.LBB1_27:                               ; =>This Inner Loop Header: Depth=1
	scratch_load_u8 v1, off, s1
	s_wait_xcnt 0x0
	s_add_co_i32 s1, s1, 1
	s_wait_loadcnt 0x0
	v_cmp_eq_u16_e32 vcc_lo, 0, v1
	v_mov_b32_e32 v1, s1
	s_or_b32 s0, vcc_lo, s0
	s_delay_alu instid0(SALU_CYCLE_1)
	s_and_not1_b32 exec_lo, exec_lo, s0
	s_cbranch_execnz .LBB1_27
; %bb.28:
	s_or_b32 exec_lo, exec_lo, s0
	s_cmp_lg_u32 s33, -1
	s_cbranch_scc0 .LBB1_113
; %bb.29:
	s_mov_b64 s[0:1], src_flat_scratch_base_lo
	v_mov_b64_e32 v[10:11], 0x100000002
	v_dual_add_nc_u32 v1, s0, v1 :: v_dual_bitop2_b32 v32, 2, v6 bitop3:0x40
	s_add_co_i32 s0, s33, s0
	v_dual_mov_b32 v29, 0 :: v_dual_bitop2_b32 v2, -3, v6 bitop3:0x40
	s_delay_alu instid0(VALU_DEP_2) | instskip(SKIP_3) | instid1(VALU_DEP_2)
	v_subrev_nc_u32_e32 v34, s0, v1
	v_dual_mov_b32 v3, v7 :: v_dual_mov_b32 v1, s33
	s_mov_b32 s7, 0
	s_mov_b32 s6, 0
	v_ashrrev_i32_e32 v35, 31, v34
	s_branch .LBB1_31
.LBB1_30:                               ;   in Loop: Header=BB1_31 Depth=1
	s_or_b32 exec_lo, exec_lo, s10
	v_sub_nc_u64_e32 v[34:35], v[34:35], v[36:37]
	v_add_nc_u32_e32 v1, v1, v36
	s_delay_alu instid0(VALU_DEP_2) | instskip(SKIP_1) | instid1(SALU_CYCLE_1)
	v_cmp_eq_u64_e32 vcc_lo, 0, v[34:35]
	s_or_b32 s6, vcc_lo, s6
	s_and_not1_b32 exec_lo, exec_lo, s6
	s_cbranch_execz .LBB1_192
.LBB1_31:                               ; =>This Loop Header: Depth=1
                                        ;     Child Loop BB1_34 Depth 2
                                        ;     Child Loop BB1_42 Depth 2
	;; [unrolled: 1-line block ×11, first 2 shown]
	s_delay_alu instid0(VALU_DEP_1)
	v_min_u64 v[36:37], v[34:35], 56
	v_add_nc_u32_e32 v9, 8, v1
	s_mov_b32 s0, exec_lo
	v_cmpx_gt_u64_e32 8, v[34:35]
	s_xor_b32 s4, exec_lo, s0
	s_cbranch_execz .LBB1_37
; %bb.32:                               ;   in Loop: Header=BB1_31 Depth=1
	v_mov_b64_e32 v[4:5], 0
	s_mov_b32 s5, exec_lo
	v_cmpx_ne_u64_e32 0, v[34:35]
	s_cbranch_execz .LBB1_36
; %bb.33:                               ;   in Loop: Header=BB1_31 Depth=1
	v_mov_b64_e32 v[4:5], 0
	v_dual_mov_b32 v9, v1 :: v_dual_lshlrev_b32 v8, 3, v36
	s_mov_b64 s[0:1], 0
	s_mov_b32 s10, 0
.LBB1_34:                               ;   Parent Loop BB1_31 Depth=1
                                        ; =>  This Inner Loop Header: Depth=2
	scratch_load_u8 v12, v9, off
	s_wait_xcnt 0x0
	v_dual_mov_b32 v13, s7 :: v_dual_add_nc_u32 v9, 1, v9
	s_wait_loadcnt 0x0
	v_and_b32_e32 v12, 0xffff, v12
	s_delay_alu instid0(VALU_DEP_1) | instskip(SKIP_1) | instid1(SALU_CYCLE_1)
	v_lshlrev_b64_e32 v[12:13], s0, v[12:13]
	s_add_nc_u64 s[0:1], s[0:1], 8
	v_cmp_eq_u32_e32 vcc_lo, s0, v8
	s_delay_alu instid0(VALU_DEP_2) | instskip(NEXT) | instid1(VALU_DEP_3)
	v_or_b32_e32 v5, v13, v5
	v_or_b32_e32 v4, v12, v4
	s_or_b32 s10, vcc_lo, s10
	s_delay_alu instid0(SALU_CYCLE_1)
	s_and_not1_b32 exec_lo, exec_lo, s10
	s_cbranch_execnz .LBB1_34
; %bb.35:                               ;   in Loop: Header=BB1_31 Depth=1
	s_or_b32 exec_lo, exec_lo, s10
.LBB1_36:                               ;   in Loop: Header=BB1_31 Depth=1
	s_delay_alu instid0(SALU_CYCLE_1)
	s_or_b32 exec_lo, exec_lo, s5
	v_mov_b32_e32 v9, v1
.LBB1_37:                               ;   in Loop: Header=BB1_31 Depth=1
	s_or_saveexec_b32 s0, s4
	v_mov_b32_e32 v14, 0
	s_xor_b32 exec_lo, exec_lo, s0
	s_cbranch_execz .LBB1_39
; %bb.38:                               ;   in Loop: Header=BB1_31 Depth=1
	scratch_load_b64 v[4:5], v1, off
	v_add_nc_u32_e32 v14, -8, v36
.LBB1_39:                               ;   in Loop: Header=BB1_31 Depth=1
	s_wait_xcnt 0x0
	s_or_b32 exec_lo, exec_lo, s0
	v_add_nc_u32_e32 v8, 8, v9
                                        ; implicit-def: $vgpr12_vgpr13
	s_mov_b32 s0, exec_lo
	v_cmpx_gt_u32_e32 8, v14
	s_xor_b32 s4, exec_lo, s0
	s_cbranch_execz .LBB1_45
; %bb.40:                               ;   in Loop: Header=BB1_31 Depth=1
	v_mov_b64_e32 v[12:13], 0
	s_mov_b32 s5, exec_lo
	v_cmpx_ne_u32_e32 0, v14
	s_cbranch_execz .LBB1_44
; %bb.41:                               ;   in Loop: Header=BB1_31 Depth=1
	v_mov_b64_e32 v[12:13], 0
	s_mov_b64 s[0:1], 0
	s_mov_b32 s10, 0
	s_mov_b32 s11, 0
.LBB1_42:                               ;   Parent Loop BB1_31 Depth=1
                                        ; =>  This Inner Loop Header: Depth=2
	scratch_load_u8 v8, v9, s11
	v_mov_b32_e32 v17, s7
	s_wait_xcnt 0x0
	s_add_co_i32 s11, s11, 1
	s_delay_alu instid0(SALU_CYCLE_1) | instskip(SKIP_3) | instid1(VALU_DEP_1)
	v_cmp_eq_u32_e32 vcc_lo, s11, v14
	s_or_b32 s10, vcc_lo, s10
	s_wait_loadcnt 0x0
	v_and_b32_e32 v16, 0xffff, v8
	v_lshlrev_b64_e32 v[16:17], s0, v[16:17]
	s_add_nc_u64 s[0:1], s[0:1], 8
	s_delay_alu instid0(VALU_DEP_1) | instskip(NEXT) | instid1(VALU_DEP_2)
	v_or_b32_e32 v13, v17, v13
	v_or_b32_e32 v12, v16, v12
	s_and_not1_b32 exec_lo, exec_lo, s10
	s_cbranch_execnz .LBB1_42
; %bb.43:                               ;   in Loop: Header=BB1_31 Depth=1
	s_or_b32 exec_lo, exec_lo, s10
.LBB1_44:                               ;   in Loop: Header=BB1_31 Depth=1
	s_delay_alu instid0(SALU_CYCLE_1)
	s_or_b32 exec_lo, exec_lo, s5
	v_mov_b32_e32 v8, v9
                                        ; implicit-def: $vgpr14
.LBB1_45:                               ;   in Loop: Header=BB1_31 Depth=1
	s_or_saveexec_b32 s0, s4
	v_mov_b32_e32 v16, 0
	s_xor_b32 exec_lo, exec_lo, s0
	s_cbranch_execz .LBB1_47
; %bb.46:                               ;   in Loop: Header=BB1_31 Depth=1
	scratch_load_b64 v[12:13], v9, off
	v_add_nc_u32_e32 v16, -8, v14
.LBB1_47:                               ;   in Loop: Header=BB1_31 Depth=1
	s_wait_xcnt 0x0
	s_or_b32 exec_lo, exec_lo, s0
	v_add_nc_u32_e32 v9, 8, v8
	s_mov_b32 s0, exec_lo
	v_cmpx_gt_u32_e32 8, v16
	s_xor_b32 s4, exec_lo, s0
	s_cbranch_execz .LBB1_53
; %bb.48:                               ;   in Loop: Header=BB1_31 Depth=1
	v_mov_b64_e32 v[14:15], 0
	s_mov_b32 s5, exec_lo
	v_cmpx_ne_u32_e32 0, v16
	s_cbranch_execz .LBB1_52
; %bb.49:                               ;   in Loop: Header=BB1_31 Depth=1
	v_mov_b64_e32 v[14:15], 0
	s_mov_b64 s[0:1], 0
	s_mov_b32 s10, 0
	s_mov_b32 s11, 0
.LBB1_50:                               ;   Parent Loop BB1_31 Depth=1
                                        ; =>  This Inner Loop Header: Depth=2
	scratch_load_u8 v9, v8, s11
	v_mov_b32_e32 v19, s7
	s_wait_xcnt 0x0
	s_add_co_i32 s11, s11, 1
	s_delay_alu instid0(SALU_CYCLE_1) | instskip(SKIP_3) | instid1(VALU_DEP_1)
	v_cmp_eq_u32_e32 vcc_lo, s11, v16
	s_or_b32 s10, vcc_lo, s10
	s_wait_loadcnt 0x0
	v_and_b32_e32 v18, 0xffff, v9
	v_lshlrev_b64_e32 v[18:19], s0, v[18:19]
	s_add_nc_u64 s[0:1], s[0:1], 8
	s_delay_alu instid0(VALU_DEP_1) | instskip(NEXT) | instid1(VALU_DEP_2)
	v_or_b32_e32 v15, v19, v15
	v_or_b32_e32 v14, v18, v14
	s_and_not1_b32 exec_lo, exec_lo, s10
	s_cbranch_execnz .LBB1_50
; %bb.51:                               ;   in Loop: Header=BB1_31 Depth=1
	s_or_b32 exec_lo, exec_lo, s10
.LBB1_52:                               ;   in Loop: Header=BB1_31 Depth=1
	s_delay_alu instid0(SALU_CYCLE_1)
	s_or_b32 exec_lo, exec_lo, s5
	v_mov_b32_e32 v9, v8
                                        ; implicit-def: $vgpr16
.LBB1_53:                               ;   in Loop: Header=BB1_31 Depth=1
	s_or_saveexec_b32 s0, s4
	v_mov_b32_e32 v18, 0
	s_xor_b32 exec_lo, exec_lo, s0
	s_cbranch_execz .LBB1_55
; %bb.54:                               ;   in Loop: Header=BB1_31 Depth=1
	scratch_load_b64 v[14:15], v8, off
	v_add_nc_u32_e32 v18, -8, v16
.LBB1_55:                               ;   in Loop: Header=BB1_31 Depth=1
	s_wait_xcnt 0x0
	s_or_b32 exec_lo, exec_lo, s0
	v_add_nc_u32_e32 v8, 8, v9
                                        ; implicit-def: $vgpr16_vgpr17
	s_mov_b32 s0, exec_lo
	v_cmpx_gt_u32_e32 8, v18
	s_xor_b32 s4, exec_lo, s0
	s_cbranch_execz .LBB1_61
; %bb.56:                               ;   in Loop: Header=BB1_31 Depth=1
	v_mov_b64_e32 v[16:17], 0
	s_mov_b32 s5, exec_lo
	v_cmpx_ne_u32_e32 0, v18
	s_cbranch_execz .LBB1_60
; %bb.57:                               ;   in Loop: Header=BB1_31 Depth=1
	v_mov_b64_e32 v[16:17], 0
	s_mov_b64 s[0:1], 0
	s_mov_b32 s10, 0
	s_mov_b32 s11, 0
.LBB1_58:                               ;   Parent Loop BB1_31 Depth=1
                                        ; =>  This Inner Loop Header: Depth=2
	scratch_load_u8 v8, v9, s11
	v_mov_b32_e32 v21, s7
	s_wait_xcnt 0x0
	s_add_co_i32 s11, s11, 1
	s_delay_alu instid0(SALU_CYCLE_1) | instskip(SKIP_3) | instid1(VALU_DEP_1)
	v_cmp_eq_u32_e32 vcc_lo, s11, v18
	s_or_b32 s10, vcc_lo, s10
	s_wait_loadcnt 0x0
	v_and_b32_e32 v20, 0xffff, v8
	v_lshlrev_b64_e32 v[20:21], s0, v[20:21]
	s_add_nc_u64 s[0:1], s[0:1], 8
	s_delay_alu instid0(VALU_DEP_1) | instskip(NEXT) | instid1(VALU_DEP_2)
	v_or_b32_e32 v17, v21, v17
	v_or_b32_e32 v16, v20, v16
	s_and_not1_b32 exec_lo, exec_lo, s10
	s_cbranch_execnz .LBB1_58
; %bb.59:                               ;   in Loop: Header=BB1_31 Depth=1
	s_or_b32 exec_lo, exec_lo, s10
.LBB1_60:                               ;   in Loop: Header=BB1_31 Depth=1
	s_delay_alu instid0(SALU_CYCLE_1)
	s_or_b32 exec_lo, exec_lo, s5
	v_mov_b32_e32 v8, v9
                                        ; implicit-def: $vgpr18
.LBB1_61:                               ;   in Loop: Header=BB1_31 Depth=1
	s_or_saveexec_b32 s0, s4
	v_mov_b32_e32 v20, 0
	s_xor_b32 exec_lo, exec_lo, s0
	s_cbranch_execz .LBB1_63
; %bb.62:                               ;   in Loop: Header=BB1_31 Depth=1
	scratch_load_b64 v[16:17], v9, off
	v_add_nc_u32_e32 v20, -8, v18
.LBB1_63:                               ;   in Loop: Header=BB1_31 Depth=1
	s_wait_xcnt 0x0
	s_or_b32 exec_lo, exec_lo, s0
	v_add_nc_u32_e32 v9, 8, v8
	s_mov_b32 s0, exec_lo
	v_cmpx_gt_u32_e32 8, v20
	s_xor_b32 s4, exec_lo, s0
	s_cbranch_execz .LBB1_69
; %bb.64:                               ;   in Loop: Header=BB1_31 Depth=1
	v_mov_b64_e32 v[18:19], 0
	s_mov_b32 s5, exec_lo
	v_cmpx_ne_u32_e32 0, v20
	s_cbranch_execz .LBB1_68
; %bb.65:                               ;   in Loop: Header=BB1_31 Depth=1
	v_mov_b64_e32 v[18:19], 0
	s_mov_b64 s[0:1], 0
	s_mov_b32 s10, 0
	s_mov_b32 s11, 0
.LBB1_66:                               ;   Parent Loop BB1_31 Depth=1
                                        ; =>  This Inner Loop Header: Depth=2
	scratch_load_u8 v9, v8, s11
	v_mov_b32_e32 v23, s7
	s_wait_xcnt 0x0
	s_add_co_i32 s11, s11, 1
	s_delay_alu instid0(SALU_CYCLE_1) | instskip(SKIP_3) | instid1(VALU_DEP_1)
	v_cmp_eq_u32_e32 vcc_lo, s11, v20
	s_or_b32 s10, vcc_lo, s10
	s_wait_loadcnt 0x0
	v_and_b32_e32 v22, 0xffff, v9
	v_lshlrev_b64_e32 v[22:23], s0, v[22:23]
	s_add_nc_u64 s[0:1], s[0:1], 8
	s_delay_alu instid0(VALU_DEP_1) | instskip(NEXT) | instid1(VALU_DEP_2)
	v_or_b32_e32 v19, v23, v19
	v_or_b32_e32 v18, v22, v18
	s_and_not1_b32 exec_lo, exec_lo, s10
	s_cbranch_execnz .LBB1_66
; %bb.67:                               ;   in Loop: Header=BB1_31 Depth=1
	s_or_b32 exec_lo, exec_lo, s10
.LBB1_68:                               ;   in Loop: Header=BB1_31 Depth=1
	s_delay_alu instid0(SALU_CYCLE_1)
	s_or_b32 exec_lo, exec_lo, s5
	v_mov_b32_e32 v9, v8
                                        ; implicit-def: $vgpr20
.LBB1_69:                               ;   in Loop: Header=BB1_31 Depth=1
	s_or_saveexec_b32 s0, s4
	v_mov_b32_e32 v22, 0
	s_xor_b32 exec_lo, exec_lo, s0
	s_cbranch_execz .LBB1_71
; %bb.70:                               ;   in Loop: Header=BB1_31 Depth=1
	scratch_load_b64 v[18:19], v8, off
	v_add_nc_u32_e32 v22, -8, v20
.LBB1_71:                               ;   in Loop: Header=BB1_31 Depth=1
	s_wait_xcnt 0x0
	s_or_b32 exec_lo, exec_lo, s0
	v_add_nc_u32_e32 v8, 8, v9
                                        ; implicit-def: $vgpr20_vgpr21
	s_mov_b32 s0, exec_lo
	v_cmpx_gt_u32_e32 8, v22
	s_xor_b32 s4, exec_lo, s0
	s_cbranch_execz .LBB1_77
; %bb.72:                               ;   in Loop: Header=BB1_31 Depth=1
	v_mov_b64_e32 v[20:21], 0
	s_mov_b32 s5, exec_lo
	v_cmpx_ne_u32_e32 0, v22
	s_cbranch_execz .LBB1_76
; %bb.73:                               ;   in Loop: Header=BB1_31 Depth=1
	v_mov_b64_e32 v[20:21], 0
	s_mov_b64 s[0:1], 0
	s_mov_b32 s10, 0
	s_mov_b32 s11, 0
.LBB1_74:                               ;   Parent Loop BB1_31 Depth=1
                                        ; =>  This Inner Loop Header: Depth=2
	scratch_load_u8 v8, v9, s11
	v_mov_b32_e32 v25, s7
	s_wait_xcnt 0x0
	s_add_co_i32 s11, s11, 1
	s_delay_alu instid0(SALU_CYCLE_1) | instskip(SKIP_3) | instid1(VALU_DEP_1)
	v_cmp_eq_u32_e32 vcc_lo, s11, v22
	s_or_b32 s10, vcc_lo, s10
	s_wait_loadcnt 0x0
	v_and_b32_e32 v24, 0xffff, v8
	v_lshlrev_b64_e32 v[24:25], s0, v[24:25]
	s_add_nc_u64 s[0:1], s[0:1], 8
	s_delay_alu instid0(VALU_DEP_1) | instskip(NEXT) | instid1(VALU_DEP_2)
	v_or_b32_e32 v21, v25, v21
	v_or_b32_e32 v20, v24, v20
	s_and_not1_b32 exec_lo, exec_lo, s10
	s_cbranch_execnz .LBB1_74
; %bb.75:                               ;   in Loop: Header=BB1_31 Depth=1
	s_or_b32 exec_lo, exec_lo, s10
.LBB1_76:                               ;   in Loop: Header=BB1_31 Depth=1
	s_delay_alu instid0(SALU_CYCLE_1)
	s_or_b32 exec_lo, exec_lo, s5
	v_mov_b32_e32 v8, v9
                                        ; implicit-def: $vgpr22
.LBB1_77:                               ;   in Loop: Header=BB1_31 Depth=1
	s_or_saveexec_b32 s0, s4
	v_mov_b32_e32 v24, 0
	s_xor_b32 exec_lo, exec_lo, s0
	s_cbranch_execz .LBB1_79
; %bb.78:                               ;   in Loop: Header=BB1_31 Depth=1
	scratch_load_b64 v[20:21], v9, off
	v_add_nc_u32_e32 v24, -8, v22
.LBB1_79:                               ;   in Loop: Header=BB1_31 Depth=1
	s_wait_xcnt 0x0
	s_or_b32 exec_lo, exec_lo, s0
	s_delay_alu instid0(SALU_CYCLE_1) | instskip(NEXT) | instid1(VALU_DEP_1)
	s_mov_b32 s0, exec_lo
	v_cmpx_gt_u32_e32 8, v24
	s_xor_b32 s4, exec_lo, s0
	s_cbranch_execz .LBB1_85
; %bb.80:                               ;   in Loop: Header=BB1_31 Depth=1
	v_mov_b64_e32 v[22:23], 0
	s_mov_b32 s5, exec_lo
	v_cmpx_ne_u32_e32 0, v24
	s_cbranch_execz .LBB1_84
; %bb.81:                               ;   in Loop: Header=BB1_31 Depth=1
	v_mov_b64_e32 v[22:23], 0
	s_mov_b64 s[0:1], 0
	s_mov_b32 s10, 0
.LBB1_82:                               ;   Parent Loop BB1_31 Depth=1
                                        ; =>  This Inner Loop Header: Depth=2
	scratch_load_u8 v9, v8, off
	v_dual_mov_b32 v27, s7 :: v_dual_add_nc_u32 v24, -1, v24
	s_delay_alu instid0(VALU_DEP_1) | instskip(SKIP_3) | instid1(VALU_DEP_1)
	v_cmp_eq_u32_e32 vcc_lo, 0, v24
	s_or_b32 s10, vcc_lo, s10
	s_wait_loadcnt 0x0
	v_and_b32_e32 v26, 0xffff, v9
	v_lshlrev_b64_e32 v[26:27], s0, v[26:27]
	s_wait_xcnt 0x0
	v_add_nc_u32_e32 v8, 1, v8
	s_add_nc_u64 s[0:1], s[0:1], 8
	s_delay_alu instid0(VALU_DEP_2) | instskip(NEXT) | instid1(VALU_DEP_3)
	v_or_b32_e32 v23, v27, v23
	v_or_b32_e32 v22, v26, v22
	s_and_not1_b32 exec_lo, exec_lo, s10
	s_cbranch_execnz .LBB1_82
; %bb.83:                               ;   in Loop: Header=BB1_31 Depth=1
	s_or_b32 exec_lo, exec_lo, s10
.LBB1_84:                               ;   in Loop: Header=BB1_31 Depth=1
	s_delay_alu instid0(SALU_CYCLE_1)
	s_or_b32 exec_lo, exec_lo, s5
                                        ; implicit-def: $vgpr8
.LBB1_85:                               ;   in Loop: Header=BB1_31 Depth=1
	s_and_not1_saveexec_b32 s0, s4
	s_cbranch_execz .LBB1_87
; %bb.86:                               ;   in Loop: Header=BB1_31 Depth=1
	scratch_load_b64 v[22:23], v8, off
.LBB1_87:                               ;   in Loop: Header=BB1_31 Depth=1
	s_wait_xcnt 0x0
	s_or_b32 exec_lo, exec_lo, s0
	v_readfirstlane_b32 s0, v50
	v_mov_b64_e32 v[8:9], 0
	s_delay_alu instid0(VALU_DEP_2)
	v_cmp_eq_u32_e64 s0, s0, v50
	s_and_saveexec_b32 s1, s0
	s_cbranch_execz .LBB1_93
; %bb.88:                               ;   in Loop: Header=BB1_31 Depth=1
	global_load_b64 v[26:27], v29, s[2:3] offset:24 scope:SCOPE_SYS
	s_wait_loadcnt 0x0
	global_inv scope:SCOPE_SYS
	s_clause 0x1
	global_load_b64 v[8:9], v29, s[2:3] offset:40
	global_load_b64 v[24:25], v29, s[2:3]
	s_mov_b32 s4, exec_lo
	s_wait_loadcnt 0x1
	v_and_b32_e32 v8, v8, v26
	v_and_b32_e32 v9, v9, v27
	s_delay_alu instid0(VALU_DEP_1) | instskip(SKIP_1) | instid1(VALU_DEP_1)
	v_mul_u64_e32 v[8:9], 24, v[8:9]
	s_wait_loadcnt 0x0
	v_add_nc_u64_e32 v[8:9], v[24:25], v[8:9]
	global_load_b64 v[24:25], v[8:9], off scope:SCOPE_SYS
	s_wait_xcnt 0x0
	s_wait_loadcnt 0x0
	global_atomic_cmpswap_b64 v[8:9], v29, v[24:27], s[2:3] offset:24 th:TH_ATOMIC_RETURN scope:SCOPE_SYS
	s_wait_loadcnt 0x0
	global_inv scope:SCOPE_SYS
	s_wait_xcnt 0x0
	v_cmpx_ne_u64_e64 v[8:9], v[26:27]
	s_cbranch_execz .LBB1_92
; %bb.89:                               ;   in Loop: Header=BB1_31 Depth=1
	s_mov_b32 s5, 0
.LBB1_90:                               ;   Parent Loop BB1_31 Depth=1
                                        ; =>  This Inner Loop Header: Depth=2
	s_sleep 1
	s_clause 0x1
	global_load_b64 v[24:25], v29, s[2:3] offset:40
	global_load_b64 v[38:39], v29, s[2:3]
	v_mov_b64_e32 v[26:27], v[8:9]
	s_wait_loadcnt 0x1
	s_delay_alu instid0(VALU_DEP_1) | instskip(NEXT) | instid1(VALU_DEP_2)
	v_and_b32_e32 v8, v24, v26
	v_and_b32_e32 v24, v25, v27
	s_wait_loadcnt 0x0
	s_delay_alu instid0(VALU_DEP_2) | instskip(NEXT) | instid1(VALU_DEP_1)
	v_mad_nc_u64_u32 v[8:9], v8, 24, v[38:39]
	v_mad_u32 v9, v24, 24, v9
	global_load_b64 v[24:25], v[8:9], off scope:SCOPE_SYS
	s_wait_xcnt 0x0
	s_wait_loadcnt 0x0
	global_atomic_cmpswap_b64 v[8:9], v29, v[24:27], s[2:3] offset:24 th:TH_ATOMIC_RETURN scope:SCOPE_SYS
	s_wait_loadcnt 0x0
	global_inv scope:SCOPE_SYS
	v_cmp_eq_u64_e32 vcc_lo, v[8:9], v[26:27]
	s_or_b32 s5, vcc_lo, s5
	s_wait_xcnt 0x0
	s_and_not1_b32 exec_lo, exec_lo, s5
	s_cbranch_execnz .LBB1_90
; %bb.91:                               ;   in Loop: Header=BB1_31 Depth=1
	s_or_b32 exec_lo, exec_lo, s5
.LBB1_92:                               ;   in Loop: Header=BB1_31 Depth=1
	s_delay_alu instid0(SALU_CYCLE_1)
	s_or_b32 exec_lo, exec_lo, s4
.LBB1_93:                               ;   in Loop: Header=BB1_31 Depth=1
	s_delay_alu instid0(SALU_CYCLE_1)
	s_or_b32 exec_lo, exec_lo, s1
	s_clause 0x1
	global_load_b64 v[38:39], v29, s[2:3] offset:40
	global_load_b128 v[24:27], v29, s[2:3]
	v_readfirstlane_b32 s4, v8
	v_readfirstlane_b32 s5, v9
	s_mov_b32 s1, exec_lo
	s_wait_loadcnt 0x1
	v_and_b32_e32 v48, s4, v38
	v_and_b32_e32 v49, s5, v39
	s_delay_alu instid0(VALU_DEP_1) | instskip(SKIP_1) | instid1(VALU_DEP_1)
	v_mul_u64_e32 v[8:9], 24, v[48:49]
	s_wait_loadcnt 0x0
	v_add_nc_u64_e32 v[38:39], v[24:25], v[8:9]
	s_wait_xcnt 0x0
	s_and_saveexec_b32 s10, s0
	s_cbranch_execz .LBB1_95
; %bb.94:                               ;   in Loop: Header=BB1_31 Depth=1
	v_dual_mov_b32 v8, s1 :: v_dual_mov_b32 v9, v29
	global_store_b128 v[38:39], v[8:11], off offset:8
.LBB1_95:                               ;   in Loop: Header=BB1_31 Depth=1
	s_wait_xcnt 0x0
	s_or_b32 exec_lo, exec_lo, s10
	v_cmp_gt_u64_e32 vcc_lo, 57, v[34:35]
	v_lshlrev_b64_e32 v[8:9], 12, v[48:49]
	v_and_b32_e32 v2, 0xffffff1f, v2
	v_lshl_add_u32 v48, v36, 2, 28
	v_cndmask_b32_e32 v33, 0, v32, vcc_lo
	s_delay_alu instid0(VALU_DEP_4) | instskip(NEXT) | instid1(VALU_DEP_2)
	v_add_nc_u64_e32 v[8:9], v[26:27], v[8:9]
	v_or_b32_e32 v2, v2, v33
	s_delay_alu instid0(VALU_DEP_2) | instskip(NEXT) | instid1(VALU_DEP_3)
	v_readfirstlane_b32 s10, v8
	v_readfirstlane_b32 s11, v9
	s_delay_alu instid0(VALU_DEP_3)
	v_and_or_b32 v2, 0x1e0, v48, v2
	s_clause 0x3
	global_store_b128 v28, v[2:5], s[10:11]
	global_store_b128 v28, v[12:15], s[10:11] offset:16
	global_store_b128 v28, v[16:19], s[10:11] offset:32
	;; [unrolled: 1-line block ×3, first 2 shown]
	s_wait_xcnt 0x0
	s_and_saveexec_b32 s1, s0
	s_cbranch_execz .LBB1_103
; %bb.96:                               ;   in Loop: Header=BB1_31 Depth=1
	s_clause 0x1
	global_load_b64 v[16:17], v29, s[2:3] offset:32 scope:SCOPE_SYS
	global_load_b64 v[2:3], v29, s[2:3] offset:40
	s_mov_b32 s10, exec_lo
	v_dual_mov_b32 v14, s4 :: v_dual_mov_b32 v15, s5
	s_wait_loadcnt 0x0
	v_and_b32_e32 v3, s5, v3
	v_and_b32_e32 v2, s4, v2
	s_delay_alu instid0(VALU_DEP_1) | instskip(NEXT) | instid1(VALU_DEP_1)
	v_mul_u64_e32 v[2:3], 24, v[2:3]
	v_add_nc_u64_e32 v[12:13], v[24:25], v[2:3]
	global_store_b64 v[12:13], v[16:17], off
	global_wb scope:SCOPE_SYS
	s_wait_storecnt 0x0
	s_wait_xcnt 0x0
	global_atomic_cmpswap_b64 v[4:5], v29, v[14:17], s[2:3] offset:32 th:TH_ATOMIC_RETURN scope:SCOPE_SYS
	s_wait_loadcnt 0x0
	v_cmpx_ne_u64_e64 v[4:5], v[16:17]
	s_cbranch_execz .LBB1_99
; %bb.97:                               ;   in Loop: Header=BB1_31 Depth=1
	s_mov_b32 s11, 0
.LBB1_98:                               ;   Parent Loop BB1_31 Depth=1
                                        ; =>  This Inner Loop Header: Depth=2
	v_dual_mov_b32 v2, s4 :: v_dual_mov_b32 v3, s5
	s_sleep 1
	global_store_b64 v[12:13], v[4:5], off
	global_wb scope:SCOPE_SYS
	s_wait_storecnt 0x0
	s_wait_xcnt 0x0
	global_atomic_cmpswap_b64 v[2:3], v29, v[2:5], s[2:3] offset:32 th:TH_ATOMIC_RETURN scope:SCOPE_SYS
	s_wait_loadcnt 0x0
	v_cmp_eq_u64_e32 vcc_lo, v[2:3], v[4:5]
	v_mov_b64_e32 v[4:5], v[2:3]
	s_or_b32 s11, vcc_lo, s11
	s_delay_alu instid0(SALU_CYCLE_1)
	s_and_not1_b32 exec_lo, exec_lo, s11
	s_cbranch_execnz .LBB1_98
.LBB1_99:                               ;   in Loop: Header=BB1_31 Depth=1
	s_or_b32 exec_lo, exec_lo, s10
	global_load_b64 v[2:3], v29, s[2:3] offset:16
	s_mov_b32 s11, exec_lo
	s_mov_b32 s10, exec_lo
	v_mbcnt_lo_u32_b32 v4, s11, 0
	s_wait_xcnt 0x0
	s_delay_alu instid0(VALU_DEP_1)
	v_cmpx_eq_u32_e32 0, v4
	s_cbranch_execz .LBB1_101
; %bb.100:                              ;   in Loop: Header=BB1_31 Depth=1
	s_bcnt1_i32_b32 s11, s11
	s_delay_alu instid0(SALU_CYCLE_1)
	v_dual_mov_b32 v5, v29 :: v_dual_mov_b32 v4, s11
	global_wb scope:SCOPE_SYS
	s_wait_loadcnt 0x0
	s_wait_storecnt 0x0
	global_atomic_add_u64 v[2:3], v[4:5], off offset:8 scope:SCOPE_SYS
.LBB1_101:                              ;   in Loop: Header=BB1_31 Depth=1
	s_wait_xcnt 0x0
	s_or_b32 exec_lo, exec_lo, s10
	s_wait_loadcnt 0x0
	global_load_b64 v[4:5], v[2:3], off offset:16
	s_wait_loadcnt 0x0
	v_cmp_eq_u64_e32 vcc_lo, 0, v[4:5]
	s_cbranch_vccnz .LBB1_103
; %bb.102:                              ;   in Loop: Header=BB1_31 Depth=1
	global_load_b32 v2, v[2:3], off offset:24
	s_wait_xcnt 0x0
	v_mov_b32_e32 v3, v29
	s_wait_loadcnt 0x0
	v_readfirstlane_b32 s10, v2
	global_wb scope:SCOPE_SYS
	s_wait_storecnt 0x0
	global_store_b64 v[4:5], v[2:3], off scope:SCOPE_SYS
	s_and_b32 m0, s10, 0xffffff
	s_sendmsg sendmsg(MSG_INTERRUPT)
.LBB1_103:                              ;   in Loop: Header=BB1_31 Depth=1
	s_wait_xcnt 0x0
	s_or_b32 exec_lo, exec_lo, s1
	v_add_nc_u64_e32 v[2:3], v[8:9], v[28:29]
	s_branch .LBB1_107
.LBB1_104:                              ;   in Loop: Header=BB1_107 Depth=2
	s_wait_xcnt 0x0
	s_or_b32 exec_lo, exec_lo, s1
	s_delay_alu instid0(VALU_DEP_1)
	v_readfirstlane_b32 s1, v4
	s_cmp_eq_u32 s1, 0
	s_cbranch_scc1 .LBB1_106
; %bb.105:                              ;   in Loop: Header=BB1_107 Depth=2
	s_sleep 1
	s_cbranch_execnz .LBB1_107
	s_branch .LBB1_109
.LBB1_106:                              ;   in Loop: Header=BB1_31 Depth=1
	s_branch .LBB1_109
.LBB1_107:                              ;   Parent Loop BB1_31 Depth=1
                                        ; =>  This Inner Loop Header: Depth=2
	v_mov_b32_e32 v4, 1
	s_and_saveexec_b32 s1, s0
	s_cbranch_execz .LBB1_104
; %bb.108:                              ;   in Loop: Header=BB1_107 Depth=2
	global_load_b32 v4, v[38:39], off offset:20 scope:SCOPE_SYS
	s_wait_loadcnt 0x0
	global_inv scope:SCOPE_SYS
	v_and_b32_e32 v4, 1, v4
	s_branch .LBB1_104
.LBB1_109:                              ;   in Loop: Header=BB1_31 Depth=1
	global_load_b64 v[2:3], v[2:3], off
	s_wait_xcnt 0x0
	s_and_saveexec_b32 s10, s0
	s_cbranch_execz .LBB1_30
; %bb.110:                              ;   in Loop: Header=BB1_31 Depth=1
	s_clause 0x2
	global_load_b64 v[4:5], v29, s[2:3] offset:40
	global_load_b64 v[16:17], v29, s[2:3] offset:24 scope:SCOPE_SYS
	global_load_b64 v[8:9], v29, s[2:3]
	s_wait_loadcnt 0x2
	v_readfirstlane_b32 s12, v4
	v_readfirstlane_b32 s13, v5
	s_add_nc_u64 s[0:1], s[12:13], 1
	s_delay_alu instid0(SALU_CYCLE_1) | instskip(NEXT) | instid1(SALU_CYCLE_1)
	s_add_nc_u64 s[4:5], s[0:1], s[4:5]
	s_cmp_eq_u64 s[4:5], 0
	s_cselect_b32 s1, s1, s5
	s_cselect_b32 s0, s0, s4
	s_delay_alu instid0(SALU_CYCLE_1) | instskip(SKIP_1) | instid1(SALU_CYCLE_1)
	v_dual_mov_b32 v15, s1 :: v_dual_mov_b32 v14, s0
	s_and_b64 s[4:5], s[0:1], s[12:13]
	s_mul_u64 s[4:5], s[4:5], 24
	s_wait_loadcnt 0x0
	v_add_nc_u64_e32 v[4:5], s[4:5], v[8:9]
	global_store_b64 v[4:5], v[16:17], off
	global_wb scope:SCOPE_SYS
	s_wait_storecnt 0x0
	s_wait_xcnt 0x0
	global_atomic_cmpswap_b64 v[14:15], v29, v[14:17], s[2:3] offset:24 th:TH_ATOMIC_RETURN scope:SCOPE_SYS
	s_wait_loadcnt 0x0
	v_cmp_ne_u64_e32 vcc_lo, v[14:15], v[16:17]
	s_and_b32 exec_lo, exec_lo, vcc_lo
	s_cbranch_execz .LBB1_30
; %bb.111:                              ;   in Loop: Header=BB1_31 Depth=1
	s_mov_b32 s4, 0
.LBB1_112:                              ;   Parent Loop BB1_31 Depth=1
                                        ; =>  This Inner Loop Header: Depth=2
	v_dual_mov_b32 v12, s0 :: v_dual_mov_b32 v13, s1
	s_sleep 1
	global_store_b64 v[4:5], v[14:15], off
	global_wb scope:SCOPE_SYS
	s_wait_storecnt 0x0
	s_wait_xcnt 0x0
	global_atomic_cmpswap_b64 v[8:9], v29, v[12:15], s[2:3] offset:24 th:TH_ATOMIC_RETURN scope:SCOPE_SYS
	s_wait_loadcnt 0x0
	v_cmp_eq_u64_e32 vcc_lo, v[8:9], v[14:15]
	v_mov_b64_e32 v[14:15], v[8:9]
	s_or_b32 s4, vcc_lo, s4
	s_delay_alu instid0(SALU_CYCLE_1)
	s_and_not1_b32 exec_lo, exec_lo, s4
	s_cbranch_execnz .LBB1_112
	s_branch .LBB1_30
.LBB1_113:
                                        ; implicit-def: $vgpr2_vgpr3
	s_cbranch_execnz .LBB1_193
.LBB1_114:
	s_get_pc_i64 s[4:5]
	s_add_nc_u64 s[4:5], s[4:5], .str.1@rel64+4
	s_delay_alu instid0(SALU_CYCLE_1)
	s_cmp_lg_u64 s[4:5], 0
	s_cbranch_scc0 .LBB1_221
.LBB1_115:
	v_mov_b64_e32 v[10:11], 0x100000002
	s_get_pc_i64 s[0:1]
	s_add_nc_u64 s[0:1], s[0:1], .str.1@rel64+71
	s_wait_loadcnt 0x0
	v_dual_mov_b32 v9, 0 :: v_dual_bitop2_b32 v32, 2, v2 bitop3:0x40
	v_dual_mov_b32 v5, v3 :: v_dual_bitop2_b32 v4, -3, v2 bitop3:0x40
	s_sub_co_i32 s6, s0, s4
	s_delay_alu instid0(SALU_CYCLE_1)
	s_ashr_i32 s7, s6, 31
	s_branch .LBB1_117
.LBB1_116:                              ;   in Loop: Header=BB1_117 Depth=1
	s_or_b32 exec_lo, exec_lo, s14
	s_sub_nc_u64 s[6:7], s[6:7], s[10:11]
	s_add_nc_u64 s[4:5], s[4:5], s[10:11]
	s_cmp_lg_u64 s[6:7], 0
	s_cbranch_scc0 .LBB1_215
.LBB1_117:                              ; =>This Loop Header: Depth=1
                                        ;     Child Loop BB1_120 Depth 2
                                        ;     Child Loop BB1_127 Depth 2
	;; [unrolled: 1-line block ×11, first 2 shown]
	v_min_u64 v[6:7], s[6:7], 56
	v_cmp_gt_u64_e64 s0, s[6:7], 7
	s_and_b32 vcc_lo, exec_lo, s0
	v_readfirstlane_b32 s10, v6
	v_readfirstlane_b32 s11, v7
	s_cbranch_vccnz .LBB1_122
; %bb.118:                              ;   in Loop: Header=BB1_117 Depth=1
	v_mov_b64_e32 v[6:7], 0
	s_cmp_eq_u64 s[6:7], 0
	s_cbranch_scc1 .LBB1_121
; %bb.119:                              ;   in Loop: Header=BB1_117 Depth=1
	s_mov_b64 s[0:1], 0
	s_mov_b64 s[12:13], 0
.LBB1_120:                              ;   Parent Loop BB1_117 Depth=1
                                        ; =>  This Inner Loop Header: Depth=2
	s_wait_xcnt 0x0
	s_add_nc_u64 s[14:15], s[4:5], s[12:13]
	s_add_nc_u64 s[12:13], s[12:13], 1
	global_load_u8 v1, v9, s[14:15]
	s_cmp_lg_u32 s10, s12
	s_wait_loadcnt 0x0
	v_and_b32_e32 v8, 0xffff, v1
	s_delay_alu instid0(VALU_DEP_1) | instskip(SKIP_1) | instid1(VALU_DEP_1)
	v_lshlrev_b64_e32 v[12:13], s0, v[8:9]
	s_add_nc_u64 s[0:1], s[0:1], 8
	v_or_b32_e32 v6, v12, v6
	s_delay_alu instid0(VALU_DEP_2)
	v_or_b32_e32 v7, v13, v7
	s_cbranch_scc1 .LBB1_120
.LBB1_121:                              ;   in Loop: Header=BB1_117 Depth=1
	s_mov_b64 s[12:13], s[4:5]
	s_mov_b32 s16, 0
	s_cbranch_execz .LBB1_123
	s_branch .LBB1_124
.LBB1_122:                              ;   in Loop: Header=BB1_117 Depth=1
	s_add_nc_u64 s[12:13], s[4:5], 8
	s_mov_b32 s16, 0
.LBB1_123:                              ;   in Loop: Header=BB1_117 Depth=1
	global_load_b64 v[6:7], v9, s[4:5]
	s_add_co_i32 s16, s10, -8
.LBB1_124:                              ;   in Loop: Header=BB1_117 Depth=1
	s_delay_alu instid0(SALU_CYCLE_1)
	s_cmp_gt_u32 s16, 7
	s_cbranch_scc1 .LBB1_129
; %bb.125:                              ;   in Loop: Header=BB1_117 Depth=1
	v_mov_b64_e32 v[12:13], 0
	s_cmp_eq_u32 s16, 0
	s_cbranch_scc1 .LBB1_128
; %bb.126:                              ;   in Loop: Header=BB1_117 Depth=1
	s_mov_b64 s[0:1], 0
	s_wait_xcnt 0x0
	s_mov_b64 s[14:15], 0
.LBB1_127:                              ;   Parent Loop BB1_117 Depth=1
                                        ; =>  This Inner Loop Header: Depth=2
	s_wait_xcnt 0x0
	s_add_nc_u64 s[18:19], s[12:13], s[14:15]
	s_add_nc_u64 s[14:15], s[14:15], 1
	global_load_u8 v1, v9, s[18:19]
	s_cmp_lg_u32 s16, s14
	s_wait_loadcnt 0x0
	v_and_b32_e32 v8, 0xffff, v1
	s_delay_alu instid0(VALU_DEP_1) | instskip(SKIP_1) | instid1(VALU_DEP_1)
	v_lshlrev_b64_e32 v[14:15], s0, v[8:9]
	s_add_nc_u64 s[0:1], s[0:1], 8
	v_or_b32_e32 v12, v14, v12
	s_delay_alu instid0(VALU_DEP_2)
	v_or_b32_e32 v13, v15, v13
	s_cbranch_scc1 .LBB1_127
.LBB1_128:                              ;   in Loop: Header=BB1_117 Depth=1
	s_wait_xcnt 0x0
	s_mov_b64 s[0:1], s[12:13]
	s_mov_b32 s17, 0
	s_cbranch_execz .LBB1_130
	s_branch .LBB1_131
.LBB1_129:                              ;   in Loop: Header=BB1_117 Depth=1
	s_add_nc_u64 s[0:1], s[12:13], 8
	s_wait_xcnt 0x0
                                        ; implicit-def: $vgpr12_vgpr13
	s_mov_b32 s17, 0
.LBB1_130:                              ;   in Loop: Header=BB1_117 Depth=1
	global_load_b64 v[12:13], v9, s[12:13]
	s_add_co_i32 s17, s16, -8
.LBB1_131:                              ;   in Loop: Header=BB1_117 Depth=1
	s_delay_alu instid0(SALU_CYCLE_1)
	s_cmp_gt_u32 s17, 7
	s_cbranch_scc1 .LBB1_136
; %bb.132:                              ;   in Loop: Header=BB1_117 Depth=1
	v_mov_b64_e32 v[14:15], 0
	s_cmp_eq_u32 s17, 0
	s_cbranch_scc1 .LBB1_135
; %bb.133:                              ;   in Loop: Header=BB1_117 Depth=1
	s_wait_xcnt 0x0
	s_mov_b64 s[12:13], 0
	s_mov_b64 s[14:15], 0
.LBB1_134:                              ;   Parent Loop BB1_117 Depth=1
                                        ; =>  This Inner Loop Header: Depth=2
	s_wait_xcnt 0x0
	s_add_nc_u64 s[18:19], s[0:1], s[14:15]
	s_add_nc_u64 s[14:15], s[14:15], 1
	global_load_u8 v1, v9, s[18:19]
	s_cmp_lg_u32 s17, s14
	s_wait_loadcnt 0x0
	v_and_b32_e32 v8, 0xffff, v1
	s_delay_alu instid0(VALU_DEP_1) | instskip(SKIP_1) | instid1(VALU_DEP_1)
	v_lshlrev_b64_e32 v[16:17], s12, v[8:9]
	s_add_nc_u64 s[12:13], s[12:13], 8
	v_or_b32_e32 v14, v16, v14
	s_delay_alu instid0(VALU_DEP_2)
	v_or_b32_e32 v15, v17, v15
	s_cbranch_scc1 .LBB1_134
.LBB1_135:                              ;   in Loop: Header=BB1_117 Depth=1
	s_wait_xcnt 0x0
	s_mov_b64 s[12:13], s[0:1]
	s_mov_b32 s16, 0
	s_cbranch_execz .LBB1_137
	s_branch .LBB1_138
.LBB1_136:                              ;   in Loop: Header=BB1_117 Depth=1
	s_wait_xcnt 0x0
	s_add_nc_u64 s[12:13], s[0:1], 8
	s_mov_b32 s16, 0
.LBB1_137:                              ;   in Loop: Header=BB1_117 Depth=1
	global_load_b64 v[14:15], v9, s[0:1]
	s_add_co_i32 s16, s17, -8
.LBB1_138:                              ;   in Loop: Header=BB1_117 Depth=1
	s_delay_alu instid0(SALU_CYCLE_1)
	s_cmp_gt_u32 s16, 7
	s_cbranch_scc1 .LBB1_143
; %bb.139:                              ;   in Loop: Header=BB1_117 Depth=1
	v_mov_b64_e32 v[16:17], 0
	s_cmp_eq_u32 s16, 0
	s_cbranch_scc1 .LBB1_142
; %bb.140:                              ;   in Loop: Header=BB1_117 Depth=1
	s_wait_xcnt 0x0
	s_mov_b64 s[0:1], 0
	s_mov_b64 s[14:15], 0
.LBB1_141:                              ;   Parent Loop BB1_117 Depth=1
                                        ; =>  This Inner Loop Header: Depth=2
	s_wait_xcnt 0x0
	s_add_nc_u64 s[18:19], s[12:13], s[14:15]
	s_add_nc_u64 s[14:15], s[14:15], 1
	global_load_u8 v1, v9, s[18:19]
	s_cmp_lg_u32 s16, s14
	s_wait_loadcnt 0x0
	v_and_b32_e32 v8, 0xffff, v1
	s_delay_alu instid0(VALU_DEP_1) | instskip(SKIP_1) | instid1(VALU_DEP_1)
	v_lshlrev_b64_e32 v[18:19], s0, v[8:9]
	s_add_nc_u64 s[0:1], s[0:1], 8
	v_or_b32_e32 v16, v18, v16
	s_delay_alu instid0(VALU_DEP_2)
	v_or_b32_e32 v17, v19, v17
	s_cbranch_scc1 .LBB1_141
.LBB1_142:                              ;   in Loop: Header=BB1_117 Depth=1
	s_wait_xcnt 0x0
	s_mov_b64 s[0:1], s[12:13]
	s_mov_b32 s17, 0
	s_cbranch_execz .LBB1_144
	s_branch .LBB1_145
.LBB1_143:                              ;   in Loop: Header=BB1_117 Depth=1
	s_wait_xcnt 0x0
	s_add_nc_u64 s[0:1], s[12:13], 8
                                        ; implicit-def: $vgpr16_vgpr17
	s_mov_b32 s17, 0
.LBB1_144:                              ;   in Loop: Header=BB1_117 Depth=1
	global_load_b64 v[16:17], v9, s[12:13]
	s_add_co_i32 s17, s16, -8
.LBB1_145:                              ;   in Loop: Header=BB1_117 Depth=1
	s_delay_alu instid0(SALU_CYCLE_1)
	s_cmp_gt_u32 s17, 7
	s_cbranch_scc1 .LBB1_150
; %bb.146:                              ;   in Loop: Header=BB1_117 Depth=1
	v_mov_b64_e32 v[18:19], 0
	s_cmp_eq_u32 s17, 0
	s_cbranch_scc1 .LBB1_149
; %bb.147:                              ;   in Loop: Header=BB1_117 Depth=1
	s_wait_xcnt 0x0
	s_mov_b64 s[12:13], 0
	s_mov_b64 s[14:15], 0
.LBB1_148:                              ;   Parent Loop BB1_117 Depth=1
                                        ; =>  This Inner Loop Header: Depth=2
	s_wait_xcnt 0x0
	s_add_nc_u64 s[18:19], s[0:1], s[14:15]
	s_add_nc_u64 s[14:15], s[14:15], 1
	global_load_u8 v1, v9, s[18:19]
	s_cmp_lg_u32 s17, s14
	s_wait_loadcnt 0x0
	v_and_b32_e32 v8, 0xffff, v1
	s_delay_alu instid0(VALU_DEP_1) | instskip(SKIP_1) | instid1(VALU_DEP_1)
	v_lshlrev_b64_e32 v[20:21], s12, v[8:9]
	s_add_nc_u64 s[12:13], s[12:13], 8
	v_or_b32_e32 v18, v20, v18
	s_delay_alu instid0(VALU_DEP_2)
	v_or_b32_e32 v19, v21, v19
	s_cbranch_scc1 .LBB1_148
.LBB1_149:                              ;   in Loop: Header=BB1_117 Depth=1
	s_wait_xcnt 0x0
	s_mov_b64 s[12:13], s[0:1]
	s_mov_b32 s16, 0
	s_cbranch_execz .LBB1_151
	s_branch .LBB1_152
.LBB1_150:                              ;   in Loop: Header=BB1_117 Depth=1
	s_wait_xcnt 0x0
	s_add_nc_u64 s[12:13], s[0:1], 8
	s_mov_b32 s16, 0
.LBB1_151:                              ;   in Loop: Header=BB1_117 Depth=1
	global_load_b64 v[18:19], v9, s[0:1]
	s_add_co_i32 s16, s17, -8
.LBB1_152:                              ;   in Loop: Header=BB1_117 Depth=1
	s_delay_alu instid0(SALU_CYCLE_1)
	s_cmp_gt_u32 s16, 7
	s_cbranch_scc1 .LBB1_157
; %bb.153:                              ;   in Loop: Header=BB1_117 Depth=1
	v_mov_b64_e32 v[20:21], 0
	s_cmp_eq_u32 s16, 0
	s_cbranch_scc1 .LBB1_156
; %bb.154:                              ;   in Loop: Header=BB1_117 Depth=1
	s_wait_xcnt 0x0
	s_mov_b64 s[0:1], 0
	s_mov_b64 s[14:15], 0
.LBB1_155:                              ;   Parent Loop BB1_117 Depth=1
                                        ; =>  This Inner Loop Header: Depth=2
	s_wait_xcnt 0x0
	s_add_nc_u64 s[18:19], s[12:13], s[14:15]
	s_add_nc_u64 s[14:15], s[14:15], 1
	global_load_u8 v1, v9, s[18:19]
	s_cmp_lg_u32 s16, s14
	s_wait_loadcnt 0x0
	v_and_b32_e32 v8, 0xffff, v1
	s_delay_alu instid0(VALU_DEP_1) | instskip(SKIP_1) | instid1(VALU_DEP_1)
	v_lshlrev_b64_e32 v[22:23], s0, v[8:9]
	s_add_nc_u64 s[0:1], s[0:1], 8
	v_or_b32_e32 v20, v22, v20
	s_delay_alu instid0(VALU_DEP_2)
	v_or_b32_e32 v21, v23, v21
	s_cbranch_scc1 .LBB1_155
.LBB1_156:                              ;   in Loop: Header=BB1_117 Depth=1
	s_wait_xcnt 0x0
	s_mov_b64 s[0:1], s[12:13]
	s_mov_b32 s17, 0
	s_cbranch_execz .LBB1_158
	s_branch .LBB1_159
.LBB1_157:                              ;   in Loop: Header=BB1_117 Depth=1
	s_wait_xcnt 0x0
	s_add_nc_u64 s[0:1], s[12:13], 8
                                        ; implicit-def: $vgpr20_vgpr21
	s_mov_b32 s17, 0
.LBB1_158:                              ;   in Loop: Header=BB1_117 Depth=1
	global_load_b64 v[20:21], v9, s[12:13]
	s_add_co_i32 s17, s16, -8
.LBB1_159:                              ;   in Loop: Header=BB1_117 Depth=1
	s_delay_alu instid0(SALU_CYCLE_1)
	s_cmp_gt_u32 s17, 7
	s_cbranch_scc1 .LBB1_164
; %bb.160:                              ;   in Loop: Header=BB1_117 Depth=1
	v_mov_b64_e32 v[22:23], 0
	s_cmp_eq_u32 s17, 0
	s_cbranch_scc1 .LBB1_163
; %bb.161:                              ;   in Loop: Header=BB1_117 Depth=1
	s_wait_xcnt 0x0
	s_mov_b64 s[12:13], 0
	s_mov_b64 s[14:15], s[0:1]
.LBB1_162:                              ;   Parent Loop BB1_117 Depth=1
                                        ; =>  This Inner Loop Header: Depth=2
	global_load_u8 v1, v9, s[14:15]
	s_add_co_i32 s17, s17, -1
	s_wait_xcnt 0x0
	s_add_nc_u64 s[14:15], s[14:15], 1
	s_cmp_lg_u32 s17, 0
	s_wait_loadcnt 0x0
	v_and_b32_e32 v8, 0xffff, v1
	s_delay_alu instid0(VALU_DEP_1) | instskip(SKIP_1) | instid1(VALU_DEP_1)
	v_lshlrev_b64_e32 v[24:25], s12, v[8:9]
	s_add_nc_u64 s[12:13], s[12:13], 8
	v_or_b32_e32 v22, v24, v22
	s_delay_alu instid0(VALU_DEP_2)
	v_or_b32_e32 v23, v25, v23
	s_cbranch_scc1 .LBB1_162
.LBB1_163:                              ;   in Loop: Header=BB1_117 Depth=1
	s_wait_xcnt 0x0
	s_cbranch_execz .LBB1_165
	s_branch .LBB1_166
.LBB1_164:                              ;   in Loop: Header=BB1_117 Depth=1
	s_wait_xcnt 0x0
.LBB1_165:                              ;   in Loop: Header=BB1_117 Depth=1
	global_load_b64 v[22:23], v9, s[0:1]
.LBB1_166:                              ;   in Loop: Header=BB1_117 Depth=1
	s_wait_xcnt 0x0
	v_readfirstlane_b32 s0, v50
	v_mov_b64_e32 v[34:35], 0
	s_delay_alu instid0(VALU_DEP_2)
	v_cmp_eq_u32_e64 s0, s0, v50
	s_and_saveexec_b32 s1, s0
	s_cbranch_execz .LBB1_172
; %bb.167:                              ;   in Loop: Header=BB1_117 Depth=1
	global_load_b64 v[26:27], v9, s[2:3] offset:24 scope:SCOPE_SYS
	s_wait_loadcnt 0x0
	global_inv scope:SCOPE_SYS
	s_clause 0x1
	global_load_b64 v[24:25], v9, s[2:3] offset:40
	global_load_b64 v[34:35], v9, s[2:3]
	s_mov_b32 s12, exec_lo
	s_wait_loadcnt 0x1
	v_and_b32_e32 v24, v24, v26
	v_and_b32_e32 v25, v25, v27
	s_delay_alu instid0(VALU_DEP_1) | instskip(SKIP_1) | instid1(VALU_DEP_1)
	v_mul_u64_e32 v[24:25], 24, v[24:25]
	s_wait_loadcnt 0x0
	v_add_nc_u64_e32 v[24:25], v[34:35], v[24:25]
	global_load_b64 v[24:25], v[24:25], off scope:SCOPE_SYS
	s_wait_xcnt 0x0
	s_wait_loadcnt 0x0
	global_atomic_cmpswap_b64 v[34:35], v9, v[24:27], s[2:3] offset:24 th:TH_ATOMIC_RETURN scope:SCOPE_SYS
	s_wait_loadcnt 0x0
	global_inv scope:SCOPE_SYS
	s_wait_xcnt 0x0
	v_cmpx_ne_u64_e64 v[34:35], v[26:27]
	s_cbranch_execz .LBB1_171
; %bb.168:                              ;   in Loop: Header=BB1_117 Depth=1
	s_mov_b32 s13, 0
.LBB1_169:                              ;   Parent Loop BB1_117 Depth=1
                                        ; =>  This Inner Loop Header: Depth=2
	s_sleep 1
	s_clause 0x1
	global_load_b64 v[24:25], v9, s[2:3] offset:40
	global_load_b64 v[36:37], v9, s[2:3]
	v_mov_b64_e32 v[26:27], v[34:35]
	s_wait_loadcnt 0x1
	s_delay_alu instid0(VALU_DEP_1) | instskip(SKIP_1) | instid1(VALU_DEP_1)
	v_and_b32_e32 v1, v24, v26
	s_wait_loadcnt 0x0
	v_mad_nc_u64_u32 v[34:35], v1, 24, v[36:37]
	s_delay_alu instid0(VALU_DEP_3) | instskip(NEXT) | instid1(VALU_DEP_1)
	v_and_b32_e32 v1, v25, v27
	v_mad_u32 v35, v1, 24, v35
	global_load_b64 v[24:25], v[34:35], off scope:SCOPE_SYS
	s_wait_xcnt 0x0
	s_wait_loadcnt 0x0
	global_atomic_cmpswap_b64 v[34:35], v9, v[24:27], s[2:3] offset:24 th:TH_ATOMIC_RETURN scope:SCOPE_SYS
	s_wait_loadcnt 0x0
	global_inv scope:SCOPE_SYS
	v_cmp_eq_u64_e32 vcc_lo, v[34:35], v[26:27]
	s_or_b32 s13, vcc_lo, s13
	s_wait_xcnt 0x0
	s_and_not1_b32 exec_lo, exec_lo, s13
	s_cbranch_execnz .LBB1_169
; %bb.170:                              ;   in Loop: Header=BB1_117 Depth=1
	s_or_b32 exec_lo, exec_lo, s13
.LBB1_171:                              ;   in Loop: Header=BB1_117 Depth=1
	s_delay_alu instid0(SALU_CYCLE_1)
	s_or_b32 exec_lo, exec_lo, s12
.LBB1_172:                              ;   in Loop: Header=BB1_117 Depth=1
	s_delay_alu instid0(SALU_CYCLE_1)
	s_or_b32 exec_lo, exec_lo, s1
	s_clause 0x1
	global_load_b64 v[36:37], v9, s[2:3] offset:40
	global_load_b128 v[24:27], v9, s[2:3]
	v_readfirstlane_b32 s12, v34
	v_readfirstlane_b32 s13, v35
	s_mov_b32 s1, exec_lo
	s_wait_loadcnt 0x1
	v_and_b32_e32 v36, s12, v36
	v_and_b32_e32 v37, s13, v37
	s_delay_alu instid0(VALU_DEP_1) | instskip(SKIP_1) | instid1(VALU_DEP_1)
	v_mul_u64_e32 v[34:35], 24, v[36:37]
	s_wait_loadcnt 0x0
	v_add_nc_u64_e32 v[34:35], v[24:25], v[34:35]
	s_wait_xcnt 0x0
	s_and_saveexec_b32 s14, s0
	s_cbranch_execz .LBB1_174
; %bb.173:                              ;   in Loop: Header=BB1_117 Depth=1
	v_mov_b32_e32 v8, s1
	global_store_b128 v[34:35], v[8:11], off offset:8
.LBB1_174:                              ;   in Loop: Header=BB1_117 Depth=1
	s_wait_xcnt 0x0
	s_or_b32 exec_lo, exec_lo, s14
	v_cmp_lt_u64_e64 vcc_lo, s[6:7], 57
	v_lshlrev_b64_e32 v[36:37], 12, v[36:37]
	v_and_b32_e32 v4, 0xffffff1f, v4
	s_lshl_b32 s1, s10, 2
	s_delay_alu instid0(SALU_CYCLE_1) | instskip(SKIP_1) | instid1(VALU_DEP_3)
	s_add_co_i32 s1, s1, 28
	v_cndmask_b32_e32 v1, 0, v32, vcc_lo
	v_add_nc_u64_e32 v[26:27], v[26:27], v[36:37]
	s_delay_alu instid0(VALU_DEP_2) | instskip(NEXT) | instid1(VALU_DEP_2)
	v_or_b32_e32 v1, v4, v1
	v_readfirstlane_b32 s14, v26
	s_delay_alu instid0(VALU_DEP_3) | instskip(NEXT) | instid1(VALU_DEP_3)
	v_readfirstlane_b32 s15, v27
	v_and_or_b32 v4, 0x1e0, s1, v1
	s_clause 0x3
	global_store_b128 v28, v[4:7], s[14:15]
	global_store_b128 v28, v[12:15], s[14:15] offset:16
	global_store_b128 v28, v[16:19], s[14:15] offset:32
	;; [unrolled: 1-line block ×3, first 2 shown]
	s_wait_xcnt 0x0
	s_and_saveexec_b32 s1, s0
	s_cbranch_execz .LBB1_182
; %bb.175:                              ;   in Loop: Header=BB1_117 Depth=1
	s_clause 0x1
	global_load_b64 v[16:17], v9, s[2:3] offset:32 scope:SCOPE_SYS
	global_load_b64 v[4:5], v9, s[2:3] offset:40
	s_mov_b32 s14, exec_lo
	v_dual_mov_b32 v14, s12 :: v_dual_mov_b32 v15, s13
	s_wait_loadcnt 0x0
	v_and_b32_e32 v5, s13, v5
	v_and_b32_e32 v4, s12, v4
	s_delay_alu instid0(VALU_DEP_1) | instskip(NEXT) | instid1(VALU_DEP_1)
	v_mul_u64_e32 v[4:5], 24, v[4:5]
	v_add_nc_u64_e32 v[12:13], v[24:25], v[4:5]
	global_store_b64 v[12:13], v[16:17], off
	global_wb scope:SCOPE_SYS
	s_wait_storecnt 0x0
	s_wait_xcnt 0x0
	global_atomic_cmpswap_b64 v[6:7], v9, v[14:17], s[2:3] offset:32 th:TH_ATOMIC_RETURN scope:SCOPE_SYS
	s_wait_loadcnt 0x0
	v_cmpx_ne_u64_e64 v[6:7], v[16:17]
	s_cbranch_execz .LBB1_178
; %bb.176:                              ;   in Loop: Header=BB1_117 Depth=1
	s_mov_b32 s15, 0
.LBB1_177:                              ;   Parent Loop BB1_117 Depth=1
                                        ; =>  This Inner Loop Header: Depth=2
	v_dual_mov_b32 v4, s12 :: v_dual_mov_b32 v5, s13
	s_sleep 1
	global_store_b64 v[12:13], v[6:7], off
	global_wb scope:SCOPE_SYS
	s_wait_storecnt 0x0
	s_wait_xcnt 0x0
	global_atomic_cmpswap_b64 v[4:5], v9, v[4:7], s[2:3] offset:32 th:TH_ATOMIC_RETURN scope:SCOPE_SYS
	s_wait_loadcnt 0x0
	v_cmp_eq_u64_e32 vcc_lo, v[4:5], v[6:7]
	v_mov_b64_e32 v[6:7], v[4:5]
	s_or_b32 s15, vcc_lo, s15
	s_delay_alu instid0(SALU_CYCLE_1)
	s_and_not1_b32 exec_lo, exec_lo, s15
	s_cbranch_execnz .LBB1_177
.LBB1_178:                              ;   in Loop: Header=BB1_117 Depth=1
	s_or_b32 exec_lo, exec_lo, s14
	global_load_b64 v[4:5], v9, s[2:3] offset:16
	s_mov_b32 s15, exec_lo
	s_mov_b32 s14, exec_lo
	v_mbcnt_lo_u32_b32 v1, s15, 0
	s_wait_xcnt 0x0
	s_delay_alu instid0(VALU_DEP_1)
	v_cmpx_eq_u32_e32 0, v1
	s_cbranch_execz .LBB1_180
; %bb.179:                              ;   in Loop: Header=BB1_117 Depth=1
	s_bcnt1_i32_b32 s15, s15
	s_delay_alu instid0(SALU_CYCLE_1)
	v_mov_b32_e32 v8, s15
	global_wb scope:SCOPE_SYS
	s_wait_loadcnt 0x0
	s_wait_storecnt 0x0
	global_atomic_add_u64 v[4:5], v[8:9], off offset:8 scope:SCOPE_SYS
.LBB1_180:                              ;   in Loop: Header=BB1_117 Depth=1
	s_wait_xcnt 0x0
	s_or_b32 exec_lo, exec_lo, s14
	s_wait_loadcnt 0x0
	global_load_b64 v[6:7], v[4:5], off offset:16
	s_wait_loadcnt 0x0
	v_cmp_eq_u64_e32 vcc_lo, 0, v[6:7]
	s_cbranch_vccnz .LBB1_182
; %bb.181:                              ;   in Loop: Header=BB1_117 Depth=1
	global_load_b32 v8, v[4:5], off offset:24
	s_wait_loadcnt 0x0
	v_readfirstlane_b32 s14, v8
	global_wb scope:SCOPE_SYS
	s_wait_storecnt 0x0
	s_wait_xcnt 0x0
	global_store_b64 v[6:7], v[8:9], off scope:SCOPE_SYS
	s_and_b32 m0, s14, 0xffffff
	s_sendmsg sendmsg(MSG_INTERRUPT)
.LBB1_182:                              ;   in Loop: Header=BB1_117 Depth=1
	s_wait_xcnt 0x0
	s_or_b32 exec_lo, exec_lo, s1
	v_mov_b32_e32 v29, v9
	s_delay_alu instid0(VALU_DEP_1)
	v_add_nc_u64_e32 v[4:5], v[26:27], v[28:29]
	s_branch .LBB1_186
.LBB1_183:                              ;   in Loop: Header=BB1_186 Depth=2
	s_wait_xcnt 0x0
	s_or_b32 exec_lo, exec_lo, s1
	s_delay_alu instid0(VALU_DEP_1)
	v_readfirstlane_b32 s1, v1
	s_cmp_eq_u32 s1, 0
	s_cbranch_scc1 .LBB1_185
; %bb.184:                              ;   in Loop: Header=BB1_186 Depth=2
	s_sleep 1
	s_cbranch_execnz .LBB1_186
	s_branch .LBB1_188
.LBB1_185:                              ;   in Loop: Header=BB1_117 Depth=1
	s_branch .LBB1_188
.LBB1_186:                              ;   Parent Loop BB1_117 Depth=1
                                        ; =>  This Inner Loop Header: Depth=2
	v_mov_b32_e32 v1, 1
	s_and_saveexec_b32 s1, s0
	s_cbranch_execz .LBB1_183
; %bb.187:                              ;   in Loop: Header=BB1_186 Depth=2
	global_load_b32 v1, v[34:35], off offset:20 scope:SCOPE_SYS
	s_wait_loadcnt 0x0
	global_inv scope:SCOPE_SYS
	v_and_b32_e32 v1, 1, v1
	s_branch .LBB1_183
.LBB1_188:                              ;   in Loop: Header=BB1_117 Depth=1
	global_load_b64 v[4:5], v[4:5], off
	s_wait_xcnt 0x0
	s_and_saveexec_b32 s14, s0
	s_cbranch_execz .LBB1_116
; %bb.189:                              ;   in Loop: Header=BB1_117 Depth=1
	s_clause 0x2
	global_load_b64 v[6:7], v9, s[2:3] offset:40
	global_load_b64 v[16:17], v9, s[2:3] offset:24 scope:SCOPE_SYS
	global_load_b64 v[12:13], v9, s[2:3]
	s_wait_loadcnt 0x2
	v_readfirstlane_b32 s16, v6
	v_readfirstlane_b32 s17, v7
	s_add_nc_u64 s[0:1], s[16:17], 1
	s_delay_alu instid0(SALU_CYCLE_1) | instskip(NEXT) | instid1(SALU_CYCLE_1)
	s_add_nc_u64 s[12:13], s[0:1], s[12:13]
	s_cmp_eq_u64 s[12:13], 0
	s_cselect_b32 s1, s1, s13
	s_cselect_b32 s0, s0, s12
	s_delay_alu instid0(SALU_CYCLE_1) | instskip(SKIP_1) | instid1(SALU_CYCLE_1)
	v_dual_mov_b32 v15, s1 :: v_dual_mov_b32 v14, s0
	s_and_b64 s[12:13], s[0:1], s[16:17]
	s_mul_u64 s[12:13], s[12:13], 24
	s_wait_loadcnt 0x0
	v_add_nc_u64_e32 v[6:7], s[12:13], v[12:13]
	global_store_b64 v[6:7], v[16:17], off
	global_wb scope:SCOPE_SYS
	s_wait_storecnt 0x0
	s_wait_xcnt 0x0
	global_atomic_cmpswap_b64 v[14:15], v9, v[14:17], s[2:3] offset:24 th:TH_ATOMIC_RETURN scope:SCOPE_SYS
	s_wait_loadcnt 0x0
	v_cmp_ne_u64_e32 vcc_lo, v[14:15], v[16:17]
	s_and_b32 exec_lo, exec_lo, vcc_lo
	s_cbranch_execz .LBB1_116
; %bb.190:                              ;   in Loop: Header=BB1_117 Depth=1
	s_mov_b32 s12, 0
.LBB1_191:                              ;   Parent Loop BB1_117 Depth=1
                                        ; =>  This Inner Loop Header: Depth=2
	v_dual_mov_b32 v12, s0 :: v_dual_mov_b32 v13, s1
	s_sleep 1
	global_store_b64 v[6:7], v[14:15], off
	global_wb scope:SCOPE_SYS
	s_wait_storecnt 0x0
	s_wait_xcnt 0x0
	global_atomic_cmpswap_b64 v[12:13], v9, v[12:15], s[2:3] offset:24 th:TH_ATOMIC_RETURN scope:SCOPE_SYS
	s_wait_loadcnt 0x0
	v_cmp_eq_u64_e32 vcc_lo, v[12:13], v[14:15]
	v_mov_b64_e32 v[14:15], v[12:13]
	s_or_b32 s12, vcc_lo, s12
	s_delay_alu instid0(SALU_CYCLE_1)
	s_and_not1_b32 exec_lo, exec_lo, s12
	s_cbranch_execnz .LBB1_191
	s_branch .LBB1_116
.LBB1_192:
	s_or_b32 exec_lo, exec_lo, s6
	s_branch .LBB1_114
.LBB1_193:
	v_readfirstlane_b32 s0, v50
	v_mov_b64_e32 v[8:9], 0
	s_delay_alu instid0(VALU_DEP_2)
	v_cmp_eq_u32_e64 s0, s0, v50
	s_and_saveexec_b32 s1, s0
	s_cbranch_execz .LBB1_199
; %bb.194:
	v_mov_b32_e32 v1, 0
	s_mov_b32 s4, exec_lo
	global_load_b64 v[4:5], v1, s[2:3] offset:24 scope:SCOPE_SYS
	s_wait_loadcnt 0x0
	global_inv scope:SCOPE_SYS
	s_clause 0x1
	global_load_b64 v[2:3], v1, s[2:3] offset:40
	global_load_b64 v[8:9], v1, s[2:3]
	s_wait_loadcnt 0x1
	v_and_b32_e32 v2, v2, v4
	v_and_b32_e32 v3, v3, v5
	s_delay_alu instid0(VALU_DEP_1) | instskip(SKIP_1) | instid1(VALU_DEP_1)
	v_mul_u64_e32 v[2:3], 24, v[2:3]
	s_wait_loadcnt 0x0
	v_add_nc_u64_e32 v[2:3], v[8:9], v[2:3]
	global_load_b64 v[2:3], v[2:3], off scope:SCOPE_SYS
	s_wait_xcnt 0x0
	s_wait_loadcnt 0x0
	global_atomic_cmpswap_b64 v[8:9], v1, v[2:5], s[2:3] offset:24 th:TH_ATOMIC_RETURN scope:SCOPE_SYS
	s_wait_loadcnt 0x0
	global_inv scope:SCOPE_SYS
	s_wait_xcnt 0x0
	v_cmpx_ne_u64_e64 v[8:9], v[4:5]
	s_cbranch_execz .LBB1_198
; %bb.195:
	s_mov_b32 s5, 0
.LBB1_196:                              ; =>This Inner Loop Header: Depth=1
	s_sleep 1
	s_clause 0x1
	global_load_b64 v[2:3], v1, s[2:3] offset:40
	global_load_b64 v[10:11], v1, s[2:3]
	v_mov_b64_e32 v[4:5], v[8:9]
	s_wait_loadcnt 0x1
	s_delay_alu instid0(VALU_DEP_1) | instskip(SKIP_1) | instid1(VALU_DEP_1)
	v_and_b32_e32 v2, v2, v4
	s_wait_loadcnt 0x0
	v_mad_nc_u64_u32 v[8:9], v2, 24, v[10:11]
	s_delay_alu instid0(VALU_DEP_3) | instskip(NEXT) | instid1(VALU_DEP_1)
	v_and_b32_e32 v2, v3, v5
	v_mad_u32 v9, v2, 24, v9
	global_load_b64 v[2:3], v[8:9], off scope:SCOPE_SYS
	s_wait_xcnt 0x0
	s_wait_loadcnt 0x0
	global_atomic_cmpswap_b64 v[8:9], v1, v[2:5], s[2:3] offset:24 th:TH_ATOMIC_RETURN scope:SCOPE_SYS
	s_wait_loadcnt 0x0
	global_inv scope:SCOPE_SYS
	v_cmp_eq_u64_e32 vcc_lo, v[8:9], v[4:5]
	s_or_b32 s5, vcc_lo, s5
	s_wait_xcnt 0x0
	s_and_not1_b32 exec_lo, exec_lo, s5
	s_cbranch_execnz .LBB1_196
; %bb.197:
	s_or_b32 exec_lo, exec_lo, s5
.LBB1_198:
	s_delay_alu instid0(SALU_CYCLE_1)
	s_or_b32 exec_lo, exec_lo, s4
.LBB1_199:
	s_delay_alu instid0(SALU_CYCLE_1)
	s_or_b32 exec_lo, exec_lo, s1
	v_readfirstlane_b32 s4, v8
	v_mov_b32_e32 v29, 0
	v_readfirstlane_b32 s5, v9
	s_mov_b32 s1, exec_lo
	global_load_b64 v[10:11], v29, s[2:3] offset:40
	s_wait_loadcnt 0x1
	global_load_b128 v[2:5], v29, s[2:3]
	s_wait_loadcnt 0x1
	v_and_b32_e32 v8, s4, v10
	v_and_b32_e32 v9, s5, v11
	s_delay_alu instid0(VALU_DEP_1) | instskip(SKIP_1) | instid1(VALU_DEP_1)
	v_mul_u64_e32 v[10:11], 24, v[8:9]
	s_wait_loadcnt 0x0
	v_add_nc_u64_e32 v[10:11], v[2:3], v[10:11]
	s_wait_xcnt 0x0
	s_and_saveexec_b32 s6, s0
	s_cbranch_execz .LBB1_201
; %bb.200:
	v_mov_b64_e32 v[14:15], 0x100000002
	v_dual_mov_b32 v12, s1 :: v_dual_mov_b32 v13, v29
	global_store_b128 v[10:11], v[12:15], off offset:8
.LBB1_201:
	s_wait_xcnt 0x0
	s_or_b32 exec_lo, exec_lo, s6
	v_lshlrev_b64_e32 v[8:9], 12, v[8:9]
	s_mov_b32 s12, 0
	v_and_or_b32 v6, 0xffffff1f, v6, 32
	s_mov_b32 s14, s12
	s_mov_b32 s15, s12
	;; [unrolled: 1-line block ×3, first 2 shown]
	v_mov_b64_e32 v[16:17], s[14:15]
	v_add_nc_u64_e32 v[12:13], v[4:5], v[8:9]
	v_mov_b64_e32 v[14:15], s[12:13]
	v_dual_mov_b32 v8, v29 :: v_dual_mov_b32 v9, v29
	s_delay_alu instid0(VALU_DEP_3) | instskip(NEXT) | instid1(VALU_DEP_4)
	v_readfirstlane_b32 s6, v12
	v_readfirstlane_b32 s7, v13
	s_clause 0x3
	global_store_b128 v28, v[6:9], s[6:7]
	global_store_b128 v28, v[14:17], s[6:7] offset:16
	global_store_b128 v28, v[14:17], s[6:7] offset:32
	;; [unrolled: 1-line block ×3, first 2 shown]
	s_wait_xcnt 0x0
	s_and_saveexec_b32 s1, s0
	s_cbranch_execz .LBB1_209
; %bb.202:
	v_dual_mov_b32 v1, 0 :: v_dual_mov_b32 v15, s5
	s_mov_b32 s6, exec_lo
	s_clause 0x1
	global_load_b64 v[16:17], v1, s[2:3] offset:32 scope:SCOPE_SYS
	global_load_b64 v[4:5], v1, s[2:3] offset:40
	s_wait_loadcnt 0x0
	v_dual_mov_b32 v14, s4 :: v_dual_bitop2_b32 v5, s5, v5 bitop3:0x40
	v_and_b32_e32 v4, s4, v4
	s_delay_alu instid0(VALU_DEP_1) | instskip(NEXT) | instid1(VALU_DEP_1)
	v_mul_u64_e32 v[4:5], 24, v[4:5]
	v_add_nc_u64_e32 v[6:7], v[2:3], v[4:5]
	global_store_b64 v[6:7], v[16:17], off
	global_wb scope:SCOPE_SYS
	s_wait_storecnt 0x0
	s_wait_xcnt 0x0
	global_atomic_cmpswap_b64 v[4:5], v1, v[14:17], s[2:3] offset:32 th:TH_ATOMIC_RETURN scope:SCOPE_SYS
	s_wait_loadcnt 0x0
	v_cmpx_ne_u64_e64 v[4:5], v[16:17]
	s_cbranch_execz .LBB1_205
; %bb.203:
	s_mov_b32 s7, 0
.LBB1_204:                              ; =>This Inner Loop Header: Depth=1
	v_dual_mov_b32 v2, s4 :: v_dual_mov_b32 v3, s5
	s_sleep 1
	global_store_b64 v[6:7], v[4:5], off
	global_wb scope:SCOPE_SYS
	s_wait_storecnt 0x0
	s_wait_xcnt 0x0
	global_atomic_cmpswap_b64 v[2:3], v1, v[2:5], s[2:3] offset:32 th:TH_ATOMIC_RETURN scope:SCOPE_SYS
	s_wait_loadcnt 0x0
	v_cmp_eq_u64_e32 vcc_lo, v[2:3], v[4:5]
	v_mov_b64_e32 v[4:5], v[2:3]
	s_or_b32 s7, vcc_lo, s7
	s_delay_alu instid0(SALU_CYCLE_1)
	s_and_not1_b32 exec_lo, exec_lo, s7
	s_cbranch_execnz .LBB1_204
.LBB1_205:
	s_or_b32 exec_lo, exec_lo, s6
	v_mov_b32_e32 v5, 0
	s_mov_b32 s7, exec_lo
	s_mov_b32 s6, exec_lo
	v_mbcnt_lo_u32_b32 v1, s7, 0
	global_load_b64 v[2:3], v5, s[2:3] offset:16
	s_wait_xcnt 0x0
	v_cmpx_eq_u32_e32 0, v1
	s_cbranch_execz .LBB1_207
; %bb.206:
	s_bcnt1_i32_b32 s7, s7
	s_delay_alu instid0(SALU_CYCLE_1)
	v_mov_b32_e32 v4, s7
	global_wb scope:SCOPE_SYS
	s_wait_loadcnt 0x0
	s_wait_storecnt 0x0
	global_atomic_add_u64 v[2:3], v[4:5], off offset:8 scope:SCOPE_SYS
.LBB1_207:
	s_wait_xcnt 0x0
	s_or_b32 exec_lo, exec_lo, s6
	s_wait_loadcnt 0x0
	global_load_b64 v[4:5], v[2:3], off offset:16
	s_wait_loadcnt 0x0
	v_cmp_eq_u64_e32 vcc_lo, 0, v[4:5]
	s_cbranch_vccnz .LBB1_209
; %bb.208:
	global_load_b32 v2, v[2:3], off offset:24
	s_wait_xcnt 0x0
	v_mov_b32_e32 v3, 0
	s_wait_loadcnt 0x0
	v_readfirstlane_b32 s6, v2
	global_wb scope:SCOPE_SYS
	s_wait_storecnt 0x0
	global_store_b64 v[4:5], v[2:3], off scope:SCOPE_SYS
	s_and_b32 m0, s6, 0xffffff
	s_sendmsg sendmsg(MSG_INTERRUPT)
.LBB1_209:
	s_wait_xcnt 0x0
	s_or_b32 exec_lo, exec_lo, s1
	v_add_nc_u64_e32 v[2:3], v[12:13], v[28:29]
	s_branch .LBB1_213
.LBB1_210:                              ;   in Loop: Header=BB1_213 Depth=1
	s_wait_xcnt 0x0
	s_or_b32 exec_lo, exec_lo, s1
	s_delay_alu instid0(VALU_DEP_1)
	v_readfirstlane_b32 s1, v1
	s_cmp_eq_u32 s1, 0
	s_cbranch_scc1 .LBB1_212
; %bb.211:                              ;   in Loop: Header=BB1_213 Depth=1
	s_sleep 1
	s_cbranch_execnz .LBB1_213
	s_branch .LBB1_216
.LBB1_212:
	s_branch .LBB1_216
.LBB1_213:                              ; =>This Inner Loop Header: Depth=1
	v_mov_b32_e32 v1, 1
	s_and_saveexec_b32 s1, s0
	s_cbranch_execz .LBB1_210
; %bb.214:                              ;   in Loop: Header=BB1_213 Depth=1
	global_load_b32 v1, v[10:11], off offset:20 scope:SCOPE_SYS
	s_wait_loadcnt 0x0
	global_inv scope:SCOPE_SYS
	v_and_b32_e32 v1, 1, v1
	s_branch .LBB1_210
.LBB1_215:
	s_branch .LBB1_249
.LBB1_216:
	global_load_b64 v[2:3], v[2:3], off
	s_wait_xcnt 0x0
	s_and_saveexec_b32 s6, s0
	s_cbranch_execz .LBB1_220
; %bb.217:
	v_mov_b32_e32 v1, 0
	s_clause 0x2
	global_load_b64 v[4:5], v1, s[2:3] offset:40
	global_load_b64 v[12:13], v1, s[2:3] offset:24 scope:SCOPE_SYS
	global_load_b64 v[6:7], v1, s[2:3]
	s_wait_loadcnt 0x2
	v_readfirstlane_b32 s10, v4
	v_readfirstlane_b32 s11, v5
	s_add_nc_u64 s[0:1], s[10:11], 1
	s_delay_alu instid0(SALU_CYCLE_1) | instskip(NEXT) | instid1(SALU_CYCLE_1)
	s_add_nc_u64 s[4:5], s[0:1], s[4:5]
	s_cmp_eq_u64 s[4:5], 0
	s_cselect_b32 s1, s1, s5
	s_cselect_b32 s0, s0, s4
	v_mov_b32_e32 v11, s1
	s_and_b64 s[4:5], s[0:1], s[10:11]
	v_mov_b32_e32 v10, s0
	s_mul_u64 s[4:5], s[4:5], 24
	s_wait_loadcnt 0x0
	v_add_nc_u64_e32 v[8:9], s[4:5], v[6:7]
	global_store_b64 v[8:9], v[12:13], off
	global_wb scope:SCOPE_SYS
	s_wait_storecnt 0x0
	s_wait_xcnt 0x0
	global_atomic_cmpswap_b64 v[6:7], v1, v[10:13], s[2:3] offset:24 th:TH_ATOMIC_RETURN scope:SCOPE_SYS
	s_wait_loadcnt 0x0
	v_cmp_ne_u64_e32 vcc_lo, v[6:7], v[12:13]
	s_and_b32 exec_lo, exec_lo, vcc_lo
	s_cbranch_execz .LBB1_220
; %bb.218:
	s_mov_b32 s4, 0
.LBB1_219:                              ; =>This Inner Loop Header: Depth=1
	v_dual_mov_b32 v4, s0 :: v_dual_mov_b32 v5, s1
	s_sleep 1
	global_store_b64 v[8:9], v[6:7], off
	global_wb scope:SCOPE_SYS
	s_wait_storecnt 0x0
	s_wait_xcnt 0x0
	global_atomic_cmpswap_b64 v[4:5], v1, v[4:7], s[2:3] offset:24 th:TH_ATOMIC_RETURN scope:SCOPE_SYS
	s_wait_loadcnt 0x0
	v_cmp_eq_u64_e32 vcc_lo, v[4:5], v[6:7]
	v_mov_b64_e32 v[6:7], v[4:5]
	s_or_b32 s4, vcc_lo, s4
	s_delay_alu instid0(SALU_CYCLE_1)
	s_and_not1_b32 exec_lo, exec_lo, s4
	s_cbranch_execnz .LBB1_219
.LBB1_220:
	s_or_b32 exec_lo, exec_lo, s6
	s_get_pc_i64 s[4:5]
	s_add_nc_u64 s[4:5], s[4:5], .str.1@rel64+4
	s_delay_alu instid0(SALU_CYCLE_1)
	s_cmp_lg_u64 s[4:5], 0
	s_cbranch_scc1 .LBB1_115
.LBB1_221:
                                        ; implicit-def: $vgpr4_vgpr5
	s_cbranch_execz .LBB1_249
; %bb.222:
	v_readfirstlane_b32 s0, v50
	s_wait_loadcnt 0x0
	v_mov_b64_e32 v[4:5], 0
	s_delay_alu instid0(VALU_DEP_2)
	v_cmp_eq_u32_e64 s0, s0, v50
	s_and_saveexec_b32 s1, s0
	s_cbranch_execz .LBB1_228
; %bb.223:
	v_mov_b32_e32 v1, 0
	s_mov_b32 s4, exec_lo
	global_load_b64 v[6:7], v1, s[2:3] offset:24 scope:SCOPE_SYS
	s_wait_loadcnt 0x0
	global_inv scope:SCOPE_SYS
	s_clause 0x1
	global_load_b64 v[4:5], v1, s[2:3] offset:40
	global_load_b64 v[8:9], v1, s[2:3]
	s_wait_loadcnt 0x1
	v_and_b32_e32 v4, v4, v6
	v_and_b32_e32 v5, v5, v7
	s_delay_alu instid0(VALU_DEP_1) | instskip(SKIP_1) | instid1(VALU_DEP_1)
	v_mul_u64_e32 v[4:5], 24, v[4:5]
	s_wait_loadcnt 0x0
	v_add_nc_u64_e32 v[4:5], v[8:9], v[4:5]
	global_load_b64 v[4:5], v[4:5], off scope:SCOPE_SYS
	s_wait_xcnt 0x0
	s_wait_loadcnt 0x0
	global_atomic_cmpswap_b64 v[4:5], v1, v[4:7], s[2:3] offset:24 th:TH_ATOMIC_RETURN scope:SCOPE_SYS
	s_wait_loadcnt 0x0
	global_inv scope:SCOPE_SYS
	s_wait_xcnt 0x0
	v_cmpx_ne_u64_e64 v[4:5], v[6:7]
	s_cbranch_execz .LBB1_227
; %bb.224:
	s_mov_b32 s5, 0
.LBB1_225:                              ; =>This Inner Loop Header: Depth=1
	s_sleep 1
	s_clause 0x1
	global_load_b64 v[8:9], v1, s[2:3] offset:40
	global_load_b64 v[10:11], v1, s[2:3]
	v_mov_b64_e32 v[6:7], v[4:5]
	s_wait_loadcnt 0x1
	s_delay_alu instid0(VALU_DEP_1) | instskip(NEXT) | instid1(VALU_DEP_2)
	v_and_b32_e32 v4, v8, v6
	v_and_b32_e32 v8, v9, v7
	s_wait_loadcnt 0x0
	s_delay_alu instid0(VALU_DEP_2) | instskip(NEXT) | instid1(VALU_DEP_1)
	v_mad_nc_u64_u32 v[4:5], v4, 24, v[10:11]
	v_mad_u32 v5, v8, 24, v5
	global_load_b64 v[4:5], v[4:5], off scope:SCOPE_SYS
	s_wait_xcnt 0x0
	s_wait_loadcnt 0x0
	global_atomic_cmpswap_b64 v[4:5], v1, v[4:7], s[2:3] offset:24 th:TH_ATOMIC_RETURN scope:SCOPE_SYS
	s_wait_loadcnt 0x0
	global_inv scope:SCOPE_SYS
	v_cmp_eq_u64_e32 vcc_lo, v[4:5], v[6:7]
	s_or_b32 s5, vcc_lo, s5
	s_wait_xcnt 0x0
	s_and_not1_b32 exec_lo, exec_lo, s5
	s_cbranch_execnz .LBB1_225
; %bb.226:
	s_or_b32 exec_lo, exec_lo, s5
.LBB1_227:
	s_delay_alu instid0(SALU_CYCLE_1)
	s_or_b32 exec_lo, exec_lo, s4
.LBB1_228:
	s_delay_alu instid0(SALU_CYCLE_1)
	s_or_b32 exec_lo, exec_lo, s1
	v_readfirstlane_b32 s4, v4
	v_mov_b32_e32 v29, 0
	v_readfirstlane_b32 s5, v5
	s_mov_b32 s1, exec_lo
	s_clause 0x1
	global_load_b64 v[10:11], v29, s[2:3] offset:40
	global_load_b128 v[6:9], v29, s[2:3]
	s_wait_loadcnt 0x1
	v_and_b32_e32 v4, s4, v10
	v_and_b32_e32 v5, s5, v11
	s_delay_alu instid0(VALU_DEP_1) | instskip(SKIP_1) | instid1(VALU_DEP_1)
	v_mul_u64_e32 v[10:11], 24, v[4:5]
	s_wait_loadcnt 0x0
	v_add_nc_u64_e32 v[10:11], v[6:7], v[10:11]
	s_wait_xcnt 0x0
	s_and_saveexec_b32 s6, s0
	s_cbranch_execz .LBB1_230
; %bb.229:
	v_mov_b64_e32 v[14:15], 0x100000002
	v_dual_mov_b32 v12, s1 :: v_dual_mov_b32 v13, v29
	global_store_b128 v[10:11], v[12:15], off offset:8
.LBB1_230:
	s_wait_xcnt 0x0
	s_or_b32 exec_lo, exec_lo, s6
	v_lshlrev_b64_e32 v[4:5], 12, v[4:5]
	s_mov_b32 s12, 0
	v_and_or_b32 v2, 0xffffff1f, v2, 32
	s_mov_b32 s13, s12
	s_mov_b32 s14, s12
	;; [unrolled: 1-line block ×3, first 2 shown]
	v_mov_b64_e32 v[12:13], s[12:13]
	v_add_nc_u64_e32 v[8:9], v[8:9], v[4:5]
	v_mov_b64_e32 v[14:15], s[14:15]
	v_dual_mov_b32 v4, v29 :: v_dual_mov_b32 v5, v29
	s_delay_alu instid0(VALU_DEP_3) | instskip(NEXT) | instid1(VALU_DEP_4)
	v_readfirstlane_b32 s6, v8
	v_readfirstlane_b32 s7, v9
	s_clause 0x3
	global_store_b128 v28, v[2:5], s[6:7]
	global_store_b128 v28, v[12:15], s[6:7] offset:16
	global_store_b128 v28, v[12:15], s[6:7] offset:32
	;; [unrolled: 1-line block ×3, first 2 shown]
	s_wait_xcnt 0x0
	s_and_saveexec_b32 s1, s0
	s_cbranch_execz .LBB1_238
; %bb.231:
	v_dual_mov_b32 v1, 0 :: v_dual_mov_b32 v13, s5
	s_mov_b32 s6, exec_lo
	s_clause 0x1
	global_load_b64 v[14:15], v1, s[2:3] offset:32 scope:SCOPE_SYS
	global_load_b64 v[2:3], v1, s[2:3] offset:40
	s_wait_loadcnt 0x0
	v_dual_mov_b32 v12, s4 :: v_dual_bitop2_b32 v3, s5, v3 bitop3:0x40
	v_and_b32_e32 v2, s4, v2
	s_delay_alu instid0(VALU_DEP_1) | instskip(NEXT) | instid1(VALU_DEP_1)
	v_mul_u64_e32 v[2:3], 24, v[2:3]
	v_add_nc_u64_e32 v[6:7], v[6:7], v[2:3]
	global_store_b64 v[6:7], v[14:15], off
	global_wb scope:SCOPE_SYS
	s_wait_storecnt 0x0
	s_wait_xcnt 0x0
	global_atomic_cmpswap_b64 v[4:5], v1, v[12:15], s[2:3] offset:32 th:TH_ATOMIC_RETURN scope:SCOPE_SYS
	s_wait_loadcnt 0x0
	v_cmpx_ne_u64_e64 v[4:5], v[14:15]
	s_cbranch_execz .LBB1_234
; %bb.232:
	s_mov_b32 s7, 0
.LBB1_233:                              ; =>This Inner Loop Header: Depth=1
	v_dual_mov_b32 v2, s4 :: v_dual_mov_b32 v3, s5
	s_sleep 1
	global_store_b64 v[6:7], v[4:5], off
	global_wb scope:SCOPE_SYS
	s_wait_storecnt 0x0
	s_wait_xcnt 0x0
	global_atomic_cmpswap_b64 v[2:3], v1, v[2:5], s[2:3] offset:32 th:TH_ATOMIC_RETURN scope:SCOPE_SYS
	s_wait_loadcnt 0x0
	v_cmp_eq_u64_e32 vcc_lo, v[2:3], v[4:5]
	v_mov_b64_e32 v[4:5], v[2:3]
	s_or_b32 s7, vcc_lo, s7
	s_delay_alu instid0(SALU_CYCLE_1)
	s_and_not1_b32 exec_lo, exec_lo, s7
	s_cbranch_execnz .LBB1_233
.LBB1_234:
	s_or_b32 exec_lo, exec_lo, s6
	v_mov_b32_e32 v5, 0
	s_mov_b32 s7, exec_lo
	s_mov_b32 s6, exec_lo
	v_mbcnt_lo_u32_b32 v1, s7, 0
	global_load_b64 v[2:3], v5, s[2:3] offset:16
	s_wait_xcnt 0x0
	v_cmpx_eq_u32_e32 0, v1
	s_cbranch_execz .LBB1_236
; %bb.235:
	s_bcnt1_i32_b32 s7, s7
	s_delay_alu instid0(SALU_CYCLE_1)
	v_mov_b32_e32 v4, s7
	global_wb scope:SCOPE_SYS
	s_wait_loadcnt 0x0
	s_wait_storecnt 0x0
	global_atomic_add_u64 v[2:3], v[4:5], off offset:8 scope:SCOPE_SYS
.LBB1_236:
	s_wait_xcnt 0x0
	s_or_b32 exec_lo, exec_lo, s6
	s_wait_loadcnt 0x0
	global_load_b64 v[4:5], v[2:3], off offset:16
	s_wait_loadcnt 0x0
	v_cmp_eq_u64_e32 vcc_lo, 0, v[4:5]
	s_cbranch_vccnz .LBB1_238
; %bb.237:
	global_load_b32 v2, v[2:3], off offset:24
	s_wait_xcnt 0x0
	v_mov_b32_e32 v3, 0
	s_wait_loadcnt 0x0
	v_readfirstlane_b32 s6, v2
	global_wb scope:SCOPE_SYS
	s_wait_storecnt 0x0
	global_store_b64 v[4:5], v[2:3], off scope:SCOPE_SYS
	s_and_b32 m0, s6, 0xffffff
	s_sendmsg sendmsg(MSG_INTERRUPT)
.LBB1_238:
	s_wait_xcnt 0x0
	s_or_b32 exec_lo, exec_lo, s1
	v_add_nc_u64_e32 v[2:3], v[8:9], v[28:29]
	s_branch .LBB1_242
.LBB1_239:                              ;   in Loop: Header=BB1_242 Depth=1
	s_wait_xcnt 0x0
	s_or_b32 exec_lo, exec_lo, s1
	s_delay_alu instid0(VALU_DEP_1)
	v_readfirstlane_b32 s1, v1
	s_cmp_eq_u32 s1, 0
	s_cbranch_scc1 .LBB1_241
; %bb.240:                              ;   in Loop: Header=BB1_242 Depth=1
	s_sleep 1
	s_cbranch_execnz .LBB1_242
	s_branch .LBB1_244
.LBB1_241:
	s_branch .LBB1_244
.LBB1_242:                              ; =>This Inner Loop Header: Depth=1
	v_mov_b32_e32 v1, 1
	s_and_saveexec_b32 s1, s0
	s_cbranch_execz .LBB1_239
; %bb.243:                              ;   in Loop: Header=BB1_242 Depth=1
	global_load_b32 v1, v[10:11], off offset:20 scope:SCOPE_SYS
	s_wait_loadcnt 0x0
	global_inv scope:SCOPE_SYS
	v_and_b32_e32 v1, 1, v1
	s_branch .LBB1_239
.LBB1_244:
	global_load_b64 v[4:5], v[2:3], off
	s_wait_xcnt 0x0
	s_and_saveexec_b32 s6, s0
	s_cbranch_execz .LBB1_248
; %bb.245:
	v_mov_b32_e32 v1, 0
	s_clause 0x2
	global_load_b64 v[2:3], v1, s[2:3] offset:40
	global_load_b64 v[10:11], v1, s[2:3] offset:24 scope:SCOPE_SYS
	global_load_b64 v[6:7], v1, s[2:3]
	s_wait_loadcnt 0x2
	v_readfirstlane_b32 s10, v2
	v_readfirstlane_b32 s11, v3
	s_add_nc_u64 s[0:1], s[10:11], 1
	s_delay_alu instid0(SALU_CYCLE_1) | instskip(NEXT) | instid1(SALU_CYCLE_1)
	s_add_nc_u64 s[4:5], s[0:1], s[4:5]
	s_cmp_eq_u64 s[4:5], 0
	s_cselect_b32 s1, s1, s5
	s_cselect_b32 s0, s0, s4
	v_mov_b32_e32 v9, s1
	s_and_b64 s[4:5], s[0:1], s[10:11]
	v_mov_b32_e32 v8, s0
	s_mul_u64 s[4:5], s[4:5], 24
	s_wait_loadcnt 0x0
	v_add_nc_u64_e32 v[2:3], s[4:5], v[6:7]
	global_store_b64 v[2:3], v[10:11], off
	global_wb scope:SCOPE_SYS
	s_wait_storecnt 0x0
	s_wait_xcnt 0x0
	global_atomic_cmpswap_b64 v[8:9], v1, v[8:11], s[2:3] offset:24 th:TH_ATOMIC_RETURN scope:SCOPE_SYS
	s_wait_loadcnt 0x0
	v_cmp_ne_u64_e32 vcc_lo, v[8:9], v[10:11]
	s_and_b32 exec_lo, exec_lo, vcc_lo
	s_cbranch_execz .LBB1_248
; %bb.246:
	s_mov_b32 s4, 0
.LBB1_247:                              ; =>This Inner Loop Header: Depth=1
	v_dual_mov_b32 v6, s0 :: v_dual_mov_b32 v7, s1
	s_sleep 1
	global_store_b64 v[2:3], v[8:9], off
	global_wb scope:SCOPE_SYS
	s_wait_storecnt 0x0
	s_wait_xcnt 0x0
	global_atomic_cmpswap_b64 v[6:7], v1, v[6:9], s[2:3] offset:24 th:TH_ATOMIC_RETURN scope:SCOPE_SYS
	s_wait_loadcnt 0x0
	v_cmp_eq_u64_e32 vcc_lo, v[6:7], v[8:9]
	v_mov_b64_e32 v[8:9], v[6:7]
	s_or_b32 s4, vcc_lo, s4
	s_delay_alu instid0(SALU_CYCLE_1)
	s_and_not1_b32 exec_lo, exec_lo, s4
	s_cbranch_execnz .LBB1_247
.LBB1_248:
	s_or_b32 exec_lo, exec_lo, s6
.LBB1_249:
	v_readfirstlane_b32 s0, v50
	s_wait_loadcnt 0x0
	v_mov_b64_e32 v[2:3], 0
	s_delay_alu instid0(VALU_DEP_2)
	v_cmp_eq_u32_e64 s0, s0, v50
	s_and_saveexec_b32 s1, s0
	s_cbranch_execz .LBB1_255
; %bb.250:
	v_mov_b32_e32 v1, 0
	s_mov_b32 s4, exec_lo
	global_load_b64 v[8:9], v1, s[2:3] offset:24 scope:SCOPE_SYS
	s_wait_loadcnt 0x0
	global_inv scope:SCOPE_SYS
	s_clause 0x1
	global_load_b64 v[2:3], v1, s[2:3] offset:40
	global_load_b64 v[6:7], v1, s[2:3]
	s_wait_loadcnt 0x1
	v_and_b32_e32 v2, v2, v8
	v_and_b32_e32 v3, v3, v9
	s_delay_alu instid0(VALU_DEP_1) | instskip(SKIP_1) | instid1(VALU_DEP_1)
	v_mul_u64_e32 v[2:3], 24, v[2:3]
	s_wait_loadcnt 0x0
	v_add_nc_u64_e32 v[2:3], v[6:7], v[2:3]
	global_load_b64 v[6:7], v[2:3], off scope:SCOPE_SYS
	s_wait_xcnt 0x0
	s_wait_loadcnt 0x0
	global_atomic_cmpswap_b64 v[2:3], v1, v[6:9], s[2:3] offset:24 th:TH_ATOMIC_RETURN scope:SCOPE_SYS
	s_wait_loadcnt 0x0
	global_inv scope:SCOPE_SYS
	s_wait_xcnt 0x0
	v_cmpx_ne_u64_e64 v[2:3], v[8:9]
	s_cbranch_execz .LBB1_254
; %bb.251:
	s_mov_b32 s5, 0
.LBB1_252:                              ; =>This Inner Loop Header: Depth=1
	s_sleep 1
	s_clause 0x1
	global_load_b64 v[6:7], v1, s[2:3] offset:40
	global_load_b64 v[10:11], v1, s[2:3]
	v_mov_b64_e32 v[8:9], v[2:3]
	s_wait_loadcnt 0x1
	s_delay_alu instid0(VALU_DEP_1) | instskip(NEXT) | instid1(VALU_DEP_2)
	v_and_b32_e32 v2, v6, v8
	v_and_b32_e32 v6, v7, v9
	s_wait_loadcnt 0x0
	s_delay_alu instid0(VALU_DEP_2) | instskip(NEXT) | instid1(VALU_DEP_1)
	v_mad_nc_u64_u32 v[2:3], v2, 24, v[10:11]
	v_mad_u32 v3, v6, 24, v3
	global_load_b64 v[6:7], v[2:3], off scope:SCOPE_SYS
	s_wait_xcnt 0x0
	s_wait_loadcnt 0x0
	global_atomic_cmpswap_b64 v[2:3], v1, v[6:9], s[2:3] offset:24 th:TH_ATOMIC_RETURN scope:SCOPE_SYS
	s_wait_loadcnt 0x0
	global_inv scope:SCOPE_SYS
	v_cmp_eq_u64_e32 vcc_lo, v[2:3], v[8:9]
	s_or_b32 s5, vcc_lo, s5
	s_wait_xcnt 0x0
	s_and_not1_b32 exec_lo, exec_lo, s5
	s_cbranch_execnz .LBB1_252
; %bb.253:
	s_or_b32 exec_lo, exec_lo, s5
.LBB1_254:
	s_delay_alu instid0(SALU_CYCLE_1)
	s_or_b32 exec_lo, exec_lo, s4
.LBB1_255:
	s_delay_alu instid0(SALU_CYCLE_1)
	s_or_b32 exec_lo, exec_lo, s1
	v_readfirstlane_b32 s4, v2
	v_mov_b32_e32 v29, 0
	v_readfirstlane_b32 s5, v3
	s_mov_b32 s1, exec_lo
	s_clause 0x1
	global_load_b64 v[6:7], v29, s[2:3] offset:40
	global_load_b128 v[8:11], v29, s[2:3]
	s_wait_loadcnt 0x1
	v_and_b32_e32 v2, s4, v6
	v_and_b32_e32 v3, s5, v7
	s_delay_alu instid0(VALU_DEP_1) | instskip(SKIP_1) | instid1(VALU_DEP_1)
	v_mul_u64_e32 v[6:7], 24, v[2:3]
	s_wait_loadcnt 0x0
	v_add_nc_u64_e32 v[12:13], v[8:9], v[6:7]
	s_wait_xcnt 0x0
	s_and_saveexec_b32 s6, s0
	s_cbranch_execz .LBB1_257
; %bb.256:
	v_mov_b64_e32 v[16:17], 0x100000002
	v_dual_mov_b32 v14, s1 :: v_dual_mov_b32 v15, v29
	global_store_b128 v[12:13], v[14:17], off offset:8
.LBB1_257:
	s_wait_xcnt 0x0
	s_or_b32 exec_lo, exec_lo, s6
	v_lshlrev_b64_e32 v[2:3], 12, v[2:3]
	s_mov_b32 s12, 0
	v_dual_mov_b32 v6, v0 :: v_dual_mov_b32 v7, v29
	s_mov_b32 s13, s12
	s_mov_b32 s14, s12
	;; [unrolled: 1-line block ×3, first 2 shown]
	s_delay_alu instid0(VALU_DEP_2) | instskip(SKIP_3) | instid1(VALU_DEP_4)
	v_add_nc_u64_e32 v[10:11], v[10:11], v[2:3]
	v_mov_b64_e32 v[0:1], s[12:13]
	v_mov_b64_e32 v[2:3], s[14:15]
	v_and_or_b32 v4, 0xffffff1f, v4, 32
	v_readfirstlane_b32 s6, v10
	v_readfirstlane_b32 s7, v11
	s_clause 0x3
	global_store_b128 v28, v[4:7], s[6:7]
	global_store_b128 v28, v[0:3], s[6:7] offset:16
	global_store_b128 v28, v[0:3], s[6:7] offset:32
	;; [unrolled: 1-line block ×3, first 2 shown]
	s_wait_xcnt 0x0
	s_and_saveexec_b32 s1, s0
	s_cbranch_execz .LBB1_265
; %bb.258:
	v_dual_mov_b32 v6, 0 :: v_dual_mov_b32 v15, s5
	s_mov_b32 s6, exec_lo
	s_clause 0x1
	global_load_b64 v[16:17], v6, s[2:3] offset:32 scope:SCOPE_SYS
	global_load_b64 v[0:1], v6, s[2:3] offset:40
	s_wait_loadcnt 0x0
	v_dual_mov_b32 v14, s4 :: v_dual_bitop2_b32 v1, s5, v1 bitop3:0x40
	v_and_b32_e32 v0, s4, v0
	s_delay_alu instid0(VALU_DEP_1) | instskip(NEXT) | instid1(VALU_DEP_1)
	v_mul_u64_e32 v[0:1], 24, v[0:1]
	v_add_nc_u64_e32 v[4:5], v[8:9], v[0:1]
	global_store_b64 v[4:5], v[16:17], off
	global_wb scope:SCOPE_SYS
	s_wait_storecnt 0x0
	s_wait_xcnt 0x0
	global_atomic_cmpswap_b64 v[2:3], v6, v[14:17], s[2:3] offset:32 th:TH_ATOMIC_RETURN scope:SCOPE_SYS
	s_wait_loadcnt 0x0
	v_cmpx_ne_u64_e64 v[2:3], v[16:17]
	s_cbranch_execz .LBB1_261
; %bb.259:
	s_mov_b32 s7, 0
.LBB1_260:                              ; =>This Inner Loop Header: Depth=1
	v_dual_mov_b32 v0, s4 :: v_dual_mov_b32 v1, s5
	s_sleep 1
	global_store_b64 v[4:5], v[2:3], off
	global_wb scope:SCOPE_SYS
	s_wait_storecnt 0x0
	s_wait_xcnt 0x0
	global_atomic_cmpswap_b64 v[0:1], v6, v[0:3], s[2:3] offset:32 th:TH_ATOMIC_RETURN scope:SCOPE_SYS
	s_wait_loadcnt 0x0
	v_cmp_eq_u64_e32 vcc_lo, v[0:1], v[2:3]
	v_mov_b64_e32 v[2:3], v[0:1]
	s_or_b32 s7, vcc_lo, s7
	s_delay_alu instid0(SALU_CYCLE_1)
	s_and_not1_b32 exec_lo, exec_lo, s7
	s_cbranch_execnz .LBB1_260
.LBB1_261:
	s_or_b32 exec_lo, exec_lo, s6
	v_mov_b32_e32 v3, 0
	s_mov_b32 s7, exec_lo
	s_mov_b32 s6, exec_lo
	v_mbcnt_lo_u32_b32 v2, s7, 0
	global_load_b64 v[0:1], v3, s[2:3] offset:16
	s_wait_xcnt 0x0
	v_cmpx_eq_u32_e32 0, v2
	s_cbranch_execz .LBB1_263
; %bb.262:
	s_bcnt1_i32_b32 s7, s7
	s_delay_alu instid0(SALU_CYCLE_1)
	v_mov_b32_e32 v2, s7
	global_wb scope:SCOPE_SYS
	s_wait_loadcnt 0x0
	s_wait_storecnt 0x0
	global_atomic_add_u64 v[0:1], v[2:3], off offset:8 scope:SCOPE_SYS
.LBB1_263:
	s_wait_xcnt 0x0
	s_or_b32 exec_lo, exec_lo, s6
	s_wait_loadcnt 0x0
	global_load_b64 v[2:3], v[0:1], off offset:16
	s_wait_loadcnt 0x0
	v_cmp_eq_u64_e32 vcc_lo, 0, v[2:3]
	s_cbranch_vccnz .LBB1_265
; %bb.264:
	global_load_b32 v0, v[0:1], off offset:24
	s_wait_xcnt 0x0
	v_mov_b32_e32 v1, 0
	s_wait_loadcnt 0x0
	v_readfirstlane_b32 s6, v0
	global_wb scope:SCOPE_SYS
	s_wait_storecnt 0x0
	global_store_b64 v[2:3], v[0:1], off scope:SCOPE_SYS
	s_and_b32 m0, s6, 0xffffff
	s_sendmsg sendmsg(MSG_INTERRUPT)
.LBB1_265:
	s_wait_xcnt 0x0
	s_or_b32 exec_lo, exec_lo, s1
	v_add_nc_u64_e32 v[0:1], v[10:11], v[28:29]
	s_branch .LBB1_269
.LBB1_266:                              ;   in Loop: Header=BB1_269 Depth=1
	s_wait_xcnt 0x0
	s_or_b32 exec_lo, exec_lo, s1
	s_delay_alu instid0(VALU_DEP_1)
	v_readfirstlane_b32 s1, v2
	s_cmp_eq_u32 s1, 0
	s_cbranch_scc1 .LBB1_268
; %bb.267:                              ;   in Loop: Header=BB1_269 Depth=1
	s_sleep 1
	s_cbranch_execnz .LBB1_269
	s_branch .LBB1_271
.LBB1_268:
	s_branch .LBB1_271
.LBB1_269:                              ; =>This Inner Loop Header: Depth=1
	v_mov_b32_e32 v2, 1
	s_and_saveexec_b32 s1, s0
	s_cbranch_execz .LBB1_266
; %bb.270:                              ;   in Loop: Header=BB1_269 Depth=1
	global_load_b32 v2, v[12:13], off offset:20 scope:SCOPE_SYS
	s_wait_loadcnt 0x0
	global_inv scope:SCOPE_SYS
	v_and_b32_e32 v2, 1, v2
	s_branch .LBB1_266
.LBB1_271:
	global_load_b64 v[0:1], v[0:1], off
	s_wait_xcnt 0x0
	s_and_saveexec_b32 s6, s0
	s_cbranch_execz .LBB1_275
; %bb.272:
	v_mov_b32_e32 v8, 0
	s_clause 0x2
	global_load_b64 v[2:3], v8, s[2:3] offset:40
	global_load_b64 v[12:13], v8, s[2:3] offset:24 scope:SCOPE_SYS
	global_load_b64 v[4:5], v8, s[2:3]
	s_wait_loadcnt 0x2
	v_readfirstlane_b32 s10, v2
	v_readfirstlane_b32 s11, v3
	s_add_nc_u64 s[0:1], s[10:11], 1
	s_delay_alu instid0(SALU_CYCLE_1) | instskip(NEXT) | instid1(SALU_CYCLE_1)
	s_add_nc_u64 s[4:5], s[0:1], s[4:5]
	s_cmp_eq_u64 s[4:5], 0
	s_cselect_b32 s1, s1, s5
	s_cselect_b32 s0, s0, s4
	v_mov_b32_e32 v11, s1
	s_and_b64 s[4:5], s[0:1], s[10:11]
	v_mov_b32_e32 v10, s0
	s_mul_u64 s[4:5], s[4:5], 24
	s_wait_loadcnt 0x0
	v_add_nc_u64_e32 v[6:7], s[4:5], v[4:5]
	global_store_b64 v[6:7], v[12:13], off
	global_wb scope:SCOPE_SYS
	s_wait_storecnt 0x0
	s_wait_xcnt 0x0
	global_atomic_cmpswap_b64 v[4:5], v8, v[10:13], s[2:3] offset:24 th:TH_ATOMIC_RETURN scope:SCOPE_SYS
	s_wait_loadcnt 0x0
	v_cmp_ne_u64_e32 vcc_lo, v[4:5], v[12:13]
	s_and_b32 exec_lo, exec_lo, vcc_lo
	s_cbranch_execz .LBB1_275
; %bb.273:
	s_mov_b32 s4, 0
.LBB1_274:                              ; =>This Inner Loop Header: Depth=1
	v_dual_mov_b32 v2, s0 :: v_dual_mov_b32 v3, s1
	s_sleep 1
	global_store_b64 v[6:7], v[4:5], off
	global_wb scope:SCOPE_SYS
	s_wait_storecnt 0x0
	s_wait_xcnt 0x0
	global_atomic_cmpswap_b64 v[2:3], v8, v[2:5], s[2:3] offset:24 th:TH_ATOMIC_RETURN scope:SCOPE_SYS
	s_wait_loadcnt 0x0
	v_cmp_eq_u64_e32 vcc_lo, v[2:3], v[4:5]
	v_mov_b64_e32 v[4:5], v[2:3]
	s_or_b32 s4, vcc_lo, s4
	s_delay_alu instid0(SALU_CYCLE_1)
	s_and_not1_b32 exec_lo, exec_lo, s4
	s_cbranch_execnz .LBB1_274
.LBB1_275:
	s_or_b32 exec_lo, exec_lo, s6
	v_mov_b64_e32 v[2:3], v[30:31]
	s_mov_b32 s0, 0
.LBB1_276:                              ; =>This Inner Loop Header: Depth=1
	global_load_u8 v4, v[2:3], off
	s_wait_xcnt 0x0
	v_add_nc_u64_e32 v[2:3], 1, v[2:3]
	s_wait_loadcnt 0x0
	v_cmp_eq_u16_e32 vcc_lo, 0, v4
	s_or_b32 s0, vcc_lo, s0
	s_delay_alu instid0(SALU_CYCLE_1)
	s_and_not1_b32 exec_lo, exec_lo, s0
	s_cbranch_execnz .LBB1_276
; %bb.277:
	s_or_b32 exec_lo, exec_lo, s0
	s_delay_alu instid0(SALU_CYCLE_1)
	s_mov_b32 s0, exec_lo
	v_cmpx_ne_u64_e32 0, v[30:31]
	s_xor_b32 s6, exec_lo, s0
	s_cbranch_execz .LBB1_363
; %bb.278:
	v_dual_sub_nc_u32 v24, v2, v30 :: v_dual_bitop2_b32 v26, 2, v0 bitop3:0x40
	v_mov_b64_e32 v[6:7], 0x100000002
	v_dual_mov_b32 v29, 0 :: v_dual_bitop2_b32 v0, -3, v0 bitop3:0x40
	s_delay_alu instid0(VALU_DEP_3)
	v_ashrrev_i32_e32 v25, 31, v24
	s_mov_b32 s10, 0
	s_mov_b32 s7, 0
	s_branch .LBB1_280
.LBB1_279:                              ;   in Loop: Header=BB1_280 Depth=1
	s_or_b32 exec_lo, exec_lo, s11
	v_sub_nc_u64_e32 v[24:25], v[24:25], v[32:33]
	v_add_nc_u64_e32 v[30:31], v[30:31], v[32:33]
	s_delay_alu instid0(VALU_DEP_2) | instskip(SKIP_1) | instid1(SALU_CYCLE_1)
	v_cmp_eq_u64_e32 vcc_lo, 0, v[24:25]
	s_or_b32 s7, vcc_lo, s7
	s_and_not1_b32 exec_lo, exec_lo, s7
	s_cbranch_execz .LBB1_362
.LBB1_280:                              ; =>This Loop Header: Depth=1
                                        ;     Child Loop BB1_283 Depth 2
                                        ;     Child Loop BB1_291 Depth 2
	;; [unrolled: 1-line block ×11, first 2 shown]
	s_delay_alu instid0(VALU_DEP_1) | instskip(NEXT) | instid1(VALU_DEP_3)
	v_min_u64 v[32:33], v[24:25], 56
	v_add_nc_u64_e32 v[10:11], 8, v[30:31]
	s_mov_b32 s0, exec_lo
	v_cmpx_gt_u64_e32 8, v[24:25]
	s_xor_b32 s4, exec_lo, s0
	s_cbranch_execz .LBB1_286
; %bb.281:                              ;   in Loop: Header=BB1_280 Depth=1
	v_mov_b64_e32 v[2:3], 0
	s_mov_b32 s5, exec_lo
	v_cmpx_ne_u64_e32 0, v[24:25]
	s_cbranch_execz .LBB1_285
; %bb.282:                              ;   in Loop: Header=BB1_280 Depth=1
	v_mov_b64_e32 v[2:3], 0
	v_mov_b64_e32 v[8:9], v[30:31]
	v_lshlrev_b32_e32 v4, 3, v32
	s_mov_b64 s[0:1], 0
	s_mov_b32 s11, 0
.LBB1_283:                              ;   Parent Loop BB1_280 Depth=1
                                        ; =>  This Inner Loop Header: Depth=2
	global_load_u8 v5, v[8:9], off
	v_mov_b32_e32 v11, s10
	s_wait_xcnt 0x0
	v_add_nc_u64_e32 v[8:9], 1, v[8:9]
	s_wait_loadcnt 0x0
	v_and_b32_e32 v10, 0xffff, v5
	s_delay_alu instid0(VALU_DEP_1) | instskip(SKIP_1) | instid1(SALU_CYCLE_1)
	v_lshlrev_b64_e32 v[10:11], s0, v[10:11]
	s_add_nc_u64 s[0:1], s[0:1], 8
	v_cmp_eq_u32_e32 vcc_lo, s0, v4
	s_delay_alu instid0(VALU_DEP_2) | instskip(NEXT) | instid1(VALU_DEP_3)
	v_or_b32_e32 v3, v11, v3
	v_or_b32_e32 v2, v10, v2
	s_or_b32 s11, vcc_lo, s11
	s_delay_alu instid0(SALU_CYCLE_1)
	s_and_not1_b32 exec_lo, exec_lo, s11
	s_cbranch_execnz .LBB1_283
; %bb.284:                              ;   in Loop: Header=BB1_280 Depth=1
	s_or_b32 exec_lo, exec_lo, s11
.LBB1_285:                              ;   in Loop: Header=BB1_280 Depth=1
	s_delay_alu instid0(SALU_CYCLE_1)
	s_or_b32 exec_lo, exec_lo, s5
	v_mov_b64_e32 v[10:11], v[30:31]
.LBB1_286:                              ;   in Loop: Header=BB1_280 Depth=1
	s_or_saveexec_b32 s0, s4
	v_mov_b32_e32 v12, 0
	s_xor_b32 exec_lo, exec_lo, s0
	s_cbranch_execz .LBB1_288
; %bb.287:                              ;   in Loop: Header=BB1_280 Depth=1
	global_load_b64 v[2:3], v[30:31], off
	v_add_nc_u32_e32 v12, -8, v32
.LBB1_288:                              ;   in Loop: Header=BB1_280 Depth=1
	s_wait_xcnt 0x0
	s_or_b32 exec_lo, exec_lo, s0
	v_add_nc_u64_e32 v[4:5], 8, v[10:11]
                                        ; implicit-def: $vgpr8_vgpr9
	s_mov_b32 s0, exec_lo
	v_cmpx_gt_u32_e32 8, v12
	s_xor_b32 s11, exec_lo, s0
	s_cbranch_execz .LBB1_294
; %bb.289:                              ;   in Loop: Header=BB1_280 Depth=1
	v_mov_b64_e32 v[8:9], 0
	s_mov_b32 s12, exec_lo
	v_cmpx_ne_u32_e32 0, v12
	s_cbranch_execz .LBB1_293
; %bb.290:                              ;   in Loop: Header=BB1_280 Depth=1
	v_mov_b64_e32 v[8:9], 0
	s_mov_b64 s[0:1], 0
	s_mov_b32 s13, 0
	s_mov_b64 s[4:5], 0
.LBB1_291:                              ;   Parent Loop BB1_280 Depth=1
                                        ; =>  This Inner Loop Header: Depth=2
	s_delay_alu instid0(SALU_CYCLE_1) | instskip(SKIP_1) | instid1(SALU_CYCLE_1)
	v_add_nc_u64_e32 v[4:5], s[4:5], v[10:11]
	s_add_nc_u64 s[4:5], s[4:5], 1
	v_cmp_eq_u32_e32 vcc_lo, s4, v12
	global_load_u8 v4, v[4:5], off
	s_wait_xcnt 0x0
	v_mov_b32_e32 v5, s10
	s_or_b32 s13, vcc_lo, s13
	s_wait_loadcnt 0x0
	v_and_b32_e32 v4, 0xffff, v4
	s_delay_alu instid0(VALU_DEP_1) | instskip(SKIP_1) | instid1(VALU_DEP_1)
	v_lshlrev_b64_e32 v[4:5], s0, v[4:5]
	s_add_nc_u64 s[0:1], s[0:1], 8
	v_or_b32_e32 v9, v5, v9
	s_delay_alu instid0(VALU_DEP_2)
	v_or_b32_e32 v8, v4, v8
	s_and_not1_b32 exec_lo, exec_lo, s13
	s_cbranch_execnz .LBB1_291
; %bb.292:                              ;   in Loop: Header=BB1_280 Depth=1
	s_or_b32 exec_lo, exec_lo, s13
.LBB1_293:                              ;   in Loop: Header=BB1_280 Depth=1
	s_delay_alu instid0(SALU_CYCLE_1)
	s_or_b32 exec_lo, exec_lo, s12
	v_mov_b64_e32 v[4:5], v[10:11]
                                        ; implicit-def: $vgpr12
.LBB1_294:                              ;   in Loop: Header=BB1_280 Depth=1
	s_or_saveexec_b32 s0, s11
	v_mov_b32_e32 v13, 0
	s_xor_b32 exec_lo, exec_lo, s0
	s_cbranch_execz .LBB1_296
; %bb.295:                              ;   in Loop: Header=BB1_280 Depth=1
	global_load_b64 v[8:9], v[10:11], off
	v_add_nc_u32_e32 v13, -8, v12
.LBB1_296:                              ;   in Loop: Header=BB1_280 Depth=1
	s_wait_xcnt 0x0
	s_or_b32 exec_lo, exec_lo, s0
	v_add_nc_u64_e32 v[14:15], 8, v[4:5]
	s_mov_b32 s0, exec_lo
	v_cmpx_gt_u32_e32 8, v13
	s_xor_b32 s11, exec_lo, s0
	s_cbranch_execz .LBB1_302
; %bb.297:                              ;   in Loop: Header=BB1_280 Depth=1
	v_mov_b64_e32 v[10:11], 0
	s_mov_b32 s12, exec_lo
	v_cmpx_ne_u32_e32 0, v13
	s_cbranch_execz .LBB1_301
; %bb.298:                              ;   in Loop: Header=BB1_280 Depth=1
	v_mov_b64_e32 v[10:11], 0
	s_mov_b64 s[0:1], 0
	s_mov_b32 s13, 0
	s_mov_b64 s[4:5], 0
.LBB1_299:                              ;   Parent Loop BB1_280 Depth=1
                                        ; =>  This Inner Loop Header: Depth=2
	s_delay_alu instid0(SALU_CYCLE_1) | instskip(SKIP_1) | instid1(SALU_CYCLE_1)
	v_add_nc_u64_e32 v[14:15], s[4:5], v[4:5]
	s_add_nc_u64 s[4:5], s[4:5], 1
	v_cmp_eq_u32_e32 vcc_lo, s4, v13
	global_load_u8 v12, v[14:15], off
	s_wait_xcnt 0x0
	v_mov_b32_e32 v15, s10
	s_or_b32 s13, vcc_lo, s13
	s_wait_loadcnt 0x0
	v_and_b32_e32 v14, 0xffff, v12
	s_delay_alu instid0(VALU_DEP_1) | instskip(SKIP_1) | instid1(VALU_DEP_1)
	v_lshlrev_b64_e32 v[14:15], s0, v[14:15]
	s_add_nc_u64 s[0:1], s[0:1], 8
	v_or_b32_e32 v11, v15, v11
	s_delay_alu instid0(VALU_DEP_2)
	v_or_b32_e32 v10, v14, v10
	s_and_not1_b32 exec_lo, exec_lo, s13
	s_cbranch_execnz .LBB1_299
; %bb.300:                              ;   in Loop: Header=BB1_280 Depth=1
	s_or_b32 exec_lo, exec_lo, s13
.LBB1_301:                              ;   in Loop: Header=BB1_280 Depth=1
	s_delay_alu instid0(SALU_CYCLE_1)
	s_or_b32 exec_lo, exec_lo, s12
	v_mov_b64_e32 v[14:15], v[4:5]
                                        ; implicit-def: $vgpr13
.LBB1_302:                              ;   in Loop: Header=BB1_280 Depth=1
	s_or_saveexec_b32 s0, s11
	v_mov_b32_e32 v16, 0
	s_xor_b32 exec_lo, exec_lo, s0
	s_cbranch_execz .LBB1_304
; %bb.303:                              ;   in Loop: Header=BB1_280 Depth=1
	global_load_b64 v[10:11], v[4:5], off
	v_add_nc_u32_e32 v16, -8, v13
.LBB1_304:                              ;   in Loop: Header=BB1_280 Depth=1
	s_wait_xcnt 0x0
	s_or_b32 exec_lo, exec_lo, s0
	v_add_nc_u64_e32 v[4:5], 8, v[14:15]
                                        ; implicit-def: $vgpr12_vgpr13
	s_mov_b32 s0, exec_lo
	v_cmpx_gt_u32_e32 8, v16
	s_xor_b32 s11, exec_lo, s0
	s_cbranch_execz .LBB1_310
; %bb.305:                              ;   in Loop: Header=BB1_280 Depth=1
	v_mov_b64_e32 v[12:13], 0
	s_mov_b32 s12, exec_lo
	v_cmpx_ne_u32_e32 0, v16
	s_cbranch_execz .LBB1_309
; %bb.306:                              ;   in Loop: Header=BB1_280 Depth=1
	v_mov_b64_e32 v[12:13], 0
	s_mov_b64 s[0:1], 0
	s_mov_b32 s13, 0
	s_mov_b64 s[4:5], 0
.LBB1_307:                              ;   Parent Loop BB1_280 Depth=1
                                        ; =>  This Inner Loop Header: Depth=2
	s_delay_alu instid0(SALU_CYCLE_1) | instskip(SKIP_1) | instid1(SALU_CYCLE_1)
	v_add_nc_u64_e32 v[4:5], s[4:5], v[14:15]
	s_add_nc_u64 s[4:5], s[4:5], 1
	v_cmp_eq_u32_e32 vcc_lo, s4, v16
	global_load_u8 v4, v[4:5], off
	s_wait_xcnt 0x0
	v_mov_b32_e32 v5, s10
	s_or_b32 s13, vcc_lo, s13
	s_wait_loadcnt 0x0
	v_and_b32_e32 v4, 0xffff, v4
	s_delay_alu instid0(VALU_DEP_1) | instskip(SKIP_1) | instid1(VALU_DEP_1)
	v_lshlrev_b64_e32 v[4:5], s0, v[4:5]
	s_add_nc_u64 s[0:1], s[0:1], 8
	v_or_b32_e32 v13, v5, v13
	s_delay_alu instid0(VALU_DEP_2)
	v_or_b32_e32 v12, v4, v12
	s_and_not1_b32 exec_lo, exec_lo, s13
	s_cbranch_execnz .LBB1_307
; %bb.308:                              ;   in Loop: Header=BB1_280 Depth=1
	s_or_b32 exec_lo, exec_lo, s13
.LBB1_309:                              ;   in Loop: Header=BB1_280 Depth=1
	s_delay_alu instid0(SALU_CYCLE_1)
	s_or_b32 exec_lo, exec_lo, s12
	v_mov_b64_e32 v[4:5], v[14:15]
                                        ; implicit-def: $vgpr16
.LBB1_310:                              ;   in Loop: Header=BB1_280 Depth=1
	s_or_saveexec_b32 s0, s11
	v_mov_b32_e32 v17, 0
	s_xor_b32 exec_lo, exec_lo, s0
	s_cbranch_execz .LBB1_312
; %bb.311:                              ;   in Loop: Header=BB1_280 Depth=1
	global_load_b64 v[12:13], v[14:15], off
	v_add_nc_u32_e32 v17, -8, v16
.LBB1_312:                              ;   in Loop: Header=BB1_280 Depth=1
	s_wait_xcnt 0x0
	s_or_b32 exec_lo, exec_lo, s0
	v_add_nc_u64_e32 v[18:19], 8, v[4:5]
	s_mov_b32 s0, exec_lo
	v_cmpx_gt_u32_e32 8, v17
	s_xor_b32 s11, exec_lo, s0
	s_cbranch_execz .LBB1_318
; %bb.313:                              ;   in Loop: Header=BB1_280 Depth=1
	v_mov_b64_e32 v[14:15], 0
	s_mov_b32 s12, exec_lo
	v_cmpx_ne_u32_e32 0, v17
	s_cbranch_execz .LBB1_317
; %bb.314:                              ;   in Loop: Header=BB1_280 Depth=1
	v_mov_b64_e32 v[14:15], 0
	s_mov_b64 s[0:1], 0
	s_mov_b32 s13, 0
	s_mov_b64 s[4:5], 0
.LBB1_315:                              ;   Parent Loop BB1_280 Depth=1
                                        ; =>  This Inner Loop Header: Depth=2
	s_delay_alu instid0(SALU_CYCLE_1) | instskip(SKIP_1) | instid1(SALU_CYCLE_1)
	v_add_nc_u64_e32 v[18:19], s[4:5], v[4:5]
	s_add_nc_u64 s[4:5], s[4:5], 1
	v_cmp_eq_u32_e32 vcc_lo, s4, v17
	global_load_u8 v16, v[18:19], off
	s_wait_xcnt 0x0
	v_mov_b32_e32 v19, s10
	s_or_b32 s13, vcc_lo, s13
	s_wait_loadcnt 0x0
	v_and_b32_e32 v18, 0xffff, v16
	s_delay_alu instid0(VALU_DEP_1) | instskip(SKIP_1) | instid1(VALU_DEP_1)
	v_lshlrev_b64_e32 v[18:19], s0, v[18:19]
	s_add_nc_u64 s[0:1], s[0:1], 8
	v_or_b32_e32 v15, v19, v15
	s_delay_alu instid0(VALU_DEP_2)
	v_or_b32_e32 v14, v18, v14
	s_and_not1_b32 exec_lo, exec_lo, s13
	s_cbranch_execnz .LBB1_315
; %bb.316:                              ;   in Loop: Header=BB1_280 Depth=1
	s_or_b32 exec_lo, exec_lo, s13
.LBB1_317:                              ;   in Loop: Header=BB1_280 Depth=1
	s_delay_alu instid0(SALU_CYCLE_1)
	s_or_b32 exec_lo, exec_lo, s12
	v_mov_b64_e32 v[18:19], v[4:5]
                                        ; implicit-def: $vgpr17
.LBB1_318:                              ;   in Loop: Header=BB1_280 Depth=1
	s_or_saveexec_b32 s0, s11
	v_mov_b32_e32 v20, 0
	s_xor_b32 exec_lo, exec_lo, s0
	s_cbranch_execz .LBB1_320
; %bb.319:                              ;   in Loop: Header=BB1_280 Depth=1
	global_load_b64 v[14:15], v[4:5], off
	v_add_nc_u32_e32 v20, -8, v17
.LBB1_320:                              ;   in Loop: Header=BB1_280 Depth=1
	s_wait_xcnt 0x0
	s_or_b32 exec_lo, exec_lo, s0
	v_add_nc_u64_e32 v[4:5], 8, v[18:19]
                                        ; implicit-def: $vgpr16_vgpr17
	s_mov_b32 s0, exec_lo
	v_cmpx_gt_u32_e32 8, v20
	s_xor_b32 s11, exec_lo, s0
	s_cbranch_execz .LBB1_326
; %bb.321:                              ;   in Loop: Header=BB1_280 Depth=1
	v_mov_b64_e32 v[16:17], 0
	s_mov_b32 s12, exec_lo
	v_cmpx_ne_u32_e32 0, v20
	s_cbranch_execz .LBB1_325
; %bb.322:                              ;   in Loop: Header=BB1_280 Depth=1
	v_mov_b64_e32 v[16:17], 0
	s_mov_b64 s[0:1], 0
	s_mov_b32 s13, 0
	s_mov_b64 s[4:5], 0
.LBB1_323:                              ;   Parent Loop BB1_280 Depth=1
                                        ; =>  This Inner Loop Header: Depth=2
	s_delay_alu instid0(SALU_CYCLE_1) | instskip(SKIP_1) | instid1(SALU_CYCLE_1)
	v_add_nc_u64_e32 v[4:5], s[4:5], v[18:19]
	s_add_nc_u64 s[4:5], s[4:5], 1
	v_cmp_eq_u32_e32 vcc_lo, s4, v20
	global_load_u8 v4, v[4:5], off
	s_wait_xcnt 0x0
	v_mov_b32_e32 v5, s10
	s_or_b32 s13, vcc_lo, s13
	s_wait_loadcnt 0x0
	v_and_b32_e32 v4, 0xffff, v4
	s_delay_alu instid0(VALU_DEP_1) | instskip(SKIP_1) | instid1(VALU_DEP_1)
	v_lshlrev_b64_e32 v[4:5], s0, v[4:5]
	s_add_nc_u64 s[0:1], s[0:1], 8
	v_or_b32_e32 v17, v5, v17
	s_delay_alu instid0(VALU_DEP_2)
	v_or_b32_e32 v16, v4, v16
	s_and_not1_b32 exec_lo, exec_lo, s13
	s_cbranch_execnz .LBB1_323
; %bb.324:                              ;   in Loop: Header=BB1_280 Depth=1
	s_or_b32 exec_lo, exec_lo, s13
.LBB1_325:                              ;   in Loop: Header=BB1_280 Depth=1
	s_delay_alu instid0(SALU_CYCLE_1)
	s_or_b32 exec_lo, exec_lo, s12
	v_mov_b64_e32 v[4:5], v[18:19]
                                        ; implicit-def: $vgpr20
.LBB1_326:                              ;   in Loop: Header=BB1_280 Depth=1
	s_or_saveexec_b32 s0, s11
	v_mov_b32_e32 v21, 0
	s_xor_b32 exec_lo, exec_lo, s0
	s_cbranch_execz .LBB1_328
; %bb.327:                              ;   in Loop: Header=BB1_280 Depth=1
	global_load_b64 v[16:17], v[18:19], off
	v_add_nc_u32_e32 v21, -8, v20
.LBB1_328:                              ;   in Loop: Header=BB1_280 Depth=1
	s_wait_xcnt 0x0
	s_or_b32 exec_lo, exec_lo, s0
	s_delay_alu instid0(SALU_CYCLE_1) | instskip(NEXT) | instid1(VALU_DEP_1)
	s_mov_b32 s0, exec_lo
	v_cmpx_gt_u32_e32 8, v21
	s_xor_b32 s4, exec_lo, s0
	s_cbranch_execz .LBB1_334
; %bb.329:                              ;   in Loop: Header=BB1_280 Depth=1
	v_mov_b64_e32 v[18:19], 0
	s_mov_b32 s5, exec_lo
	v_cmpx_ne_u32_e32 0, v21
	s_cbranch_execz .LBB1_333
; %bb.330:                              ;   in Loop: Header=BB1_280 Depth=1
	v_mov_b64_e32 v[18:19], 0
	s_mov_b64 s[0:1], 0
	s_mov_b32 s11, 0
.LBB1_331:                              ;   Parent Loop BB1_280 Depth=1
                                        ; =>  This Inner Loop Header: Depth=2
	global_load_u8 v20, v[4:5], off
	v_dual_mov_b32 v23, s10 :: v_dual_add_nc_u32 v21, -1, v21
	s_wait_xcnt 0x0
	v_add_nc_u64_e32 v[4:5], 1, v[4:5]
	s_delay_alu instid0(VALU_DEP_2) | instskip(SKIP_3) | instid1(VALU_DEP_1)
	v_cmp_eq_u32_e32 vcc_lo, 0, v21
	s_or_b32 s11, vcc_lo, s11
	s_wait_loadcnt 0x0
	v_and_b32_e32 v22, 0xffff, v20
	v_lshlrev_b64_e32 v[22:23], s0, v[22:23]
	s_add_nc_u64 s[0:1], s[0:1], 8
	s_delay_alu instid0(VALU_DEP_1) | instskip(NEXT) | instid1(VALU_DEP_2)
	v_or_b32_e32 v19, v23, v19
	v_or_b32_e32 v18, v22, v18
	s_and_not1_b32 exec_lo, exec_lo, s11
	s_cbranch_execnz .LBB1_331
; %bb.332:                              ;   in Loop: Header=BB1_280 Depth=1
	s_or_b32 exec_lo, exec_lo, s11
.LBB1_333:                              ;   in Loop: Header=BB1_280 Depth=1
	s_delay_alu instid0(SALU_CYCLE_1)
	s_or_b32 exec_lo, exec_lo, s5
                                        ; implicit-def: $vgpr4_vgpr5
.LBB1_334:                              ;   in Loop: Header=BB1_280 Depth=1
	s_and_not1_saveexec_b32 s0, s4
	s_cbranch_execz .LBB1_336
; %bb.335:                              ;   in Loop: Header=BB1_280 Depth=1
	global_load_b64 v[18:19], v[4:5], off
.LBB1_336:                              ;   in Loop: Header=BB1_280 Depth=1
	s_wait_xcnt 0x0
	s_or_b32 exec_lo, exec_lo, s0
	v_readfirstlane_b32 s0, v50
	v_mov_b64_e32 v[4:5], 0
	s_delay_alu instid0(VALU_DEP_2)
	v_cmp_eq_u32_e64 s0, s0, v50
	s_and_saveexec_b32 s1, s0
	s_cbranch_execz .LBB1_342
; %bb.337:                              ;   in Loop: Header=BB1_280 Depth=1
	global_load_b64 v[22:23], v29, s[2:3] offset:24 scope:SCOPE_SYS
	s_wait_loadcnt 0x0
	global_inv scope:SCOPE_SYS
	s_clause 0x1
	global_load_b64 v[4:5], v29, s[2:3] offset:40
	global_load_b64 v[20:21], v29, s[2:3]
	s_mov_b32 s4, exec_lo
	s_wait_loadcnt 0x1
	v_and_b32_e32 v4, v4, v22
	v_and_b32_e32 v5, v5, v23
	s_delay_alu instid0(VALU_DEP_1) | instskip(SKIP_1) | instid1(VALU_DEP_1)
	v_mul_u64_e32 v[4:5], 24, v[4:5]
	s_wait_loadcnt 0x0
	v_add_nc_u64_e32 v[4:5], v[20:21], v[4:5]
	global_load_b64 v[20:21], v[4:5], off scope:SCOPE_SYS
	s_wait_xcnt 0x0
	s_wait_loadcnt 0x0
	global_atomic_cmpswap_b64 v[4:5], v29, v[20:23], s[2:3] offset:24 th:TH_ATOMIC_RETURN scope:SCOPE_SYS
	s_wait_loadcnt 0x0
	global_inv scope:SCOPE_SYS
	s_wait_xcnt 0x0
	v_cmpx_ne_u64_e64 v[4:5], v[22:23]
	s_cbranch_execz .LBB1_341
; %bb.338:                              ;   in Loop: Header=BB1_280 Depth=1
	s_mov_b32 s5, 0
.LBB1_339:                              ;   Parent Loop BB1_280 Depth=1
                                        ; =>  This Inner Loop Header: Depth=2
	s_sleep 1
	s_clause 0x1
	global_load_b64 v[20:21], v29, s[2:3] offset:40
	global_load_b64 v[34:35], v29, s[2:3]
	v_mov_b64_e32 v[22:23], v[4:5]
	s_wait_loadcnt 0x1
	s_delay_alu instid0(VALU_DEP_1) | instskip(NEXT) | instid1(VALU_DEP_2)
	v_and_b32_e32 v4, v20, v22
	v_and_b32_e32 v20, v21, v23
	s_wait_loadcnt 0x0
	s_delay_alu instid0(VALU_DEP_2) | instskip(NEXT) | instid1(VALU_DEP_1)
	v_mad_nc_u64_u32 v[4:5], v4, 24, v[34:35]
	v_mad_u32 v5, v20, 24, v5
	global_load_b64 v[20:21], v[4:5], off scope:SCOPE_SYS
	s_wait_xcnt 0x0
	s_wait_loadcnt 0x0
	global_atomic_cmpswap_b64 v[4:5], v29, v[20:23], s[2:3] offset:24 th:TH_ATOMIC_RETURN scope:SCOPE_SYS
	s_wait_loadcnt 0x0
	global_inv scope:SCOPE_SYS
	v_cmp_eq_u64_e32 vcc_lo, v[4:5], v[22:23]
	s_or_b32 s5, vcc_lo, s5
	s_wait_xcnt 0x0
	s_and_not1_b32 exec_lo, exec_lo, s5
	s_cbranch_execnz .LBB1_339
; %bb.340:                              ;   in Loop: Header=BB1_280 Depth=1
	s_or_b32 exec_lo, exec_lo, s5
.LBB1_341:                              ;   in Loop: Header=BB1_280 Depth=1
	s_delay_alu instid0(SALU_CYCLE_1)
	s_or_b32 exec_lo, exec_lo, s4
.LBB1_342:                              ;   in Loop: Header=BB1_280 Depth=1
	s_delay_alu instid0(SALU_CYCLE_1)
	s_or_b32 exec_lo, exec_lo, s1
	s_clause 0x1
	global_load_b64 v[34:35], v29, s[2:3] offset:40
	global_load_b128 v[20:23], v29, s[2:3]
	v_readfirstlane_b32 s4, v4
	v_readfirstlane_b32 s5, v5
	s_mov_b32 s1, exec_lo
	s_wait_loadcnt 0x1
	v_and_b32_e32 v36, s4, v34
	v_and_b32_e32 v37, s5, v35
	s_delay_alu instid0(VALU_DEP_1) | instskip(SKIP_1) | instid1(VALU_DEP_1)
	v_mul_u64_e32 v[4:5], 24, v[36:37]
	s_wait_loadcnt 0x0
	v_add_nc_u64_e32 v[34:35], v[20:21], v[4:5]
	s_wait_xcnt 0x0
	s_and_saveexec_b32 s11, s0
	s_cbranch_execz .LBB1_344
; %bb.343:                              ;   in Loop: Header=BB1_280 Depth=1
	v_dual_mov_b32 v4, s1 :: v_dual_mov_b32 v5, v29
	global_store_b128 v[34:35], v[4:7], off offset:8
.LBB1_344:                              ;   in Loop: Header=BB1_280 Depth=1
	s_wait_xcnt 0x0
	s_or_b32 exec_lo, exec_lo, s11
	v_cmp_gt_u64_e32 vcc_lo, 57, v[24:25]
	v_lshlrev_b64_e32 v[4:5], 12, v[36:37]
	v_and_b32_e32 v0, 0xffffff1f, v0
	v_lshl_add_u32 v36, v32, 2, 28
	v_cndmask_b32_e32 v27, 0, v26, vcc_lo
	s_delay_alu instid0(VALU_DEP_4) | instskip(NEXT) | instid1(VALU_DEP_2)
	v_add_nc_u64_e32 v[4:5], v[22:23], v[4:5]
	v_or_b32_e32 v0, v0, v27
	s_delay_alu instid0(VALU_DEP_2) | instskip(NEXT) | instid1(VALU_DEP_3)
	v_readfirstlane_b32 s12, v4
	v_readfirstlane_b32 s13, v5
	s_delay_alu instid0(VALU_DEP_3)
	v_and_or_b32 v0, 0x1e0, v36, v0
	s_clause 0x3
	global_store_b128 v28, v[0:3], s[12:13]
	global_store_b128 v28, v[8:11], s[12:13] offset:16
	global_store_b128 v28, v[12:15], s[12:13] offset:32
	;; [unrolled: 1-line block ×3, first 2 shown]
	s_wait_xcnt 0x0
	s_and_saveexec_b32 s1, s0
	s_cbranch_execz .LBB1_352
; %bb.345:                              ;   in Loop: Header=BB1_280 Depth=1
	s_clause 0x1
	global_load_b64 v[12:13], v29, s[2:3] offset:32 scope:SCOPE_SYS
	global_load_b64 v[0:1], v29, s[2:3] offset:40
	s_mov_b32 s11, exec_lo
	v_dual_mov_b32 v10, s4 :: v_dual_mov_b32 v11, s5
	s_wait_loadcnt 0x0
	v_and_b32_e32 v1, s5, v1
	v_and_b32_e32 v0, s4, v0
	s_delay_alu instid0(VALU_DEP_1) | instskip(NEXT) | instid1(VALU_DEP_1)
	v_mul_u64_e32 v[0:1], 24, v[0:1]
	v_add_nc_u64_e32 v[8:9], v[20:21], v[0:1]
	global_store_b64 v[8:9], v[12:13], off
	global_wb scope:SCOPE_SYS
	s_wait_storecnt 0x0
	s_wait_xcnt 0x0
	global_atomic_cmpswap_b64 v[2:3], v29, v[10:13], s[2:3] offset:32 th:TH_ATOMIC_RETURN scope:SCOPE_SYS
	s_wait_loadcnt 0x0
	v_cmpx_ne_u64_e64 v[2:3], v[12:13]
	s_cbranch_execz .LBB1_348
; %bb.346:                              ;   in Loop: Header=BB1_280 Depth=1
	s_mov_b32 s12, 0
.LBB1_347:                              ;   Parent Loop BB1_280 Depth=1
                                        ; =>  This Inner Loop Header: Depth=2
	v_dual_mov_b32 v0, s4 :: v_dual_mov_b32 v1, s5
	s_sleep 1
	global_store_b64 v[8:9], v[2:3], off
	global_wb scope:SCOPE_SYS
	s_wait_storecnt 0x0
	s_wait_xcnt 0x0
	global_atomic_cmpswap_b64 v[0:1], v29, v[0:3], s[2:3] offset:32 th:TH_ATOMIC_RETURN scope:SCOPE_SYS
	s_wait_loadcnt 0x0
	v_cmp_eq_u64_e32 vcc_lo, v[0:1], v[2:3]
	v_mov_b64_e32 v[2:3], v[0:1]
	s_or_b32 s12, vcc_lo, s12
	s_delay_alu instid0(SALU_CYCLE_1)
	s_and_not1_b32 exec_lo, exec_lo, s12
	s_cbranch_execnz .LBB1_347
.LBB1_348:                              ;   in Loop: Header=BB1_280 Depth=1
	s_or_b32 exec_lo, exec_lo, s11
	global_load_b64 v[0:1], v29, s[2:3] offset:16
	s_mov_b32 s12, exec_lo
	s_mov_b32 s11, exec_lo
	v_mbcnt_lo_u32_b32 v2, s12, 0
	s_wait_xcnt 0x0
	s_delay_alu instid0(VALU_DEP_1)
	v_cmpx_eq_u32_e32 0, v2
	s_cbranch_execz .LBB1_350
; %bb.349:                              ;   in Loop: Header=BB1_280 Depth=1
	s_bcnt1_i32_b32 s12, s12
	s_delay_alu instid0(SALU_CYCLE_1)
	v_dual_mov_b32 v3, v29 :: v_dual_mov_b32 v2, s12
	global_wb scope:SCOPE_SYS
	s_wait_loadcnt 0x0
	s_wait_storecnt 0x0
	global_atomic_add_u64 v[0:1], v[2:3], off offset:8 scope:SCOPE_SYS
.LBB1_350:                              ;   in Loop: Header=BB1_280 Depth=1
	s_wait_xcnt 0x0
	s_or_b32 exec_lo, exec_lo, s11
	s_wait_loadcnt 0x0
	global_load_b64 v[2:3], v[0:1], off offset:16
	s_wait_loadcnt 0x0
	v_cmp_eq_u64_e32 vcc_lo, 0, v[2:3]
	s_cbranch_vccnz .LBB1_352
; %bb.351:                              ;   in Loop: Header=BB1_280 Depth=1
	global_load_b32 v0, v[0:1], off offset:24
	s_wait_xcnt 0x0
	v_mov_b32_e32 v1, v29
	s_wait_loadcnt 0x0
	v_readfirstlane_b32 s11, v0
	global_wb scope:SCOPE_SYS
	s_wait_storecnt 0x0
	global_store_b64 v[2:3], v[0:1], off scope:SCOPE_SYS
	s_and_b32 m0, s11, 0xffffff
	s_sendmsg sendmsg(MSG_INTERRUPT)
.LBB1_352:                              ;   in Loop: Header=BB1_280 Depth=1
	s_wait_xcnt 0x0
	s_or_b32 exec_lo, exec_lo, s1
	v_add_nc_u64_e32 v[0:1], v[4:5], v[28:29]
	s_branch .LBB1_356
.LBB1_353:                              ;   in Loop: Header=BB1_356 Depth=2
	s_wait_xcnt 0x0
	s_or_b32 exec_lo, exec_lo, s1
	s_delay_alu instid0(VALU_DEP_1)
	v_readfirstlane_b32 s1, v2
	s_cmp_eq_u32 s1, 0
	s_cbranch_scc1 .LBB1_355
; %bb.354:                              ;   in Loop: Header=BB1_356 Depth=2
	s_sleep 1
	s_cbranch_execnz .LBB1_356
	s_branch .LBB1_358
.LBB1_355:                              ;   in Loop: Header=BB1_280 Depth=1
	s_branch .LBB1_358
.LBB1_356:                              ;   Parent Loop BB1_280 Depth=1
                                        ; =>  This Inner Loop Header: Depth=2
	v_mov_b32_e32 v2, 1
	s_and_saveexec_b32 s1, s0
	s_cbranch_execz .LBB1_353
; %bb.357:                              ;   in Loop: Header=BB1_356 Depth=2
	global_load_b32 v2, v[34:35], off offset:20 scope:SCOPE_SYS
	s_wait_loadcnt 0x0
	global_inv scope:SCOPE_SYS
	v_and_b32_e32 v2, 1, v2
	s_branch .LBB1_353
.LBB1_358:                              ;   in Loop: Header=BB1_280 Depth=1
	global_load_b64 v[0:1], v[0:1], off
	s_wait_xcnt 0x0
	s_and_saveexec_b32 s11, s0
	s_cbranch_execz .LBB1_279
; %bb.359:                              ;   in Loop: Header=BB1_280 Depth=1
	s_clause 0x2
	global_load_b64 v[2:3], v29, s[2:3] offset:40
	global_load_b64 v[12:13], v29, s[2:3] offset:24 scope:SCOPE_SYS
	global_load_b64 v[4:5], v29, s[2:3]
	s_wait_loadcnt 0x2
	v_readfirstlane_b32 s12, v2
	v_readfirstlane_b32 s13, v3
	s_add_nc_u64 s[0:1], s[12:13], 1
	s_delay_alu instid0(SALU_CYCLE_1) | instskip(NEXT) | instid1(SALU_CYCLE_1)
	s_add_nc_u64 s[4:5], s[0:1], s[4:5]
	s_cmp_eq_u64 s[4:5], 0
	s_cselect_b32 s1, s1, s5
	s_cselect_b32 s0, s0, s4
	s_delay_alu instid0(SALU_CYCLE_1) | instskip(SKIP_1) | instid1(SALU_CYCLE_1)
	v_dual_mov_b32 v11, s1 :: v_dual_mov_b32 v10, s0
	s_and_b64 s[4:5], s[0:1], s[12:13]
	s_mul_u64 s[4:5], s[4:5], 24
	s_wait_loadcnt 0x0
	v_add_nc_u64_e32 v[8:9], s[4:5], v[4:5]
	global_store_b64 v[8:9], v[12:13], off
	global_wb scope:SCOPE_SYS
	s_wait_storecnt 0x0
	s_wait_xcnt 0x0
	global_atomic_cmpswap_b64 v[4:5], v29, v[10:13], s[2:3] offset:24 th:TH_ATOMIC_RETURN scope:SCOPE_SYS
	s_wait_loadcnt 0x0
	v_cmp_ne_u64_e32 vcc_lo, v[4:5], v[12:13]
	s_and_b32 exec_lo, exec_lo, vcc_lo
	s_cbranch_execz .LBB1_279
; %bb.360:                              ;   in Loop: Header=BB1_280 Depth=1
	s_mov_b32 s4, 0
.LBB1_361:                              ;   Parent Loop BB1_280 Depth=1
                                        ; =>  This Inner Loop Header: Depth=2
	v_dual_mov_b32 v2, s0 :: v_dual_mov_b32 v3, s1
	s_sleep 1
	global_store_b64 v[8:9], v[4:5], off
	global_wb scope:SCOPE_SYS
	s_wait_storecnt 0x0
	s_wait_xcnt 0x0
	global_atomic_cmpswap_b64 v[2:3], v29, v[2:5], s[2:3] offset:24 th:TH_ATOMIC_RETURN scope:SCOPE_SYS
	s_wait_loadcnt 0x0
	v_cmp_eq_u64_e32 vcc_lo, v[2:3], v[4:5]
	v_mov_b64_e32 v[4:5], v[2:3]
	s_or_b32 s4, vcc_lo, s4
	s_delay_alu instid0(SALU_CYCLE_1)
	s_and_not1_b32 exec_lo, exec_lo, s4
	s_cbranch_execnz .LBB1_361
	s_branch .LBB1_279
.LBB1_362:
	s_or_b32 exec_lo, exec_lo, s7
                                        ; implicit-def: $vgpr28
                                        ; implicit-def: $vgpr50
.LBB1_363:
	s_and_not1_saveexec_b32 s6, s6
	s_cbranch_execz .LBB1_391
; %bb.364:
	v_readfirstlane_b32 s0, v50
	v_mov_b64_e32 v[2:3], 0
	s_delay_alu instid0(VALU_DEP_2)
	v_cmp_eq_u32_e64 s0, s0, v50
	s_and_saveexec_b32 s1, s0
	s_cbranch_execz .LBB1_370
; %bb.365:
	v_mov_b32_e32 v4, 0
	s_mov_b32 s4, exec_lo
	global_load_b64 v[8:9], v4, s[2:3] offset:24 scope:SCOPE_SYS
	s_wait_loadcnt 0x0
	global_inv scope:SCOPE_SYS
	s_clause 0x1
	global_load_b64 v[2:3], v4, s[2:3] offset:40
	global_load_b64 v[6:7], v4, s[2:3]
	s_wait_loadcnt 0x1
	v_and_b32_e32 v2, v2, v8
	v_and_b32_e32 v3, v3, v9
	s_delay_alu instid0(VALU_DEP_1) | instskip(SKIP_1) | instid1(VALU_DEP_1)
	v_mul_u64_e32 v[2:3], 24, v[2:3]
	s_wait_loadcnt 0x0
	v_add_nc_u64_e32 v[2:3], v[6:7], v[2:3]
	global_load_b64 v[6:7], v[2:3], off scope:SCOPE_SYS
	s_wait_xcnt 0x0
	s_wait_loadcnt 0x0
	global_atomic_cmpswap_b64 v[2:3], v4, v[6:9], s[2:3] offset:24 th:TH_ATOMIC_RETURN scope:SCOPE_SYS
	s_wait_loadcnt 0x0
	global_inv scope:SCOPE_SYS
	s_wait_xcnt 0x0
	v_cmpx_ne_u64_e64 v[2:3], v[8:9]
	s_cbranch_execz .LBB1_369
; %bb.366:
	s_mov_b32 s5, 0
.LBB1_367:                              ; =>This Inner Loop Header: Depth=1
	s_sleep 1
	s_clause 0x1
	global_load_b64 v[6:7], v4, s[2:3] offset:40
	global_load_b64 v[10:11], v4, s[2:3]
	v_mov_b64_e32 v[8:9], v[2:3]
	s_wait_loadcnt 0x1
	s_delay_alu instid0(VALU_DEP_1) | instskip(NEXT) | instid1(VALU_DEP_2)
	v_and_b32_e32 v2, v6, v8
	v_and_b32_e32 v5, v7, v9
	s_wait_loadcnt 0x0
	s_delay_alu instid0(VALU_DEP_2) | instskip(NEXT) | instid1(VALU_DEP_1)
	v_mad_nc_u64_u32 v[2:3], v2, 24, v[10:11]
	v_mad_u32 v3, v5, 24, v3
	global_load_b64 v[6:7], v[2:3], off scope:SCOPE_SYS
	s_wait_xcnt 0x0
	s_wait_loadcnt 0x0
	global_atomic_cmpswap_b64 v[2:3], v4, v[6:9], s[2:3] offset:24 th:TH_ATOMIC_RETURN scope:SCOPE_SYS
	s_wait_loadcnt 0x0
	global_inv scope:SCOPE_SYS
	v_cmp_eq_u64_e32 vcc_lo, v[2:3], v[8:9]
	s_or_b32 s5, vcc_lo, s5
	s_wait_xcnt 0x0
	s_and_not1_b32 exec_lo, exec_lo, s5
	s_cbranch_execnz .LBB1_367
; %bb.368:
	s_or_b32 exec_lo, exec_lo, s5
.LBB1_369:
	s_delay_alu instid0(SALU_CYCLE_1)
	s_or_b32 exec_lo, exec_lo, s4
.LBB1_370:
	s_delay_alu instid0(SALU_CYCLE_1)
	s_or_b32 exec_lo, exec_lo, s1
	v_readfirstlane_b32 s4, v2
	v_mov_b32_e32 v29, 0
	v_readfirstlane_b32 s5, v3
	s_mov_b32 s1, exec_lo
	s_clause 0x1
	global_load_b64 v[8:9], v29, s[2:3] offset:40
	global_load_b128 v[4:7], v29, s[2:3]
	s_wait_loadcnt 0x1
	v_and_b32_e32 v2, s4, v8
	v_and_b32_e32 v3, s5, v9
	s_delay_alu instid0(VALU_DEP_1) | instskip(SKIP_1) | instid1(VALU_DEP_1)
	v_mul_u64_e32 v[8:9], 24, v[2:3]
	s_wait_loadcnt 0x0
	v_add_nc_u64_e32 v[8:9], v[4:5], v[8:9]
	s_wait_xcnt 0x0
	s_and_saveexec_b32 s7, s0
	s_cbranch_execz .LBB1_372
; %bb.371:
	v_mov_b64_e32 v[12:13], 0x100000002
	v_dual_mov_b32 v10, s1 :: v_dual_mov_b32 v11, v29
	global_store_b128 v[8:9], v[10:13], off offset:8
.LBB1_372:
	s_wait_xcnt 0x0
	s_or_b32 exec_lo, exec_lo, s7
	v_lshlrev_b64_e32 v[2:3], 12, v[2:3]
	s_mov_b32 s12, 0
	v_and_or_b32 v0, 0xffffff1f, v0, 32
	s_mov_b32 s13, s12
	s_mov_b32 s14, s12
	;; [unrolled: 1-line block ×3, first 2 shown]
	v_mov_b64_e32 v[10:11], s[12:13]
	v_add_nc_u64_e32 v[6:7], v[6:7], v[2:3]
	v_mov_b64_e32 v[12:13], s[14:15]
	v_dual_mov_b32 v2, v29 :: v_dual_mov_b32 v3, v29
	s_delay_alu instid0(VALU_DEP_3) | instskip(NEXT) | instid1(VALU_DEP_4)
	v_readfirstlane_b32 s10, v6
	v_readfirstlane_b32 s11, v7
	s_clause 0x3
	global_store_b128 v28, v[0:3], s[10:11]
	global_store_b128 v28, v[10:13], s[10:11] offset:16
	global_store_b128 v28, v[10:13], s[10:11] offset:32
	;; [unrolled: 1-line block ×3, first 2 shown]
	s_wait_xcnt 0x0
	s_and_saveexec_b32 s1, s0
	s_cbranch_execz .LBB1_380
; %bb.373:
	v_dual_mov_b32 v10, 0 :: v_dual_mov_b32 v13, s5
	s_mov_b32 s7, exec_lo
	s_clause 0x1
	global_load_b64 v[14:15], v10, s[2:3] offset:32 scope:SCOPE_SYS
	global_load_b64 v[0:1], v10, s[2:3] offset:40
	s_wait_loadcnt 0x0
	v_dual_mov_b32 v12, s4 :: v_dual_bitop2_b32 v1, s5, v1 bitop3:0x40
	v_and_b32_e32 v0, s4, v0
	s_delay_alu instid0(VALU_DEP_1) | instskip(NEXT) | instid1(VALU_DEP_1)
	v_mul_u64_e32 v[0:1], 24, v[0:1]
	v_add_nc_u64_e32 v[4:5], v[4:5], v[0:1]
	global_store_b64 v[4:5], v[14:15], off
	global_wb scope:SCOPE_SYS
	s_wait_storecnt 0x0
	s_wait_xcnt 0x0
	global_atomic_cmpswap_b64 v[2:3], v10, v[12:15], s[2:3] offset:32 th:TH_ATOMIC_RETURN scope:SCOPE_SYS
	s_wait_loadcnt 0x0
	v_cmpx_ne_u64_e64 v[2:3], v[14:15]
	s_cbranch_execz .LBB1_376
; %bb.374:
	s_mov_b32 s10, 0
.LBB1_375:                              ; =>This Inner Loop Header: Depth=1
	v_dual_mov_b32 v0, s4 :: v_dual_mov_b32 v1, s5
	s_sleep 1
	global_store_b64 v[4:5], v[2:3], off
	global_wb scope:SCOPE_SYS
	s_wait_storecnt 0x0
	s_wait_xcnt 0x0
	global_atomic_cmpswap_b64 v[0:1], v10, v[0:3], s[2:3] offset:32 th:TH_ATOMIC_RETURN scope:SCOPE_SYS
	s_wait_loadcnt 0x0
	v_cmp_eq_u64_e32 vcc_lo, v[0:1], v[2:3]
	v_mov_b64_e32 v[2:3], v[0:1]
	s_or_b32 s10, vcc_lo, s10
	s_delay_alu instid0(SALU_CYCLE_1)
	s_and_not1_b32 exec_lo, exec_lo, s10
	s_cbranch_execnz .LBB1_375
.LBB1_376:
	s_or_b32 exec_lo, exec_lo, s7
	v_mov_b32_e32 v3, 0
	s_mov_b32 s10, exec_lo
	s_mov_b32 s7, exec_lo
	v_mbcnt_lo_u32_b32 v2, s10, 0
	global_load_b64 v[0:1], v3, s[2:3] offset:16
	s_wait_xcnt 0x0
	v_cmpx_eq_u32_e32 0, v2
	s_cbranch_execz .LBB1_378
; %bb.377:
	s_bcnt1_i32_b32 s10, s10
	s_delay_alu instid0(SALU_CYCLE_1)
	v_mov_b32_e32 v2, s10
	global_wb scope:SCOPE_SYS
	s_wait_loadcnt 0x0
	s_wait_storecnt 0x0
	global_atomic_add_u64 v[0:1], v[2:3], off offset:8 scope:SCOPE_SYS
.LBB1_378:
	s_wait_xcnt 0x0
	s_or_b32 exec_lo, exec_lo, s7
	s_wait_loadcnt 0x0
	global_load_b64 v[2:3], v[0:1], off offset:16
	s_wait_loadcnt 0x0
	v_cmp_eq_u64_e32 vcc_lo, 0, v[2:3]
	s_cbranch_vccnz .LBB1_380
; %bb.379:
	global_load_b32 v0, v[0:1], off offset:24
	s_wait_xcnt 0x0
	v_mov_b32_e32 v1, 0
	s_wait_loadcnt 0x0
	v_readfirstlane_b32 s7, v0
	global_wb scope:SCOPE_SYS
	s_wait_storecnt 0x0
	global_store_b64 v[2:3], v[0:1], off scope:SCOPE_SYS
	s_and_b32 m0, s7, 0xffffff
	s_sendmsg sendmsg(MSG_INTERRUPT)
.LBB1_380:
	s_wait_xcnt 0x0
	s_or_b32 exec_lo, exec_lo, s1
	v_add_nc_u64_e32 v[0:1], v[6:7], v[28:29]
	s_branch .LBB1_384
.LBB1_381:                              ;   in Loop: Header=BB1_384 Depth=1
	s_wait_xcnt 0x0
	s_or_b32 exec_lo, exec_lo, s1
	s_delay_alu instid0(VALU_DEP_1)
	v_readfirstlane_b32 s1, v2
	s_cmp_eq_u32 s1, 0
	s_cbranch_scc1 .LBB1_383
; %bb.382:                              ;   in Loop: Header=BB1_384 Depth=1
	s_sleep 1
	s_cbranch_execnz .LBB1_384
	s_branch .LBB1_386
.LBB1_383:
	s_branch .LBB1_386
.LBB1_384:                              ; =>This Inner Loop Header: Depth=1
	v_mov_b32_e32 v2, 1
	s_and_saveexec_b32 s1, s0
	s_cbranch_execz .LBB1_381
; %bb.385:                              ;   in Loop: Header=BB1_384 Depth=1
	global_load_b32 v2, v[8:9], off offset:20 scope:SCOPE_SYS
	s_wait_loadcnt 0x0
	global_inv scope:SCOPE_SYS
	v_and_b32_e32 v2, 1, v2
	s_branch .LBB1_381
.LBB1_386:
	global_load_b64 v[0:1], v[0:1], off
	s_wait_xcnt 0x0
	s_and_saveexec_b32 s7, s0
	s_cbranch_execz .LBB1_390
; %bb.387:
	v_mov_b32_e32 v8, 0
	s_clause 0x2
	global_load_b64 v[2:3], v8, s[2:3] offset:40
	global_load_b64 v[12:13], v8, s[2:3] offset:24 scope:SCOPE_SYS
	global_load_b64 v[4:5], v8, s[2:3]
	s_wait_loadcnt 0x2
	v_readfirstlane_b32 s10, v2
	v_readfirstlane_b32 s11, v3
	s_add_nc_u64 s[0:1], s[10:11], 1
	s_delay_alu instid0(SALU_CYCLE_1) | instskip(NEXT) | instid1(SALU_CYCLE_1)
	s_add_nc_u64 s[4:5], s[0:1], s[4:5]
	s_cmp_eq_u64 s[4:5], 0
	s_cselect_b32 s1, s1, s5
	s_cselect_b32 s0, s0, s4
	v_mov_b32_e32 v11, s1
	s_and_b64 s[4:5], s[0:1], s[10:11]
	v_mov_b32_e32 v10, s0
	s_mul_u64 s[4:5], s[4:5], 24
	s_wait_loadcnt 0x0
	v_add_nc_u64_e32 v[6:7], s[4:5], v[4:5]
	global_store_b64 v[6:7], v[12:13], off
	global_wb scope:SCOPE_SYS
	s_wait_storecnt 0x0
	s_wait_xcnt 0x0
	global_atomic_cmpswap_b64 v[4:5], v8, v[10:13], s[2:3] offset:24 th:TH_ATOMIC_RETURN scope:SCOPE_SYS
	s_wait_loadcnt 0x0
	v_cmp_ne_u64_e32 vcc_lo, v[4:5], v[12:13]
	s_and_b32 exec_lo, exec_lo, vcc_lo
	s_cbranch_execz .LBB1_390
; %bb.388:
	s_mov_b32 s4, 0
.LBB1_389:                              ; =>This Inner Loop Header: Depth=1
	v_dual_mov_b32 v2, s0 :: v_dual_mov_b32 v3, s1
	s_sleep 1
	global_store_b64 v[6:7], v[4:5], off
	global_wb scope:SCOPE_SYS
	s_wait_storecnt 0x0
	s_wait_xcnt 0x0
	global_atomic_cmpswap_b64 v[2:3], v8, v[2:5], s[2:3] offset:24 th:TH_ATOMIC_RETURN scope:SCOPE_SYS
	s_wait_loadcnt 0x0
	v_cmp_eq_u64_e32 vcc_lo, v[2:3], v[4:5]
	v_mov_b64_e32 v[4:5], v[2:3]
	s_or_b32 s4, vcc_lo, s4
	s_delay_alu instid0(SALU_CYCLE_1)
	s_and_not1_b32 exec_lo, exec_lo, s4
	s_cbranch_execnz .LBB1_389
.LBB1_390:
	s_or_b32 exec_lo, exec_lo, s7
.LBB1_391:
	s_delay_alu instid0(SALU_CYCLE_1)
	s_or_b32 exec_lo, exec_lo, s6
	s_get_pc_i64 s[0:1]
	s_add_nc_u64 s[0:1], s[0:1], .str@rel64+4
	s_get_pc_i64 s[2:3]
	s_add_nc_u64 s[2:3], s[2:3], .str@rel64+10
	v_dual_mov_b32 v2, s0 :: v_dual_mov_b32 v3, s1
	s_sub_co_i32 s4, s2, s0
	v_mov_b32_e32 v6, 1
	s_ashr_i32 s5, s4, 31
	s_delay_alu instid0(SALU_CYCLE_1) | instskip(SKIP_2) | instid1(SALU_CYCLE_1)
	v_dual_mov_b32 v4, s4 :: v_dual_mov_b32 v5, s5
	s_get_pc_i64 s[2:3]
	s_add_nc_u64 s[2:3], s[2:3], __ockl_fprintf_append_string_n@rel64+4
	s_swap_pc_i64 s[30:31], s[2:3]
	s_trap 2
.Lfunc_end1:
	.size	__assert_fail, .Lfunc_end1-__assert_fail
                                        ; -- End function
	.set .L__assert_fail.num_vgpr, max(51, .L__ockl_fprintf_append_string_n.num_vgpr)
	.set .L__assert_fail.num_agpr, max(0, .L__ockl_fprintf_append_string_n.num_agpr)
	.set .L__assert_fail.numbered_sgpr, max(34, .L__ockl_fprintf_append_string_n.numbered_sgpr)
	.set .L__assert_fail.num_named_barrier, max(0, .L__ockl_fprintf_append_string_n.num_named_barrier)
	.set .L__assert_fail.private_seg_size, 64+max(.L__ockl_fprintf_append_string_n.private_seg_size)
	.set .L__assert_fail.uses_vcc, or(1, .L__ockl_fprintf_append_string_n.uses_vcc)
	.set .L__assert_fail.uses_flat_scratch, or(1, .L__ockl_fprintf_append_string_n.uses_flat_scratch)
	.set .L__assert_fail.has_dyn_sized_stack, or(0, .L__ockl_fprintf_append_string_n.has_dyn_sized_stack)
	.set .L__assert_fail.has_recursion, or(0, .L__ockl_fprintf_append_string_n.has_recursion)
	.set .L__assert_fail.has_indirect_call, or(0, .L__ockl_fprintf_append_string_n.has_indirect_call)
	.section	.AMDGPU.csdata,"",@progbits
; Function info:
; codeLenInByte = 15744
; TotalNumSgprs: 36
; NumVgprs: 51
; ScratchSize: 64
; MemoryBound: 0
	.section	.text._Z38paged_attention_ll4mi_QKV_mfma4_kernelIDF16_DF16_LN4vllm18Fp8KVCacheDataTypeE0EhLi16ELi64ELi256ELb1ELi1EEvPKT_PKT0_S7_ifPKiS9_S9_iPKfiiiPfSC_PS2_PT2_iSB_SB_,"axG",@progbits,_Z38paged_attention_ll4mi_QKV_mfma4_kernelIDF16_DF16_LN4vllm18Fp8KVCacheDataTypeE0EhLi16ELi64ELi256ELb1ELi1EEvPKT_PKT0_S7_ifPKiS9_S9_iPKfiiiPfSC_PS2_PT2_iSB_SB_,comdat
	.protected	_Z38paged_attention_ll4mi_QKV_mfma4_kernelIDF16_DF16_LN4vllm18Fp8KVCacheDataTypeE0EhLi16ELi64ELi256ELb1ELi1EEvPKT_PKT0_S7_ifPKiS9_S9_iPKfiiiPfSC_PS2_PT2_iSB_SB_ ; -- Begin function _Z38paged_attention_ll4mi_QKV_mfma4_kernelIDF16_DF16_LN4vllm18Fp8KVCacheDataTypeE0EhLi16ELi64ELi256ELb1ELi1EEvPKT_PKT0_S7_ifPKiS9_S9_iPKfiiiPfSC_PS2_PT2_iSB_SB_
	.globl	_Z38paged_attention_ll4mi_QKV_mfma4_kernelIDF16_DF16_LN4vllm18Fp8KVCacheDataTypeE0EhLi16ELi64ELi256ELb1ELi1EEvPKT_PKT0_S7_ifPKiS9_S9_iPKfiiiPfSC_PS2_PT2_iSB_SB_
	.p2align	8
	.type	_Z38paged_attention_ll4mi_QKV_mfma4_kernelIDF16_DF16_LN4vllm18Fp8KVCacheDataTypeE0EhLi16ELi64ELi256ELb1ELi1EEvPKT_PKT0_S7_ifPKiS9_S9_iPKfiiiPfSC_PS2_PT2_iSB_SB_,@function
_Z38paged_attention_ll4mi_QKV_mfma4_kernelIDF16_DF16_LN4vllm18Fp8KVCacheDataTypeE0EhLi16ELi64ELi256ELb1ELi1EEvPKT_PKT0_S7_ifPKiS9_S9_iPKfiiiPfSC_PS2_PT2_iSB_SB_: ; @_Z38paged_attention_ll4mi_QKV_mfma4_kernelIDF16_DF16_LN4vllm18Fp8KVCacheDataTypeE0EhLi16ELi64ELi256ELb1ELi1EEvPKT_PKT0_S7_ifPKiS9_S9_iPKfiiiPfSC_PS2_PT2_iSB_SB_
; %bb.0:
	s_get_pc_i64 s[2:3]
	s_add_nc_u64 s[2:3], s[2:3], __PRETTY_FUNCTION__._Z38paged_attention_ll4mi_QKV_mfma4_kernelIDF16_DF16_LN4vllm18Fp8KVCacheDataTypeE0EhLi16ELi64ELi256ELb1ELi1EEvPKT_PKT0_S7_ifPKiS9_S9_iPKfiiiPfSC_PS2_PT2_iSB_SB_@rel64+4
	s_delay_alu instid0(SALU_CYCLE_1)
	v_dual_mov_b32 v0, 0xbce :: v_dual_mov_b32 v1, s2
	v_mov_b32_e32 v2, s3
	s_add_nc_u64 s[8:9], s[0:1], 0x90
	s_get_pc_i64 s[0:1]
	s_add_nc_u64 s[0:1], s[0:1], __assert_fail@rel64+4
	s_mov_b32 s32, 0
	s_swap_pc_i64 s[30:31], s[0:1]
	.section	.rodata,"a",@progbits
	.p2align	6, 0x0
	.amdhsa_kernel _Z38paged_attention_ll4mi_QKV_mfma4_kernelIDF16_DF16_LN4vllm18Fp8KVCacheDataTypeE0EhLi16ELi64ELi256ELb1ELi1EEvPKT_PKT0_S7_ifPKiS9_S9_iPKfiiiPfSC_PS2_PT2_iSB_SB_
		.amdhsa_group_segment_fixed_size 0
		.amdhsa_private_segment_fixed_size 64
		.amdhsa_kernarg_size 400
		.amdhsa_user_sgpr_count 2
		.amdhsa_user_sgpr_dispatch_ptr 0
		.amdhsa_user_sgpr_queue_ptr 0
		.amdhsa_user_sgpr_kernarg_segment_ptr 1
		.amdhsa_user_sgpr_dispatch_id 0
		.amdhsa_user_sgpr_kernarg_preload_length 0
		.amdhsa_user_sgpr_kernarg_preload_offset 0
		.amdhsa_user_sgpr_private_segment_size 0
		.amdhsa_wavefront_size32 1
		.amdhsa_uses_dynamic_stack 0
		.amdhsa_enable_private_segment 1
		.amdhsa_system_sgpr_workgroup_id_x 1
		.amdhsa_system_sgpr_workgroup_id_y 0
		.amdhsa_system_sgpr_workgroup_id_z 0
		.amdhsa_system_sgpr_workgroup_info 0
		.amdhsa_system_vgpr_workitem_id 0
		.amdhsa_next_free_vgpr 51
		.amdhsa_next_free_sgpr 34
		.amdhsa_named_barrier_count 0
		.amdhsa_reserve_vcc 1
		.amdhsa_float_round_mode_32 0
		.amdhsa_float_round_mode_16_64 0
		.amdhsa_float_denorm_mode_32 3
		.amdhsa_float_denorm_mode_16_64 3
		.amdhsa_fp16_overflow 0
		.amdhsa_memory_ordered 1
		.amdhsa_forward_progress 1
		.amdhsa_inst_pref_size 1
		.amdhsa_round_robin_scheduling 0
		.amdhsa_exception_fp_ieee_invalid_op 0
		.amdhsa_exception_fp_denorm_src 0
		.amdhsa_exception_fp_ieee_div_zero 0
		.amdhsa_exception_fp_ieee_overflow 0
		.amdhsa_exception_fp_ieee_underflow 0
		.amdhsa_exception_fp_ieee_inexact 0
		.amdhsa_exception_int_div_zero 0
	.end_amdhsa_kernel
	.section	.text._Z38paged_attention_ll4mi_QKV_mfma4_kernelIDF16_DF16_LN4vllm18Fp8KVCacheDataTypeE0EhLi16ELi64ELi256ELb1ELi1EEvPKT_PKT0_S7_ifPKiS9_S9_iPKfiiiPfSC_PS2_PT2_iSB_SB_,"axG",@progbits,_Z38paged_attention_ll4mi_QKV_mfma4_kernelIDF16_DF16_LN4vllm18Fp8KVCacheDataTypeE0EhLi16ELi64ELi256ELb1ELi1EEvPKT_PKT0_S7_ifPKiS9_S9_iPKfiiiPfSC_PS2_PT2_iSB_SB_,comdat
.Lfunc_end2:
	.size	_Z38paged_attention_ll4mi_QKV_mfma4_kernelIDF16_DF16_LN4vllm18Fp8KVCacheDataTypeE0EhLi16ELi64ELi256ELb1ELi1EEvPKT_PKT0_S7_ifPKiS9_S9_iPKfiiiPfSC_PS2_PT2_iSB_SB_, .Lfunc_end2-_Z38paged_attention_ll4mi_QKV_mfma4_kernelIDF16_DF16_LN4vllm18Fp8KVCacheDataTypeE0EhLi16ELi64ELi256ELb1ELi1EEvPKT_PKT0_S7_ifPKiS9_S9_iPKfiiiPfSC_PS2_PT2_iSB_SB_
                                        ; -- End function
	.set _Z38paged_attention_ll4mi_QKV_mfma4_kernelIDF16_DF16_LN4vllm18Fp8KVCacheDataTypeE0EhLi16ELi64ELi256ELb1ELi1EEvPKT_PKT0_S7_ifPKiS9_S9_iPKfiiiPfSC_PS2_PT2_iSB_SB_.num_vgpr, max(3, .L__assert_fail.num_vgpr)
	.set _Z38paged_attention_ll4mi_QKV_mfma4_kernelIDF16_DF16_LN4vllm18Fp8KVCacheDataTypeE0EhLi16ELi64ELi256ELb1ELi1EEvPKT_PKT0_S7_ifPKiS9_S9_iPKfiiiPfSC_PS2_PT2_iSB_SB_.num_agpr, max(0, .L__assert_fail.num_agpr)
	.set _Z38paged_attention_ll4mi_QKV_mfma4_kernelIDF16_DF16_LN4vllm18Fp8KVCacheDataTypeE0EhLi16ELi64ELi256ELb1ELi1EEvPKT_PKT0_S7_ifPKiS9_S9_iPKfiiiPfSC_PS2_PT2_iSB_SB_.numbered_sgpr, max(33, .L__assert_fail.numbered_sgpr)
	.set _Z38paged_attention_ll4mi_QKV_mfma4_kernelIDF16_DF16_LN4vllm18Fp8KVCacheDataTypeE0EhLi16ELi64ELi256ELb1ELi1EEvPKT_PKT0_S7_ifPKiS9_S9_iPKfiiiPfSC_PS2_PT2_iSB_SB_.num_named_barrier, max(0, .L__assert_fail.num_named_barrier)
	.set _Z38paged_attention_ll4mi_QKV_mfma4_kernelIDF16_DF16_LN4vllm18Fp8KVCacheDataTypeE0EhLi16ELi64ELi256ELb1ELi1EEvPKT_PKT0_S7_ifPKiS9_S9_iPKfiiiPfSC_PS2_PT2_iSB_SB_.private_seg_size, 0+max(.L__assert_fail.private_seg_size)
	.set _Z38paged_attention_ll4mi_QKV_mfma4_kernelIDF16_DF16_LN4vllm18Fp8KVCacheDataTypeE0EhLi16ELi64ELi256ELb1ELi1EEvPKT_PKT0_S7_ifPKiS9_S9_iPKfiiiPfSC_PS2_PT2_iSB_SB_.uses_vcc, or(1, .L__assert_fail.uses_vcc)
	.set _Z38paged_attention_ll4mi_QKV_mfma4_kernelIDF16_DF16_LN4vllm18Fp8KVCacheDataTypeE0EhLi16ELi64ELi256ELb1ELi1EEvPKT_PKT0_S7_ifPKiS9_S9_iPKfiiiPfSC_PS2_PT2_iSB_SB_.uses_flat_scratch, or(0, .L__assert_fail.uses_flat_scratch)
	.set _Z38paged_attention_ll4mi_QKV_mfma4_kernelIDF16_DF16_LN4vllm18Fp8KVCacheDataTypeE0EhLi16ELi64ELi256ELb1ELi1EEvPKT_PKT0_S7_ifPKiS9_S9_iPKfiiiPfSC_PS2_PT2_iSB_SB_.has_dyn_sized_stack, or(0, .L__assert_fail.has_dyn_sized_stack)
	.set _Z38paged_attention_ll4mi_QKV_mfma4_kernelIDF16_DF16_LN4vllm18Fp8KVCacheDataTypeE0EhLi16ELi64ELi256ELb1ELi1EEvPKT_PKT0_S7_ifPKiS9_S9_iPKfiiiPfSC_PS2_PT2_iSB_SB_.has_recursion, or(0, .L__assert_fail.has_recursion)
	.set _Z38paged_attention_ll4mi_QKV_mfma4_kernelIDF16_DF16_LN4vllm18Fp8KVCacheDataTypeE0EhLi16ELi64ELi256ELb1ELi1EEvPKT_PKT0_S7_ifPKiS9_S9_iPKfiiiPfSC_PS2_PT2_iSB_SB_.has_indirect_call, or(0, .L__assert_fail.has_indirect_call)
	.section	.AMDGPU.csdata,"",@progbits
; Kernel info:
; codeLenInByte = 68
; TotalNumSgprs: 36
; NumVgprs: 51
; ScratchSize: 64
; MemoryBound: 0
; FloatMode: 240
; IeeeMode: 1
; LDSByteSize: 0 bytes/workgroup (compile time only)
; SGPRBlocks: 0
; VGPRBlocks: 3
; NumSGPRsForWavesPerEU: 36
; NumVGPRsForWavesPerEU: 51
; NamedBarCnt: 0
; Occupancy: 16
; WaveLimiterHint : 1
; COMPUTE_PGM_RSRC2:SCRATCH_EN: 1
; COMPUTE_PGM_RSRC2:USER_SGPR: 2
; COMPUTE_PGM_RSRC2:TRAP_HANDLER: 0
; COMPUTE_PGM_RSRC2:TGID_X_EN: 1
; COMPUTE_PGM_RSRC2:TGID_Y_EN: 0
; COMPUTE_PGM_RSRC2:TGID_Z_EN: 0
; COMPUTE_PGM_RSRC2:TIDIG_COMP_CNT: 0
	.section	.text._Z38paged_attention_ll4mi_QKV_mfma4_kernelIDF16_DF16_LN4vllm18Fp8KVCacheDataTypeE0EhLi16ELi64ELi256ELb1ELi2EEvPKT_PKT0_S7_ifPKiS9_S9_iPKfiiiPfSC_PS2_PT2_iSB_SB_,"axG",@progbits,_Z38paged_attention_ll4mi_QKV_mfma4_kernelIDF16_DF16_LN4vllm18Fp8KVCacheDataTypeE0EhLi16ELi64ELi256ELb1ELi2EEvPKT_PKT0_S7_ifPKiS9_S9_iPKfiiiPfSC_PS2_PT2_iSB_SB_,comdat
	.protected	_Z38paged_attention_ll4mi_QKV_mfma4_kernelIDF16_DF16_LN4vllm18Fp8KVCacheDataTypeE0EhLi16ELi64ELi256ELb1ELi2EEvPKT_PKT0_S7_ifPKiS9_S9_iPKfiiiPfSC_PS2_PT2_iSB_SB_ ; -- Begin function _Z38paged_attention_ll4mi_QKV_mfma4_kernelIDF16_DF16_LN4vllm18Fp8KVCacheDataTypeE0EhLi16ELi64ELi256ELb1ELi2EEvPKT_PKT0_S7_ifPKiS9_S9_iPKfiiiPfSC_PS2_PT2_iSB_SB_
	.globl	_Z38paged_attention_ll4mi_QKV_mfma4_kernelIDF16_DF16_LN4vllm18Fp8KVCacheDataTypeE0EhLi16ELi64ELi256ELb1ELi2EEvPKT_PKT0_S7_ifPKiS9_S9_iPKfiiiPfSC_PS2_PT2_iSB_SB_
	.p2align	8
	.type	_Z38paged_attention_ll4mi_QKV_mfma4_kernelIDF16_DF16_LN4vllm18Fp8KVCacheDataTypeE0EhLi16ELi64ELi256ELb1ELi2EEvPKT_PKT0_S7_ifPKiS9_S9_iPKfiiiPfSC_PS2_PT2_iSB_SB_,@function
_Z38paged_attention_ll4mi_QKV_mfma4_kernelIDF16_DF16_LN4vllm18Fp8KVCacheDataTypeE0EhLi16ELi64ELi256ELb1ELi2EEvPKT_PKT0_S7_ifPKiS9_S9_iPKfiiiPfSC_PS2_PT2_iSB_SB_: ; @_Z38paged_attention_ll4mi_QKV_mfma4_kernelIDF16_DF16_LN4vllm18Fp8KVCacheDataTypeE0EhLi16ELi64ELi256ELb1ELi2EEvPKT_PKT0_S7_ifPKiS9_S9_iPKfiiiPfSC_PS2_PT2_iSB_SB_
; %bb.0:
	s_get_pc_i64 s[2:3]
	s_add_nc_u64 s[2:3], s[2:3], __PRETTY_FUNCTION__._Z38paged_attention_ll4mi_QKV_mfma4_kernelIDF16_DF16_LN4vllm18Fp8KVCacheDataTypeE0EhLi16ELi64ELi256ELb1ELi2EEvPKT_PKT0_S7_ifPKiS9_S9_iPKfiiiPfSC_PS2_PT2_iSB_SB_@rel64+4
	s_delay_alu instid0(SALU_CYCLE_1)
	v_dual_mov_b32 v0, 0xbce :: v_dual_mov_b32 v1, s2
	v_mov_b32_e32 v2, s3
	s_add_nc_u64 s[8:9], s[0:1], 0x90
	s_get_pc_i64 s[0:1]
	s_add_nc_u64 s[0:1], s[0:1], __assert_fail@rel64+4
	s_mov_b32 s32, 0
	s_swap_pc_i64 s[30:31], s[0:1]
	.section	.rodata,"a",@progbits
	.p2align	6, 0x0
	.amdhsa_kernel _Z38paged_attention_ll4mi_QKV_mfma4_kernelIDF16_DF16_LN4vllm18Fp8KVCacheDataTypeE0EhLi16ELi64ELi256ELb1ELi2EEvPKT_PKT0_S7_ifPKiS9_S9_iPKfiiiPfSC_PS2_PT2_iSB_SB_
		.amdhsa_group_segment_fixed_size 0
		.amdhsa_private_segment_fixed_size 64
		.amdhsa_kernarg_size 400
		.amdhsa_user_sgpr_count 2
		.amdhsa_user_sgpr_dispatch_ptr 0
		.amdhsa_user_sgpr_queue_ptr 0
		.amdhsa_user_sgpr_kernarg_segment_ptr 1
		.amdhsa_user_sgpr_dispatch_id 0
		.amdhsa_user_sgpr_kernarg_preload_length 0
		.amdhsa_user_sgpr_kernarg_preload_offset 0
		.amdhsa_user_sgpr_private_segment_size 0
		.amdhsa_wavefront_size32 1
		.amdhsa_uses_dynamic_stack 0
		.amdhsa_enable_private_segment 1
		.amdhsa_system_sgpr_workgroup_id_x 1
		.amdhsa_system_sgpr_workgroup_id_y 0
		.amdhsa_system_sgpr_workgroup_id_z 0
		.amdhsa_system_sgpr_workgroup_info 0
		.amdhsa_system_vgpr_workitem_id 0
		.amdhsa_next_free_vgpr 51
		.amdhsa_next_free_sgpr 34
		.amdhsa_named_barrier_count 0
		.amdhsa_reserve_vcc 1
		.amdhsa_float_round_mode_32 0
		.amdhsa_float_round_mode_16_64 0
		.amdhsa_float_denorm_mode_32 3
		.amdhsa_float_denorm_mode_16_64 3
		.amdhsa_fp16_overflow 0
		.amdhsa_memory_ordered 1
		.amdhsa_forward_progress 1
		.amdhsa_inst_pref_size 1
		.amdhsa_round_robin_scheduling 0
		.amdhsa_exception_fp_ieee_invalid_op 0
		.amdhsa_exception_fp_denorm_src 0
		.amdhsa_exception_fp_ieee_div_zero 0
		.amdhsa_exception_fp_ieee_overflow 0
		.amdhsa_exception_fp_ieee_underflow 0
		.amdhsa_exception_fp_ieee_inexact 0
		.amdhsa_exception_int_div_zero 0
	.end_amdhsa_kernel
	.section	.text._Z38paged_attention_ll4mi_QKV_mfma4_kernelIDF16_DF16_LN4vllm18Fp8KVCacheDataTypeE0EhLi16ELi64ELi256ELb1ELi2EEvPKT_PKT0_S7_ifPKiS9_S9_iPKfiiiPfSC_PS2_PT2_iSB_SB_,"axG",@progbits,_Z38paged_attention_ll4mi_QKV_mfma4_kernelIDF16_DF16_LN4vllm18Fp8KVCacheDataTypeE0EhLi16ELi64ELi256ELb1ELi2EEvPKT_PKT0_S7_ifPKiS9_S9_iPKfiiiPfSC_PS2_PT2_iSB_SB_,comdat
.Lfunc_end3:
	.size	_Z38paged_attention_ll4mi_QKV_mfma4_kernelIDF16_DF16_LN4vllm18Fp8KVCacheDataTypeE0EhLi16ELi64ELi256ELb1ELi2EEvPKT_PKT0_S7_ifPKiS9_S9_iPKfiiiPfSC_PS2_PT2_iSB_SB_, .Lfunc_end3-_Z38paged_attention_ll4mi_QKV_mfma4_kernelIDF16_DF16_LN4vllm18Fp8KVCacheDataTypeE0EhLi16ELi64ELi256ELb1ELi2EEvPKT_PKT0_S7_ifPKiS9_S9_iPKfiiiPfSC_PS2_PT2_iSB_SB_
                                        ; -- End function
	.set _Z38paged_attention_ll4mi_QKV_mfma4_kernelIDF16_DF16_LN4vllm18Fp8KVCacheDataTypeE0EhLi16ELi64ELi256ELb1ELi2EEvPKT_PKT0_S7_ifPKiS9_S9_iPKfiiiPfSC_PS2_PT2_iSB_SB_.num_vgpr, max(3, .L__assert_fail.num_vgpr)
	.set _Z38paged_attention_ll4mi_QKV_mfma4_kernelIDF16_DF16_LN4vllm18Fp8KVCacheDataTypeE0EhLi16ELi64ELi256ELb1ELi2EEvPKT_PKT0_S7_ifPKiS9_S9_iPKfiiiPfSC_PS2_PT2_iSB_SB_.num_agpr, max(0, .L__assert_fail.num_agpr)
	.set _Z38paged_attention_ll4mi_QKV_mfma4_kernelIDF16_DF16_LN4vllm18Fp8KVCacheDataTypeE0EhLi16ELi64ELi256ELb1ELi2EEvPKT_PKT0_S7_ifPKiS9_S9_iPKfiiiPfSC_PS2_PT2_iSB_SB_.numbered_sgpr, max(33, .L__assert_fail.numbered_sgpr)
	.set _Z38paged_attention_ll4mi_QKV_mfma4_kernelIDF16_DF16_LN4vllm18Fp8KVCacheDataTypeE0EhLi16ELi64ELi256ELb1ELi2EEvPKT_PKT0_S7_ifPKiS9_S9_iPKfiiiPfSC_PS2_PT2_iSB_SB_.num_named_barrier, max(0, .L__assert_fail.num_named_barrier)
	.set _Z38paged_attention_ll4mi_QKV_mfma4_kernelIDF16_DF16_LN4vllm18Fp8KVCacheDataTypeE0EhLi16ELi64ELi256ELb1ELi2EEvPKT_PKT0_S7_ifPKiS9_S9_iPKfiiiPfSC_PS2_PT2_iSB_SB_.private_seg_size, 0+max(.L__assert_fail.private_seg_size)
	.set _Z38paged_attention_ll4mi_QKV_mfma4_kernelIDF16_DF16_LN4vllm18Fp8KVCacheDataTypeE0EhLi16ELi64ELi256ELb1ELi2EEvPKT_PKT0_S7_ifPKiS9_S9_iPKfiiiPfSC_PS2_PT2_iSB_SB_.uses_vcc, or(1, .L__assert_fail.uses_vcc)
	.set _Z38paged_attention_ll4mi_QKV_mfma4_kernelIDF16_DF16_LN4vllm18Fp8KVCacheDataTypeE0EhLi16ELi64ELi256ELb1ELi2EEvPKT_PKT0_S7_ifPKiS9_S9_iPKfiiiPfSC_PS2_PT2_iSB_SB_.uses_flat_scratch, or(0, .L__assert_fail.uses_flat_scratch)
	.set _Z38paged_attention_ll4mi_QKV_mfma4_kernelIDF16_DF16_LN4vllm18Fp8KVCacheDataTypeE0EhLi16ELi64ELi256ELb1ELi2EEvPKT_PKT0_S7_ifPKiS9_S9_iPKfiiiPfSC_PS2_PT2_iSB_SB_.has_dyn_sized_stack, or(0, .L__assert_fail.has_dyn_sized_stack)
	.set _Z38paged_attention_ll4mi_QKV_mfma4_kernelIDF16_DF16_LN4vllm18Fp8KVCacheDataTypeE0EhLi16ELi64ELi256ELb1ELi2EEvPKT_PKT0_S7_ifPKiS9_S9_iPKfiiiPfSC_PS2_PT2_iSB_SB_.has_recursion, or(0, .L__assert_fail.has_recursion)
	.set _Z38paged_attention_ll4mi_QKV_mfma4_kernelIDF16_DF16_LN4vllm18Fp8KVCacheDataTypeE0EhLi16ELi64ELi256ELb1ELi2EEvPKT_PKT0_S7_ifPKiS9_S9_iPKfiiiPfSC_PS2_PT2_iSB_SB_.has_indirect_call, or(0, .L__assert_fail.has_indirect_call)
	.section	.AMDGPU.csdata,"",@progbits
; Kernel info:
; codeLenInByte = 68
; TotalNumSgprs: 36
; NumVgprs: 51
; ScratchSize: 64
; MemoryBound: 0
; FloatMode: 240
; IeeeMode: 1
; LDSByteSize: 0 bytes/workgroup (compile time only)
; SGPRBlocks: 0
; VGPRBlocks: 3
; NumSGPRsForWavesPerEU: 36
; NumVGPRsForWavesPerEU: 51
; NamedBarCnt: 0
; Occupancy: 16
; WaveLimiterHint : 1
; COMPUTE_PGM_RSRC2:SCRATCH_EN: 1
; COMPUTE_PGM_RSRC2:USER_SGPR: 2
; COMPUTE_PGM_RSRC2:TRAP_HANDLER: 0
; COMPUTE_PGM_RSRC2:TGID_X_EN: 1
; COMPUTE_PGM_RSRC2:TGID_Y_EN: 0
; COMPUTE_PGM_RSRC2:TGID_Z_EN: 0
; COMPUTE_PGM_RSRC2:TIDIG_COMP_CNT: 0
	.section	.text._Z38paged_attention_ll4mi_QKV_mfma4_kernelIDF16_DF16_LN4vllm18Fp8KVCacheDataTypeE0EhLi16ELi64ELi256ELb1ELi3EEvPKT_PKT0_S7_ifPKiS9_S9_iPKfiiiPfSC_PS2_PT2_iSB_SB_,"axG",@progbits,_Z38paged_attention_ll4mi_QKV_mfma4_kernelIDF16_DF16_LN4vllm18Fp8KVCacheDataTypeE0EhLi16ELi64ELi256ELb1ELi3EEvPKT_PKT0_S7_ifPKiS9_S9_iPKfiiiPfSC_PS2_PT2_iSB_SB_,comdat
	.protected	_Z38paged_attention_ll4mi_QKV_mfma4_kernelIDF16_DF16_LN4vllm18Fp8KVCacheDataTypeE0EhLi16ELi64ELi256ELb1ELi3EEvPKT_PKT0_S7_ifPKiS9_S9_iPKfiiiPfSC_PS2_PT2_iSB_SB_ ; -- Begin function _Z38paged_attention_ll4mi_QKV_mfma4_kernelIDF16_DF16_LN4vllm18Fp8KVCacheDataTypeE0EhLi16ELi64ELi256ELb1ELi3EEvPKT_PKT0_S7_ifPKiS9_S9_iPKfiiiPfSC_PS2_PT2_iSB_SB_
	.globl	_Z38paged_attention_ll4mi_QKV_mfma4_kernelIDF16_DF16_LN4vllm18Fp8KVCacheDataTypeE0EhLi16ELi64ELi256ELb1ELi3EEvPKT_PKT0_S7_ifPKiS9_S9_iPKfiiiPfSC_PS2_PT2_iSB_SB_
	.p2align	8
	.type	_Z38paged_attention_ll4mi_QKV_mfma4_kernelIDF16_DF16_LN4vllm18Fp8KVCacheDataTypeE0EhLi16ELi64ELi256ELb1ELi3EEvPKT_PKT0_S7_ifPKiS9_S9_iPKfiiiPfSC_PS2_PT2_iSB_SB_,@function
_Z38paged_attention_ll4mi_QKV_mfma4_kernelIDF16_DF16_LN4vllm18Fp8KVCacheDataTypeE0EhLi16ELi64ELi256ELb1ELi3EEvPKT_PKT0_S7_ifPKiS9_S9_iPKfiiiPfSC_PS2_PT2_iSB_SB_: ; @_Z38paged_attention_ll4mi_QKV_mfma4_kernelIDF16_DF16_LN4vllm18Fp8KVCacheDataTypeE0EhLi16ELi64ELi256ELb1ELi3EEvPKT_PKT0_S7_ifPKiS9_S9_iPKfiiiPfSC_PS2_PT2_iSB_SB_
; %bb.0:
	s_get_pc_i64 s[2:3]
	s_add_nc_u64 s[2:3], s[2:3], __PRETTY_FUNCTION__._Z38paged_attention_ll4mi_QKV_mfma4_kernelIDF16_DF16_LN4vllm18Fp8KVCacheDataTypeE0EhLi16ELi64ELi256ELb1ELi3EEvPKT_PKT0_S7_ifPKiS9_S9_iPKfiiiPfSC_PS2_PT2_iSB_SB_@rel64+4
	s_delay_alu instid0(SALU_CYCLE_1)
	v_dual_mov_b32 v0, 0xbce :: v_dual_mov_b32 v1, s2
	v_mov_b32_e32 v2, s3
	s_add_nc_u64 s[8:9], s[0:1], 0x90
	s_get_pc_i64 s[0:1]
	s_add_nc_u64 s[0:1], s[0:1], __assert_fail@rel64+4
	s_mov_b32 s32, 0
	s_swap_pc_i64 s[30:31], s[0:1]
	.section	.rodata,"a",@progbits
	.p2align	6, 0x0
	.amdhsa_kernel _Z38paged_attention_ll4mi_QKV_mfma4_kernelIDF16_DF16_LN4vllm18Fp8KVCacheDataTypeE0EhLi16ELi64ELi256ELb1ELi3EEvPKT_PKT0_S7_ifPKiS9_S9_iPKfiiiPfSC_PS2_PT2_iSB_SB_
		.amdhsa_group_segment_fixed_size 0
		.amdhsa_private_segment_fixed_size 64
		.amdhsa_kernarg_size 400
		.amdhsa_user_sgpr_count 2
		.amdhsa_user_sgpr_dispatch_ptr 0
		.amdhsa_user_sgpr_queue_ptr 0
		.amdhsa_user_sgpr_kernarg_segment_ptr 1
		.amdhsa_user_sgpr_dispatch_id 0
		.amdhsa_user_sgpr_kernarg_preload_length 0
		.amdhsa_user_sgpr_kernarg_preload_offset 0
		.amdhsa_user_sgpr_private_segment_size 0
		.amdhsa_wavefront_size32 1
		.amdhsa_uses_dynamic_stack 0
		.amdhsa_enable_private_segment 1
		.amdhsa_system_sgpr_workgroup_id_x 1
		.amdhsa_system_sgpr_workgroup_id_y 0
		.amdhsa_system_sgpr_workgroup_id_z 0
		.amdhsa_system_sgpr_workgroup_info 0
		.amdhsa_system_vgpr_workitem_id 0
		.amdhsa_next_free_vgpr 51
		.amdhsa_next_free_sgpr 34
		.amdhsa_named_barrier_count 0
		.amdhsa_reserve_vcc 1
		.amdhsa_float_round_mode_32 0
		.amdhsa_float_round_mode_16_64 0
		.amdhsa_float_denorm_mode_32 3
		.amdhsa_float_denorm_mode_16_64 3
		.amdhsa_fp16_overflow 0
		.amdhsa_memory_ordered 1
		.amdhsa_forward_progress 1
		.amdhsa_inst_pref_size 1
		.amdhsa_round_robin_scheduling 0
		.amdhsa_exception_fp_ieee_invalid_op 0
		.amdhsa_exception_fp_denorm_src 0
		.amdhsa_exception_fp_ieee_div_zero 0
		.amdhsa_exception_fp_ieee_overflow 0
		.amdhsa_exception_fp_ieee_underflow 0
		.amdhsa_exception_fp_ieee_inexact 0
		.amdhsa_exception_int_div_zero 0
	.end_amdhsa_kernel
	.section	.text._Z38paged_attention_ll4mi_QKV_mfma4_kernelIDF16_DF16_LN4vllm18Fp8KVCacheDataTypeE0EhLi16ELi64ELi256ELb1ELi3EEvPKT_PKT0_S7_ifPKiS9_S9_iPKfiiiPfSC_PS2_PT2_iSB_SB_,"axG",@progbits,_Z38paged_attention_ll4mi_QKV_mfma4_kernelIDF16_DF16_LN4vllm18Fp8KVCacheDataTypeE0EhLi16ELi64ELi256ELb1ELi3EEvPKT_PKT0_S7_ifPKiS9_S9_iPKfiiiPfSC_PS2_PT2_iSB_SB_,comdat
.Lfunc_end4:
	.size	_Z38paged_attention_ll4mi_QKV_mfma4_kernelIDF16_DF16_LN4vllm18Fp8KVCacheDataTypeE0EhLi16ELi64ELi256ELb1ELi3EEvPKT_PKT0_S7_ifPKiS9_S9_iPKfiiiPfSC_PS2_PT2_iSB_SB_, .Lfunc_end4-_Z38paged_attention_ll4mi_QKV_mfma4_kernelIDF16_DF16_LN4vllm18Fp8KVCacheDataTypeE0EhLi16ELi64ELi256ELb1ELi3EEvPKT_PKT0_S7_ifPKiS9_S9_iPKfiiiPfSC_PS2_PT2_iSB_SB_
                                        ; -- End function
	.set _Z38paged_attention_ll4mi_QKV_mfma4_kernelIDF16_DF16_LN4vllm18Fp8KVCacheDataTypeE0EhLi16ELi64ELi256ELb1ELi3EEvPKT_PKT0_S7_ifPKiS9_S9_iPKfiiiPfSC_PS2_PT2_iSB_SB_.num_vgpr, max(3, .L__assert_fail.num_vgpr)
	.set _Z38paged_attention_ll4mi_QKV_mfma4_kernelIDF16_DF16_LN4vllm18Fp8KVCacheDataTypeE0EhLi16ELi64ELi256ELb1ELi3EEvPKT_PKT0_S7_ifPKiS9_S9_iPKfiiiPfSC_PS2_PT2_iSB_SB_.num_agpr, max(0, .L__assert_fail.num_agpr)
	.set _Z38paged_attention_ll4mi_QKV_mfma4_kernelIDF16_DF16_LN4vllm18Fp8KVCacheDataTypeE0EhLi16ELi64ELi256ELb1ELi3EEvPKT_PKT0_S7_ifPKiS9_S9_iPKfiiiPfSC_PS2_PT2_iSB_SB_.numbered_sgpr, max(33, .L__assert_fail.numbered_sgpr)
	.set _Z38paged_attention_ll4mi_QKV_mfma4_kernelIDF16_DF16_LN4vllm18Fp8KVCacheDataTypeE0EhLi16ELi64ELi256ELb1ELi3EEvPKT_PKT0_S7_ifPKiS9_S9_iPKfiiiPfSC_PS2_PT2_iSB_SB_.num_named_barrier, max(0, .L__assert_fail.num_named_barrier)
	.set _Z38paged_attention_ll4mi_QKV_mfma4_kernelIDF16_DF16_LN4vllm18Fp8KVCacheDataTypeE0EhLi16ELi64ELi256ELb1ELi3EEvPKT_PKT0_S7_ifPKiS9_S9_iPKfiiiPfSC_PS2_PT2_iSB_SB_.private_seg_size, 0+max(.L__assert_fail.private_seg_size)
	.set _Z38paged_attention_ll4mi_QKV_mfma4_kernelIDF16_DF16_LN4vllm18Fp8KVCacheDataTypeE0EhLi16ELi64ELi256ELb1ELi3EEvPKT_PKT0_S7_ifPKiS9_S9_iPKfiiiPfSC_PS2_PT2_iSB_SB_.uses_vcc, or(1, .L__assert_fail.uses_vcc)
	.set _Z38paged_attention_ll4mi_QKV_mfma4_kernelIDF16_DF16_LN4vllm18Fp8KVCacheDataTypeE0EhLi16ELi64ELi256ELb1ELi3EEvPKT_PKT0_S7_ifPKiS9_S9_iPKfiiiPfSC_PS2_PT2_iSB_SB_.uses_flat_scratch, or(0, .L__assert_fail.uses_flat_scratch)
	.set _Z38paged_attention_ll4mi_QKV_mfma4_kernelIDF16_DF16_LN4vllm18Fp8KVCacheDataTypeE0EhLi16ELi64ELi256ELb1ELi3EEvPKT_PKT0_S7_ifPKiS9_S9_iPKfiiiPfSC_PS2_PT2_iSB_SB_.has_dyn_sized_stack, or(0, .L__assert_fail.has_dyn_sized_stack)
	.set _Z38paged_attention_ll4mi_QKV_mfma4_kernelIDF16_DF16_LN4vllm18Fp8KVCacheDataTypeE0EhLi16ELi64ELi256ELb1ELi3EEvPKT_PKT0_S7_ifPKiS9_S9_iPKfiiiPfSC_PS2_PT2_iSB_SB_.has_recursion, or(0, .L__assert_fail.has_recursion)
	.set _Z38paged_attention_ll4mi_QKV_mfma4_kernelIDF16_DF16_LN4vllm18Fp8KVCacheDataTypeE0EhLi16ELi64ELi256ELb1ELi3EEvPKT_PKT0_S7_ifPKiS9_S9_iPKfiiiPfSC_PS2_PT2_iSB_SB_.has_indirect_call, or(0, .L__assert_fail.has_indirect_call)
	.section	.AMDGPU.csdata,"",@progbits
; Kernel info:
; codeLenInByte = 68
; TotalNumSgprs: 36
; NumVgprs: 51
; ScratchSize: 64
; MemoryBound: 0
; FloatMode: 240
; IeeeMode: 1
; LDSByteSize: 0 bytes/workgroup (compile time only)
; SGPRBlocks: 0
; VGPRBlocks: 3
; NumSGPRsForWavesPerEU: 36
; NumVGPRsForWavesPerEU: 51
; NamedBarCnt: 0
; Occupancy: 16
; WaveLimiterHint : 1
; COMPUTE_PGM_RSRC2:SCRATCH_EN: 1
; COMPUTE_PGM_RSRC2:USER_SGPR: 2
; COMPUTE_PGM_RSRC2:TRAP_HANDLER: 0
; COMPUTE_PGM_RSRC2:TGID_X_EN: 1
; COMPUTE_PGM_RSRC2:TGID_Y_EN: 0
; COMPUTE_PGM_RSRC2:TGID_Z_EN: 0
; COMPUTE_PGM_RSRC2:TIDIG_COMP_CNT: 0
	.section	.text._Z38paged_attention_ll4mi_QKV_mfma4_kernelIDF16_DF16_LN4vllm18Fp8KVCacheDataTypeE0EhLi16ELi64ELi256ELb1ELi4EEvPKT_PKT0_S7_ifPKiS9_S9_iPKfiiiPfSC_PS2_PT2_iSB_SB_,"axG",@progbits,_Z38paged_attention_ll4mi_QKV_mfma4_kernelIDF16_DF16_LN4vllm18Fp8KVCacheDataTypeE0EhLi16ELi64ELi256ELb1ELi4EEvPKT_PKT0_S7_ifPKiS9_S9_iPKfiiiPfSC_PS2_PT2_iSB_SB_,comdat
	.protected	_Z38paged_attention_ll4mi_QKV_mfma4_kernelIDF16_DF16_LN4vllm18Fp8KVCacheDataTypeE0EhLi16ELi64ELi256ELb1ELi4EEvPKT_PKT0_S7_ifPKiS9_S9_iPKfiiiPfSC_PS2_PT2_iSB_SB_ ; -- Begin function _Z38paged_attention_ll4mi_QKV_mfma4_kernelIDF16_DF16_LN4vllm18Fp8KVCacheDataTypeE0EhLi16ELi64ELi256ELb1ELi4EEvPKT_PKT0_S7_ifPKiS9_S9_iPKfiiiPfSC_PS2_PT2_iSB_SB_
	.globl	_Z38paged_attention_ll4mi_QKV_mfma4_kernelIDF16_DF16_LN4vllm18Fp8KVCacheDataTypeE0EhLi16ELi64ELi256ELb1ELi4EEvPKT_PKT0_S7_ifPKiS9_S9_iPKfiiiPfSC_PS2_PT2_iSB_SB_
	.p2align	8
	.type	_Z38paged_attention_ll4mi_QKV_mfma4_kernelIDF16_DF16_LN4vllm18Fp8KVCacheDataTypeE0EhLi16ELi64ELi256ELb1ELi4EEvPKT_PKT0_S7_ifPKiS9_S9_iPKfiiiPfSC_PS2_PT2_iSB_SB_,@function
_Z38paged_attention_ll4mi_QKV_mfma4_kernelIDF16_DF16_LN4vllm18Fp8KVCacheDataTypeE0EhLi16ELi64ELi256ELb1ELi4EEvPKT_PKT0_S7_ifPKiS9_S9_iPKfiiiPfSC_PS2_PT2_iSB_SB_: ; @_Z38paged_attention_ll4mi_QKV_mfma4_kernelIDF16_DF16_LN4vllm18Fp8KVCacheDataTypeE0EhLi16ELi64ELi256ELb1ELi4EEvPKT_PKT0_S7_ifPKiS9_S9_iPKfiiiPfSC_PS2_PT2_iSB_SB_
; %bb.0:
	s_get_pc_i64 s[2:3]
	s_add_nc_u64 s[2:3], s[2:3], __PRETTY_FUNCTION__._Z38paged_attention_ll4mi_QKV_mfma4_kernelIDF16_DF16_LN4vllm18Fp8KVCacheDataTypeE0EhLi16ELi64ELi256ELb1ELi4EEvPKT_PKT0_S7_ifPKiS9_S9_iPKfiiiPfSC_PS2_PT2_iSB_SB_@rel64+4
	s_delay_alu instid0(SALU_CYCLE_1)
	v_dual_mov_b32 v0, 0xbce :: v_dual_mov_b32 v1, s2
	v_mov_b32_e32 v2, s3
	s_add_nc_u64 s[8:9], s[0:1], 0x90
	s_get_pc_i64 s[0:1]
	s_add_nc_u64 s[0:1], s[0:1], __assert_fail@rel64+4
	s_mov_b32 s32, 0
	s_swap_pc_i64 s[30:31], s[0:1]
	.section	.rodata,"a",@progbits
	.p2align	6, 0x0
	.amdhsa_kernel _Z38paged_attention_ll4mi_QKV_mfma4_kernelIDF16_DF16_LN4vllm18Fp8KVCacheDataTypeE0EhLi16ELi64ELi256ELb1ELi4EEvPKT_PKT0_S7_ifPKiS9_S9_iPKfiiiPfSC_PS2_PT2_iSB_SB_
		.amdhsa_group_segment_fixed_size 0
		.amdhsa_private_segment_fixed_size 64
		.amdhsa_kernarg_size 400
		.amdhsa_user_sgpr_count 2
		.amdhsa_user_sgpr_dispatch_ptr 0
		.amdhsa_user_sgpr_queue_ptr 0
		.amdhsa_user_sgpr_kernarg_segment_ptr 1
		.amdhsa_user_sgpr_dispatch_id 0
		.amdhsa_user_sgpr_kernarg_preload_length 0
		.amdhsa_user_sgpr_kernarg_preload_offset 0
		.amdhsa_user_sgpr_private_segment_size 0
		.amdhsa_wavefront_size32 1
		.amdhsa_uses_dynamic_stack 0
		.amdhsa_enable_private_segment 1
		.amdhsa_system_sgpr_workgroup_id_x 1
		.amdhsa_system_sgpr_workgroup_id_y 0
		.amdhsa_system_sgpr_workgroup_id_z 0
		.amdhsa_system_sgpr_workgroup_info 0
		.amdhsa_system_vgpr_workitem_id 0
		.amdhsa_next_free_vgpr 51
		.amdhsa_next_free_sgpr 34
		.amdhsa_named_barrier_count 0
		.amdhsa_reserve_vcc 1
		.amdhsa_float_round_mode_32 0
		.amdhsa_float_round_mode_16_64 0
		.amdhsa_float_denorm_mode_32 3
		.amdhsa_float_denorm_mode_16_64 3
		.amdhsa_fp16_overflow 0
		.amdhsa_memory_ordered 1
		.amdhsa_forward_progress 1
		.amdhsa_inst_pref_size 1
		.amdhsa_round_robin_scheduling 0
		.amdhsa_exception_fp_ieee_invalid_op 0
		.amdhsa_exception_fp_denorm_src 0
		.amdhsa_exception_fp_ieee_div_zero 0
		.amdhsa_exception_fp_ieee_overflow 0
		.amdhsa_exception_fp_ieee_underflow 0
		.amdhsa_exception_fp_ieee_inexact 0
		.amdhsa_exception_int_div_zero 0
	.end_amdhsa_kernel
	.section	.text._Z38paged_attention_ll4mi_QKV_mfma4_kernelIDF16_DF16_LN4vllm18Fp8KVCacheDataTypeE0EhLi16ELi64ELi256ELb1ELi4EEvPKT_PKT0_S7_ifPKiS9_S9_iPKfiiiPfSC_PS2_PT2_iSB_SB_,"axG",@progbits,_Z38paged_attention_ll4mi_QKV_mfma4_kernelIDF16_DF16_LN4vllm18Fp8KVCacheDataTypeE0EhLi16ELi64ELi256ELb1ELi4EEvPKT_PKT0_S7_ifPKiS9_S9_iPKfiiiPfSC_PS2_PT2_iSB_SB_,comdat
.Lfunc_end5:
	.size	_Z38paged_attention_ll4mi_QKV_mfma4_kernelIDF16_DF16_LN4vllm18Fp8KVCacheDataTypeE0EhLi16ELi64ELi256ELb1ELi4EEvPKT_PKT0_S7_ifPKiS9_S9_iPKfiiiPfSC_PS2_PT2_iSB_SB_, .Lfunc_end5-_Z38paged_attention_ll4mi_QKV_mfma4_kernelIDF16_DF16_LN4vllm18Fp8KVCacheDataTypeE0EhLi16ELi64ELi256ELb1ELi4EEvPKT_PKT0_S7_ifPKiS9_S9_iPKfiiiPfSC_PS2_PT2_iSB_SB_
                                        ; -- End function
	.set _Z38paged_attention_ll4mi_QKV_mfma4_kernelIDF16_DF16_LN4vllm18Fp8KVCacheDataTypeE0EhLi16ELi64ELi256ELb1ELi4EEvPKT_PKT0_S7_ifPKiS9_S9_iPKfiiiPfSC_PS2_PT2_iSB_SB_.num_vgpr, max(3, .L__assert_fail.num_vgpr)
	.set _Z38paged_attention_ll4mi_QKV_mfma4_kernelIDF16_DF16_LN4vllm18Fp8KVCacheDataTypeE0EhLi16ELi64ELi256ELb1ELi4EEvPKT_PKT0_S7_ifPKiS9_S9_iPKfiiiPfSC_PS2_PT2_iSB_SB_.num_agpr, max(0, .L__assert_fail.num_agpr)
	.set _Z38paged_attention_ll4mi_QKV_mfma4_kernelIDF16_DF16_LN4vllm18Fp8KVCacheDataTypeE0EhLi16ELi64ELi256ELb1ELi4EEvPKT_PKT0_S7_ifPKiS9_S9_iPKfiiiPfSC_PS2_PT2_iSB_SB_.numbered_sgpr, max(33, .L__assert_fail.numbered_sgpr)
	.set _Z38paged_attention_ll4mi_QKV_mfma4_kernelIDF16_DF16_LN4vllm18Fp8KVCacheDataTypeE0EhLi16ELi64ELi256ELb1ELi4EEvPKT_PKT0_S7_ifPKiS9_S9_iPKfiiiPfSC_PS2_PT2_iSB_SB_.num_named_barrier, max(0, .L__assert_fail.num_named_barrier)
	.set _Z38paged_attention_ll4mi_QKV_mfma4_kernelIDF16_DF16_LN4vllm18Fp8KVCacheDataTypeE0EhLi16ELi64ELi256ELb1ELi4EEvPKT_PKT0_S7_ifPKiS9_S9_iPKfiiiPfSC_PS2_PT2_iSB_SB_.private_seg_size, 0+max(.L__assert_fail.private_seg_size)
	.set _Z38paged_attention_ll4mi_QKV_mfma4_kernelIDF16_DF16_LN4vllm18Fp8KVCacheDataTypeE0EhLi16ELi64ELi256ELb1ELi4EEvPKT_PKT0_S7_ifPKiS9_S9_iPKfiiiPfSC_PS2_PT2_iSB_SB_.uses_vcc, or(1, .L__assert_fail.uses_vcc)
	.set _Z38paged_attention_ll4mi_QKV_mfma4_kernelIDF16_DF16_LN4vllm18Fp8KVCacheDataTypeE0EhLi16ELi64ELi256ELb1ELi4EEvPKT_PKT0_S7_ifPKiS9_S9_iPKfiiiPfSC_PS2_PT2_iSB_SB_.uses_flat_scratch, or(0, .L__assert_fail.uses_flat_scratch)
	.set _Z38paged_attention_ll4mi_QKV_mfma4_kernelIDF16_DF16_LN4vllm18Fp8KVCacheDataTypeE0EhLi16ELi64ELi256ELb1ELi4EEvPKT_PKT0_S7_ifPKiS9_S9_iPKfiiiPfSC_PS2_PT2_iSB_SB_.has_dyn_sized_stack, or(0, .L__assert_fail.has_dyn_sized_stack)
	.set _Z38paged_attention_ll4mi_QKV_mfma4_kernelIDF16_DF16_LN4vllm18Fp8KVCacheDataTypeE0EhLi16ELi64ELi256ELb1ELi4EEvPKT_PKT0_S7_ifPKiS9_S9_iPKfiiiPfSC_PS2_PT2_iSB_SB_.has_recursion, or(0, .L__assert_fail.has_recursion)
	.set _Z38paged_attention_ll4mi_QKV_mfma4_kernelIDF16_DF16_LN4vllm18Fp8KVCacheDataTypeE0EhLi16ELi64ELi256ELb1ELi4EEvPKT_PKT0_S7_ifPKiS9_S9_iPKfiiiPfSC_PS2_PT2_iSB_SB_.has_indirect_call, or(0, .L__assert_fail.has_indirect_call)
	.section	.AMDGPU.csdata,"",@progbits
; Kernel info:
; codeLenInByte = 68
; TotalNumSgprs: 36
; NumVgprs: 51
; ScratchSize: 64
; MemoryBound: 0
; FloatMode: 240
; IeeeMode: 1
; LDSByteSize: 0 bytes/workgroup (compile time only)
; SGPRBlocks: 0
; VGPRBlocks: 3
; NumSGPRsForWavesPerEU: 36
; NumVGPRsForWavesPerEU: 51
; NamedBarCnt: 0
; Occupancy: 16
; WaveLimiterHint : 1
; COMPUTE_PGM_RSRC2:SCRATCH_EN: 1
; COMPUTE_PGM_RSRC2:USER_SGPR: 2
; COMPUTE_PGM_RSRC2:TRAP_HANDLER: 0
; COMPUTE_PGM_RSRC2:TGID_X_EN: 1
; COMPUTE_PGM_RSRC2:TGID_Y_EN: 0
; COMPUTE_PGM_RSRC2:TGID_Z_EN: 0
; COMPUTE_PGM_RSRC2:TIDIG_COMP_CNT: 0
	.section	.text._Z39paged_attention_ll4mi_QKV_mfma16_kernelIDF16_DF16_LN4vllm18Fp8KVCacheDataTypeE0EhLi16ELi64ELi256ELb1ELi5EEvPKT_PKT0_S7_ifPKiS9_S9_iPKfiiiPfSC_PS2_PT2_iSB_SB_,"axG",@progbits,_Z39paged_attention_ll4mi_QKV_mfma16_kernelIDF16_DF16_LN4vllm18Fp8KVCacheDataTypeE0EhLi16ELi64ELi256ELb1ELi5EEvPKT_PKT0_S7_ifPKiS9_S9_iPKfiiiPfSC_PS2_PT2_iSB_SB_,comdat
	.protected	_Z39paged_attention_ll4mi_QKV_mfma16_kernelIDF16_DF16_LN4vllm18Fp8KVCacheDataTypeE0EhLi16ELi64ELi256ELb1ELi5EEvPKT_PKT0_S7_ifPKiS9_S9_iPKfiiiPfSC_PS2_PT2_iSB_SB_ ; -- Begin function _Z39paged_attention_ll4mi_QKV_mfma16_kernelIDF16_DF16_LN4vllm18Fp8KVCacheDataTypeE0EhLi16ELi64ELi256ELb1ELi5EEvPKT_PKT0_S7_ifPKiS9_S9_iPKfiiiPfSC_PS2_PT2_iSB_SB_
	.globl	_Z39paged_attention_ll4mi_QKV_mfma16_kernelIDF16_DF16_LN4vllm18Fp8KVCacheDataTypeE0EhLi16ELi64ELi256ELb1ELi5EEvPKT_PKT0_S7_ifPKiS9_S9_iPKfiiiPfSC_PS2_PT2_iSB_SB_
	.p2align	8
	.type	_Z39paged_attention_ll4mi_QKV_mfma16_kernelIDF16_DF16_LN4vllm18Fp8KVCacheDataTypeE0EhLi16ELi64ELi256ELb1ELi5EEvPKT_PKT0_S7_ifPKiS9_S9_iPKfiiiPfSC_PS2_PT2_iSB_SB_,@function
_Z39paged_attention_ll4mi_QKV_mfma16_kernelIDF16_DF16_LN4vllm18Fp8KVCacheDataTypeE0EhLi16ELi64ELi256ELb1ELi5EEvPKT_PKT0_S7_ifPKiS9_S9_iPKfiiiPfSC_PS2_PT2_iSB_SB_: ; @_Z39paged_attention_ll4mi_QKV_mfma16_kernelIDF16_DF16_LN4vllm18Fp8KVCacheDataTypeE0EhLi16ELi64ELi256ELb1ELi5EEvPKT_PKT0_S7_ifPKiS9_S9_iPKfiiiPfSC_PS2_PT2_iSB_SB_
; %bb.0:
	s_get_pc_i64 s[2:3]
	s_add_nc_u64 s[2:3], s[2:3], __PRETTY_FUNCTION__._Z39paged_attention_ll4mi_QKV_mfma16_kernelIDF16_DF16_LN4vllm18Fp8KVCacheDataTypeE0EhLi16ELi64ELi256ELb1ELi5EEvPKT_PKT0_S7_ifPKiS9_S9_iPKfiiiPfSC_PS2_PT2_iSB_SB_@rel64+4
	s_delay_alu instid0(SALU_CYCLE_1)
	v_dual_mov_b32 v0, 0xbb3 :: v_dual_mov_b32 v1, s2
	v_mov_b32_e32 v2, s3
	s_add_nc_u64 s[8:9], s[0:1], 0x90
	s_get_pc_i64 s[0:1]
	s_add_nc_u64 s[0:1], s[0:1], __assert_fail@rel64+4
	s_mov_b32 s32, 0
	s_swap_pc_i64 s[30:31], s[0:1]
	.section	.rodata,"a",@progbits
	.p2align	6, 0x0
	.amdhsa_kernel _Z39paged_attention_ll4mi_QKV_mfma16_kernelIDF16_DF16_LN4vllm18Fp8KVCacheDataTypeE0EhLi16ELi64ELi256ELb1ELi5EEvPKT_PKT0_S7_ifPKiS9_S9_iPKfiiiPfSC_PS2_PT2_iSB_SB_
		.amdhsa_group_segment_fixed_size 0
		.amdhsa_private_segment_fixed_size 64
		.amdhsa_kernarg_size 400
		.amdhsa_user_sgpr_count 2
		.amdhsa_user_sgpr_dispatch_ptr 0
		.amdhsa_user_sgpr_queue_ptr 0
		.amdhsa_user_sgpr_kernarg_segment_ptr 1
		.amdhsa_user_sgpr_dispatch_id 0
		.amdhsa_user_sgpr_kernarg_preload_length 0
		.amdhsa_user_sgpr_kernarg_preload_offset 0
		.amdhsa_user_sgpr_private_segment_size 0
		.amdhsa_wavefront_size32 1
		.amdhsa_uses_dynamic_stack 0
		.amdhsa_enable_private_segment 1
		.amdhsa_system_sgpr_workgroup_id_x 1
		.amdhsa_system_sgpr_workgroup_id_y 0
		.amdhsa_system_sgpr_workgroup_id_z 0
		.amdhsa_system_sgpr_workgroup_info 0
		.amdhsa_system_vgpr_workitem_id 0
		.amdhsa_next_free_vgpr 51
		.amdhsa_next_free_sgpr 34
		.amdhsa_named_barrier_count 0
		.amdhsa_reserve_vcc 1
		.amdhsa_float_round_mode_32 0
		.amdhsa_float_round_mode_16_64 0
		.amdhsa_float_denorm_mode_32 3
		.amdhsa_float_denorm_mode_16_64 3
		.amdhsa_fp16_overflow 0
		.amdhsa_memory_ordered 1
		.amdhsa_forward_progress 1
		.amdhsa_inst_pref_size 1
		.amdhsa_round_robin_scheduling 0
		.amdhsa_exception_fp_ieee_invalid_op 0
		.amdhsa_exception_fp_denorm_src 0
		.amdhsa_exception_fp_ieee_div_zero 0
		.amdhsa_exception_fp_ieee_overflow 0
		.amdhsa_exception_fp_ieee_underflow 0
		.amdhsa_exception_fp_ieee_inexact 0
		.amdhsa_exception_int_div_zero 0
	.end_amdhsa_kernel
	.section	.text._Z39paged_attention_ll4mi_QKV_mfma16_kernelIDF16_DF16_LN4vllm18Fp8KVCacheDataTypeE0EhLi16ELi64ELi256ELb1ELi5EEvPKT_PKT0_S7_ifPKiS9_S9_iPKfiiiPfSC_PS2_PT2_iSB_SB_,"axG",@progbits,_Z39paged_attention_ll4mi_QKV_mfma16_kernelIDF16_DF16_LN4vllm18Fp8KVCacheDataTypeE0EhLi16ELi64ELi256ELb1ELi5EEvPKT_PKT0_S7_ifPKiS9_S9_iPKfiiiPfSC_PS2_PT2_iSB_SB_,comdat
.Lfunc_end6:
	.size	_Z39paged_attention_ll4mi_QKV_mfma16_kernelIDF16_DF16_LN4vllm18Fp8KVCacheDataTypeE0EhLi16ELi64ELi256ELb1ELi5EEvPKT_PKT0_S7_ifPKiS9_S9_iPKfiiiPfSC_PS2_PT2_iSB_SB_, .Lfunc_end6-_Z39paged_attention_ll4mi_QKV_mfma16_kernelIDF16_DF16_LN4vllm18Fp8KVCacheDataTypeE0EhLi16ELi64ELi256ELb1ELi5EEvPKT_PKT0_S7_ifPKiS9_S9_iPKfiiiPfSC_PS2_PT2_iSB_SB_
                                        ; -- End function
	.set _Z39paged_attention_ll4mi_QKV_mfma16_kernelIDF16_DF16_LN4vllm18Fp8KVCacheDataTypeE0EhLi16ELi64ELi256ELb1ELi5EEvPKT_PKT0_S7_ifPKiS9_S9_iPKfiiiPfSC_PS2_PT2_iSB_SB_.num_vgpr, max(3, .L__assert_fail.num_vgpr)
	.set _Z39paged_attention_ll4mi_QKV_mfma16_kernelIDF16_DF16_LN4vllm18Fp8KVCacheDataTypeE0EhLi16ELi64ELi256ELb1ELi5EEvPKT_PKT0_S7_ifPKiS9_S9_iPKfiiiPfSC_PS2_PT2_iSB_SB_.num_agpr, max(0, .L__assert_fail.num_agpr)
	.set _Z39paged_attention_ll4mi_QKV_mfma16_kernelIDF16_DF16_LN4vllm18Fp8KVCacheDataTypeE0EhLi16ELi64ELi256ELb1ELi5EEvPKT_PKT0_S7_ifPKiS9_S9_iPKfiiiPfSC_PS2_PT2_iSB_SB_.numbered_sgpr, max(33, .L__assert_fail.numbered_sgpr)
	.set _Z39paged_attention_ll4mi_QKV_mfma16_kernelIDF16_DF16_LN4vllm18Fp8KVCacheDataTypeE0EhLi16ELi64ELi256ELb1ELi5EEvPKT_PKT0_S7_ifPKiS9_S9_iPKfiiiPfSC_PS2_PT2_iSB_SB_.num_named_barrier, max(0, .L__assert_fail.num_named_barrier)
	.set _Z39paged_attention_ll4mi_QKV_mfma16_kernelIDF16_DF16_LN4vllm18Fp8KVCacheDataTypeE0EhLi16ELi64ELi256ELb1ELi5EEvPKT_PKT0_S7_ifPKiS9_S9_iPKfiiiPfSC_PS2_PT2_iSB_SB_.private_seg_size, 0+max(.L__assert_fail.private_seg_size)
	.set _Z39paged_attention_ll4mi_QKV_mfma16_kernelIDF16_DF16_LN4vllm18Fp8KVCacheDataTypeE0EhLi16ELi64ELi256ELb1ELi5EEvPKT_PKT0_S7_ifPKiS9_S9_iPKfiiiPfSC_PS2_PT2_iSB_SB_.uses_vcc, or(1, .L__assert_fail.uses_vcc)
	.set _Z39paged_attention_ll4mi_QKV_mfma16_kernelIDF16_DF16_LN4vllm18Fp8KVCacheDataTypeE0EhLi16ELi64ELi256ELb1ELi5EEvPKT_PKT0_S7_ifPKiS9_S9_iPKfiiiPfSC_PS2_PT2_iSB_SB_.uses_flat_scratch, or(0, .L__assert_fail.uses_flat_scratch)
	.set _Z39paged_attention_ll4mi_QKV_mfma16_kernelIDF16_DF16_LN4vllm18Fp8KVCacheDataTypeE0EhLi16ELi64ELi256ELb1ELi5EEvPKT_PKT0_S7_ifPKiS9_S9_iPKfiiiPfSC_PS2_PT2_iSB_SB_.has_dyn_sized_stack, or(0, .L__assert_fail.has_dyn_sized_stack)
	.set _Z39paged_attention_ll4mi_QKV_mfma16_kernelIDF16_DF16_LN4vllm18Fp8KVCacheDataTypeE0EhLi16ELi64ELi256ELb1ELi5EEvPKT_PKT0_S7_ifPKiS9_S9_iPKfiiiPfSC_PS2_PT2_iSB_SB_.has_recursion, or(0, .L__assert_fail.has_recursion)
	.set _Z39paged_attention_ll4mi_QKV_mfma16_kernelIDF16_DF16_LN4vllm18Fp8KVCacheDataTypeE0EhLi16ELi64ELi256ELb1ELi5EEvPKT_PKT0_S7_ifPKiS9_S9_iPKfiiiPfSC_PS2_PT2_iSB_SB_.has_indirect_call, or(0, .L__assert_fail.has_indirect_call)
	.section	.AMDGPU.csdata,"",@progbits
; Kernel info:
; codeLenInByte = 68
; TotalNumSgprs: 36
; NumVgprs: 51
; ScratchSize: 64
; MemoryBound: 0
; FloatMode: 240
; IeeeMode: 1
; LDSByteSize: 0 bytes/workgroup (compile time only)
; SGPRBlocks: 0
; VGPRBlocks: 3
; NumSGPRsForWavesPerEU: 36
; NumVGPRsForWavesPerEU: 51
; NamedBarCnt: 0
; Occupancy: 16
; WaveLimiterHint : 1
; COMPUTE_PGM_RSRC2:SCRATCH_EN: 1
; COMPUTE_PGM_RSRC2:USER_SGPR: 2
; COMPUTE_PGM_RSRC2:TRAP_HANDLER: 0
; COMPUTE_PGM_RSRC2:TGID_X_EN: 1
; COMPUTE_PGM_RSRC2:TGID_Y_EN: 0
; COMPUTE_PGM_RSRC2:TGID_Z_EN: 0
; COMPUTE_PGM_RSRC2:TIDIG_COMP_CNT: 0
	.section	.text._Z39paged_attention_ll4mi_QKV_mfma16_kernelIDF16_DF16_LN4vllm18Fp8KVCacheDataTypeE0EhLi16ELi64ELi256ELb1ELi6EEvPKT_PKT0_S7_ifPKiS9_S9_iPKfiiiPfSC_PS2_PT2_iSB_SB_,"axG",@progbits,_Z39paged_attention_ll4mi_QKV_mfma16_kernelIDF16_DF16_LN4vllm18Fp8KVCacheDataTypeE0EhLi16ELi64ELi256ELb1ELi6EEvPKT_PKT0_S7_ifPKiS9_S9_iPKfiiiPfSC_PS2_PT2_iSB_SB_,comdat
	.protected	_Z39paged_attention_ll4mi_QKV_mfma16_kernelIDF16_DF16_LN4vllm18Fp8KVCacheDataTypeE0EhLi16ELi64ELi256ELb1ELi6EEvPKT_PKT0_S7_ifPKiS9_S9_iPKfiiiPfSC_PS2_PT2_iSB_SB_ ; -- Begin function _Z39paged_attention_ll4mi_QKV_mfma16_kernelIDF16_DF16_LN4vllm18Fp8KVCacheDataTypeE0EhLi16ELi64ELi256ELb1ELi6EEvPKT_PKT0_S7_ifPKiS9_S9_iPKfiiiPfSC_PS2_PT2_iSB_SB_
	.globl	_Z39paged_attention_ll4mi_QKV_mfma16_kernelIDF16_DF16_LN4vllm18Fp8KVCacheDataTypeE0EhLi16ELi64ELi256ELb1ELi6EEvPKT_PKT0_S7_ifPKiS9_S9_iPKfiiiPfSC_PS2_PT2_iSB_SB_
	.p2align	8
	.type	_Z39paged_attention_ll4mi_QKV_mfma16_kernelIDF16_DF16_LN4vllm18Fp8KVCacheDataTypeE0EhLi16ELi64ELi256ELb1ELi6EEvPKT_PKT0_S7_ifPKiS9_S9_iPKfiiiPfSC_PS2_PT2_iSB_SB_,@function
_Z39paged_attention_ll4mi_QKV_mfma16_kernelIDF16_DF16_LN4vllm18Fp8KVCacheDataTypeE0EhLi16ELi64ELi256ELb1ELi6EEvPKT_PKT0_S7_ifPKiS9_S9_iPKfiiiPfSC_PS2_PT2_iSB_SB_: ; @_Z39paged_attention_ll4mi_QKV_mfma16_kernelIDF16_DF16_LN4vllm18Fp8KVCacheDataTypeE0EhLi16ELi64ELi256ELb1ELi6EEvPKT_PKT0_S7_ifPKiS9_S9_iPKfiiiPfSC_PS2_PT2_iSB_SB_
; %bb.0:
	s_get_pc_i64 s[2:3]
	s_add_nc_u64 s[2:3], s[2:3], __PRETTY_FUNCTION__._Z39paged_attention_ll4mi_QKV_mfma16_kernelIDF16_DF16_LN4vllm18Fp8KVCacheDataTypeE0EhLi16ELi64ELi256ELb1ELi6EEvPKT_PKT0_S7_ifPKiS9_S9_iPKfiiiPfSC_PS2_PT2_iSB_SB_@rel64+4
	s_delay_alu instid0(SALU_CYCLE_1)
	v_dual_mov_b32 v0, 0xbb3 :: v_dual_mov_b32 v1, s2
	v_mov_b32_e32 v2, s3
	s_add_nc_u64 s[8:9], s[0:1], 0x90
	s_get_pc_i64 s[0:1]
	s_add_nc_u64 s[0:1], s[0:1], __assert_fail@rel64+4
	s_mov_b32 s32, 0
	s_swap_pc_i64 s[30:31], s[0:1]
	.section	.rodata,"a",@progbits
	.p2align	6, 0x0
	.amdhsa_kernel _Z39paged_attention_ll4mi_QKV_mfma16_kernelIDF16_DF16_LN4vllm18Fp8KVCacheDataTypeE0EhLi16ELi64ELi256ELb1ELi6EEvPKT_PKT0_S7_ifPKiS9_S9_iPKfiiiPfSC_PS2_PT2_iSB_SB_
		.amdhsa_group_segment_fixed_size 0
		.amdhsa_private_segment_fixed_size 64
		.amdhsa_kernarg_size 400
		.amdhsa_user_sgpr_count 2
		.amdhsa_user_sgpr_dispatch_ptr 0
		.amdhsa_user_sgpr_queue_ptr 0
		.amdhsa_user_sgpr_kernarg_segment_ptr 1
		.amdhsa_user_sgpr_dispatch_id 0
		.amdhsa_user_sgpr_kernarg_preload_length 0
		.amdhsa_user_sgpr_kernarg_preload_offset 0
		.amdhsa_user_sgpr_private_segment_size 0
		.amdhsa_wavefront_size32 1
		.amdhsa_uses_dynamic_stack 0
		.amdhsa_enable_private_segment 1
		.amdhsa_system_sgpr_workgroup_id_x 1
		.amdhsa_system_sgpr_workgroup_id_y 0
		.amdhsa_system_sgpr_workgroup_id_z 0
		.amdhsa_system_sgpr_workgroup_info 0
		.amdhsa_system_vgpr_workitem_id 0
		.amdhsa_next_free_vgpr 51
		.amdhsa_next_free_sgpr 34
		.amdhsa_named_barrier_count 0
		.amdhsa_reserve_vcc 1
		.amdhsa_float_round_mode_32 0
		.amdhsa_float_round_mode_16_64 0
		.amdhsa_float_denorm_mode_32 3
		.amdhsa_float_denorm_mode_16_64 3
		.amdhsa_fp16_overflow 0
		.amdhsa_memory_ordered 1
		.amdhsa_forward_progress 1
		.amdhsa_inst_pref_size 1
		.amdhsa_round_robin_scheduling 0
		.amdhsa_exception_fp_ieee_invalid_op 0
		.amdhsa_exception_fp_denorm_src 0
		.amdhsa_exception_fp_ieee_div_zero 0
		.amdhsa_exception_fp_ieee_overflow 0
		.amdhsa_exception_fp_ieee_underflow 0
		.amdhsa_exception_fp_ieee_inexact 0
		.amdhsa_exception_int_div_zero 0
	.end_amdhsa_kernel
	.section	.text._Z39paged_attention_ll4mi_QKV_mfma16_kernelIDF16_DF16_LN4vllm18Fp8KVCacheDataTypeE0EhLi16ELi64ELi256ELb1ELi6EEvPKT_PKT0_S7_ifPKiS9_S9_iPKfiiiPfSC_PS2_PT2_iSB_SB_,"axG",@progbits,_Z39paged_attention_ll4mi_QKV_mfma16_kernelIDF16_DF16_LN4vllm18Fp8KVCacheDataTypeE0EhLi16ELi64ELi256ELb1ELi6EEvPKT_PKT0_S7_ifPKiS9_S9_iPKfiiiPfSC_PS2_PT2_iSB_SB_,comdat
.Lfunc_end7:
	.size	_Z39paged_attention_ll4mi_QKV_mfma16_kernelIDF16_DF16_LN4vllm18Fp8KVCacheDataTypeE0EhLi16ELi64ELi256ELb1ELi6EEvPKT_PKT0_S7_ifPKiS9_S9_iPKfiiiPfSC_PS2_PT2_iSB_SB_, .Lfunc_end7-_Z39paged_attention_ll4mi_QKV_mfma16_kernelIDF16_DF16_LN4vllm18Fp8KVCacheDataTypeE0EhLi16ELi64ELi256ELb1ELi6EEvPKT_PKT0_S7_ifPKiS9_S9_iPKfiiiPfSC_PS2_PT2_iSB_SB_
                                        ; -- End function
	.set _Z39paged_attention_ll4mi_QKV_mfma16_kernelIDF16_DF16_LN4vllm18Fp8KVCacheDataTypeE0EhLi16ELi64ELi256ELb1ELi6EEvPKT_PKT0_S7_ifPKiS9_S9_iPKfiiiPfSC_PS2_PT2_iSB_SB_.num_vgpr, max(3, .L__assert_fail.num_vgpr)
	.set _Z39paged_attention_ll4mi_QKV_mfma16_kernelIDF16_DF16_LN4vllm18Fp8KVCacheDataTypeE0EhLi16ELi64ELi256ELb1ELi6EEvPKT_PKT0_S7_ifPKiS9_S9_iPKfiiiPfSC_PS2_PT2_iSB_SB_.num_agpr, max(0, .L__assert_fail.num_agpr)
	.set _Z39paged_attention_ll4mi_QKV_mfma16_kernelIDF16_DF16_LN4vllm18Fp8KVCacheDataTypeE0EhLi16ELi64ELi256ELb1ELi6EEvPKT_PKT0_S7_ifPKiS9_S9_iPKfiiiPfSC_PS2_PT2_iSB_SB_.numbered_sgpr, max(33, .L__assert_fail.numbered_sgpr)
	.set _Z39paged_attention_ll4mi_QKV_mfma16_kernelIDF16_DF16_LN4vllm18Fp8KVCacheDataTypeE0EhLi16ELi64ELi256ELb1ELi6EEvPKT_PKT0_S7_ifPKiS9_S9_iPKfiiiPfSC_PS2_PT2_iSB_SB_.num_named_barrier, max(0, .L__assert_fail.num_named_barrier)
	.set _Z39paged_attention_ll4mi_QKV_mfma16_kernelIDF16_DF16_LN4vllm18Fp8KVCacheDataTypeE0EhLi16ELi64ELi256ELb1ELi6EEvPKT_PKT0_S7_ifPKiS9_S9_iPKfiiiPfSC_PS2_PT2_iSB_SB_.private_seg_size, 0+max(.L__assert_fail.private_seg_size)
	.set _Z39paged_attention_ll4mi_QKV_mfma16_kernelIDF16_DF16_LN4vllm18Fp8KVCacheDataTypeE0EhLi16ELi64ELi256ELb1ELi6EEvPKT_PKT0_S7_ifPKiS9_S9_iPKfiiiPfSC_PS2_PT2_iSB_SB_.uses_vcc, or(1, .L__assert_fail.uses_vcc)
	.set _Z39paged_attention_ll4mi_QKV_mfma16_kernelIDF16_DF16_LN4vllm18Fp8KVCacheDataTypeE0EhLi16ELi64ELi256ELb1ELi6EEvPKT_PKT0_S7_ifPKiS9_S9_iPKfiiiPfSC_PS2_PT2_iSB_SB_.uses_flat_scratch, or(0, .L__assert_fail.uses_flat_scratch)
	.set _Z39paged_attention_ll4mi_QKV_mfma16_kernelIDF16_DF16_LN4vllm18Fp8KVCacheDataTypeE0EhLi16ELi64ELi256ELb1ELi6EEvPKT_PKT0_S7_ifPKiS9_S9_iPKfiiiPfSC_PS2_PT2_iSB_SB_.has_dyn_sized_stack, or(0, .L__assert_fail.has_dyn_sized_stack)
	.set _Z39paged_attention_ll4mi_QKV_mfma16_kernelIDF16_DF16_LN4vllm18Fp8KVCacheDataTypeE0EhLi16ELi64ELi256ELb1ELi6EEvPKT_PKT0_S7_ifPKiS9_S9_iPKfiiiPfSC_PS2_PT2_iSB_SB_.has_recursion, or(0, .L__assert_fail.has_recursion)
	.set _Z39paged_attention_ll4mi_QKV_mfma16_kernelIDF16_DF16_LN4vllm18Fp8KVCacheDataTypeE0EhLi16ELi64ELi256ELb1ELi6EEvPKT_PKT0_S7_ifPKiS9_S9_iPKfiiiPfSC_PS2_PT2_iSB_SB_.has_indirect_call, or(0, .L__assert_fail.has_indirect_call)
	.section	.AMDGPU.csdata,"",@progbits
; Kernel info:
; codeLenInByte = 68
; TotalNumSgprs: 36
; NumVgprs: 51
; ScratchSize: 64
; MemoryBound: 0
; FloatMode: 240
; IeeeMode: 1
; LDSByteSize: 0 bytes/workgroup (compile time only)
; SGPRBlocks: 0
; VGPRBlocks: 3
; NumSGPRsForWavesPerEU: 36
; NumVGPRsForWavesPerEU: 51
; NamedBarCnt: 0
; Occupancy: 16
; WaveLimiterHint : 1
; COMPUTE_PGM_RSRC2:SCRATCH_EN: 1
; COMPUTE_PGM_RSRC2:USER_SGPR: 2
; COMPUTE_PGM_RSRC2:TRAP_HANDLER: 0
; COMPUTE_PGM_RSRC2:TGID_X_EN: 1
; COMPUTE_PGM_RSRC2:TGID_Y_EN: 0
; COMPUTE_PGM_RSRC2:TGID_Z_EN: 0
; COMPUTE_PGM_RSRC2:TIDIG_COMP_CNT: 0
	.section	.text._Z39paged_attention_ll4mi_QKV_mfma16_kernelIDF16_DF16_LN4vllm18Fp8KVCacheDataTypeE0EhLi16ELi64ELi256ELb1ELi7EEvPKT_PKT0_S7_ifPKiS9_S9_iPKfiiiPfSC_PS2_PT2_iSB_SB_,"axG",@progbits,_Z39paged_attention_ll4mi_QKV_mfma16_kernelIDF16_DF16_LN4vllm18Fp8KVCacheDataTypeE0EhLi16ELi64ELi256ELb1ELi7EEvPKT_PKT0_S7_ifPKiS9_S9_iPKfiiiPfSC_PS2_PT2_iSB_SB_,comdat
	.protected	_Z39paged_attention_ll4mi_QKV_mfma16_kernelIDF16_DF16_LN4vllm18Fp8KVCacheDataTypeE0EhLi16ELi64ELi256ELb1ELi7EEvPKT_PKT0_S7_ifPKiS9_S9_iPKfiiiPfSC_PS2_PT2_iSB_SB_ ; -- Begin function _Z39paged_attention_ll4mi_QKV_mfma16_kernelIDF16_DF16_LN4vllm18Fp8KVCacheDataTypeE0EhLi16ELi64ELi256ELb1ELi7EEvPKT_PKT0_S7_ifPKiS9_S9_iPKfiiiPfSC_PS2_PT2_iSB_SB_
	.globl	_Z39paged_attention_ll4mi_QKV_mfma16_kernelIDF16_DF16_LN4vllm18Fp8KVCacheDataTypeE0EhLi16ELi64ELi256ELb1ELi7EEvPKT_PKT0_S7_ifPKiS9_S9_iPKfiiiPfSC_PS2_PT2_iSB_SB_
	.p2align	8
	.type	_Z39paged_attention_ll4mi_QKV_mfma16_kernelIDF16_DF16_LN4vllm18Fp8KVCacheDataTypeE0EhLi16ELi64ELi256ELb1ELi7EEvPKT_PKT0_S7_ifPKiS9_S9_iPKfiiiPfSC_PS2_PT2_iSB_SB_,@function
_Z39paged_attention_ll4mi_QKV_mfma16_kernelIDF16_DF16_LN4vllm18Fp8KVCacheDataTypeE0EhLi16ELi64ELi256ELb1ELi7EEvPKT_PKT0_S7_ifPKiS9_S9_iPKfiiiPfSC_PS2_PT2_iSB_SB_: ; @_Z39paged_attention_ll4mi_QKV_mfma16_kernelIDF16_DF16_LN4vllm18Fp8KVCacheDataTypeE0EhLi16ELi64ELi256ELb1ELi7EEvPKT_PKT0_S7_ifPKiS9_S9_iPKfiiiPfSC_PS2_PT2_iSB_SB_
; %bb.0:
	s_get_pc_i64 s[2:3]
	s_add_nc_u64 s[2:3], s[2:3], __PRETTY_FUNCTION__._Z39paged_attention_ll4mi_QKV_mfma16_kernelIDF16_DF16_LN4vllm18Fp8KVCacheDataTypeE0EhLi16ELi64ELi256ELb1ELi7EEvPKT_PKT0_S7_ifPKiS9_S9_iPKfiiiPfSC_PS2_PT2_iSB_SB_@rel64+4
	s_delay_alu instid0(SALU_CYCLE_1)
	v_dual_mov_b32 v0, 0xbb3 :: v_dual_mov_b32 v1, s2
	v_mov_b32_e32 v2, s3
	s_add_nc_u64 s[8:9], s[0:1], 0x90
	s_get_pc_i64 s[0:1]
	s_add_nc_u64 s[0:1], s[0:1], __assert_fail@rel64+4
	s_mov_b32 s32, 0
	s_swap_pc_i64 s[30:31], s[0:1]
	.section	.rodata,"a",@progbits
	.p2align	6, 0x0
	.amdhsa_kernel _Z39paged_attention_ll4mi_QKV_mfma16_kernelIDF16_DF16_LN4vllm18Fp8KVCacheDataTypeE0EhLi16ELi64ELi256ELb1ELi7EEvPKT_PKT0_S7_ifPKiS9_S9_iPKfiiiPfSC_PS2_PT2_iSB_SB_
		.amdhsa_group_segment_fixed_size 0
		.amdhsa_private_segment_fixed_size 64
		.amdhsa_kernarg_size 400
		.amdhsa_user_sgpr_count 2
		.amdhsa_user_sgpr_dispatch_ptr 0
		.amdhsa_user_sgpr_queue_ptr 0
		.amdhsa_user_sgpr_kernarg_segment_ptr 1
		.amdhsa_user_sgpr_dispatch_id 0
		.amdhsa_user_sgpr_kernarg_preload_length 0
		.amdhsa_user_sgpr_kernarg_preload_offset 0
		.amdhsa_user_sgpr_private_segment_size 0
		.amdhsa_wavefront_size32 1
		.amdhsa_uses_dynamic_stack 0
		.amdhsa_enable_private_segment 1
		.amdhsa_system_sgpr_workgroup_id_x 1
		.amdhsa_system_sgpr_workgroup_id_y 0
		.amdhsa_system_sgpr_workgroup_id_z 0
		.amdhsa_system_sgpr_workgroup_info 0
		.amdhsa_system_vgpr_workitem_id 0
		.amdhsa_next_free_vgpr 51
		.amdhsa_next_free_sgpr 34
		.amdhsa_named_barrier_count 0
		.amdhsa_reserve_vcc 1
		.amdhsa_float_round_mode_32 0
		.amdhsa_float_round_mode_16_64 0
		.amdhsa_float_denorm_mode_32 3
		.amdhsa_float_denorm_mode_16_64 3
		.amdhsa_fp16_overflow 0
		.amdhsa_memory_ordered 1
		.amdhsa_forward_progress 1
		.amdhsa_inst_pref_size 1
		.amdhsa_round_robin_scheduling 0
		.amdhsa_exception_fp_ieee_invalid_op 0
		.amdhsa_exception_fp_denorm_src 0
		.amdhsa_exception_fp_ieee_div_zero 0
		.amdhsa_exception_fp_ieee_overflow 0
		.amdhsa_exception_fp_ieee_underflow 0
		.amdhsa_exception_fp_ieee_inexact 0
		.amdhsa_exception_int_div_zero 0
	.end_amdhsa_kernel
	.section	.text._Z39paged_attention_ll4mi_QKV_mfma16_kernelIDF16_DF16_LN4vllm18Fp8KVCacheDataTypeE0EhLi16ELi64ELi256ELb1ELi7EEvPKT_PKT0_S7_ifPKiS9_S9_iPKfiiiPfSC_PS2_PT2_iSB_SB_,"axG",@progbits,_Z39paged_attention_ll4mi_QKV_mfma16_kernelIDF16_DF16_LN4vllm18Fp8KVCacheDataTypeE0EhLi16ELi64ELi256ELb1ELi7EEvPKT_PKT0_S7_ifPKiS9_S9_iPKfiiiPfSC_PS2_PT2_iSB_SB_,comdat
.Lfunc_end8:
	.size	_Z39paged_attention_ll4mi_QKV_mfma16_kernelIDF16_DF16_LN4vllm18Fp8KVCacheDataTypeE0EhLi16ELi64ELi256ELb1ELi7EEvPKT_PKT0_S7_ifPKiS9_S9_iPKfiiiPfSC_PS2_PT2_iSB_SB_, .Lfunc_end8-_Z39paged_attention_ll4mi_QKV_mfma16_kernelIDF16_DF16_LN4vllm18Fp8KVCacheDataTypeE0EhLi16ELi64ELi256ELb1ELi7EEvPKT_PKT0_S7_ifPKiS9_S9_iPKfiiiPfSC_PS2_PT2_iSB_SB_
                                        ; -- End function
	.set _Z39paged_attention_ll4mi_QKV_mfma16_kernelIDF16_DF16_LN4vllm18Fp8KVCacheDataTypeE0EhLi16ELi64ELi256ELb1ELi7EEvPKT_PKT0_S7_ifPKiS9_S9_iPKfiiiPfSC_PS2_PT2_iSB_SB_.num_vgpr, max(3, .L__assert_fail.num_vgpr)
	.set _Z39paged_attention_ll4mi_QKV_mfma16_kernelIDF16_DF16_LN4vllm18Fp8KVCacheDataTypeE0EhLi16ELi64ELi256ELb1ELi7EEvPKT_PKT0_S7_ifPKiS9_S9_iPKfiiiPfSC_PS2_PT2_iSB_SB_.num_agpr, max(0, .L__assert_fail.num_agpr)
	.set _Z39paged_attention_ll4mi_QKV_mfma16_kernelIDF16_DF16_LN4vllm18Fp8KVCacheDataTypeE0EhLi16ELi64ELi256ELb1ELi7EEvPKT_PKT0_S7_ifPKiS9_S9_iPKfiiiPfSC_PS2_PT2_iSB_SB_.numbered_sgpr, max(33, .L__assert_fail.numbered_sgpr)
	.set _Z39paged_attention_ll4mi_QKV_mfma16_kernelIDF16_DF16_LN4vllm18Fp8KVCacheDataTypeE0EhLi16ELi64ELi256ELb1ELi7EEvPKT_PKT0_S7_ifPKiS9_S9_iPKfiiiPfSC_PS2_PT2_iSB_SB_.num_named_barrier, max(0, .L__assert_fail.num_named_barrier)
	.set _Z39paged_attention_ll4mi_QKV_mfma16_kernelIDF16_DF16_LN4vllm18Fp8KVCacheDataTypeE0EhLi16ELi64ELi256ELb1ELi7EEvPKT_PKT0_S7_ifPKiS9_S9_iPKfiiiPfSC_PS2_PT2_iSB_SB_.private_seg_size, 0+max(.L__assert_fail.private_seg_size)
	.set _Z39paged_attention_ll4mi_QKV_mfma16_kernelIDF16_DF16_LN4vllm18Fp8KVCacheDataTypeE0EhLi16ELi64ELi256ELb1ELi7EEvPKT_PKT0_S7_ifPKiS9_S9_iPKfiiiPfSC_PS2_PT2_iSB_SB_.uses_vcc, or(1, .L__assert_fail.uses_vcc)
	.set _Z39paged_attention_ll4mi_QKV_mfma16_kernelIDF16_DF16_LN4vllm18Fp8KVCacheDataTypeE0EhLi16ELi64ELi256ELb1ELi7EEvPKT_PKT0_S7_ifPKiS9_S9_iPKfiiiPfSC_PS2_PT2_iSB_SB_.uses_flat_scratch, or(0, .L__assert_fail.uses_flat_scratch)
	.set _Z39paged_attention_ll4mi_QKV_mfma16_kernelIDF16_DF16_LN4vllm18Fp8KVCacheDataTypeE0EhLi16ELi64ELi256ELb1ELi7EEvPKT_PKT0_S7_ifPKiS9_S9_iPKfiiiPfSC_PS2_PT2_iSB_SB_.has_dyn_sized_stack, or(0, .L__assert_fail.has_dyn_sized_stack)
	.set _Z39paged_attention_ll4mi_QKV_mfma16_kernelIDF16_DF16_LN4vllm18Fp8KVCacheDataTypeE0EhLi16ELi64ELi256ELb1ELi7EEvPKT_PKT0_S7_ifPKiS9_S9_iPKfiiiPfSC_PS2_PT2_iSB_SB_.has_recursion, or(0, .L__assert_fail.has_recursion)
	.set _Z39paged_attention_ll4mi_QKV_mfma16_kernelIDF16_DF16_LN4vllm18Fp8KVCacheDataTypeE0EhLi16ELi64ELi256ELb1ELi7EEvPKT_PKT0_S7_ifPKiS9_S9_iPKfiiiPfSC_PS2_PT2_iSB_SB_.has_indirect_call, or(0, .L__assert_fail.has_indirect_call)
	.section	.AMDGPU.csdata,"",@progbits
; Kernel info:
; codeLenInByte = 68
; TotalNumSgprs: 36
; NumVgprs: 51
; ScratchSize: 64
; MemoryBound: 0
; FloatMode: 240
; IeeeMode: 1
; LDSByteSize: 0 bytes/workgroup (compile time only)
; SGPRBlocks: 0
; VGPRBlocks: 3
; NumSGPRsForWavesPerEU: 36
; NumVGPRsForWavesPerEU: 51
; NamedBarCnt: 0
; Occupancy: 16
; WaveLimiterHint : 1
; COMPUTE_PGM_RSRC2:SCRATCH_EN: 1
; COMPUTE_PGM_RSRC2:USER_SGPR: 2
; COMPUTE_PGM_RSRC2:TRAP_HANDLER: 0
; COMPUTE_PGM_RSRC2:TGID_X_EN: 1
; COMPUTE_PGM_RSRC2:TGID_Y_EN: 0
; COMPUTE_PGM_RSRC2:TGID_Z_EN: 0
; COMPUTE_PGM_RSRC2:TIDIG_COMP_CNT: 0
	.section	.text._Z39paged_attention_ll4mi_QKV_mfma16_kernelIDF16_DF16_LN4vllm18Fp8KVCacheDataTypeE0EhLi16ELi64ELi256ELb1ELi8EEvPKT_PKT0_S7_ifPKiS9_S9_iPKfiiiPfSC_PS2_PT2_iSB_SB_,"axG",@progbits,_Z39paged_attention_ll4mi_QKV_mfma16_kernelIDF16_DF16_LN4vllm18Fp8KVCacheDataTypeE0EhLi16ELi64ELi256ELb1ELi8EEvPKT_PKT0_S7_ifPKiS9_S9_iPKfiiiPfSC_PS2_PT2_iSB_SB_,comdat
	.protected	_Z39paged_attention_ll4mi_QKV_mfma16_kernelIDF16_DF16_LN4vllm18Fp8KVCacheDataTypeE0EhLi16ELi64ELi256ELb1ELi8EEvPKT_PKT0_S7_ifPKiS9_S9_iPKfiiiPfSC_PS2_PT2_iSB_SB_ ; -- Begin function _Z39paged_attention_ll4mi_QKV_mfma16_kernelIDF16_DF16_LN4vllm18Fp8KVCacheDataTypeE0EhLi16ELi64ELi256ELb1ELi8EEvPKT_PKT0_S7_ifPKiS9_S9_iPKfiiiPfSC_PS2_PT2_iSB_SB_
	.globl	_Z39paged_attention_ll4mi_QKV_mfma16_kernelIDF16_DF16_LN4vllm18Fp8KVCacheDataTypeE0EhLi16ELi64ELi256ELb1ELi8EEvPKT_PKT0_S7_ifPKiS9_S9_iPKfiiiPfSC_PS2_PT2_iSB_SB_
	.p2align	8
	.type	_Z39paged_attention_ll4mi_QKV_mfma16_kernelIDF16_DF16_LN4vllm18Fp8KVCacheDataTypeE0EhLi16ELi64ELi256ELb1ELi8EEvPKT_PKT0_S7_ifPKiS9_S9_iPKfiiiPfSC_PS2_PT2_iSB_SB_,@function
_Z39paged_attention_ll4mi_QKV_mfma16_kernelIDF16_DF16_LN4vllm18Fp8KVCacheDataTypeE0EhLi16ELi64ELi256ELb1ELi8EEvPKT_PKT0_S7_ifPKiS9_S9_iPKfiiiPfSC_PS2_PT2_iSB_SB_: ; @_Z39paged_attention_ll4mi_QKV_mfma16_kernelIDF16_DF16_LN4vllm18Fp8KVCacheDataTypeE0EhLi16ELi64ELi256ELb1ELi8EEvPKT_PKT0_S7_ifPKiS9_S9_iPKfiiiPfSC_PS2_PT2_iSB_SB_
; %bb.0:
	s_get_pc_i64 s[2:3]
	s_add_nc_u64 s[2:3], s[2:3], __PRETTY_FUNCTION__._Z39paged_attention_ll4mi_QKV_mfma16_kernelIDF16_DF16_LN4vllm18Fp8KVCacheDataTypeE0EhLi16ELi64ELi256ELb1ELi8EEvPKT_PKT0_S7_ifPKiS9_S9_iPKfiiiPfSC_PS2_PT2_iSB_SB_@rel64+4
	s_delay_alu instid0(SALU_CYCLE_1)
	v_dual_mov_b32 v0, 0xbb3 :: v_dual_mov_b32 v1, s2
	v_mov_b32_e32 v2, s3
	s_add_nc_u64 s[8:9], s[0:1], 0x90
	s_get_pc_i64 s[0:1]
	s_add_nc_u64 s[0:1], s[0:1], __assert_fail@rel64+4
	s_mov_b32 s32, 0
	s_swap_pc_i64 s[30:31], s[0:1]
	.section	.rodata,"a",@progbits
	.p2align	6, 0x0
	.amdhsa_kernel _Z39paged_attention_ll4mi_QKV_mfma16_kernelIDF16_DF16_LN4vllm18Fp8KVCacheDataTypeE0EhLi16ELi64ELi256ELb1ELi8EEvPKT_PKT0_S7_ifPKiS9_S9_iPKfiiiPfSC_PS2_PT2_iSB_SB_
		.amdhsa_group_segment_fixed_size 0
		.amdhsa_private_segment_fixed_size 64
		.amdhsa_kernarg_size 400
		.amdhsa_user_sgpr_count 2
		.amdhsa_user_sgpr_dispatch_ptr 0
		.amdhsa_user_sgpr_queue_ptr 0
		.amdhsa_user_sgpr_kernarg_segment_ptr 1
		.amdhsa_user_sgpr_dispatch_id 0
		.amdhsa_user_sgpr_kernarg_preload_length 0
		.amdhsa_user_sgpr_kernarg_preload_offset 0
		.amdhsa_user_sgpr_private_segment_size 0
		.amdhsa_wavefront_size32 1
		.amdhsa_uses_dynamic_stack 0
		.amdhsa_enable_private_segment 1
		.amdhsa_system_sgpr_workgroup_id_x 1
		.amdhsa_system_sgpr_workgroup_id_y 0
		.amdhsa_system_sgpr_workgroup_id_z 0
		.amdhsa_system_sgpr_workgroup_info 0
		.amdhsa_system_vgpr_workitem_id 0
		.amdhsa_next_free_vgpr 51
		.amdhsa_next_free_sgpr 34
		.amdhsa_named_barrier_count 0
		.amdhsa_reserve_vcc 1
		.amdhsa_float_round_mode_32 0
		.amdhsa_float_round_mode_16_64 0
		.amdhsa_float_denorm_mode_32 3
		.amdhsa_float_denorm_mode_16_64 3
		.amdhsa_fp16_overflow 0
		.amdhsa_memory_ordered 1
		.amdhsa_forward_progress 1
		.amdhsa_inst_pref_size 1
		.amdhsa_round_robin_scheduling 0
		.amdhsa_exception_fp_ieee_invalid_op 0
		.amdhsa_exception_fp_denorm_src 0
		.amdhsa_exception_fp_ieee_div_zero 0
		.amdhsa_exception_fp_ieee_overflow 0
		.amdhsa_exception_fp_ieee_underflow 0
		.amdhsa_exception_fp_ieee_inexact 0
		.amdhsa_exception_int_div_zero 0
	.end_amdhsa_kernel
	.section	.text._Z39paged_attention_ll4mi_QKV_mfma16_kernelIDF16_DF16_LN4vllm18Fp8KVCacheDataTypeE0EhLi16ELi64ELi256ELb1ELi8EEvPKT_PKT0_S7_ifPKiS9_S9_iPKfiiiPfSC_PS2_PT2_iSB_SB_,"axG",@progbits,_Z39paged_attention_ll4mi_QKV_mfma16_kernelIDF16_DF16_LN4vllm18Fp8KVCacheDataTypeE0EhLi16ELi64ELi256ELb1ELi8EEvPKT_PKT0_S7_ifPKiS9_S9_iPKfiiiPfSC_PS2_PT2_iSB_SB_,comdat
.Lfunc_end9:
	.size	_Z39paged_attention_ll4mi_QKV_mfma16_kernelIDF16_DF16_LN4vllm18Fp8KVCacheDataTypeE0EhLi16ELi64ELi256ELb1ELi8EEvPKT_PKT0_S7_ifPKiS9_S9_iPKfiiiPfSC_PS2_PT2_iSB_SB_, .Lfunc_end9-_Z39paged_attention_ll4mi_QKV_mfma16_kernelIDF16_DF16_LN4vllm18Fp8KVCacheDataTypeE0EhLi16ELi64ELi256ELb1ELi8EEvPKT_PKT0_S7_ifPKiS9_S9_iPKfiiiPfSC_PS2_PT2_iSB_SB_
                                        ; -- End function
	.set _Z39paged_attention_ll4mi_QKV_mfma16_kernelIDF16_DF16_LN4vllm18Fp8KVCacheDataTypeE0EhLi16ELi64ELi256ELb1ELi8EEvPKT_PKT0_S7_ifPKiS9_S9_iPKfiiiPfSC_PS2_PT2_iSB_SB_.num_vgpr, max(3, .L__assert_fail.num_vgpr)
	.set _Z39paged_attention_ll4mi_QKV_mfma16_kernelIDF16_DF16_LN4vllm18Fp8KVCacheDataTypeE0EhLi16ELi64ELi256ELb1ELi8EEvPKT_PKT0_S7_ifPKiS9_S9_iPKfiiiPfSC_PS2_PT2_iSB_SB_.num_agpr, max(0, .L__assert_fail.num_agpr)
	.set _Z39paged_attention_ll4mi_QKV_mfma16_kernelIDF16_DF16_LN4vllm18Fp8KVCacheDataTypeE0EhLi16ELi64ELi256ELb1ELi8EEvPKT_PKT0_S7_ifPKiS9_S9_iPKfiiiPfSC_PS2_PT2_iSB_SB_.numbered_sgpr, max(33, .L__assert_fail.numbered_sgpr)
	.set _Z39paged_attention_ll4mi_QKV_mfma16_kernelIDF16_DF16_LN4vllm18Fp8KVCacheDataTypeE0EhLi16ELi64ELi256ELb1ELi8EEvPKT_PKT0_S7_ifPKiS9_S9_iPKfiiiPfSC_PS2_PT2_iSB_SB_.num_named_barrier, max(0, .L__assert_fail.num_named_barrier)
	.set _Z39paged_attention_ll4mi_QKV_mfma16_kernelIDF16_DF16_LN4vllm18Fp8KVCacheDataTypeE0EhLi16ELi64ELi256ELb1ELi8EEvPKT_PKT0_S7_ifPKiS9_S9_iPKfiiiPfSC_PS2_PT2_iSB_SB_.private_seg_size, 0+max(.L__assert_fail.private_seg_size)
	.set _Z39paged_attention_ll4mi_QKV_mfma16_kernelIDF16_DF16_LN4vllm18Fp8KVCacheDataTypeE0EhLi16ELi64ELi256ELb1ELi8EEvPKT_PKT0_S7_ifPKiS9_S9_iPKfiiiPfSC_PS2_PT2_iSB_SB_.uses_vcc, or(1, .L__assert_fail.uses_vcc)
	.set _Z39paged_attention_ll4mi_QKV_mfma16_kernelIDF16_DF16_LN4vllm18Fp8KVCacheDataTypeE0EhLi16ELi64ELi256ELb1ELi8EEvPKT_PKT0_S7_ifPKiS9_S9_iPKfiiiPfSC_PS2_PT2_iSB_SB_.uses_flat_scratch, or(0, .L__assert_fail.uses_flat_scratch)
	.set _Z39paged_attention_ll4mi_QKV_mfma16_kernelIDF16_DF16_LN4vllm18Fp8KVCacheDataTypeE0EhLi16ELi64ELi256ELb1ELi8EEvPKT_PKT0_S7_ifPKiS9_S9_iPKfiiiPfSC_PS2_PT2_iSB_SB_.has_dyn_sized_stack, or(0, .L__assert_fail.has_dyn_sized_stack)
	.set _Z39paged_attention_ll4mi_QKV_mfma16_kernelIDF16_DF16_LN4vllm18Fp8KVCacheDataTypeE0EhLi16ELi64ELi256ELb1ELi8EEvPKT_PKT0_S7_ifPKiS9_S9_iPKfiiiPfSC_PS2_PT2_iSB_SB_.has_recursion, or(0, .L__assert_fail.has_recursion)
	.set _Z39paged_attention_ll4mi_QKV_mfma16_kernelIDF16_DF16_LN4vllm18Fp8KVCacheDataTypeE0EhLi16ELi64ELi256ELb1ELi8EEvPKT_PKT0_S7_ifPKiS9_S9_iPKfiiiPfSC_PS2_PT2_iSB_SB_.has_indirect_call, or(0, .L__assert_fail.has_indirect_call)
	.section	.AMDGPU.csdata,"",@progbits
; Kernel info:
; codeLenInByte = 68
; TotalNumSgprs: 36
; NumVgprs: 51
; ScratchSize: 64
; MemoryBound: 0
; FloatMode: 240
; IeeeMode: 1
; LDSByteSize: 0 bytes/workgroup (compile time only)
; SGPRBlocks: 0
; VGPRBlocks: 3
; NumSGPRsForWavesPerEU: 36
; NumVGPRsForWavesPerEU: 51
; NamedBarCnt: 0
; Occupancy: 16
; WaveLimiterHint : 1
; COMPUTE_PGM_RSRC2:SCRATCH_EN: 1
; COMPUTE_PGM_RSRC2:USER_SGPR: 2
; COMPUTE_PGM_RSRC2:TRAP_HANDLER: 0
; COMPUTE_PGM_RSRC2:TGID_X_EN: 1
; COMPUTE_PGM_RSRC2:TGID_Y_EN: 0
; COMPUTE_PGM_RSRC2:TGID_Z_EN: 0
; COMPUTE_PGM_RSRC2:TIDIG_COMP_CNT: 0
	.section	.text._Z39paged_attention_ll4mi_QKV_mfma16_kernelIDF16_DF16_LN4vllm18Fp8KVCacheDataTypeE0EhLi16ELi64ELi256ELb1ELi9EEvPKT_PKT0_S7_ifPKiS9_S9_iPKfiiiPfSC_PS2_PT2_iSB_SB_,"axG",@progbits,_Z39paged_attention_ll4mi_QKV_mfma16_kernelIDF16_DF16_LN4vllm18Fp8KVCacheDataTypeE0EhLi16ELi64ELi256ELb1ELi9EEvPKT_PKT0_S7_ifPKiS9_S9_iPKfiiiPfSC_PS2_PT2_iSB_SB_,comdat
	.protected	_Z39paged_attention_ll4mi_QKV_mfma16_kernelIDF16_DF16_LN4vllm18Fp8KVCacheDataTypeE0EhLi16ELi64ELi256ELb1ELi9EEvPKT_PKT0_S7_ifPKiS9_S9_iPKfiiiPfSC_PS2_PT2_iSB_SB_ ; -- Begin function _Z39paged_attention_ll4mi_QKV_mfma16_kernelIDF16_DF16_LN4vllm18Fp8KVCacheDataTypeE0EhLi16ELi64ELi256ELb1ELi9EEvPKT_PKT0_S7_ifPKiS9_S9_iPKfiiiPfSC_PS2_PT2_iSB_SB_
	.globl	_Z39paged_attention_ll4mi_QKV_mfma16_kernelIDF16_DF16_LN4vllm18Fp8KVCacheDataTypeE0EhLi16ELi64ELi256ELb1ELi9EEvPKT_PKT0_S7_ifPKiS9_S9_iPKfiiiPfSC_PS2_PT2_iSB_SB_
	.p2align	8
	.type	_Z39paged_attention_ll4mi_QKV_mfma16_kernelIDF16_DF16_LN4vllm18Fp8KVCacheDataTypeE0EhLi16ELi64ELi256ELb1ELi9EEvPKT_PKT0_S7_ifPKiS9_S9_iPKfiiiPfSC_PS2_PT2_iSB_SB_,@function
_Z39paged_attention_ll4mi_QKV_mfma16_kernelIDF16_DF16_LN4vllm18Fp8KVCacheDataTypeE0EhLi16ELi64ELi256ELb1ELi9EEvPKT_PKT0_S7_ifPKiS9_S9_iPKfiiiPfSC_PS2_PT2_iSB_SB_: ; @_Z39paged_attention_ll4mi_QKV_mfma16_kernelIDF16_DF16_LN4vllm18Fp8KVCacheDataTypeE0EhLi16ELi64ELi256ELb1ELi9EEvPKT_PKT0_S7_ifPKiS9_S9_iPKfiiiPfSC_PS2_PT2_iSB_SB_
; %bb.0:
	s_get_pc_i64 s[2:3]
	s_add_nc_u64 s[2:3], s[2:3], __PRETTY_FUNCTION__._Z39paged_attention_ll4mi_QKV_mfma16_kernelIDF16_DF16_LN4vllm18Fp8KVCacheDataTypeE0EhLi16ELi64ELi256ELb1ELi9EEvPKT_PKT0_S7_ifPKiS9_S9_iPKfiiiPfSC_PS2_PT2_iSB_SB_@rel64+4
	s_delay_alu instid0(SALU_CYCLE_1)
	v_dual_mov_b32 v0, 0xbb3 :: v_dual_mov_b32 v1, s2
	v_mov_b32_e32 v2, s3
	s_add_nc_u64 s[8:9], s[0:1], 0x90
	s_get_pc_i64 s[0:1]
	s_add_nc_u64 s[0:1], s[0:1], __assert_fail@rel64+4
	s_mov_b32 s32, 0
	s_swap_pc_i64 s[30:31], s[0:1]
	.section	.rodata,"a",@progbits
	.p2align	6, 0x0
	.amdhsa_kernel _Z39paged_attention_ll4mi_QKV_mfma16_kernelIDF16_DF16_LN4vllm18Fp8KVCacheDataTypeE0EhLi16ELi64ELi256ELb1ELi9EEvPKT_PKT0_S7_ifPKiS9_S9_iPKfiiiPfSC_PS2_PT2_iSB_SB_
		.amdhsa_group_segment_fixed_size 0
		.amdhsa_private_segment_fixed_size 64
		.amdhsa_kernarg_size 400
		.amdhsa_user_sgpr_count 2
		.amdhsa_user_sgpr_dispatch_ptr 0
		.amdhsa_user_sgpr_queue_ptr 0
		.amdhsa_user_sgpr_kernarg_segment_ptr 1
		.amdhsa_user_sgpr_dispatch_id 0
		.amdhsa_user_sgpr_kernarg_preload_length 0
		.amdhsa_user_sgpr_kernarg_preload_offset 0
		.amdhsa_user_sgpr_private_segment_size 0
		.amdhsa_wavefront_size32 1
		.amdhsa_uses_dynamic_stack 0
		.amdhsa_enable_private_segment 1
		.amdhsa_system_sgpr_workgroup_id_x 1
		.amdhsa_system_sgpr_workgroup_id_y 0
		.amdhsa_system_sgpr_workgroup_id_z 0
		.amdhsa_system_sgpr_workgroup_info 0
		.amdhsa_system_vgpr_workitem_id 0
		.amdhsa_next_free_vgpr 51
		.amdhsa_next_free_sgpr 34
		.amdhsa_named_barrier_count 0
		.amdhsa_reserve_vcc 1
		.amdhsa_float_round_mode_32 0
		.amdhsa_float_round_mode_16_64 0
		.amdhsa_float_denorm_mode_32 3
		.amdhsa_float_denorm_mode_16_64 3
		.amdhsa_fp16_overflow 0
		.amdhsa_memory_ordered 1
		.amdhsa_forward_progress 1
		.amdhsa_inst_pref_size 1
		.amdhsa_round_robin_scheduling 0
		.amdhsa_exception_fp_ieee_invalid_op 0
		.amdhsa_exception_fp_denorm_src 0
		.amdhsa_exception_fp_ieee_div_zero 0
		.amdhsa_exception_fp_ieee_overflow 0
		.amdhsa_exception_fp_ieee_underflow 0
		.amdhsa_exception_fp_ieee_inexact 0
		.amdhsa_exception_int_div_zero 0
	.end_amdhsa_kernel
	.section	.text._Z39paged_attention_ll4mi_QKV_mfma16_kernelIDF16_DF16_LN4vllm18Fp8KVCacheDataTypeE0EhLi16ELi64ELi256ELb1ELi9EEvPKT_PKT0_S7_ifPKiS9_S9_iPKfiiiPfSC_PS2_PT2_iSB_SB_,"axG",@progbits,_Z39paged_attention_ll4mi_QKV_mfma16_kernelIDF16_DF16_LN4vllm18Fp8KVCacheDataTypeE0EhLi16ELi64ELi256ELb1ELi9EEvPKT_PKT0_S7_ifPKiS9_S9_iPKfiiiPfSC_PS2_PT2_iSB_SB_,comdat
.Lfunc_end10:
	.size	_Z39paged_attention_ll4mi_QKV_mfma16_kernelIDF16_DF16_LN4vllm18Fp8KVCacheDataTypeE0EhLi16ELi64ELi256ELb1ELi9EEvPKT_PKT0_S7_ifPKiS9_S9_iPKfiiiPfSC_PS2_PT2_iSB_SB_, .Lfunc_end10-_Z39paged_attention_ll4mi_QKV_mfma16_kernelIDF16_DF16_LN4vllm18Fp8KVCacheDataTypeE0EhLi16ELi64ELi256ELb1ELi9EEvPKT_PKT0_S7_ifPKiS9_S9_iPKfiiiPfSC_PS2_PT2_iSB_SB_
                                        ; -- End function
	.set _Z39paged_attention_ll4mi_QKV_mfma16_kernelIDF16_DF16_LN4vllm18Fp8KVCacheDataTypeE0EhLi16ELi64ELi256ELb1ELi9EEvPKT_PKT0_S7_ifPKiS9_S9_iPKfiiiPfSC_PS2_PT2_iSB_SB_.num_vgpr, max(3, .L__assert_fail.num_vgpr)
	.set _Z39paged_attention_ll4mi_QKV_mfma16_kernelIDF16_DF16_LN4vllm18Fp8KVCacheDataTypeE0EhLi16ELi64ELi256ELb1ELi9EEvPKT_PKT0_S7_ifPKiS9_S9_iPKfiiiPfSC_PS2_PT2_iSB_SB_.num_agpr, max(0, .L__assert_fail.num_agpr)
	.set _Z39paged_attention_ll4mi_QKV_mfma16_kernelIDF16_DF16_LN4vllm18Fp8KVCacheDataTypeE0EhLi16ELi64ELi256ELb1ELi9EEvPKT_PKT0_S7_ifPKiS9_S9_iPKfiiiPfSC_PS2_PT2_iSB_SB_.numbered_sgpr, max(33, .L__assert_fail.numbered_sgpr)
	.set _Z39paged_attention_ll4mi_QKV_mfma16_kernelIDF16_DF16_LN4vllm18Fp8KVCacheDataTypeE0EhLi16ELi64ELi256ELb1ELi9EEvPKT_PKT0_S7_ifPKiS9_S9_iPKfiiiPfSC_PS2_PT2_iSB_SB_.num_named_barrier, max(0, .L__assert_fail.num_named_barrier)
	.set _Z39paged_attention_ll4mi_QKV_mfma16_kernelIDF16_DF16_LN4vllm18Fp8KVCacheDataTypeE0EhLi16ELi64ELi256ELb1ELi9EEvPKT_PKT0_S7_ifPKiS9_S9_iPKfiiiPfSC_PS2_PT2_iSB_SB_.private_seg_size, 0+max(.L__assert_fail.private_seg_size)
	.set _Z39paged_attention_ll4mi_QKV_mfma16_kernelIDF16_DF16_LN4vllm18Fp8KVCacheDataTypeE0EhLi16ELi64ELi256ELb1ELi9EEvPKT_PKT0_S7_ifPKiS9_S9_iPKfiiiPfSC_PS2_PT2_iSB_SB_.uses_vcc, or(1, .L__assert_fail.uses_vcc)
	.set _Z39paged_attention_ll4mi_QKV_mfma16_kernelIDF16_DF16_LN4vllm18Fp8KVCacheDataTypeE0EhLi16ELi64ELi256ELb1ELi9EEvPKT_PKT0_S7_ifPKiS9_S9_iPKfiiiPfSC_PS2_PT2_iSB_SB_.uses_flat_scratch, or(0, .L__assert_fail.uses_flat_scratch)
	.set _Z39paged_attention_ll4mi_QKV_mfma16_kernelIDF16_DF16_LN4vllm18Fp8KVCacheDataTypeE0EhLi16ELi64ELi256ELb1ELi9EEvPKT_PKT0_S7_ifPKiS9_S9_iPKfiiiPfSC_PS2_PT2_iSB_SB_.has_dyn_sized_stack, or(0, .L__assert_fail.has_dyn_sized_stack)
	.set _Z39paged_attention_ll4mi_QKV_mfma16_kernelIDF16_DF16_LN4vllm18Fp8KVCacheDataTypeE0EhLi16ELi64ELi256ELb1ELi9EEvPKT_PKT0_S7_ifPKiS9_S9_iPKfiiiPfSC_PS2_PT2_iSB_SB_.has_recursion, or(0, .L__assert_fail.has_recursion)
	.set _Z39paged_attention_ll4mi_QKV_mfma16_kernelIDF16_DF16_LN4vllm18Fp8KVCacheDataTypeE0EhLi16ELi64ELi256ELb1ELi9EEvPKT_PKT0_S7_ifPKiS9_S9_iPKfiiiPfSC_PS2_PT2_iSB_SB_.has_indirect_call, or(0, .L__assert_fail.has_indirect_call)
	.section	.AMDGPU.csdata,"",@progbits
; Kernel info:
; codeLenInByte = 68
; TotalNumSgprs: 36
; NumVgprs: 51
; ScratchSize: 64
; MemoryBound: 0
; FloatMode: 240
; IeeeMode: 1
; LDSByteSize: 0 bytes/workgroup (compile time only)
; SGPRBlocks: 0
; VGPRBlocks: 3
; NumSGPRsForWavesPerEU: 36
; NumVGPRsForWavesPerEU: 51
; NamedBarCnt: 0
; Occupancy: 16
; WaveLimiterHint : 1
; COMPUTE_PGM_RSRC2:SCRATCH_EN: 1
; COMPUTE_PGM_RSRC2:USER_SGPR: 2
; COMPUTE_PGM_RSRC2:TRAP_HANDLER: 0
; COMPUTE_PGM_RSRC2:TGID_X_EN: 1
; COMPUTE_PGM_RSRC2:TGID_Y_EN: 0
; COMPUTE_PGM_RSRC2:TGID_Z_EN: 0
; COMPUTE_PGM_RSRC2:TIDIG_COMP_CNT: 0
	.section	.text._Z39paged_attention_ll4mi_QKV_mfma16_kernelIDF16_DF16_LN4vllm18Fp8KVCacheDataTypeE0EhLi16ELi64ELi256ELb1ELi10EEvPKT_PKT0_S7_ifPKiS9_S9_iPKfiiiPfSC_PS2_PT2_iSB_SB_,"axG",@progbits,_Z39paged_attention_ll4mi_QKV_mfma16_kernelIDF16_DF16_LN4vllm18Fp8KVCacheDataTypeE0EhLi16ELi64ELi256ELb1ELi10EEvPKT_PKT0_S7_ifPKiS9_S9_iPKfiiiPfSC_PS2_PT2_iSB_SB_,comdat
	.protected	_Z39paged_attention_ll4mi_QKV_mfma16_kernelIDF16_DF16_LN4vllm18Fp8KVCacheDataTypeE0EhLi16ELi64ELi256ELb1ELi10EEvPKT_PKT0_S7_ifPKiS9_S9_iPKfiiiPfSC_PS2_PT2_iSB_SB_ ; -- Begin function _Z39paged_attention_ll4mi_QKV_mfma16_kernelIDF16_DF16_LN4vllm18Fp8KVCacheDataTypeE0EhLi16ELi64ELi256ELb1ELi10EEvPKT_PKT0_S7_ifPKiS9_S9_iPKfiiiPfSC_PS2_PT2_iSB_SB_
	.globl	_Z39paged_attention_ll4mi_QKV_mfma16_kernelIDF16_DF16_LN4vllm18Fp8KVCacheDataTypeE0EhLi16ELi64ELi256ELb1ELi10EEvPKT_PKT0_S7_ifPKiS9_S9_iPKfiiiPfSC_PS2_PT2_iSB_SB_
	.p2align	8
	.type	_Z39paged_attention_ll4mi_QKV_mfma16_kernelIDF16_DF16_LN4vllm18Fp8KVCacheDataTypeE0EhLi16ELi64ELi256ELb1ELi10EEvPKT_PKT0_S7_ifPKiS9_S9_iPKfiiiPfSC_PS2_PT2_iSB_SB_,@function
_Z39paged_attention_ll4mi_QKV_mfma16_kernelIDF16_DF16_LN4vllm18Fp8KVCacheDataTypeE0EhLi16ELi64ELi256ELb1ELi10EEvPKT_PKT0_S7_ifPKiS9_S9_iPKfiiiPfSC_PS2_PT2_iSB_SB_: ; @_Z39paged_attention_ll4mi_QKV_mfma16_kernelIDF16_DF16_LN4vllm18Fp8KVCacheDataTypeE0EhLi16ELi64ELi256ELb1ELi10EEvPKT_PKT0_S7_ifPKiS9_S9_iPKfiiiPfSC_PS2_PT2_iSB_SB_
; %bb.0:
	s_get_pc_i64 s[2:3]
	s_add_nc_u64 s[2:3], s[2:3], __PRETTY_FUNCTION__._Z39paged_attention_ll4mi_QKV_mfma16_kernelIDF16_DF16_LN4vllm18Fp8KVCacheDataTypeE0EhLi16ELi64ELi256ELb1ELi10EEvPKT_PKT0_S7_ifPKiS9_S9_iPKfiiiPfSC_PS2_PT2_iSB_SB_@rel64+4
	s_delay_alu instid0(SALU_CYCLE_1)
	v_dual_mov_b32 v0, 0xbb3 :: v_dual_mov_b32 v1, s2
	v_mov_b32_e32 v2, s3
	s_add_nc_u64 s[8:9], s[0:1], 0x90
	s_get_pc_i64 s[0:1]
	s_add_nc_u64 s[0:1], s[0:1], __assert_fail@rel64+4
	s_mov_b32 s32, 0
	s_swap_pc_i64 s[30:31], s[0:1]
	.section	.rodata,"a",@progbits
	.p2align	6, 0x0
	.amdhsa_kernel _Z39paged_attention_ll4mi_QKV_mfma16_kernelIDF16_DF16_LN4vllm18Fp8KVCacheDataTypeE0EhLi16ELi64ELi256ELb1ELi10EEvPKT_PKT0_S7_ifPKiS9_S9_iPKfiiiPfSC_PS2_PT2_iSB_SB_
		.amdhsa_group_segment_fixed_size 0
		.amdhsa_private_segment_fixed_size 64
		.amdhsa_kernarg_size 400
		.amdhsa_user_sgpr_count 2
		.amdhsa_user_sgpr_dispatch_ptr 0
		.amdhsa_user_sgpr_queue_ptr 0
		.amdhsa_user_sgpr_kernarg_segment_ptr 1
		.amdhsa_user_sgpr_dispatch_id 0
		.amdhsa_user_sgpr_kernarg_preload_length 0
		.amdhsa_user_sgpr_kernarg_preload_offset 0
		.amdhsa_user_sgpr_private_segment_size 0
		.amdhsa_wavefront_size32 1
		.amdhsa_uses_dynamic_stack 0
		.amdhsa_enable_private_segment 1
		.amdhsa_system_sgpr_workgroup_id_x 1
		.amdhsa_system_sgpr_workgroup_id_y 0
		.amdhsa_system_sgpr_workgroup_id_z 0
		.amdhsa_system_sgpr_workgroup_info 0
		.amdhsa_system_vgpr_workitem_id 0
		.amdhsa_next_free_vgpr 51
		.amdhsa_next_free_sgpr 34
		.amdhsa_named_barrier_count 0
		.amdhsa_reserve_vcc 1
		.amdhsa_float_round_mode_32 0
		.amdhsa_float_round_mode_16_64 0
		.amdhsa_float_denorm_mode_32 3
		.amdhsa_float_denorm_mode_16_64 3
		.amdhsa_fp16_overflow 0
		.amdhsa_memory_ordered 1
		.amdhsa_forward_progress 1
		.amdhsa_inst_pref_size 1
		.amdhsa_round_robin_scheduling 0
		.amdhsa_exception_fp_ieee_invalid_op 0
		.amdhsa_exception_fp_denorm_src 0
		.amdhsa_exception_fp_ieee_div_zero 0
		.amdhsa_exception_fp_ieee_overflow 0
		.amdhsa_exception_fp_ieee_underflow 0
		.amdhsa_exception_fp_ieee_inexact 0
		.amdhsa_exception_int_div_zero 0
	.end_amdhsa_kernel
	.section	.text._Z39paged_attention_ll4mi_QKV_mfma16_kernelIDF16_DF16_LN4vllm18Fp8KVCacheDataTypeE0EhLi16ELi64ELi256ELb1ELi10EEvPKT_PKT0_S7_ifPKiS9_S9_iPKfiiiPfSC_PS2_PT2_iSB_SB_,"axG",@progbits,_Z39paged_attention_ll4mi_QKV_mfma16_kernelIDF16_DF16_LN4vllm18Fp8KVCacheDataTypeE0EhLi16ELi64ELi256ELb1ELi10EEvPKT_PKT0_S7_ifPKiS9_S9_iPKfiiiPfSC_PS2_PT2_iSB_SB_,comdat
.Lfunc_end11:
	.size	_Z39paged_attention_ll4mi_QKV_mfma16_kernelIDF16_DF16_LN4vllm18Fp8KVCacheDataTypeE0EhLi16ELi64ELi256ELb1ELi10EEvPKT_PKT0_S7_ifPKiS9_S9_iPKfiiiPfSC_PS2_PT2_iSB_SB_, .Lfunc_end11-_Z39paged_attention_ll4mi_QKV_mfma16_kernelIDF16_DF16_LN4vllm18Fp8KVCacheDataTypeE0EhLi16ELi64ELi256ELb1ELi10EEvPKT_PKT0_S7_ifPKiS9_S9_iPKfiiiPfSC_PS2_PT2_iSB_SB_
                                        ; -- End function
	.set _Z39paged_attention_ll4mi_QKV_mfma16_kernelIDF16_DF16_LN4vllm18Fp8KVCacheDataTypeE0EhLi16ELi64ELi256ELb1ELi10EEvPKT_PKT0_S7_ifPKiS9_S9_iPKfiiiPfSC_PS2_PT2_iSB_SB_.num_vgpr, max(3, .L__assert_fail.num_vgpr)
	.set _Z39paged_attention_ll4mi_QKV_mfma16_kernelIDF16_DF16_LN4vllm18Fp8KVCacheDataTypeE0EhLi16ELi64ELi256ELb1ELi10EEvPKT_PKT0_S7_ifPKiS9_S9_iPKfiiiPfSC_PS2_PT2_iSB_SB_.num_agpr, max(0, .L__assert_fail.num_agpr)
	.set _Z39paged_attention_ll4mi_QKV_mfma16_kernelIDF16_DF16_LN4vllm18Fp8KVCacheDataTypeE0EhLi16ELi64ELi256ELb1ELi10EEvPKT_PKT0_S7_ifPKiS9_S9_iPKfiiiPfSC_PS2_PT2_iSB_SB_.numbered_sgpr, max(33, .L__assert_fail.numbered_sgpr)
	.set _Z39paged_attention_ll4mi_QKV_mfma16_kernelIDF16_DF16_LN4vllm18Fp8KVCacheDataTypeE0EhLi16ELi64ELi256ELb1ELi10EEvPKT_PKT0_S7_ifPKiS9_S9_iPKfiiiPfSC_PS2_PT2_iSB_SB_.num_named_barrier, max(0, .L__assert_fail.num_named_barrier)
	.set _Z39paged_attention_ll4mi_QKV_mfma16_kernelIDF16_DF16_LN4vllm18Fp8KVCacheDataTypeE0EhLi16ELi64ELi256ELb1ELi10EEvPKT_PKT0_S7_ifPKiS9_S9_iPKfiiiPfSC_PS2_PT2_iSB_SB_.private_seg_size, 0+max(.L__assert_fail.private_seg_size)
	.set _Z39paged_attention_ll4mi_QKV_mfma16_kernelIDF16_DF16_LN4vllm18Fp8KVCacheDataTypeE0EhLi16ELi64ELi256ELb1ELi10EEvPKT_PKT0_S7_ifPKiS9_S9_iPKfiiiPfSC_PS2_PT2_iSB_SB_.uses_vcc, or(1, .L__assert_fail.uses_vcc)
	.set _Z39paged_attention_ll4mi_QKV_mfma16_kernelIDF16_DF16_LN4vllm18Fp8KVCacheDataTypeE0EhLi16ELi64ELi256ELb1ELi10EEvPKT_PKT0_S7_ifPKiS9_S9_iPKfiiiPfSC_PS2_PT2_iSB_SB_.uses_flat_scratch, or(0, .L__assert_fail.uses_flat_scratch)
	.set _Z39paged_attention_ll4mi_QKV_mfma16_kernelIDF16_DF16_LN4vllm18Fp8KVCacheDataTypeE0EhLi16ELi64ELi256ELb1ELi10EEvPKT_PKT0_S7_ifPKiS9_S9_iPKfiiiPfSC_PS2_PT2_iSB_SB_.has_dyn_sized_stack, or(0, .L__assert_fail.has_dyn_sized_stack)
	.set _Z39paged_attention_ll4mi_QKV_mfma16_kernelIDF16_DF16_LN4vllm18Fp8KVCacheDataTypeE0EhLi16ELi64ELi256ELb1ELi10EEvPKT_PKT0_S7_ifPKiS9_S9_iPKfiiiPfSC_PS2_PT2_iSB_SB_.has_recursion, or(0, .L__assert_fail.has_recursion)
	.set _Z39paged_attention_ll4mi_QKV_mfma16_kernelIDF16_DF16_LN4vllm18Fp8KVCacheDataTypeE0EhLi16ELi64ELi256ELb1ELi10EEvPKT_PKT0_S7_ifPKiS9_S9_iPKfiiiPfSC_PS2_PT2_iSB_SB_.has_indirect_call, or(0, .L__assert_fail.has_indirect_call)
	.section	.AMDGPU.csdata,"",@progbits
; Kernel info:
; codeLenInByte = 68
; TotalNumSgprs: 36
; NumVgprs: 51
; ScratchSize: 64
; MemoryBound: 0
; FloatMode: 240
; IeeeMode: 1
; LDSByteSize: 0 bytes/workgroup (compile time only)
; SGPRBlocks: 0
; VGPRBlocks: 3
; NumSGPRsForWavesPerEU: 36
; NumVGPRsForWavesPerEU: 51
; NamedBarCnt: 0
; Occupancy: 16
; WaveLimiterHint : 1
; COMPUTE_PGM_RSRC2:SCRATCH_EN: 1
; COMPUTE_PGM_RSRC2:USER_SGPR: 2
; COMPUTE_PGM_RSRC2:TRAP_HANDLER: 0
; COMPUTE_PGM_RSRC2:TGID_X_EN: 1
; COMPUTE_PGM_RSRC2:TGID_Y_EN: 0
; COMPUTE_PGM_RSRC2:TGID_Z_EN: 0
; COMPUTE_PGM_RSRC2:TIDIG_COMP_CNT: 0
	.section	.text._Z39paged_attention_ll4mi_QKV_mfma16_kernelIDF16_DF16_LN4vllm18Fp8KVCacheDataTypeE0EhLi16ELi64ELi256ELb1ELi11EEvPKT_PKT0_S7_ifPKiS9_S9_iPKfiiiPfSC_PS2_PT2_iSB_SB_,"axG",@progbits,_Z39paged_attention_ll4mi_QKV_mfma16_kernelIDF16_DF16_LN4vllm18Fp8KVCacheDataTypeE0EhLi16ELi64ELi256ELb1ELi11EEvPKT_PKT0_S7_ifPKiS9_S9_iPKfiiiPfSC_PS2_PT2_iSB_SB_,comdat
	.protected	_Z39paged_attention_ll4mi_QKV_mfma16_kernelIDF16_DF16_LN4vllm18Fp8KVCacheDataTypeE0EhLi16ELi64ELi256ELb1ELi11EEvPKT_PKT0_S7_ifPKiS9_S9_iPKfiiiPfSC_PS2_PT2_iSB_SB_ ; -- Begin function _Z39paged_attention_ll4mi_QKV_mfma16_kernelIDF16_DF16_LN4vllm18Fp8KVCacheDataTypeE0EhLi16ELi64ELi256ELb1ELi11EEvPKT_PKT0_S7_ifPKiS9_S9_iPKfiiiPfSC_PS2_PT2_iSB_SB_
	.globl	_Z39paged_attention_ll4mi_QKV_mfma16_kernelIDF16_DF16_LN4vllm18Fp8KVCacheDataTypeE0EhLi16ELi64ELi256ELb1ELi11EEvPKT_PKT0_S7_ifPKiS9_S9_iPKfiiiPfSC_PS2_PT2_iSB_SB_
	.p2align	8
	.type	_Z39paged_attention_ll4mi_QKV_mfma16_kernelIDF16_DF16_LN4vllm18Fp8KVCacheDataTypeE0EhLi16ELi64ELi256ELb1ELi11EEvPKT_PKT0_S7_ifPKiS9_S9_iPKfiiiPfSC_PS2_PT2_iSB_SB_,@function
_Z39paged_attention_ll4mi_QKV_mfma16_kernelIDF16_DF16_LN4vllm18Fp8KVCacheDataTypeE0EhLi16ELi64ELi256ELb1ELi11EEvPKT_PKT0_S7_ifPKiS9_S9_iPKfiiiPfSC_PS2_PT2_iSB_SB_: ; @_Z39paged_attention_ll4mi_QKV_mfma16_kernelIDF16_DF16_LN4vllm18Fp8KVCacheDataTypeE0EhLi16ELi64ELi256ELb1ELi11EEvPKT_PKT0_S7_ifPKiS9_S9_iPKfiiiPfSC_PS2_PT2_iSB_SB_
; %bb.0:
	s_get_pc_i64 s[2:3]
	s_add_nc_u64 s[2:3], s[2:3], __PRETTY_FUNCTION__._Z39paged_attention_ll4mi_QKV_mfma16_kernelIDF16_DF16_LN4vllm18Fp8KVCacheDataTypeE0EhLi16ELi64ELi256ELb1ELi11EEvPKT_PKT0_S7_ifPKiS9_S9_iPKfiiiPfSC_PS2_PT2_iSB_SB_@rel64+4
	s_delay_alu instid0(SALU_CYCLE_1)
	v_dual_mov_b32 v0, 0xbb3 :: v_dual_mov_b32 v1, s2
	v_mov_b32_e32 v2, s3
	s_add_nc_u64 s[8:9], s[0:1], 0x90
	s_get_pc_i64 s[0:1]
	s_add_nc_u64 s[0:1], s[0:1], __assert_fail@rel64+4
	s_mov_b32 s32, 0
	s_swap_pc_i64 s[30:31], s[0:1]
	.section	.rodata,"a",@progbits
	.p2align	6, 0x0
	.amdhsa_kernel _Z39paged_attention_ll4mi_QKV_mfma16_kernelIDF16_DF16_LN4vllm18Fp8KVCacheDataTypeE0EhLi16ELi64ELi256ELb1ELi11EEvPKT_PKT0_S7_ifPKiS9_S9_iPKfiiiPfSC_PS2_PT2_iSB_SB_
		.amdhsa_group_segment_fixed_size 0
		.amdhsa_private_segment_fixed_size 64
		.amdhsa_kernarg_size 400
		.amdhsa_user_sgpr_count 2
		.amdhsa_user_sgpr_dispatch_ptr 0
		.amdhsa_user_sgpr_queue_ptr 0
		.amdhsa_user_sgpr_kernarg_segment_ptr 1
		.amdhsa_user_sgpr_dispatch_id 0
		.amdhsa_user_sgpr_kernarg_preload_length 0
		.amdhsa_user_sgpr_kernarg_preload_offset 0
		.amdhsa_user_sgpr_private_segment_size 0
		.amdhsa_wavefront_size32 1
		.amdhsa_uses_dynamic_stack 0
		.amdhsa_enable_private_segment 1
		.amdhsa_system_sgpr_workgroup_id_x 1
		.amdhsa_system_sgpr_workgroup_id_y 0
		.amdhsa_system_sgpr_workgroup_id_z 0
		.amdhsa_system_sgpr_workgroup_info 0
		.amdhsa_system_vgpr_workitem_id 0
		.amdhsa_next_free_vgpr 51
		.amdhsa_next_free_sgpr 34
		.amdhsa_named_barrier_count 0
		.amdhsa_reserve_vcc 1
		.amdhsa_float_round_mode_32 0
		.amdhsa_float_round_mode_16_64 0
		.amdhsa_float_denorm_mode_32 3
		.amdhsa_float_denorm_mode_16_64 3
		.amdhsa_fp16_overflow 0
		.amdhsa_memory_ordered 1
		.amdhsa_forward_progress 1
		.amdhsa_inst_pref_size 1
		.amdhsa_round_robin_scheduling 0
		.amdhsa_exception_fp_ieee_invalid_op 0
		.amdhsa_exception_fp_denorm_src 0
		.amdhsa_exception_fp_ieee_div_zero 0
		.amdhsa_exception_fp_ieee_overflow 0
		.amdhsa_exception_fp_ieee_underflow 0
		.amdhsa_exception_fp_ieee_inexact 0
		.amdhsa_exception_int_div_zero 0
	.end_amdhsa_kernel
	.section	.text._Z39paged_attention_ll4mi_QKV_mfma16_kernelIDF16_DF16_LN4vllm18Fp8KVCacheDataTypeE0EhLi16ELi64ELi256ELb1ELi11EEvPKT_PKT0_S7_ifPKiS9_S9_iPKfiiiPfSC_PS2_PT2_iSB_SB_,"axG",@progbits,_Z39paged_attention_ll4mi_QKV_mfma16_kernelIDF16_DF16_LN4vllm18Fp8KVCacheDataTypeE0EhLi16ELi64ELi256ELb1ELi11EEvPKT_PKT0_S7_ifPKiS9_S9_iPKfiiiPfSC_PS2_PT2_iSB_SB_,comdat
.Lfunc_end12:
	.size	_Z39paged_attention_ll4mi_QKV_mfma16_kernelIDF16_DF16_LN4vllm18Fp8KVCacheDataTypeE0EhLi16ELi64ELi256ELb1ELi11EEvPKT_PKT0_S7_ifPKiS9_S9_iPKfiiiPfSC_PS2_PT2_iSB_SB_, .Lfunc_end12-_Z39paged_attention_ll4mi_QKV_mfma16_kernelIDF16_DF16_LN4vllm18Fp8KVCacheDataTypeE0EhLi16ELi64ELi256ELb1ELi11EEvPKT_PKT0_S7_ifPKiS9_S9_iPKfiiiPfSC_PS2_PT2_iSB_SB_
                                        ; -- End function
	.set _Z39paged_attention_ll4mi_QKV_mfma16_kernelIDF16_DF16_LN4vllm18Fp8KVCacheDataTypeE0EhLi16ELi64ELi256ELb1ELi11EEvPKT_PKT0_S7_ifPKiS9_S9_iPKfiiiPfSC_PS2_PT2_iSB_SB_.num_vgpr, max(3, .L__assert_fail.num_vgpr)
	.set _Z39paged_attention_ll4mi_QKV_mfma16_kernelIDF16_DF16_LN4vllm18Fp8KVCacheDataTypeE0EhLi16ELi64ELi256ELb1ELi11EEvPKT_PKT0_S7_ifPKiS9_S9_iPKfiiiPfSC_PS2_PT2_iSB_SB_.num_agpr, max(0, .L__assert_fail.num_agpr)
	.set _Z39paged_attention_ll4mi_QKV_mfma16_kernelIDF16_DF16_LN4vllm18Fp8KVCacheDataTypeE0EhLi16ELi64ELi256ELb1ELi11EEvPKT_PKT0_S7_ifPKiS9_S9_iPKfiiiPfSC_PS2_PT2_iSB_SB_.numbered_sgpr, max(33, .L__assert_fail.numbered_sgpr)
	.set _Z39paged_attention_ll4mi_QKV_mfma16_kernelIDF16_DF16_LN4vllm18Fp8KVCacheDataTypeE0EhLi16ELi64ELi256ELb1ELi11EEvPKT_PKT0_S7_ifPKiS9_S9_iPKfiiiPfSC_PS2_PT2_iSB_SB_.num_named_barrier, max(0, .L__assert_fail.num_named_barrier)
	.set _Z39paged_attention_ll4mi_QKV_mfma16_kernelIDF16_DF16_LN4vllm18Fp8KVCacheDataTypeE0EhLi16ELi64ELi256ELb1ELi11EEvPKT_PKT0_S7_ifPKiS9_S9_iPKfiiiPfSC_PS2_PT2_iSB_SB_.private_seg_size, 0+max(.L__assert_fail.private_seg_size)
	.set _Z39paged_attention_ll4mi_QKV_mfma16_kernelIDF16_DF16_LN4vllm18Fp8KVCacheDataTypeE0EhLi16ELi64ELi256ELb1ELi11EEvPKT_PKT0_S7_ifPKiS9_S9_iPKfiiiPfSC_PS2_PT2_iSB_SB_.uses_vcc, or(1, .L__assert_fail.uses_vcc)
	.set _Z39paged_attention_ll4mi_QKV_mfma16_kernelIDF16_DF16_LN4vllm18Fp8KVCacheDataTypeE0EhLi16ELi64ELi256ELb1ELi11EEvPKT_PKT0_S7_ifPKiS9_S9_iPKfiiiPfSC_PS2_PT2_iSB_SB_.uses_flat_scratch, or(0, .L__assert_fail.uses_flat_scratch)
	.set _Z39paged_attention_ll4mi_QKV_mfma16_kernelIDF16_DF16_LN4vllm18Fp8KVCacheDataTypeE0EhLi16ELi64ELi256ELb1ELi11EEvPKT_PKT0_S7_ifPKiS9_S9_iPKfiiiPfSC_PS2_PT2_iSB_SB_.has_dyn_sized_stack, or(0, .L__assert_fail.has_dyn_sized_stack)
	.set _Z39paged_attention_ll4mi_QKV_mfma16_kernelIDF16_DF16_LN4vllm18Fp8KVCacheDataTypeE0EhLi16ELi64ELi256ELb1ELi11EEvPKT_PKT0_S7_ifPKiS9_S9_iPKfiiiPfSC_PS2_PT2_iSB_SB_.has_recursion, or(0, .L__assert_fail.has_recursion)
	.set _Z39paged_attention_ll4mi_QKV_mfma16_kernelIDF16_DF16_LN4vllm18Fp8KVCacheDataTypeE0EhLi16ELi64ELi256ELb1ELi11EEvPKT_PKT0_S7_ifPKiS9_S9_iPKfiiiPfSC_PS2_PT2_iSB_SB_.has_indirect_call, or(0, .L__assert_fail.has_indirect_call)
	.section	.AMDGPU.csdata,"",@progbits
; Kernel info:
; codeLenInByte = 68
; TotalNumSgprs: 36
; NumVgprs: 51
; ScratchSize: 64
; MemoryBound: 0
; FloatMode: 240
; IeeeMode: 1
; LDSByteSize: 0 bytes/workgroup (compile time only)
; SGPRBlocks: 0
; VGPRBlocks: 3
; NumSGPRsForWavesPerEU: 36
; NumVGPRsForWavesPerEU: 51
; NamedBarCnt: 0
; Occupancy: 16
; WaveLimiterHint : 1
; COMPUTE_PGM_RSRC2:SCRATCH_EN: 1
; COMPUTE_PGM_RSRC2:USER_SGPR: 2
; COMPUTE_PGM_RSRC2:TRAP_HANDLER: 0
; COMPUTE_PGM_RSRC2:TGID_X_EN: 1
; COMPUTE_PGM_RSRC2:TGID_Y_EN: 0
; COMPUTE_PGM_RSRC2:TGID_Z_EN: 0
; COMPUTE_PGM_RSRC2:TIDIG_COMP_CNT: 0
	.section	.text._Z39paged_attention_ll4mi_QKV_mfma16_kernelIDF16_DF16_LN4vllm18Fp8KVCacheDataTypeE0EhLi16ELi64ELi256ELb1ELi12EEvPKT_PKT0_S7_ifPKiS9_S9_iPKfiiiPfSC_PS2_PT2_iSB_SB_,"axG",@progbits,_Z39paged_attention_ll4mi_QKV_mfma16_kernelIDF16_DF16_LN4vllm18Fp8KVCacheDataTypeE0EhLi16ELi64ELi256ELb1ELi12EEvPKT_PKT0_S7_ifPKiS9_S9_iPKfiiiPfSC_PS2_PT2_iSB_SB_,comdat
	.protected	_Z39paged_attention_ll4mi_QKV_mfma16_kernelIDF16_DF16_LN4vllm18Fp8KVCacheDataTypeE0EhLi16ELi64ELi256ELb1ELi12EEvPKT_PKT0_S7_ifPKiS9_S9_iPKfiiiPfSC_PS2_PT2_iSB_SB_ ; -- Begin function _Z39paged_attention_ll4mi_QKV_mfma16_kernelIDF16_DF16_LN4vllm18Fp8KVCacheDataTypeE0EhLi16ELi64ELi256ELb1ELi12EEvPKT_PKT0_S7_ifPKiS9_S9_iPKfiiiPfSC_PS2_PT2_iSB_SB_
	.globl	_Z39paged_attention_ll4mi_QKV_mfma16_kernelIDF16_DF16_LN4vllm18Fp8KVCacheDataTypeE0EhLi16ELi64ELi256ELb1ELi12EEvPKT_PKT0_S7_ifPKiS9_S9_iPKfiiiPfSC_PS2_PT2_iSB_SB_
	.p2align	8
	.type	_Z39paged_attention_ll4mi_QKV_mfma16_kernelIDF16_DF16_LN4vllm18Fp8KVCacheDataTypeE0EhLi16ELi64ELi256ELb1ELi12EEvPKT_PKT0_S7_ifPKiS9_S9_iPKfiiiPfSC_PS2_PT2_iSB_SB_,@function
_Z39paged_attention_ll4mi_QKV_mfma16_kernelIDF16_DF16_LN4vllm18Fp8KVCacheDataTypeE0EhLi16ELi64ELi256ELb1ELi12EEvPKT_PKT0_S7_ifPKiS9_S9_iPKfiiiPfSC_PS2_PT2_iSB_SB_: ; @_Z39paged_attention_ll4mi_QKV_mfma16_kernelIDF16_DF16_LN4vllm18Fp8KVCacheDataTypeE0EhLi16ELi64ELi256ELb1ELi12EEvPKT_PKT0_S7_ifPKiS9_S9_iPKfiiiPfSC_PS2_PT2_iSB_SB_
; %bb.0:
	s_get_pc_i64 s[2:3]
	s_add_nc_u64 s[2:3], s[2:3], __PRETTY_FUNCTION__._Z39paged_attention_ll4mi_QKV_mfma16_kernelIDF16_DF16_LN4vllm18Fp8KVCacheDataTypeE0EhLi16ELi64ELi256ELb1ELi12EEvPKT_PKT0_S7_ifPKiS9_S9_iPKfiiiPfSC_PS2_PT2_iSB_SB_@rel64+4
	s_delay_alu instid0(SALU_CYCLE_1)
	v_dual_mov_b32 v0, 0xbb3 :: v_dual_mov_b32 v1, s2
	v_mov_b32_e32 v2, s3
	s_add_nc_u64 s[8:9], s[0:1], 0x90
	s_get_pc_i64 s[0:1]
	s_add_nc_u64 s[0:1], s[0:1], __assert_fail@rel64+4
	s_mov_b32 s32, 0
	s_swap_pc_i64 s[30:31], s[0:1]
	.section	.rodata,"a",@progbits
	.p2align	6, 0x0
	.amdhsa_kernel _Z39paged_attention_ll4mi_QKV_mfma16_kernelIDF16_DF16_LN4vllm18Fp8KVCacheDataTypeE0EhLi16ELi64ELi256ELb1ELi12EEvPKT_PKT0_S7_ifPKiS9_S9_iPKfiiiPfSC_PS2_PT2_iSB_SB_
		.amdhsa_group_segment_fixed_size 0
		.amdhsa_private_segment_fixed_size 64
		.amdhsa_kernarg_size 400
		.amdhsa_user_sgpr_count 2
		.amdhsa_user_sgpr_dispatch_ptr 0
		.amdhsa_user_sgpr_queue_ptr 0
		.amdhsa_user_sgpr_kernarg_segment_ptr 1
		.amdhsa_user_sgpr_dispatch_id 0
		.amdhsa_user_sgpr_kernarg_preload_length 0
		.amdhsa_user_sgpr_kernarg_preload_offset 0
		.amdhsa_user_sgpr_private_segment_size 0
		.amdhsa_wavefront_size32 1
		.amdhsa_uses_dynamic_stack 0
		.amdhsa_enable_private_segment 1
		.amdhsa_system_sgpr_workgroup_id_x 1
		.amdhsa_system_sgpr_workgroup_id_y 0
		.amdhsa_system_sgpr_workgroup_id_z 0
		.amdhsa_system_sgpr_workgroup_info 0
		.amdhsa_system_vgpr_workitem_id 0
		.amdhsa_next_free_vgpr 51
		.amdhsa_next_free_sgpr 34
		.amdhsa_named_barrier_count 0
		.amdhsa_reserve_vcc 1
		.amdhsa_float_round_mode_32 0
		.amdhsa_float_round_mode_16_64 0
		.amdhsa_float_denorm_mode_32 3
		.amdhsa_float_denorm_mode_16_64 3
		.amdhsa_fp16_overflow 0
		.amdhsa_memory_ordered 1
		.amdhsa_forward_progress 1
		.amdhsa_inst_pref_size 1
		.amdhsa_round_robin_scheduling 0
		.amdhsa_exception_fp_ieee_invalid_op 0
		.amdhsa_exception_fp_denorm_src 0
		.amdhsa_exception_fp_ieee_div_zero 0
		.amdhsa_exception_fp_ieee_overflow 0
		.amdhsa_exception_fp_ieee_underflow 0
		.amdhsa_exception_fp_ieee_inexact 0
		.amdhsa_exception_int_div_zero 0
	.end_amdhsa_kernel
	.section	.text._Z39paged_attention_ll4mi_QKV_mfma16_kernelIDF16_DF16_LN4vllm18Fp8KVCacheDataTypeE0EhLi16ELi64ELi256ELb1ELi12EEvPKT_PKT0_S7_ifPKiS9_S9_iPKfiiiPfSC_PS2_PT2_iSB_SB_,"axG",@progbits,_Z39paged_attention_ll4mi_QKV_mfma16_kernelIDF16_DF16_LN4vllm18Fp8KVCacheDataTypeE0EhLi16ELi64ELi256ELb1ELi12EEvPKT_PKT0_S7_ifPKiS9_S9_iPKfiiiPfSC_PS2_PT2_iSB_SB_,comdat
.Lfunc_end13:
	.size	_Z39paged_attention_ll4mi_QKV_mfma16_kernelIDF16_DF16_LN4vllm18Fp8KVCacheDataTypeE0EhLi16ELi64ELi256ELb1ELi12EEvPKT_PKT0_S7_ifPKiS9_S9_iPKfiiiPfSC_PS2_PT2_iSB_SB_, .Lfunc_end13-_Z39paged_attention_ll4mi_QKV_mfma16_kernelIDF16_DF16_LN4vllm18Fp8KVCacheDataTypeE0EhLi16ELi64ELi256ELb1ELi12EEvPKT_PKT0_S7_ifPKiS9_S9_iPKfiiiPfSC_PS2_PT2_iSB_SB_
                                        ; -- End function
	.set _Z39paged_attention_ll4mi_QKV_mfma16_kernelIDF16_DF16_LN4vllm18Fp8KVCacheDataTypeE0EhLi16ELi64ELi256ELb1ELi12EEvPKT_PKT0_S7_ifPKiS9_S9_iPKfiiiPfSC_PS2_PT2_iSB_SB_.num_vgpr, max(3, .L__assert_fail.num_vgpr)
	.set _Z39paged_attention_ll4mi_QKV_mfma16_kernelIDF16_DF16_LN4vllm18Fp8KVCacheDataTypeE0EhLi16ELi64ELi256ELb1ELi12EEvPKT_PKT0_S7_ifPKiS9_S9_iPKfiiiPfSC_PS2_PT2_iSB_SB_.num_agpr, max(0, .L__assert_fail.num_agpr)
	.set _Z39paged_attention_ll4mi_QKV_mfma16_kernelIDF16_DF16_LN4vllm18Fp8KVCacheDataTypeE0EhLi16ELi64ELi256ELb1ELi12EEvPKT_PKT0_S7_ifPKiS9_S9_iPKfiiiPfSC_PS2_PT2_iSB_SB_.numbered_sgpr, max(33, .L__assert_fail.numbered_sgpr)
	.set _Z39paged_attention_ll4mi_QKV_mfma16_kernelIDF16_DF16_LN4vllm18Fp8KVCacheDataTypeE0EhLi16ELi64ELi256ELb1ELi12EEvPKT_PKT0_S7_ifPKiS9_S9_iPKfiiiPfSC_PS2_PT2_iSB_SB_.num_named_barrier, max(0, .L__assert_fail.num_named_barrier)
	.set _Z39paged_attention_ll4mi_QKV_mfma16_kernelIDF16_DF16_LN4vllm18Fp8KVCacheDataTypeE0EhLi16ELi64ELi256ELb1ELi12EEvPKT_PKT0_S7_ifPKiS9_S9_iPKfiiiPfSC_PS2_PT2_iSB_SB_.private_seg_size, 0+max(.L__assert_fail.private_seg_size)
	.set _Z39paged_attention_ll4mi_QKV_mfma16_kernelIDF16_DF16_LN4vllm18Fp8KVCacheDataTypeE0EhLi16ELi64ELi256ELb1ELi12EEvPKT_PKT0_S7_ifPKiS9_S9_iPKfiiiPfSC_PS2_PT2_iSB_SB_.uses_vcc, or(1, .L__assert_fail.uses_vcc)
	.set _Z39paged_attention_ll4mi_QKV_mfma16_kernelIDF16_DF16_LN4vllm18Fp8KVCacheDataTypeE0EhLi16ELi64ELi256ELb1ELi12EEvPKT_PKT0_S7_ifPKiS9_S9_iPKfiiiPfSC_PS2_PT2_iSB_SB_.uses_flat_scratch, or(0, .L__assert_fail.uses_flat_scratch)
	.set _Z39paged_attention_ll4mi_QKV_mfma16_kernelIDF16_DF16_LN4vllm18Fp8KVCacheDataTypeE0EhLi16ELi64ELi256ELb1ELi12EEvPKT_PKT0_S7_ifPKiS9_S9_iPKfiiiPfSC_PS2_PT2_iSB_SB_.has_dyn_sized_stack, or(0, .L__assert_fail.has_dyn_sized_stack)
	.set _Z39paged_attention_ll4mi_QKV_mfma16_kernelIDF16_DF16_LN4vllm18Fp8KVCacheDataTypeE0EhLi16ELi64ELi256ELb1ELi12EEvPKT_PKT0_S7_ifPKiS9_S9_iPKfiiiPfSC_PS2_PT2_iSB_SB_.has_recursion, or(0, .L__assert_fail.has_recursion)
	.set _Z39paged_attention_ll4mi_QKV_mfma16_kernelIDF16_DF16_LN4vllm18Fp8KVCacheDataTypeE0EhLi16ELi64ELi256ELb1ELi12EEvPKT_PKT0_S7_ifPKiS9_S9_iPKfiiiPfSC_PS2_PT2_iSB_SB_.has_indirect_call, or(0, .L__assert_fail.has_indirect_call)
	.section	.AMDGPU.csdata,"",@progbits
; Kernel info:
; codeLenInByte = 68
; TotalNumSgprs: 36
; NumVgprs: 51
; ScratchSize: 64
; MemoryBound: 0
; FloatMode: 240
; IeeeMode: 1
; LDSByteSize: 0 bytes/workgroup (compile time only)
; SGPRBlocks: 0
; VGPRBlocks: 3
; NumSGPRsForWavesPerEU: 36
; NumVGPRsForWavesPerEU: 51
; NamedBarCnt: 0
; Occupancy: 16
; WaveLimiterHint : 1
; COMPUTE_PGM_RSRC2:SCRATCH_EN: 1
; COMPUTE_PGM_RSRC2:USER_SGPR: 2
; COMPUTE_PGM_RSRC2:TRAP_HANDLER: 0
; COMPUTE_PGM_RSRC2:TGID_X_EN: 1
; COMPUTE_PGM_RSRC2:TGID_Y_EN: 0
; COMPUTE_PGM_RSRC2:TGID_Z_EN: 0
; COMPUTE_PGM_RSRC2:TIDIG_COMP_CNT: 0
	.section	.text._Z39paged_attention_ll4mi_QKV_mfma16_kernelIDF16_DF16_LN4vllm18Fp8KVCacheDataTypeE0EhLi16ELi64ELi256ELb1ELi13EEvPKT_PKT0_S7_ifPKiS9_S9_iPKfiiiPfSC_PS2_PT2_iSB_SB_,"axG",@progbits,_Z39paged_attention_ll4mi_QKV_mfma16_kernelIDF16_DF16_LN4vllm18Fp8KVCacheDataTypeE0EhLi16ELi64ELi256ELb1ELi13EEvPKT_PKT0_S7_ifPKiS9_S9_iPKfiiiPfSC_PS2_PT2_iSB_SB_,comdat
	.protected	_Z39paged_attention_ll4mi_QKV_mfma16_kernelIDF16_DF16_LN4vllm18Fp8KVCacheDataTypeE0EhLi16ELi64ELi256ELb1ELi13EEvPKT_PKT0_S7_ifPKiS9_S9_iPKfiiiPfSC_PS2_PT2_iSB_SB_ ; -- Begin function _Z39paged_attention_ll4mi_QKV_mfma16_kernelIDF16_DF16_LN4vllm18Fp8KVCacheDataTypeE0EhLi16ELi64ELi256ELb1ELi13EEvPKT_PKT0_S7_ifPKiS9_S9_iPKfiiiPfSC_PS2_PT2_iSB_SB_
	.globl	_Z39paged_attention_ll4mi_QKV_mfma16_kernelIDF16_DF16_LN4vllm18Fp8KVCacheDataTypeE0EhLi16ELi64ELi256ELb1ELi13EEvPKT_PKT0_S7_ifPKiS9_S9_iPKfiiiPfSC_PS2_PT2_iSB_SB_
	.p2align	8
	.type	_Z39paged_attention_ll4mi_QKV_mfma16_kernelIDF16_DF16_LN4vllm18Fp8KVCacheDataTypeE0EhLi16ELi64ELi256ELb1ELi13EEvPKT_PKT0_S7_ifPKiS9_S9_iPKfiiiPfSC_PS2_PT2_iSB_SB_,@function
_Z39paged_attention_ll4mi_QKV_mfma16_kernelIDF16_DF16_LN4vllm18Fp8KVCacheDataTypeE0EhLi16ELi64ELi256ELb1ELi13EEvPKT_PKT0_S7_ifPKiS9_S9_iPKfiiiPfSC_PS2_PT2_iSB_SB_: ; @_Z39paged_attention_ll4mi_QKV_mfma16_kernelIDF16_DF16_LN4vllm18Fp8KVCacheDataTypeE0EhLi16ELi64ELi256ELb1ELi13EEvPKT_PKT0_S7_ifPKiS9_S9_iPKfiiiPfSC_PS2_PT2_iSB_SB_
; %bb.0:
	s_get_pc_i64 s[2:3]
	s_add_nc_u64 s[2:3], s[2:3], __PRETTY_FUNCTION__._Z39paged_attention_ll4mi_QKV_mfma16_kernelIDF16_DF16_LN4vllm18Fp8KVCacheDataTypeE0EhLi16ELi64ELi256ELb1ELi13EEvPKT_PKT0_S7_ifPKiS9_S9_iPKfiiiPfSC_PS2_PT2_iSB_SB_@rel64+4
	s_delay_alu instid0(SALU_CYCLE_1)
	v_dual_mov_b32 v0, 0xbb3 :: v_dual_mov_b32 v1, s2
	v_mov_b32_e32 v2, s3
	s_add_nc_u64 s[8:9], s[0:1], 0x90
	s_get_pc_i64 s[0:1]
	s_add_nc_u64 s[0:1], s[0:1], __assert_fail@rel64+4
	s_mov_b32 s32, 0
	s_swap_pc_i64 s[30:31], s[0:1]
	.section	.rodata,"a",@progbits
	.p2align	6, 0x0
	.amdhsa_kernel _Z39paged_attention_ll4mi_QKV_mfma16_kernelIDF16_DF16_LN4vllm18Fp8KVCacheDataTypeE0EhLi16ELi64ELi256ELb1ELi13EEvPKT_PKT0_S7_ifPKiS9_S9_iPKfiiiPfSC_PS2_PT2_iSB_SB_
		.amdhsa_group_segment_fixed_size 0
		.amdhsa_private_segment_fixed_size 64
		.amdhsa_kernarg_size 400
		.amdhsa_user_sgpr_count 2
		.amdhsa_user_sgpr_dispatch_ptr 0
		.amdhsa_user_sgpr_queue_ptr 0
		.amdhsa_user_sgpr_kernarg_segment_ptr 1
		.amdhsa_user_sgpr_dispatch_id 0
		.amdhsa_user_sgpr_kernarg_preload_length 0
		.amdhsa_user_sgpr_kernarg_preload_offset 0
		.amdhsa_user_sgpr_private_segment_size 0
		.amdhsa_wavefront_size32 1
		.amdhsa_uses_dynamic_stack 0
		.amdhsa_enable_private_segment 1
		.amdhsa_system_sgpr_workgroup_id_x 1
		.amdhsa_system_sgpr_workgroup_id_y 0
		.amdhsa_system_sgpr_workgroup_id_z 0
		.amdhsa_system_sgpr_workgroup_info 0
		.amdhsa_system_vgpr_workitem_id 0
		.amdhsa_next_free_vgpr 51
		.amdhsa_next_free_sgpr 34
		.amdhsa_named_barrier_count 0
		.amdhsa_reserve_vcc 1
		.amdhsa_float_round_mode_32 0
		.amdhsa_float_round_mode_16_64 0
		.amdhsa_float_denorm_mode_32 3
		.amdhsa_float_denorm_mode_16_64 3
		.amdhsa_fp16_overflow 0
		.amdhsa_memory_ordered 1
		.amdhsa_forward_progress 1
		.amdhsa_inst_pref_size 1
		.amdhsa_round_robin_scheduling 0
		.amdhsa_exception_fp_ieee_invalid_op 0
		.amdhsa_exception_fp_denorm_src 0
		.amdhsa_exception_fp_ieee_div_zero 0
		.amdhsa_exception_fp_ieee_overflow 0
		.amdhsa_exception_fp_ieee_underflow 0
		.amdhsa_exception_fp_ieee_inexact 0
		.amdhsa_exception_int_div_zero 0
	.end_amdhsa_kernel
	.section	.text._Z39paged_attention_ll4mi_QKV_mfma16_kernelIDF16_DF16_LN4vllm18Fp8KVCacheDataTypeE0EhLi16ELi64ELi256ELb1ELi13EEvPKT_PKT0_S7_ifPKiS9_S9_iPKfiiiPfSC_PS2_PT2_iSB_SB_,"axG",@progbits,_Z39paged_attention_ll4mi_QKV_mfma16_kernelIDF16_DF16_LN4vllm18Fp8KVCacheDataTypeE0EhLi16ELi64ELi256ELb1ELi13EEvPKT_PKT0_S7_ifPKiS9_S9_iPKfiiiPfSC_PS2_PT2_iSB_SB_,comdat
.Lfunc_end14:
	.size	_Z39paged_attention_ll4mi_QKV_mfma16_kernelIDF16_DF16_LN4vllm18Fp8KVCacheDataTypeE0EhLi16ELi64ELi256ELb1ELi13EEvPKT_PKT0_S7_ifPKiS9_S9_iPKfiiiPfSC_PS2_PT2_iSB_SB_, .Lfunc_end14-_Z39paged_attention_ll4mi_QKV_mfma16_kernelIDF16_DF16_LN4vllm18Fp8KVCacheDataTypeE0EhLi16ELi64ELi256ELb1ELi13EEvPKT_PKT0_S7_ifPKiS9_S9_iPKfiiiPfSC_PS2_PT2_iSB_SB_
                                        ; -- End function
	.set _Z39paged_attention_ll4mi_QKV_mfma16_kernelIDF16_DF16_LN4vllm18Fp8KVCacheDataTypeE0EhLi16ELi64ELi256ELb1ELi13EEvPKT_PKT0_S7_ifPKiS9_S9_iPKfiiiPfSC_PS2_PT2_iSB_SB_.num_vgpr, max(3, .L__assert_fail.num_vgpr)
	.set _Z39paged_attention_ll4mi_QKV_mfma16_kernelIDF16_DF16_LN4vllm18Fp8KVCacheDataTypeE0EhLi16ELi64ELi256ELb1ELi13EEvPKT_PKT0_S7_ifPKiS9_S9_iPKfiiiPfSC_PS2_PT2_iSB_SB_.num_agpr, max(0, .L__assert_fail.num_agpr)
	.set _Z39paged_attention_ll4mi_QKV_mfma16_kernelIDF16_DF16_LN4vllm18Fp8KVCacheDataTypeE0EhLi16ELi64ELi256ELb1ELi13EEvPKT_PKT0_S7_ifPKiS9_S9_iPKfiiiPfSC_PS2_PT2_iSB_SB_.numbered_sgpr, max(33, .L__assert_fail.numbered_sgpr)
	.set _Z39paged_attention_ll4mi_QKV_mfma16_kernelIDF16_DF16_LN4vllm18Fp8KVCacheDataTypeE0EhLi16ELi64ELi256ELb1ELi13EEvPKT_PKT0_S7_ifPKiS9_S9_iPKfiiiPfSC_PS2_PT2_iSB_SB_.num_named_barrier, max(0, .L__assert_fail.num_named_barrier)
	.set _Z39paged_attention_ll4mi_QKV_mfma16_kernelIDF16_DF16_LN4vllm18Fp8KVCacheDataTypeE0EhLi16ELi64ELi256ELb1ELi13EEvPKT_PKT0_S7_ifPKiS9_S9_iPKfiiiPfSC_PS2_PT2_iSB_SB_.private_seg_size, 0+max(.L__assert_fail.private_seg_size)
	.set _Z39paged_attention_ll4mi_QKV_mfma16_kernelIDF16_DF16_LN4vllm18Fp8KVCacheDataTypeE0EhLi16ELi64ELi256ELb1ELi13EEvPKT_PKT0_S7_ifPKiS9_S9_iPKfiiiPfSC_PS2_PT2_iSB_SB_.uses_vcc, or(1, .L__assert_fail.uses_vcc)
	.set _Z39paged_attention_ll4mi_QKV_mfma16_kernelIDF16_DF16_LN4vllm18Fp8KVCacheDataTypeE0EhLi16ELi64ELi256ELb1ELi13EEvPKT_PKT0_S7_ifPKiS9_S9_iPKfiiiPfSC_PS2_PT2_iSB_SB_.uses_flat_scratch, or(0, .L__assert_fail.uses_flat_scratch)
	.set _Z39paged_attention_ll4mi_QKV_mfma16_kernelIDF16_DF16_LN4vllm18Fp8KVCacheDataTypeE0EhLi16ELi64ELi256ELb1ELi13EEvPKT_PKT0_S7_ifPKiS9_S9_iPKfiiiPfSC_PS2_PT2_iSB_SB_.has_dyn_sized_stack, or(0, .L__assert_fail.has_dyn_sized_stack)
	.set _Z39paged_attention_ll4mi_QKV_mfma16_kernelIDF16_DF16_LN4vllm18Fp8KVCacheDataTypeE0EhLi16ELi64ELi256ELb1ELi13EEvPKT_PKT0_S7_ifPKiS9_S9_iPKfiiiPfSC_PS2_PT2_iSB_SB_.has_recursion, or(0, .L__assert_fail.has_recursion)
	.set _Z39paged_attention_ll4mi_QKV_mfma16_kernelIDF16_DF16_LN4vllm18Fp8KVCacheDataTypeE0EhLi16ELi64ELi256ELb1ELi13EEvPKT_PKT0_S7_ifPKiS9_S9_iPKfiiiPfSC_PS2_PT2_iSB_SB_.has_indirect_call, or(0, .L__assert_fail.has_indirect_call)
	.section	.AMDGPU.csdata,"",@progbits
; Kernel info:
; codeLenInByte = 68
; TotalNumSgprs: 36
; NumVgprs: 51
; ScratchSize: 64
; MemoryBound: 0
; FloatMode: 240
; IeeeMode: 1
; LDSByteSize: 0 bytes/workgroup (compile time only)
; SGPRBlocks: 0
; VGPRBlocks: 3
; NumSGPRsForWavesPerEU: 36
; NumVGPRsForWavesPerEU: 51
; NamedBarCnt: 0
; Occupancy: 16
; WaveLimiterHint : 1
; COMPUTE_PGM_RSRC2:SCRATCH_EN: 1
; COMPUTE_PGM_RSRC2:USER_SGPR: 2
; COMPUTE_PGM_RSRC2:TRAP_HANDLER: 0
; COMPUTE_PGM_RSRC2:TGID_X_EN: 1
; COMPUTE_PGM_RSRC2:TGID_Y_EN: 0
; COMPUTE_PGM_RSRC2:TGID_Z_EN: 0
; COMPUTE_PGM_RSRC2:TIDIG_COMP_CNT: 0
	.section	.text._Z39paged_attention_ll4mi_QKV_mfma16_kernelIDF16_DF16_LN4vllm18Fp8KVCacheDataTypeE0EhLi16ELi64ELi256ELb1ELi14EEvPKT_PKT0_S7_ifPKiS9_S9_iPKfiiiPfSC_PS2_PT2_iSB_SB_,"axG",@progbits,_Z39paged_attention_ll4mi_QKV_mfma16_kernelIDF16_DF16_LN4vllm18Fp8KVCacheDataTypeE0EhLi16ELi64ELi256ELb1ELi14EEvPKT_PKT0_S7_ifPKiS9_S9_iPKfiiiPfSC_PS2_PT2_iSB_SB_,comdat
	.protected	_Z39paged_attention_ll4mi_QKV_mfma16_kernelIDF16_DF16_LN4vllm18Fp8KVCacheDataTypeE0EhLi16ELi64ELi256ELb1ELi14EEvPKT_PKT0_S7_ifPKiS9_S9_iPKfiiiPfSC_PS2_PT2_iSB_SB_ ; -- Begin function _Z39paged_attention_ll4mi_QKV_mfma16_kernelIDF16_DF16_LN4vllm18Fp8KVCacheDataTypeE0EhLi16ELi64ELi256ELb1ELi14EEvPKT_PKT0_S7_ifPKiS9_S9_iPKfiiiPfSC_PS2_PT2_iSB_SB_
	.globl	_Z39paged_attention_ll4mi_QKV_mfma16_kernelIDF16_DF16_LN4vllm18Fp8KVCacheDataTypeE0EhLi16ELi64ELi256ELb1ELi14EEvPKT_PKT0_S7_ifPKiS9_S9_iPKfiiiPfSC_PS2_PT2_iSB_SB_
	.p2align	8
	.type	_Z39paged_attention_ll4mi_QKV_mfma16_kernelIDF16_DF16_LN4vllm18Fp8KVCacheDataTypeE0EhLi16ELi64ELi256ELb1ELi14EEvPKT_PKT0_S7_ifPKiS9_S9_iPKfiiiPfSC_PS2_PT2_iSB_SB_,@function
_Z39paged_attention_ll4mi_QKV_mfma16_kernelIDF16_DF16_LN4vllm18Fp8KVCacheDataTypeE0EhLi16ELi64ELi256ELb1ELi14EEvPKT_PKT0_S7_ifPKiS9_S9_iPKfiiiPfSC_PS2_PT2_iSB_SB_: ; @_Z39paged_attention_ll4mi_QKV_mfma16_kernelIDF16_DF16_LN4vllm18Fp8KVCacheDataTypeE0EhLi16ELi64ELi256ELb1ELi14EEvPKT_PKT0_S7_ifPKiS9_S9_iPKfiiiPfSC_PS2_PT2_iSB_SB_
; %bb.0:
	s_get_pc_i64 s[2:3]
	s_add_nc_u64 s[2:3], s[2:3], __PRETTY_FUNCTION__._Z39paged_attention_ll4mi_QKV_mfma16_kernelIDF16_DF16_LN4vllm18Fp8KVCacheDataTypeE0EhLi16ELi64ELi256ELb1ELi14EEvPKT_PKT0_S7_ifPKiS9_S9_iPKfiiiPfSC_PS2_PT2_iSB_SB_@rel64+4
	s_delay_alu instid0(SALU_CYCLE_1)
	v_dual_mov_b32 v0, 0xbb3 :: v_dual_mov_b32 v1, s2
	v_mov_b32_e32 v2, s3
	s_add_nc_u64 s[8:9], s[0:1], 0x90
	s_get_pc_i64 s[0:1]
	s_add_nc_u64 s[0:1], s[0:1], __assert_fail@rel64+4
	s_mov_b32 s32, 0
	s_swap_pc_i64 s[30:31], s[0:1]
	.section	.rodata,"a",@progbits
	.p2align	6, 0x0
	.amdhsa_kernel _Z39paged_attention_ll4mi_QKV_mfma16_kernelIDF16_DF16_LN4vllm18Fp8KVCacheDataTypeE0EhLi16ELi64ELi256ELb1ELi14EEvPKT_PKT0_S7_ifPKiS9_S9_iPKfiiiPfSC_PS2_PT2_iSB_SB_
		.amdhsa_group_segment_fixed_size 0
		.amdhsa_private_segment_fixed_size 64
		.amdhsa_kernarg_size 400
		.amdhsa_user_sgpr_count 2
		.amdhsa_user_sgpr_dispatch_ptr 0
		.amdhsa_user_sgpr_queue_ptr 0
		.amdhsa_user_sgpr_kernarg_segment_ptr 1
		.amdhsa_user_sgpr_dispatch_id 0
		.amdhsa_user_sgpr_kernarg_preload_length 0
		.amdhsa_user_sgpr_kernarg_preload_offset 0
		.amdhsa_user_sgpr_private_segment_size 0
		.amdhsa_wavefront_size32 1
		.amdhsa_uses_dynamic_stack 0
		.amdhsa_enable_private_segment 1
		.amdhsa_system_sgpr_workgroup_id_x 1
		.amdhsa_system_sgpr_workgroup_id_y 0
		.amdhsa_system_sgpr_workgroup_id_z 0
		.amdhsa_system_sgpr_workgroup_info 0
		.amdhsa_system_vgpr_workitem_id 0
		.amdhsa_next_free_vgpr 51
		.amdhsa_next_free_sgpr 34
		.amdhsa_named_barrier_count 0
		.amdhsa_reserve_vcc 1
		.amdhsa_float_round_mode_32 0
		.amdhsa_float_round_mode_16_64 0
		.amdhsa_float_denorm_mode_32 3
		.amdhsa_float_denorm_mode_16_64 3
		.amdhsa_fp16_overflow 0
		.amdhsa_memory_ordered 1
		.amdhsa_forward_progress 1
		.amdhsa_inst_pref_size 1
		.amdhsa_round_robin_scheduling 0
		.amdhsa_exception_fp_ieee_invalid_op 0
		.amdhsa_exception_fp_denorm_src 0
		.amdhsa_exception_fp_ieee_div_zero 0
		.amdhsa_exception_fp_ieee_overflow 0
		.amdhsa_exception_fp_ieee_underflow 0
		.amdhsa_exception_fp_ieee_inexact 0
		.amdhsa_exception_int_div_zero 0
	.end_amdhsa_kernel
	.section	.text._Z39paged_attention_ll4mi_QKV_mfma16_kernelIDF16_DF16_LN4vllm18Fp8KVCacheDataTypeE0EhLi16ELi64ELi256ELb1ELi14EEvPKT_PKT0_S7_ifPKiS9_S9_iPKfiiiPfSC_PS2_PT2_iSB_SB_,"axG",@progbits,_Z39paged_attention_ll4mi_QKV_mfma16_kernelIDF16_DF16_LN4vllm18Fp8KVCacheDataTypeE0EhLi16ELi64ELi256ELb1ELi14EEvPKT_PKT0_S7_ifPKiS9_S9_iPKfiiiPfSC_PS2_PT2_iSB_SB_,comdat
.Lfunc_end15:
	.size	_Z39paged_attention_ll4mi_QKV_mfma16_kernelIDF16_DF16_LN4vllm18Fp8KVCacheDataTypeE0EhLi16ELi64ELi256ELb1ELi14EEvPKT_PKT0_S7_ifPKiS9_S9_iPKfiiiPfSC_PS2_PT2_iSB_SB_, .Lfunc_end15-_Z39paged_attention_ll4mi_QKV_mfma16_kernelIDF16_DF16_LN4vllm18Fp8KVCacheDataTypeE0EhLi16ELi64ELi256ELb1ELi14EEvPKT_PKT0_S7_ifPKiS9_S9_iPKfiiiPfSC_PS2_PT2_iSB_SB_
                                        ; -- End function
	.set _Z39paged_attention_ll4mi_QKV_mfma16_kernelIDF16_DF16_LN4vllm18Fp8KVCacheDataTypeE0EhLi16ELi64ELi256ELb1ELi14EEvPKT_PKT0_S7_ifPKiS9_S9_iPKfiiiPfSC_PS2_PT2_iSB_SB_.num_vgpr, max(3, .L__assert_fail.num_vgpr)
	.set _Z39paged_attention_ll4mi_QKV_mfma16_kernelIDF16_DF16_LN4vllm18Fp8KVCacheDataTypeE0EhLi16ELi64ELi256ELb1ELi14EEvPKT_PKT0_S7_ifPKiS9_S9_iPKfiiiPfSC_PS2_PT2_iSB_SB_.num_agpr, max(0, .L__assert_fail.num_agpr)
	.set _Z39paged_attention_ll4mi_QKV_mfma16_kernelIDF16_DF16_LN4vllm18Fp8KVCacheDataTypeE0EhLi16ELi64ELi256ELb1ELi14EEvPKT_PKT0_S7_ifPKiS9_S9_iPKfiiiPfSC_PS2_PT2_iSB_SB_.numbered_sgpr, max(33, .L__assert_fail.numbered_sgpr)
	.set _Z39paged_attention_ll4mi_QKV_mfma16_kernelIDF16_DF16_LN4vllm18Fp8KVCacheDataTypeE0EhLi16ELi64ELi256ELb1ELi14EEvPKT_PKT0_S7_ifPKiS9_S9_iPKfiiiPfSC_PS2_PT2_iSB_SB_.num_named_barrier, max(0, .L__assert_fail.num_named_barrier)
	.set _Z39paged_attention_ll4mi_QKV_mfma16_kernelIDF16_DF16_LN4vllm18Fp8KVCacheDataTypeE0EhLi16ELi64ELi256ELb1ELi14EEvPKT_PKT0_S7_ifPKiS9_S9_iPKfiiiPfSC_PS2_PT2_iSB_SB_.private_seg_size, 0+max(.L__assert_fail.private_seg_size)
	.set _Z39paged_attention_ll4mi_QKV_mfma16_kernelIDF16_DF16_LN4vllm18Fp8KVCacheDataTypeE0EhLi16ELi64ELi256ELb1ELi14EEvPKT_PKT0_S7_ifPKiS9_S9_iPKfiiiPfSC_PS2_PT2_iSB_SB_.uses_vcc, or(1, .L__assert_fail.uses_vcc)
	.set _Z39paged_attention_ll4mi_QKV_mfma16_kernelIDF16_DF16_LN4vllm18Fp8KVCacheDataTypeE0EhLi16ELi64ELi256ELb1ELi14EEvPKT_PKT0_S7_ifPKiS9_S9_iPKfiiiPfSC_PS2_PT2_iSB_SB_.uses_flat_scratch, or(0, .L__assert_fail.uses_flat_scratch)
	.set _Z39paged_attention_ll4mi_QKV_mfma16_kernelIDF16_DF16_LN4vllm18Fp8KVCacheDataTypeE0EhLi16ELi64ELi256ELb1ELi14EEvPKT_PKT0_S7_ifPKiS9_S9_iPKfiiiPfSC_PS2_PT2_iSB_SB_.has_dyn_sized_stack, or(0, .L__assert_fail.has_dyn_sized_stack)
	.set _Z39paged_attention_ll4mi_QKV_mfma16_kernelIDF16_DF16_LN4vllm18Fp8KVCacheDataTypeE0EhLi16ELi64ELi256ELb1ELi14EEvPKT_PKT0_S7_ifPKiS9_S9_iPKfiiiPfSC_PS2_PT2_iSB_SB_.has_recursion, or(0, .L__assert_fail.has_recursion)
	.set _Z39paged_attention_ll4mi_QKV_mfma16_kernelIDF16_DF16_LN4vllm18Fp8KVCacheDataTypeE0EhLi16ELi64ELi256ELb1ELi14EEvPKT_PKT0_S7_ifPKiS9_S9_iPKfiiiPfSC_PS2_PT2_iSB_SB_.has_indirect_call, or(0, .L__assert_fail.has_indirect_call)
	.section	.AMDGPU.csdata,"",@progbits
; Kernel info:
; codeLenInByte = 68
; TotalNumSgprs: 36
; NumVgprs: 51
; ScratchSize: 64
; MemoryBound: 0
; FloatMode: 240
; IeeeMode: 1
; LDSByteSize: 0 bytes/workgroup (compile time only)
; SGPRBlocks: 0
; VGPRBlocks: 3
; NumSGPRsForWavesPerEU: 36
; NumVGPRsForWavesPerEU: 51
; NamedBarCnt: 0
; Occupancy: 16
; WaveLimiterHint : 1
; COMPUTE_PGM_RSRC2:SCRATCH_EN: 1
; COMPUTE_PGM_RSRC2:USER_SGPR: 2
; COMPUTE_PGM_RSRC2:TRAP_HANDLER: 0
; COMPUTE_PGM_RSRC2:TGID_X_EN: 1
; COMPUTE_PGM_RSRC2:TGID_Y_EN: 0
; COMPUTE_PGM_RSRC2:TGID_Z_EN: 0
; COMPUTE_PGM_RSRC2:TIDIG_COMP_CNT: 0
	.section	.text._Z39paged_attention_ll4mi_QKV_mfma16_kernelIDF16_DF16_LN4vllm18Fp8KVCacheDataTypeE0EhLi16ELi64ELi256ELb1ELi15EEvPKT_PKT0_S7_ifPKiS9_S9_iPKfiiiPfSC_PS2_PT2_iSB_SB_,"axG",@progbits,_Z39paged_attention_ll4mi_QKV_mfma16_kernelIDF16_DF16_LN4vllm18Fp8KVCacheDataTypeE0EhLi16ELi64ELi256ELb1ELi15EEvPKT_PKT0_S7_ifPKiS9_S9_iPKfiiiPfSC_PS2_PT2_iSB_SB_,comdat
	.protected	_Z39paged_attention_ll4mi_QKV_mfma16_kernelIDF16_DF16_LN4vllm18Fp8KVCacheDataTypeE0EhLi16ELi64ELi256ELb1ELi15EEvPKT_PKT0_S7_ifPKiS9_S9_iPKfiiiPfSC_PS2_PT2_iSB_SB_ ; -- Begin function _Z39paged_attention_ll4mi_QKV_mfma16_kernelIDF16_DF16_LN4vllm18Fp8KVCacheDataTypeE0EhLi16ELi64ELi256ELb1ELi15EEvPKT_PKT0_S7_ifPKiS9_S9_iPKfiiiPfSC_PS2_PT2_iSB_SB_
	.globl	_Z39paged_attention_ll4mi_QKV_mfma16_kernelIDF16_DF16_LN4vllm18Fp8KVCacheDataTypeE0EhLi16ELi64ELi256ELb1ELi15EEvPKT_PKT0_S7_ifPKiS9_S9_iPKfiiiPfSC_PS2_PT2_iSB_SB_
	.p2align	8
	.type	_Z39paged_attention_ll4mi_QKV_mfma16_kernelIDF16_DF16_LN4vllm18Fp8KVCacheDataTypeE0EhLi16ELi64ELi256ELb1ELi15EEvPKT_PKT0_S7_ifPKiS9_S9_iPKfiiiPfSC_PS2_PT2_iSB_SB_,@function
_Z39paged_attention_ll4mi_QKV_mfma16_kernelIDF16_DF16_LN4vllm18Fp8KVCacheDataTypeE0EhLi16ELi64ELi256ELb1ELi15EEvPKT_PKT0_S7_ifPKiS9_S9_iPKfiiiPfSC_PS2_PT2_iSB_SB_: ; @_Z39paged_attention_ll4mi_QKV_mfma16_kernelIDF16_DF16_LN4vllm18Fp8KVCacheDataTypeE0EhLi16ELi64ELi256ELb1ELi15EEvPKT_PKT0_S7_ifPKiS9_S9_iPKfiiiPfSC_PS2_PT2_iSB_SB_
; %bb.0:
	s_get_pc_i64 s[2:3]
	s_add_nc_u64 s[2:3], s[2:3], __PRETTY_FUNCTION__._Z39paged_attention_ll4mi_QKV_mfma16_kernelIDF16_DF16_LN4vllm18Fp8KVCacheDataTypeE0EhLi16ELi64ELi256ELb1ELi15EEvPKT_PKT0_S7_ifPKiS9_S9_iPKfiiiPfSC_PS2_PT2_iSB_SB_@rel64+4
	s_delay_alu instid0(SALU_CYCLE_1)
	v_dual_mov_b32 v0, 0xbb3 :: v_dual_mov_b32 v1, s2
	v_mov_b32_e32 v2, s3
	s_add_nc_u64 s[8:9], s[0:1], 0x90
	s_get_pc_i64 s[0:1]
	s_add_nc_u64 s[0:1], s[0:1], __assert_fail@rel64+4
	s_mov_b32 s32, 0
	s_swap_pc_i64 s[30:31], s[0:1]
	.section	.rodata,"a",@progbits
	.p2align	6, 0x0
	.amdhsa_kernel _Z39paged_attention_ll4mi_QKV_mfma16_kernelIDF16_DF16_LN4vllm18Fp8KVCacheDataTypeE0EhLi16ELi64ELi256ELb1ELi15EEvPKT_PKT0_S7_ifPKiS9_S9_iPKfiiiPfSC_PS2_PT2_iSB_SB_
		.amdhsa_group_segment_fixed_size 0
		.amdhsa_private_segment_fixed_size 64
		.amdhsa_kernarg_size 400
		.amdhsa_user_sgpr_count 2
		.amdhsa_user_sgpr_dispatch_ptr 0
		.amdhsa_user_sgpr_queue_ptr 0
		.amdhsa_user_sgpr_kernarg_segment_ptr 1
		.amdhsa_user_sgpr_dispatch_id 0
		.amdhsa_user_sgpr_kernarg_preload_length 0
		.amdhsa_user_sgpr_kernarg_preload_offset 0
		.amdhsa_user_sgpr_private_segment_size 0
		.amdhsa_wavefront_size32 1
		.amdhsa_uses_dynamic_stack 0
		.amdhsa_enable_private_segment 1
		.amdhsa_system_sgpr_workgroup_id_x 1
		.amdhsa_system_sgpr_workgroup_id_y 0
		.amdhsa_system_sgpr_workgroup_id_z 0
		.amdhsa_system_sgpr_workgroup_info 0
		.amdhsa_system_vgpr_workitem_id 0
		.amdhsa_next_free_vgpr 51
		.amdhsa_next_free_sgpr 34
		.amdhsa_named_barrier_count 0
		.amdhsa_reserve_vcc 1
		.amdhsa_float_round_mode_32 0
		.amdhsa_float_round_mode_16_64 0
		.amdhsa_float_denorm_mode_32 3
		.amdhsa_float_denorm_mode_16_64 3
		.amdhsa_fp16_overflow 0
		.amdhsa_memory_ordered 1
		.amdhsa_forward_progress 1
		.amdhsa_inst_pref_size 1
		.amdhsa_round_robin_scheduling 0
		.amdhsa_exception_fp_ieee_invalid_op 0
		.amdhsa_exception_fp_denorm_src 0
		.amdhsa_exception_fp_ieee_div_zero 0
		.amdhsa_exception_fp_ieee_overflow 0
		.amdhsa_exception_fp_ieee_underflow 0
		.amdhsa_exception_fp_ieee_inexact 0
		.amdhsa_exception_int_div_zero 0
	.end_amdhsa_kernel
	.section	.text._Z39paged_attention_ll4mi_QKV_mfma16_kernelIDF16_DF16_LN4vllm18Fp8KVCacheDataTypeE0EhLi16ELi64ELi256ELb1ELi15EEvPKT_PKT0_S7_ifPKiS9_S9_iPKfiiiPfSC_PS2_PT2_iSB_SB_,"axG",@progbits,_Z39paged_attention_ll4mi_QKV_mfma16_kernelIDF16_DF16_LN4vllm18Fp8KVCacheDataTypeE0EhLi16ELi64ELi256ELb1ELi15EEvPKT_PKT0_S7_ifPKiS9_S9_iPKfiiiPfSC_PS2_PT2_iSB_SB_,comdat
.Lfunc_end16:
	.size	_Z39paged_attention_ll4mi_QKV_mfma16_kernelIDF16_DF16_LN4vllm18Fp8KVCacheDataTypeE0EhLi16ELi64ELi256ELb1ELi15EEvPKT_PKT0_S7_ifPKiS9_S9_iPKfiiiPfSC_PS2_PT2_iSB_SB_, .Lfunc_end16-_Z39paged_attention_ll4mi_QKV_mfma16_kernelIDF16_DF16_LN4vllm18Fp8KVCacheDataTypeE0EhLi16ELi64ELi256ELb1ELi15EEvPKT_PKT0_S7_ifPKiS9_S9_iPKfiiiPfSC_PS2_PT2_iSB_SB_
                                        ; -- End function
	.set _Z39paged_attention_ll4mi_QKV_mfma16_kernelIDF16_DF16_LN4vllm18Fp8KVCacheDataTypeE0EhLi16ELi64ELi256ELb1ELi15EEvPKT_PKT0_S7_ifPKiS9_S9_iPKfiiiPfSC_PS2_PT2_iSB_SB_.num_vgpr, max(3, .L__assert_fail.num_vgpr)
	.set _Z39paged_attention_ll4mi_QKV_mfma16_kernelIDF16_DF16_LN4vllm18Fp8KVCacheDataTypeE0EhLi16ELi64ELi256ELb1ELi15EEvPKT_PKT0_S7_ifPKiS9_S9_iPKfiiiPfSC_PS2_PT2_iSB_SB_.num_agpr, max(0, .L__assert_fail.num_agpr)
	.set _Z39paged_attention_ll4mi_QKV_mfma16_kernelIDF16_DF16_LN4vllm18Fp8KVCacheDataTypeE0EhLi16ELi64ELi256ELb1ELi15EEvPKT_PKT0_S7_ifPKiS9_S9_iPKfiiiPfSC_PS2_PT2_iSB_SB_.numbered_sgpr, max(33, .L__assert_fail.numbered_sgpr)
	.set _Z39paged_attention_ll4mi_QKV_mfma16_kernelIDF16_DF16_LN4vllm18Fp8KVCacheDataTypeE0EhLi16ELi64ELi256ELb1ELi15EEvPKT_PKT0_S7_ifPKiS9_S9_iPKfiiiPfSC_PS2_PT2_iSB_SB_.num_named_barrier, max(0, .L__assert_fail.num_named_barrier)
	.set _Z39paged_attention_ll4mi_QKV_mfma16_kernelIDF16_DF16_LN4vllm18Fp8KVCacheDataTypeE0EhLi16ELi64ELi256ELb1ELi15EEvPKT_PKT0_S7_ifPKiS9_S9_iPKfiiiPfSC_PS2_PT2_iSB_SB_.private_seg_size, 0+max(.L__assert_fail.private_seg_size)
	.set _Z39paged_attention_ll4mi_QKV_mfma16_kernelIDF16_DF16_LN4vllm18Fp8KVCacheDataTypeE0EhLi16ELi64ELi256ELb1ELi15EEvPKT_PKT0_S7_ifPKiS9_S9_iPKfiiiPfSC_PS2_PT2_iSB_SB_.uses_vcc, or(1, .L__assert_fail.uses_vcc)
	.set _Z39paged_attention_ll4mi_QKV_mfma16_kernelIDF16_DF16_LN4vllm18Fp8KVCacheDataTypeE0EhLi16ELi64ELi256ELb1ELi15EEvPKT_PKT0_S7_ifPKiS9_S9_iPKfiiiPfSC_PS2_PT2_iSB_SB_.uses_flat_scratch, or(0, .L__assert_fail.uses_flat_scratch)
	.set _Z39paged_attention_ll4mi_QKV_mfma16_kernelIDF16_DF16_LN4vllm18Fp8KVCacheDataTypeE0EhLi16ELi64ELi256ELb1ELi15EEvPKT_PKT0_S7_ifPKiS9_S9_iPKfiiiPfSC_PS2_PT2_iSB_SB_.has_dyn_sized_stack, or(0, .L__assert_fail.has_dyn_sized_stack)
	.set _Z39paged_attention_ll4mi_QKV_mfma16_kernelIDF16_DF16_LN4vllm18Fp8KVCacheDataTypeE0EhLi16ELi64ELi256ELb1ELi15EEvPKT_PKT0_S7_ifPKiS9_S9_iPKfiiiPfSC_PS2_PT2_iSB_SB_.has_recursion, or(0, .L__assert_fail.has_recursion)
	.set _Z39paged_attention_ll4mi_QKV_mfma16_kernelIDF16_DF16_LN4vllm18Fp8KVCacheDataTypeE0EhLi16ELi64ELi256ELb1ELi15EEvPKT_PKT0_S7_ifPKiS9_S9_iPKfiiiPfSC_PS2_PT2_iSB_SB_.has_indirect_call, or(0, .L__assert_fail.has_indirect_call)
	.section	.AMDGPU.csdata,"",@progbits
; Kernel info:
; codeLenInByte = 68
; TotalNumSgprs: 36
; NumVgprs: 51
; ScratchSize: 64
; MemoryBound: 0
; FloatMode: 240
; IeeeMode: 1
; LDSByteSize: 0 bytes/workgroup (compile time only)
; SGPRBlocks: 0
; VGPRBlocks: 3
; NumSGPRsForWavesPerEU: 36
; NumVGPRsForWavesPerEU: 51
; NamedBarCnt: 0
; Occupancy: 16
; WaveLimiterHint : 1
; COMPUTE_PGM_RSRC2:SCRATCH_EN: 1
; COMPUTE_PGM_RSRC2:USER_SGPR: 2
; COMPUTE_PGM_RSRC2:TRAP_HANDLER: 0
; COMPUTE_PGM_RSRC2:TGID_X_EN: 1
; COMPUTE_PGM_RSRC2:TGID_Y_EN: 0
; COMPUTE_PGM_RSRC2:TGID_Z_EN: 0
; COMPUTE_PGM_RSRC2:TIDIG_COMP_CNT: 0
	.section	.text._Z39paged_attention_ll4mi_QKV_mfma16_kernelIDF16_DF16_LN4vllm18Fp8KVCacheDataTypeE0EhLi16ELi64ELi256ELb1ELi16EEvPKT_PKT0_S7_ifPKiS9_S9_iPKfiiiPfSC_PS2_PT2_iSB_SB_,"axG",@progbits,_Z39paged_attention_ll4mi_QKV_mfma16_kernelIDF16_DF16_LN4vllm18Fp8KVCacheDataTypeE0EhLi16ELi64ELi256ELb1ELi16EEvPKT_PKT0_S7_ifPKiS9_S9_iPKfiiiPfSC_PS2_PT2_iSB_SB_,comdat
	.protected	_Z39paged_attention_ll4mi_QKV_mfma16_kernelIDF16_DF16_LN4vllm18Fp8KVCacheDataTypeE0EhLi16ELi64ELi256ELb1ELi16EEvPKT_PKT0_S7_ifPKiS9_S9_iPKfiiiPfSC_PS2_PT2_iSB_SB_ ; -- Begin function _Z39paged_attention_ll4mi_QKV_mfma16_kernelIDF16_DF16_LN4vllm18Fp8KVCacheDataTypeE0EhLi16ELi64ELi256ELb1ELi16EEvPKT_PKT0_S7_ifPKiS9_S9_iPKfiiiPfSC_PS2_PT2_iSB_SB_
	.globl	_Z39paged_attention_ll4mi_QKV_mfma16_kernelIDF16_DF16_LN4vllm18Fp8KVCacheDataTypeE0EhLi16ELi64ELi256ELb1ELi16EEvPKT_PKT0_S7_ifPKiS9_S9_iPKfiiiPfSC_PS2_PT2_iSB_SB_
	.p2align	8
	.type	_Z39paged_attention_ll4mi_QKV_mfma16_kernelIDF16_DF16_LN4vllm18Fp8KVCacheDataTypeE0EhLi16ELi64ELi256ELb1ELi16EEvPKT_PKT0_S7_ifPKiS9_S9_iPKfiiiPfSC_PS2_PT2_iSB_SB_,@function
_Z39paged_attention_ll4mi_QKV_mfma16_kernelIDF16_DF16_LN4vllm18Fp8KVCacheDataTypeE0EhLi16ELi64ELi256ELb1ELi16EEvPKT_PKT0_S7_ifPKiS9_S9_iPKfiiiPfSC_PS2_PT2_iSB_SB_: ; @_Z39paged_attention_ll4mi_QKV_mfma16_kernelIDF16_DF16_LN4vllm18Fp8KVCacheDataTypeE0EhLi16ELi64ELi256ELb1ELi16EEvPKT_PKT0_S7_ifPKiS9_S9_iPKfiiiPfSC_PS2_PT2_iSB_SB_
; %bb.0:
	s_get_pc_i64 s[2:3]
	s_add_nc_u64 s[2:3], s[2:3], __PRETTY_FUNCTION__._Z39paged_attention_ll4mi_QKV_mfma16_kernelIDF16_DF16_LN4vllm18Fp8KVCacheDataTypeE0EhLi16ELi64ELi256ELb1ELi16EEvPKT_PKT0_S7_ifPKiS9_S9_iPKfiiiPfSC_PS2_PT2_iSB_SB_@rel64+4
	s_delay_alu instid0(SALU_CYCLE_1)
	v_dual_mov_b32 v0, 0xbb3 :: v_dual_mov_b32 v1, s2
	v_mov_b32_e32 v2, s3
	s_add_nc_u64 s[8:9], s[0:1], 0x90
	s_get_pc_i64 s[0:1]
	s_add_nc_u64 s[0:1], s[0:1], __assert_fail@rel64+4
	s_mov_b32 s32, 0
	s_swap_pc_i64 s[30:31], s[0:1]
	.section	.rodata,"a",@progbits
	.p2align	6, 0x0
	.amdhsa_kernel _Z39paged_attention_ll4mi_QKV_mfma16_kernelIDF16_DF16_LN4vllm18Fp8KVCacheDataTypeE0EhLi16ELi64ELi256ELb1ELi16EEvPKT_PKT0_S7_ifPKiS9_S9_iPKfiiiPfSC_PS2_PT2_iSB_SB_
		.amdhsa_group_segment_fixed_size 0
		.amdhsa_private_segment_fixed_size 64
		.amdhsa_kernarg_size 400
		.amdhsa_user_sgpr_count 2
		.amdhsa_user_sgpr_dispatch_ptr 0
		.amdhsa_user_sgpr_queue_ptr 0
		.amdhsa_user_sgpr_kernarg_segment_ptr 1
		.amdhsa_user_sgpr_dispatch_id 0
		.amdhsa_user_sgpr_kernarg_preload_length 0
		.amdhsa_user_sgpr_kernarg_preload_offset 0
		.amdhsa_user_sgpr_private_segment_size 0
		.amdhsa_wavefront_size32 1
		.amdhsa_uses_dynamic_stack 0
		.amdhsa_enable_private_segment 1
		.amdhsa_system_sgpr_workgroup_id_x 1
		.amdhsa_system_sgpr_workgroup_id_y 0
		.amdhsa_system_sgpr_workgroup_id_z 0
		.amdhsa_system_sgpr_workgroup_info 0
		.amdhsa_system_vgpr_workitem_id 0
		.amdhsa_next_free_vgpr 51
		.amdhsa_next_free_sgpr 34
		.amdhsa_named_barrier_count 0
		.amdhsa_reserve_vcc 1
		.amdhsa_float_round_mode_32 0
		.amdhsa_float_round_mode_16_64 0
		.amdhsa_float_denorm_mode_32 3
		.amdhsa_float_denorm_mode_16_64 3
		.amdhsa_fp16_overflow 0
		.amdhsa_memory_ordered 1
		.amdhsa_forward_progress 1
		.amdhsa_inst_pref_size 1
		.amdhsa_round_robin_scheduling 0
		.amdhsa_exception_fp_ieee_invalid_op 0
		.amdhsa_exception_fp_denorm_src 0
		.amdhsa_exception_fp_ieee_div_zero 0
		.amdhsa_exception_fp_ieee_overflow 0
		.amdhsa_exception_fp_ieee_underflow 0
		.amdhsa_exception_fp_ieee_inexact 0
		.amdhsa_exception_int_div_zero 0
	.end_amdhsa_kernel
	.section	.text._Z39paged_attention_ll4mi_QKV_mfma16_kernelIDF16_DF16_LN4vllm18Fp8KVCacheDataTypeE0EhLi16ELi64ELi256ELb1ELi16EEvPKT_PKT0_S7_ifPKiS9_S9_iPKfiiiPfSC_PS2_PT2_iSB_SB_,"axG",@progbits,_Z39paged_attention_ll4mi_QKV_mfma16_kernelIDF16_DF16_LN4vllm18Fp8KVCacheDataTypeE0EhLi16ELi64ELi256ELb1ELi16EEvPKT_PKT0_S7_ifPKiS9_S9_iPKfiiiPfSC_PS2_PT2_iSB_SB_,comdat
.Lfunc_end17:
	.size	_Z39paged_attention_ll4mi_QKV_mfma16_kernelIDF16_DF16_LN4vllm18Fp8KVCacheDataTypeE0EhLi16ELi64ELi256ELb1ELi16EEvPKT_PKT0_S7_ifPKiS9_S9_iPKfiiiPfSC_PS2_PT2_iSB_SB_, .Lfunc_end17-_Z39paged_attention_ll4mi_QKV_mfma16_kernelIDF16_DF16_LN4vllm18Fp8KVCacheDataTypeE0EhLi16ELi64ELi256ELb1ELi16EEvPKT_PKT0_S7_ifPKiS9_S9_iPKfiiiPfSC_PS2_PT2_iSB_SB_
                                        ; -- End function
	.set _Z39paged_attention_ll4mi_QKV_mfma16_kernelIDF16_DF16_LN4vllm18Fp8KVCacheDataTypeE0EhLi16ELi64ELi256ELb1ELi16EEvPKT_PKT0_S7_ifPKiS9_S9_iPKfiiiPfSC_PS2_PT2_iSB_SB_.num_vgpr, max(3, .L__assert_fail.num_vgpr)
	.set _Z39paged_attention_ll4mi_QKV_mfma16_kernelIDF16_DF16_LN4vllm18Fp8KVCacheDataTypeE0EhLi16ELi64ELi256ELb1ELi16EEvPKT_PKT0_S7_ifPKiS9_S9_iPKfiiiPfSC_PS2_PT2_iSB_SB_.num_agpr, max(0, .L__assert_fail.num_agpr)
	.set _Z39paged_attention_ll4mi_QKV_mfma16_kernelIDF16_DF16_LN4vllm18Fp8KVCacheDataTypeE0EhLi16ELi64ELi256ELb1ELi16EEvPKT_PKT0_S7_ifPKiS9_S9_iPKfiiiPfSC_PS2_PT2_iSB_SB_.numbered_sgpr, max(33, .L__assert_fail.numbered_sgpr)
	.set _Z39paged_attention_ll4mi_QKV_mfma16_kernelIDF16_DF16_LN4vllm18Fp8KVCacheDataTypeE0EhLi16ELi64ELi256ELb1ELi16EEvPKT_PKT0_S7_ifPKiS9_S9_iPKfiiiPfSC_PS2_PT2_iSB_SB_.num_named_barrier, max(0, .L__assert_fail.num_named_barrier)
	.set _Z39paged_attention_ll4mi_QKV_mfma16_kernelIDF16_DF16_LN4vllm18Fp8KVCacheDataTypeE0EhLi16ELi64ELi256ELb1ELi16EEvPKT_PKT0_S7_ifPKiS9_S9_iPKfiiiPfSC_PS2_PT2_iSB_SB_.private_seg_size, 0+max(.L__assert_fail.private_seg_size)
	.set _Z39paged_attention_ll4mi_QKV_mfma16_kernelIDF16_DF16_LN4vllm18Fp8KVCacheDataTypeE0EhLi16ELi64ELi256ELb1ELi16EEvPKT_PKT0_S7_ifPKiS9_S9_iPKfiiiPfSC_PS2_PT2_iSB_SB_.uses_vcc, or(1, .L__assert_fail.uses_vcc)
	.set _Z39paged_attention_ll4mi_QKV_mfma16_kernelIDF16_DF16_LN4vllm18Fp8KVCacheDataTypeE0EhLi16ELi64ELi256ELb1ELi16EEvPKT_PKT0_S7_ifPKiS9_S9_iPKfiiiPfSC_PS2_PT2_iSB_SB_.uses_flat_scratch, or(0, .L__assert_fail.uses_flat_scratch)
	.set _Z39paged_attention_ll4mi_QKV_mfma16_kernelIDF16_DF16_LN4vllm18Fp8KVCacheDataTypeE0EhLi16ELi64ELi256ELb1ELi16EEvPKT_PKT0_S7_ifPKiS9_S9_iPKfiiiPfSC_PS2_PT2_iSB_SB_.has_dyn_sized_stack, or(0, .L__assert_fail.has_dyn_sized_stack)
	.set _Z39paged_attention_ll4mi_QKV_mfma16_kernelIDF16_DF16_LN4vllm18Fp8KVCacheDataTypeE0EhLi16ELi64ELi256ELb1ELi16EEvPKT_PKT0_S7_ifPKiS9_S9_iPKfiiiPfSC_PS2_PT2_iSB_SB_.has_recursion, or(0, .L__assert_fail.has_recursion)
	.set _Z39paged_attention_ll4mi_QKV_mfma16_kernelIDF16_DF16_LN4vllm18Fp8KVCacheDataTypeE0EhLi16ELi64ELi256ELb1ELi16EEvPKT_PKT0_S7_ifPKiS9_S9_iPKfiiiPfSC_PS2_PT2_iSB_SB_.has_indirect_call, or(0, .L__assert_fail.has_indirect_call)
	.section	.AMDGPU.csdata,"",@progbits
; Kernel info:
; codeLenInByte = 68
; TotalNumSgprs: 36
; NumVgprs: 51
; ScratchSize: 64
; MemoryBound: 0
; FloatMode: 240
; IeeeMode: 1
; LDSByteSize: 0 bytes/workgroup (compile time only)
; SGPRBlocks: 0
; VGPRBlocks: 3
; NumSGPRsForWavesPerEU: 36
; NumVGPRsForWavesPerEU: 51
; NamedBarCnt: 0
; Occupancy: 16
; WaveLimiterHint : 1
; COMPUTE_PGM_RSRC2:SCRATCH_EN: 1
; COMPUTE_PGM_RSRC2:USER_SGPR: 2
; COMPUTE_PGM_RSRC2:TRAP_HANDLER: 0
; COMPUTE_PGM_RSRC2:TGID_X_EN: 1
; COMPUTE_PGM_RSRC2:TGID_Y_EN: 0
; COMPUTE_PGM_RSRC2:TGID_Z_EN: 0
; COMPUTE_PGM_RSRC2:TIDIG_COMP_CNT: 0
	.section	.text._Z35paged_attention_ll4mi_reduce_kernelIDF16_hLi64ELi64ELi256ELi1EEvPT0_PKfS3_PKT_PKiS8_iS3_,"axG",@progbits,_Z35paged_attention_ll4mi_reduce_kernelIDF16_hLi64ELi64ELi256ELi1EEvPT0_PKfS3_PKT_PKiS8_iS3_,comdat
	.protected	_Z35paged_attention_ll4mi_reduce_kernelIDF16_hLi64ELi64ELi256ELi1EEvPT0_PKfS3_PKT_PKiS8_iS3_ ; -- Begin function _Z35paged_attention_ll4mi_reduce_kernelIDF16_hLi64ELi64ELi256ELi1EEvPT0_PKfS3_PKT_PKiS8_iS3_
	.globl	_Z35paged_attention_ll4mi_reduce_kernelIDF16_hLi64ELi64ELi256ELi1EEvPT0_PKfS3_PKT_PKiS8_iS3_
	.p2align	8
	.type	_Z35paged_attention_ll4mi_reduce_kernelIDF16_hLi64ELi64ELi256ELi1EEvPT0_PKfS3_PKT_PKiS8_iS3_,@function
_Z35paged_attention_ll4mi_reduce_kernelIDF16_hLi64ELi64ELi256ELi1EEvPT0_PKfS3_PKT_PKiS8_iS3_: ; @_Z35paged_attention_ll4mi_reduce_kernelIDF16_hLi64ELi64ELi256ELi1EEvPT0_PKfS3_PKT_PKiS8_iS3_
; %bb.0:
	s_get_pc_i64 s[2:3]
	s_add_nc_u64 s[2:3], s[2:3], __PRETTY_FUNCTION__._Z35paged_attention_ll4mi_reduce_kernelIDF16_hLi64ELi64ELi256ELi1EEvPT0_PKfS3_PKT_PKiS8_iS3_@rel64+4
	s_delay_alu instid0(SALU_CYCLE_1)
	v_dual_mov_b32 v0, 0xbdd :: v_dual_mov_b32 v1, s2
	v_mov_b32_e32 v2, s3
	s_add_nc_u64 s[8:9], s[0:1], 64
	s_get_pc_i64 s[0:1]
	s_add_nc_u64 s[0:1], s[0:1], __assert_fail@rel64+4
	s_mov_b32 s32, 0
	s_swap_pc_i64 s[30:31], s[0:1]
	.section	.rodata,"a",@progbits
	.p2align	6, 0x0
	.amdhsa_kernel _Z35paged_attention_ll4mi_reduce_kernelIDF16_hLi64ELi64ELi256ELi1EEvPT0_PKfS3_PKT_PKiS8_iS3_
		.amdhsa_group_segment_fixed_size 0
		.amdhsa_private_segment_fixed_size 64
		.amdhsa_kernarg_size 320
		.amdhsa_user_sgpr_count 2
		.amdhsa_user_sgpr_dispatch_ptr 0
		.amdhsa_user_sgpr_queue_ptr 0
		.amdhsa_user_sgpr_kernarg_segment_ptr 1
		.amdhsa_user_sgpr_dispatch_id 0
		.amdhsa_user_sgpr_kernarg_preload_length 0
		.amdhsa_user_sgpr_kernarg_preload_offset 0
		.amdhsa_user_sgpr_private_segment_size 0
		.amdhsa_wavefront_size32 1
		.amdhsa_uses_dynamic_stack 0
		.amdhsa_enable_private_segment 1
		.amdhsa_system_sgpr_workgroup_id_x 1
		.amdhsa_system_sgpr_workgroup_id_y 0
		.amdhsa_system_sgpr_workgroup_id_z 0
		.amdhsa_system_sgpr_workgroup_info 0
		.amdhsa_system_vgpr_workitem_id 0
		.amdhsa_next_free_vgpr 51
		.amdhsa_next_free_sgpr 34
		.amdhsa_named_barrier_count 0
		.amdhsa_reserve_vcc 1
		.amdhsa_float_round_mode_32 0
		.amdhsa_float_round_mode_16_64 0
		.amdhsa_float_denorm_mode_32 3
		.amdhsa_float_denorm_mode_16_64 3
		.amdhsa_fp16_overflow 0
		.amdhsa_memory_ordered 1
		.amdhsa_forward_progress 1
		.amdhsa_inst_pref_size 1
		.amdhsa_round_robin_scheduling 0
		.amdhsa_exception_fp_ieee_invalid_op 0
		.amdhsa_exception_fp_denorm_src 0
		.amdhsa_exception_fp_ieee_div_zero 0
		.amdhsa_exception_fp_ieee_overflow 0
		.amdhsa_exception_fp_ieee_underflow 0
		.amdhsa_exception_fp_ieee_inexact 0
		.amdhsa_exception_int_div_zero 0
	.end_amdhsa_kernel
	.section	.text._Z35paged_attention_ll4mi_reduce_kernelIDF16_hLi64ELi64ELi256ELi1EEvPT0_PKfS3_PKT_PKiS8_iS3_,"axG",@progbits,_Z35paged_attention_ll4mi_reduce_kernelIDF16_hLi64ELi64ELi256ELi1EEvPT0_PKfS3_PKT_PKiS8_iS3_,comdat
.Lfunc_end18:
	.size	_Z35paged_attention_ll4mi_reduce_kernelIDF16_hLi64ELi64ELi256ELi1EEvPT0_PKfS3_PKT_PKiS8_iS3_, .Lfunc_end18-_Z35paged_attention_ll4mi_reduce_kernelIDF16_hLi64ELi64ELi256ELi1EEvPT0_PKfS3_PKT_PKiS8_iS3_
                                        ; -- End function
	.set _Z35paged_attention_ll4mi_reduce_kernelIDF16_hLi64ELi64ELi256ELi1EEvPT0_PKfS3_PKT_PKiS8_iS3_.num_vgpr, max(3, .L__assert_fail.num_vgpr)
	.set _Z35paged_attention_ll4mi_reduce_kernelIDF16_hLi64ELi64ELi256ELi1EEvPT0_PKfS3_PKT_PKiS8_iS3_.num_agpr, max(0, .L__assert_fail.num_agpr)
	.set _Z35paged_attention_ll4mi_reduce_kernelIDF16_hLi64ELi64ELi256ELi1EEvPT0_PKfS3_PKT_PKiS8_iS3_.numbered_sgpr, max(33, .L__assert_fail.numbered_sgpr)
	.set _Z35paged_attention_ll4mi_reduce_kernelIDF16_hLi64ELi64ELi256ELi1EEvPT0_PKfS3_PKT_PKiS8_iS3_.num_named_barrier, max(0, .L__assert_fail.num_named_barrier)
	.set _Z35paged_attention_ll4mi_reduce_kernelIDF16_hLi64ELi64ELi256ELi1EEvPT0_PKfS3_PKT_PKiS8_iS3_.private_seg_size, 0+max(.L__assert_fail.private_seg_size)
	.set _Z35paged_attention_ll4mi_reduce_kernelIDF16_hLi64ELi64ELi256ELi1EEvPT0_PKfS3_PKT_PKiS8_iS3_.uses_vcc, or(1, .L__assert_fail.uses_vcc)
	.set _Z35paged_attention_ll4mi_reduce_kernelIDF16_hLi64ELi64ELi256ELi1EEvPT0_PKfS3_PKT_PKiS8_iS3_.uses_flat_scratch, or(0, .L__assert_fail.uses_flat_scratch)
	.set _Z35paged_attention_ll4mi_reduce_kernelIDF16_hLi64ELi64ELi256ELi1EEvPT0_PKfS3_PKT_PKiS8_iS3_.has_dyn_sized_stack, or(0, .L__assert_fail.has_dyn_sized_stack)
	.set _Z35paged_attention_ll4mi_reduce_kernelIDF16_hLi64ELi64ELi256ELi1EEvPT0_PKfS3_PKT_PKiS8_iS3_.has_recursion, or(0, .L__assert_fail.has_recursion)
	.set _Z35paged_attention_ll4mi_reduce_kernelIDF16_hLi64ELi64ELi256ELi1EEvPT0_PKfS3_PKT_PKiS8_iS3_.has_indirect_call, or(0, .L__assert_fail.has_indirect_call)
	.section	.AMDGPU.csdata,"",@progbits
; Kernel info:
; codeLenInByte = 64
; TotalNumSgprs: 36
; NumVgprs: 51
; ScratchSize: 64
; MemoryBound: 0
; FloatMode: 240
; IeeeMode: 1
; LDSByteSize: 0 bytes/workgroup (compile time only)
; SGPRBlocks: 0
; VGPRBlocks: 3
; NumSGPRsForWavesPerEU: 36
; NumVGPRsForWavesPerEU: 51
; NamedBarCnt: 0
; Occupancy: 16
; WaveLimiterHint : 1
; COMPUTE_PGM_RSRC2:SCRATCH_EN: 1
; COMPUTE_PGM_RSRC2:USER_SGPR: 2
; COMPUTE_PGM_RSRC2:TRAP_HANDLER: 0
; COMPUTE_PGM_RSRC2:TGID_X_EN: 1
; COMPUTE_PGM_RSRC2:TGID_Y_EN: 0
; COMPUTE_PGM_RSRC2:TGID_Z_EN: 0
; COMPUTE_PGM_RSRC2:TIDIG_COMP_CNT: 0
	.section	.text._Z35paged_attention_ll4mi_reduce_kernelIDF16_hLi64ELi64ELi256ELi2EEvPT0_PKfS3_PKT_PKiS8_iS3_,"axG",@progbits,_Z35paged_attention_ll4mi_reduce_kernelIDF16_hLi64ELi64ELi256ELi2EEvPT0_PKfS3_PKT_PKiS8_iS3_,comdat
	.protected	_Z35paged_attention_ll4mi_reduce_kernelIDF16_hLi64ELi64ELi256ELi2EEvPT0_PKfS3_PKT_PKiS8_iS3_ ; -- Begin function _Z35paged_attention_ll4mi_reduce_kernelIDF16_hLi64ELi64ELi256ELi2EEvPT0_PKfS3_PKT_PKiS8_iS3_
	.globl	_Z35paged_attention_ll4mi_reduce_kernelIDF16_hLi64ELi64ELi256ELi2EEvPT0_PKfS3_PKT_PKiS8_iS3_
	.p2align	8
	.type	_Z35paged_attention_ll4mi_reduce_kernelIDF16_hLi64ELi64ELi256ELi2EEvPT0_PKfS3_PKT_PKiS8_iS3_,@function
_Z35paged_attention_ll4mi_reduce_kernelIDF16_hLi64ELi64ELi256ELi2EEvPT0_PKfS3_PKT_PKiS8_iS3_: ; @_Z35paged_attention_ll4mi_reduce_kernelIDF16_hLi64ELi64ELi256ELi2EEvPT0_PKfS3_PKT_PKiS8_iS3_
; %bb.0:
	s_get_pc_i64 s[2:3]
	s_add_nc_u64 s[2:3], s[2:3], __PRETTY_FUNCTION__._Z35paged_attention_ll4mi_reduce_kernelIDF16_hLi64ELi64ELi256ELi2EEvPT0_PKfS3_PKT_PKiS8_iS3_@rel64+4
	s_delay_alu instid0(SALU_CYCLE_1)
	v_dual_mov_b32 v0, 0xbdd :: v_dual_mov_b32 v1, s2
	v_mov_b32_e32 v2, s3
	s_add_nc_u64 s[8:9], s[0:1], 64
	s_get_pc_i64 s[0:1]
	s_add_nc_u64 s[0:1], s[0:1], __assert_fail@rel64+4
	s_mov_b32 s32, 0
	s_swap_pc_i64 s[30:31], s[0:1]
	.section	.rodata,"a",@progbits
	.p2align	6, 0x0
	.amdhsa_kernel _Z35paged_attention_ll4mi_reduce_kernelIDF16_hLi64ELi64ELi256ELi2EEvPT0_PKfS3_PKT_PKiS8_iS3_
		.amdhsa_group_segment_fixed_size 0
		.amdhsa_private_segment_fixed_size 64
		.amdhsa_kernarg_size 320
		.amdhsa_user_sgpr_count 2
		.amdhsa_user_sgpr_dispatch_ptr 0
		.amdhsa_user_sgpr_queue_ptr 0
		.amdhsa_user_sgpr_kernarg_segment_ptr 1
		.amdhsa_user_sgpr_dispatch_id 0
		.amdhsa_user_sgpr_kernarg_preload_length 0
		.amdhsa_user_sgpr_kernarg_preload_offset 0
		.amdhsa_user_sgpr_private_segment_size 0
		.amdhsa_wavefront_size32 1
		.amdhsa_uses_dynamic_stack 0
		.amdhsa_enable_private_segment 1
		.amdhsa_system_sgpr_workgroup_id_x 1
		.amdhsa_system_sgpr_workgroup_id_y 0
		.amdhsa_system_sgpr_workgroup_id_z 0
		.amdhsa_system_sgpr_workgroup_info 0
		.amdhsa_system_vgpr_workitem_id 0
		.amdhsa_next_free_vgpr 51
		.amdhsa_next_free_sgpr 34
		.amdhsa_named_barrier_count 0
		.amdhsa_reserve_vcc 1
		.amdhsa_float_round_mode_32 0
		.amdhsa_float_round_mode_16_64 0
		.amdhsa_float_denorm_mode_32 3
		.amdhsa_float_denorm_mode_16_64 3
		.amdhsa_fp16_overflow 0
		.amdhsa_memory_ordered 1
		.amdhsa_forward_progress 1
		.amdhsa_inst_pref_size 1
		.amdhsa_round_robin_scheduling 0
		.amdhsa_exception_fp_ieee_invalid_op 0
		.amdhsa_exception_fp_denorm_src 0
		.amdhsa_exception_fp_ieee_div_zero 0
		.amdhsa_exception_fp_ieee_overflow 0
		.amdhsa_exception_fp_ieee_underflow 0
		.amdhsa_exception_fp_ieee_inexact 0
		.amdhsa_exception_int_div_zero 0
	.end_amdhsa_kernel
	.section	.text._Z35paged_attention_ll4mi_reduce_kernelIDF16_hLi64ELi64ELi256ELi2EEvPT0_PKfS3_PKT_PKiS8_iS3_,"axG",@progbits,_Z35paged_attention_ll4mi_reduce_kernelIDF16_hLi64ELi64ELi256ELi2EEvPT0_PKfS3_PKT_PKiS8_iS3_,comdat
.Lfunc_end19:
	.size	_Z35paged_attention_ll4mi_reduce_kernelIDF16_hLi64ELi64ELi256ELi2EEvPT0_PKfS3_PKT_PKiS8_iS3_, .Lfunc_end19-_Z35paged_attention_ll4mi_reduce_kernelIDF16_hLi64ELi64ELi256ELi2EEvPT0_PKfS3_PKT_PKiS8_iS3_
                                        ; -- End function
	.set _Z35paged_attention_ll4mi_reduce_kernelIDF16_hLi64ELi64ELi256ELi2EEvPT0_PKfS3_PKT_PKiS8_iS3_.num_vgpr, max(3, .L__assert_fail.num_vgpr)
	.set _Z35paged_attention_ll4mi_reduce_kernelIDF16_hLi64ELi64ELi256ELi2EEvPT0_PKfS3_PKT_PKiS8_iS3_.num_agpr, max(0, .L__assert_fail.num_agpr)
	.set _Z35paged_attention_ll4mi_reduce_kernelIDF16_hLi64ELi64ELi256ELi2EEvPT0_PKfS3_PKT_PKiS8_iS3_.numbered_sgpr, max(33, .L__assert_fail.numbered_sgpr)
	.set _Z35paged_attention_ll4mi_reduce_kernelIDF16_hLi64ELi64ELi256ELi2EEvPT0_PKfS3_PKT_PKiS8_iS3_.num_named_barrier, max(0, .L__assert_fail.num_named_barrier)
	.set _Z35paged_attention_ll4mi_reduce_kernelIDF16_hLi64ELi64ELi256ELi2EEvPT0_PKfS3_PKT_PKiS8_iS3_.private_seg_size, 0+max(.L__assert_fail.private_seg_size)
	.set _Z35paged_attention_ll4mi_reduce_kernelIDF16_hLi64ELi64ELi256ELi2EEvPT0_PKfS3_PKT_PKiS8_iS3_.uses_vcc, or(1, .L__assert_fail.uses_vcc)
	.set _Z35paged_attention_ll4mi_reduce_kernelIDF16_hLi64ELi64ELi256ELi2EEvPT0_PKfS3_PKT_PKiS8_iS3_.uses_flat_scratch, or(0, .L__assert_fail.uses_flat_scratch)
	.set _Z35paged_attention_ll4mi_reduce_kernelIDF16_hLi64ELi64ELi256ELi2EEvPT0_PKfS3_PKT_PKiS8_iS3_.has_dyn_sized_stack, or(0, .L__assert_fail.has_dyn_sized_stack)
	.set _Z35paged_attention_ll4mi_reduce_kernelIDF16_hLi64ELi64ELi256ELi2EEvPT0_PKfS3_PKT_PKiS8_iS3_.has_recursion, or(0, .L__assert_fail.has_recursion)
	.set _Z35paged_attention_ll4mi_reduce_kernelIDF16_hLi64ELi64ELi256ELi2EEvPT0_PKfS3_PKT_PKiS8_iS3_.has_indirect_call, or(0, .L__assert_fail.has_indirect_call)
	.section	.AMDGPU.csdata,"",@progbits
; Kernel info:
; codeLenInByte = 64
; TotalNumSgprs: 36
; NumVgprs: 51
; ScratchSize: 64
; MemoryBound: 0
; FloatMode: 240
; IeeeMode: 1
; LDSByteSize: 0 bytes/workgroup (compile time only)
; SGPRBlocks: 0
; VGPRBlocks: 3
; NumSGPRsForWavesPerEU: 36
; NumVGPRsForWavesPerEU: 51
; NamedBarCnt: 0
; Occupancy: 16
; WaveLimiterHint : 1
; COMPUTE_PGM_RSRC2:SCRATCH_EN: 1
; COMPUTE_PGM_RSRC2:USER_SGPR: 2
; COMPUTE_PGM_RSRC2:TRAP_HANDLER: 0
; COMPUTE_PGM_RSRC2:TGID_X_EN: 1
; COMPUTE_PGM_RSRC2:TGID_Y_EN: 0
; COMPUTE_PGM_RSRC2:TGID_Z_EN: 0
; COMPUTE_PGM_RSRC2:TIDIG_COMP_CNT: 0
	.section	.text._Z35paged_attention_ll4mi_reduce_kernelIDF16_hLi64ELi64ELi256ELi3EEvPT0_PKfS3_PKT_PKiS8_iS3_,"axG",@progbits,_Z35paged_attention_ll4mi_reduce_kernelIDF16_hLi64ELi64ELi256ELi3EEvPT0_PKfS3_PKT_PKiS8_iS3_,comdat
	.protected	_Z35paged_attention_ll4mi_reduce_kernelIDF16_hLi64ELi64ELi256ELi3EEvPT0_PKfS3_PKT_PKiS8_iS3_ ; -- Begin function _Z35paged_attention_ll4mi_reduce_kernelIDF16_hLi64ELi64ELi256ELi3EEvPT0_PKfS3_PKT_PKiS8_iS3_
	.globl	_Z35paged_attention_ll4mi_reduce_kernelIDF16_hLi64ELi64ELi256ELi3EEvPT0_PKfS3_PKT_PKiS8_iS3_
	.p2align	8
	.type	_Z35paged_attention_ll4mi_reduce_kernelIDF16_hLi64ELi64ELi256ELi3EEvPT0_PKfS3_PKT_PKiS8_iS3_,@function
_Z35paged_attention_ll4mi_reduce_kernelIDF16_hLi64ELi64ELi256ELi3EEvPT0_PKfS3_PKT_PKiS8_iS3_: ; @_Z35paged_attention_ll4mi_reduce_kernelIDF16_hLi64ELi64ELi256ELi3EEvPT0_PKfS3_PKT_PKiS8_iS3_
; %bb.0:
	s_get_pc_i64 s[2:3]
	s_add_nc_u64 s[2:3], s[2:3], __PRETTY_FUNCTION__._Z35paged_attention_ll4mi_reduce_kernelIDF16_hLi64ELi64ELi256ELi3EEvPT0_PKfS3_PKT_PKiS8_iS3_@rel64+4
	s_delay_alu instid0(SALU_CYCLE_1)
	v_dual_mov_b32 v0, 0xbdd :: v_dual_mov_b32 v1, s2
	v_mov_b32_e32 v2, s3
	s_add_nc_u64 s[8:9], s[0:1], 64
	s_get_pc_i64 s[0:1]
	s_add_nc_u64 s[0:1], s[0:1], __assert_fail@rel64+4
	s_mov_b32 s32, 0
	s_swap_pc_i64 s[30:31], s[0:1]
	.section	.rodata,"a",@progbits
	.p2align	6, 0x0
	.amdhsa_kernel _Z35paged_attention_ll4mi_reduce_kernelIDF16_hLi64ELi64ELi256ELi3EEvPT0_PKfS3_PKT_PKiS8_iS3_
		.amdhsa_group_segment_fixed_size 0
		.amdhsa_private_segment_fixed_size 64
		.amdhsa_kernarg_size 320
		.amdhsa_user_sgpr_count 2
		.amdhsa_user_sgpr_dispatch_ptr 0
		.amdhsa_user_sgpr_queue_ptr 0
		.amdhsa_user_sgpr_kernarg_segment_ptr 1
		.amdhsa_user_sgpr_dispatch_id 0
		.amdhsa_user_sgpr_kernarg_preload_length 0
		.amdhsa_user_sgpr_kernarg_preload_offset 0
		.amdhsa_user_sgpr_private_segment_size 0
		.amdhsa_wavefront_size32 1
		.amdhsa_uses_dynamic_stack 0
		.amdhsa_enable_private_segment 1
		.amdhsa_system_sgpr_workgroup_id_x 1
		.amdhsa_system_sgpr_workgroup_id_y 0
		.amdhsa_system_sgpr_workgroup_id_z 0
		.amdhsa_system_sgpr_workgroup_info 0
		.amdhsa_system_vgpr_workitem_id 0
		.amdhsa_next_free_vgpr 51
		.amdhsa_next_free_sgpr 34
		.amdhsa_named_barrier_count 0
		.amdhsa_reserve_vcc 1
		.amdhsa_float_round_mode_32 0
		.amdhsa_float_round_mode_16_64 0
		.amdhsa_float_denorm_mode_32 3
		.amdhsa_float_denorm_mode_16_64 3
		.amdhsa_fp16_overflow 0
		.amdhsa_memory_ordered 1
		.amdhsa_forward_progress 1
		.amdhsa_inst_pref_size 1
		.amdhsa_round_robin_scheduling 0
		.amdhsa_exception_fp_ieee_invalid_op 0
		.amdhsa_exception_fp_denorm_src 0
		.amdhsa_exception_fp_ieee_div_zero 0
		.amdhsa_exception_fp_ieee_overflow 0
		.amdhsa_exception_fp_ieee_underflow 0
		.amdhsa_exception_fp_ieee_inexact 0
		.amdhsa_exception_int_div_zero 0
	.end_amdhsa_kernel
	.section	.text._Z35paged_attention_ll4mi_reduce_kernelIDF16_hLi64ELi64ELi256ELi3EEvPT0_PKfS3_PKT_PKiS8_iS3_,"axG",@progbits,_Z35paged_attention_ll4mi_reduce_kernelIDF16_hLi64ELi64ELi256ELi3EEvPT0_PKfS3_PKT_PKiS8_iS3_,comdat
.Lfunc_end20:
	.size	_Z35paged_attention_ll4mi_reduce_kernelIDF16_hLi64ELi64ELi256ELi3EEvPT0_PKfS3_PKT_PKiS8_iS3_, .Lfunc_end20-_Z35paged_attention_ll4mi_reduce_kernelIDF16_hLi64ELi64ELi256ELi3EEvPT0_PKfS3_PKT_PKiS8_iS3_
                                        ; -- End function
	.set _Z35paged_attention_ll4mi_reduce_kernelIDF16_hLi64ELi64ELi256ELi3EEvPT0_PKfS3_PKT_PKiS8_iS3_.num_vgpr, max(3, .L__assert_fail.num_vgpr)
	.set _Z35paged_attention_ll4mi_reduce_kernelIDF16_hLi64ELi64ELi256ELi3EEvPT0_PKfS3_PKT_PKiS8_iS3_.num_agpr, max(0, .L__assert_fail.num_agpr)
	.set _Z35paged_attention_ll4mi_reduce_kernelIDF16_hLi64ELi64ELi256ELi3EEvPT0_PKfS3_PKT_PKiS8_iS3_.numbered_sgpr, max(33, .L__assert_fail.numbered_sgpr)
	.set _Z35paged_attention_ll4mi_reduce_kernelIDF16_hLi64ELi64ELi256ELi3EEvPT0_PKfS3_PKT_PKiS8_iS3_.num_named_barrier, max(0, .L__assert_fail.num_named_barrier)
	.set _Z35paged_attention_ll4mi_reduce_kernelIDF16_hLi64ELi64ELi256ELi3EEvPT0_PKfS3_PKT_PKiS8_iS3_.private_seg_size, 0+max(.L__assert_fail.private_seg_size)
	.set _Z35paged_attention_ll4mi_reduce_kernelIDF16_hLi64ELi64ELi256ELi3EEvPT0_PKfS3_PKT_PKiS8_iS3_.uses_vcc, or(1, .L__assert_fail.uses_vcc)
	.set _Z35paged_attention_ll4mi_reduce_kernelIDF16_hLi64ELi64ELi256ELi3EEvPT0_PKfS3_PKT_PKiS8_iS3_.uses_flat_scratch, or(0, .L__assert_fail.uses_flat_scratch)
	.set _Z35paged_attention_ll4mi_reduce_kernelIDF16_hLi64ELi64ELi256ELi3EEvPT0_PKfS3_PKT_PKiS8_iS3_.has_dyn_sized_stack, or(0, .L__assert_fail.has_dyn_sized_stack)
	.set _Z35paged_attention_ll4mi_reduce_kernelIDF16_hLi64ELi64ELi256ELi3EEvPT0_PKfS3_PKT_PKiS8_iS3_.has_recursion, or(0, .L__assert_fail.has_recursion)
	.set _Z35paged_attention_ll4mi_reduce_kernelIDF16_hLi64ELi64ELi256ELi3EEvPT0_PKfS3_PKT_PKiS8_iS3_.has_indirect_call, or(0, .L__assert_fail.has_indirect_call)
	.section	.AMDGPU.csdata,"",@progbits
; Kernel info:
; codeLenInByte = 64
; TotalNumSgprs: 36
; NumVgprs: 51
; ScratchSize: 64
; MemoryBound: 0
; FloatMode: 240
; IeeeMode: 1
; LDSByteSize: 0 bytes/workgroup (compile time only)
; SGPRBlocks: 0
; VGPRBlocks: 3
; NumSGPRsForWavesPerEU: 36
; NumVGPRsForWavesPerEU: 51
; NamedBarCnt: 0
; Occupancy: 16
; WaveLimiterHint : 1
; COMPUTE_PGM_RSRC2:SCRATCH_EN: 1
; COMPUTE_PGM_RSRC2:USER_SGPR: 2
; COMPUTE_PGM_RSRC2:TRAP_HANDLER: 0
; COMPUTE_PGM_RSRC2:TGID_X_EN: 1
; COMPUTE_PGM_RSRC2:TGID_Y_EN: 0
; COMPUTE_PGM_RSRC2:TGID_Z_EN: 0
; COMPUTE_PGM_RSRC2:TIDIG_COMP_CNT: 0
	.section	.text._Z35paged_attention_ll4mi_reduce_kernelIDF16_hLi64ELi64ELi256ELi4EEvPT0_PKfS3_PKT_PKiS8_iS3_,"axG",@progbits,_Z35paged_attention_ll4mi_reduce_kernelIDF16_hLi64ELi64ELi256ELi4EEvPT0_PKfS3_PKT_PKiS8_iS3_,comdat
	.protected	_Z35paged_attention_ll4mi_reduce_kernelIDF16_hLi64ELi64ELi256ELi4EEvPT0_PKfS3_PKT_PKiS8_iS3_ ; -- Begin function _Z35paged_attention_ll4mi_reduce_kernelIDF16_hLi64ELi64ELi256ELi4EEvPT0_PKfS3_PKT_PKiS8_iS3_
	.globl	_Z35paged_attention_ll4mi_reduce_kernelIDF16_hLi64ELi64ELi256ELi4EEvPT0_PKfS3_PKT_PKiS8_iS3_
	.p2align	8
	.type	_Z35paged_attention_ll4mi_reduce_kernelIDF16_hLi64ELi64ELi256ELi4EEvPT0_PKfS3_PKT_PKiS8_iS3_,@function
_Z35paged_attention_ll4mi_reduce_kernelIDF16_hLi64ELi64ELi256ELi4EEvPT0_PKfS3_PKT_PKiS8_iS3_: ; @_Z35paged_attention_ll4mi_reduce_kernelIDF16_hLi64ELi64ELi256ELi4EEvPT0_PKfS3_PKT_PKiS8_iS3_
; %bb.0:
	s_get_pc_i64 s[2:3]
	s_add_nc_u64 s[2:3], s[2:3], __PRETTY_FUNCTION__._Z35paged_attention_ll4mi_reduce_kernelIDF16_hLi64ELi64ELi256ELi4EEvPT0_PKfS3_PKT_PKiS8_iS3_@rel64+4
	s_delay_alu instid0(SALU_CYCLE_1)
	v_dual_mov_b32 v0, 0xbdd :: v_dual_mov_b32 v1, s2
	v_mov_b32_e32 v2, s3
	s_add_nc_u64 s[8:9], s[0:1], 64
	s_get_pc_i64 s[0:1]
	s_add_nc_u64 s[0:1], s[0:1], __assert_fail@rel64+4
	s_mov_b32 s32, 0
	s_swap_pc_i64 s[30:31], s[0:1]
	.section	.rodata,"a",@progbits
	.p2align	6, 0x0
	.amdhsa_kernel _Z35paged_attention_ll4mi_reduce_kernelIDF16_hLi64ELi64ELi256ELi4EEvPT0_PKfS3_PKT_PKiS8_iS3_
		.amdhsa_group_segment_fixed_size 0
		.amdhsa_private_segment_fixed_size 64
		.amdhsa_kernarg_size 320
		.amdhsa_user_sgpr_count 2
		.amdhsa_user_sgpr_dispatch_ptr 0
		.amdhsa_user_sgpr_queue_ptr 0
		.amdhsa_user_sgpr_kernarg_segment_ptr 1
		.amdhsa_user_sgpr_dispatch_id 0
		.amdhsa_user_sgpr_kernarg_preload_length 0
		.amdhsa_user_sgpr_kernarg_preload_offset 0
		.amdhsa_user_sgpr_private_segment_size 0
		.amdhsa_wavefront_size32 1
		.amdhsa_uses_dynamic_stack 0
		.amdhsa_enable_private_segment 1
		.amdhsa_system_sgpr_workgroup_id_x 1
		.amdhsa_system_sgpr_workgroup_id_y 0
		.amdhsa_system_sgpr_workgroup_id_z 0
		.amdhsa_system_sgpr_workgroup_info 0
		.amdhsa_system_vgpr_workitem_id 0
		.amdhsa_next_free_vgpr 51
		.amdhsa_next_free_sgpr 34
		.amdhsa_named_barrier_count 0
		.amdhsa_reserve_vcc 1
		.amdhsa_float_round_mode_32 0
		.amdhsa_float_round_mode_16_64 0
		.amdhsa_float_denorm_mode_32 3
		.amdhsa_float_denorm_mode_16_64 3
		.amdhsa_fp16_overflow 0
		.amdhsa_memory_ordered 1
		.amdhsa_forward_progress 1
		.amdhsa_inst_pref_size 1
		.amdhsa_round_robin_scheduling 0
		.amdhsa_exception_fp_ieee_invalid_op 0
		.amdhsa_exception_fp_denorm_src 0
		.amdhsa_exception_fp_ieee_div_zero 0
		.amdhsa_exception_fp_ieee_overflow 0
		.amdhsa_exception_fp_ieee_underflow 0
		.amdhsa_exception_fp_ieee_inexact 0
		.amdhsa_exception_int_div_zero 0
	.end_amdhsa_kernel
	.section	.text._Z35paged_attention_ll4mi_reduce_kernelIDF16_hLi64ELi64ELi256ELi4EEvPT0_PKfS3_PKT_PKiS8_iS3_,"axG",@progbits,_Z35paged_attention_ll4mi_reduce_kernelIDF16_hLi64ELi64ELi256ELi4EEvPT0_PKfS3_PKT_PKiS8_iS3_,comdat
.Lfunc_end21:
	.size	_Z35paged_attention_ll4mi_reduce_kernelIDF16_hLi64ELi64ELi256ELi4EEvPT0_PKfS3_PKT_PKiS8_iS3_, .Lfunc_end21-_Z35paged_attention_ll4mi_reduce_kernelIDF16_hLi64ELi64ELi256ELi4EEvPT0_PKfS3_PKT_PKiS8_iS3_
                                        ; -- End function
	.set _Z35paged_attention_ll4mi_reduce_kernelIDF16_hLi64ELi64ELi256ELi4EEvPT0_PKfS3_PKT_PKiS8_iS3_.num_vgpr, max(3, .L__assert_fail.num_vgpr)
	.set _Z35paged_attention_ll4mi_reduce_kernelIDF16_hLi64ELi64ELi256ELi4EEvPT0_PKfS3_PKT_PKiS8_iS3_.num_agpr, max(0, .L__assert_fail.num_agpr)
	.set _Z35paged_attention_ll4mi_reduce_kernelIDF16_hLi64ELi64ELi256ELi4EEvPT0_PKfS3_PKT_PKiS8_iS3_.numbered_sgpr, max(33, .L__assert_fail.numbered_sgpr)
	.set _Z35paged_attention_ll4mi_reduce_kernelIDF16_hLi64ELi64ELi256ELi4EEvPT0_PKfS3_PKT_PKiS8_iS3_.num_named_barrier, max(0, .L__assert_fail.num_named_barrier)
	.set _Z35paged_attention_ll4mi_reduce_kernelIDF16_hLi64ELi64ELi256ELi4EEvPT0_PKfS3_PKT_PKiS8_iS3_.private_seg_size, 0+max(.L__assert_fail.private_seg_size)
	.set _Z35paged_attention_ll4mi_reduce_kernelIDF16_hLi64ELi64ELi256ELi4EEvPT0_PKfS3_PKT_PKiS8_iS3_.uses_vcc, or(1, .L__assert_fail.uses_vcc)
	.set _Z35paged_attention_ll4mi_reduce_kernelIDF16_hLi64ELi64ELi256ELi4EEvPT0_PKfS3_PKT_PKiS8_iS3_.uses_flat_scratch, or(0, .L__assert_fail.uses_flat_scratch)
	.set _Z35paged_attention_ll4mi_reduce_kernelIDF16_hLi64ELi64ELi256ELi4EEvPT0_PKfS3_PKT_PKiS8_iS3_.has_dyn_sized_stack, or(0, .L__assert_fail.has_dyn_sized_stack)
	.set _Z35paged_attention_ll4mi_reduce_kernelIDF16_hLi64ELi64ELi256ELi4EEvPT0_PKfS3_PKT_PKiS8_iS3_.has_recursion, or(0, .L__assert_fail.has_recursion)
	.set _Z35paged_attention_ll4mi_reduce_kernelIDF16_hLi64ELi64ELi256ELi4EEvPT0_PKfS3_PKT_PKiS8_iS3_.has_indirect_call, or(0, .L__assert_fail.has_indirect_call)
	.section	.AMDGPU.csdata,"",@progbits
; Kernel info:
; codeLenInByte = 64
; TotalNumSgprs: 36
; NumVgprs: 51
; ScratchSize: 64
; MemoryBound: 0
; FloatMode: 240
; IeeeMode: 1
; LDSByteSize: 0 bytes/workgroup (compile time only)
; SGPRBlocks: 0
; VGPRBlocks: 3
; NumSGPRsForWavesPerEU: 36
; NumVGPRsForWavesPerEU: 51
; NamedBarCnt: 0
; Occupancy: 16
; WaveLimiterHint : 1
; COMPUTE_PGM_RSRC2:SCRATCH_EN: 1
; COMPUTE_PGM_RSRC2:USER_SGPR: 2
; COMPUTE_PGM_RSRC2:TRAP_HANDLER: 0
; COMPUTE_PGM_RSRC2:TGID_X_EN: 1
; COMPUTE_PGM_RSRC2:TGID_Y_EN: 0
; COMPUTE_PGM_RSRC2:TGID_Z_EN: 0
; COMPUTE_PGM_RSRC2:TIDIG_COMP_CNT: 0
	.section	.text._Z35paged_attention_ll4mi_reduce_kernelIDF16_hLi64ELi64ELi256ELi5EEvPT0_PKfS3_PKT_PKiS8_iS3_,"axG",@progbits,_Z35paged_attention_ll4mi_reduce_kernelIDF16_hLi64ELi64ELi256ELi5EEvPT0_PKfS3_PKT_PKiS8_iS3_,comdat
	.protected	_Z35paged_attention_ll4mi_reduce_kernelIDF16_hLi64ELi64ELi256ELi5EEvPT0_PKfS3_PKT_PKiS8_iS3_ ; -- Begin function _Z35paged_attention_ll4mi_reduce_kernelIDF16_hLi64ELi64ELi256ELi5EEvPT0_PKfS3_PKT_PKiS8_iS3_
	.globl	_Z35paged_attention_ll4mi_reduce_kernelIDF16_hLi64ELi64ELi256ELi5EEvPT0_PKfS3_PKT_PKiS8_iS3_
	.p2align	8
	.type	_Z35paged_attention_ll4mi_reduce_kernelIDF16_hLi64ELi64ELi256ELi5EEvPT0_PKfS3_PKT_PKiS8_iS3_,@function
_Z35paged_attention_ll4mi_reduce_kernelIDF16_hLi64ELi64ELi256ELi5EEvPT0_PKfS3_PKT_PKiS8_iS3_: ; @_Z35paged_attention_ll4mi_reduce_kernelIDF16_hLi64ELi64ELi256ELi5EEvPT0_PKfS3_PKT_PKiS8_iS3_
; %bb.0:
	s_get_pc_i64 s[2:3]
	s_add_nc_u64 s[2:3], s[2:3], __PRETTY_FUNCTION__._Z35paged_attention_ll4mi_reduce_kernelIDF16_hLi64ELi64ELi256ELi5EEvPT0_PKfS3_PKT_PKiS8_iS3_@rel64+4
	s_delay_alu instid0(SALU_CYCLE_1)
	v_dual_mov_b32 v0, 0xbdd :: v_dual_mov_b32 v1, s2
	v_mov_b32_e32 v2, s3
	s_add_nc_u64 s[8:9], s[0:1], 64
	s_get_pc_i64 s[0:1]
	s_add_nc_u64 s[0:1], s[0:1], __assert_fail@rel64+4
	s_mov_b32 s32, 0
	s_swap_pc_i64 s[30:31], s[0:1]
	.section	.rodata,"a",@progbits
	.p2align	6, 0x0
	.amdhsa_kernel _Z35paged_attention_ll4mi_reduce_kernelIDF16_hLi64ELi64ELi256ELi5EEvPT0_PKfS3_PKT_PKiS8_iS3_
		.amdhsa_group_segment_fixed_size 0
		.amdhsa_private_segment_fixed_size 64
		.amdhsa_kernarg_size 320
		.amdhsa_user_sgpr_count 2
		.amdhsa_user_sgpr_dispatch_ptr 0
		.amdhsa_user_sgpr_queue_ptr 0
		.amdhsa_user_sgpr_kernarg_segment_ptr 1
		.amdhsa_user_sgpr_dispatch_id 0
		.amdhsa_user_sgpr_kernarg_preload_length 0
		.amdhsa_user_sgpr_kernarg_preload_offset 0
		.amdhsa_user_sgpr_private_segment_size 0
		.amdhsa_wavefront_size32 1
		.amdhsa_uses_dynamic_stack 0
		.amdhsa_enable_private_segment 1
		.amdhsa_system_sgpr_workgroup_id_x 1
		.amdhsa_system_sgpr_workgroup_id_y 0
		.amdhsa_system_sgpr_workgroup_id_z 0
		.amdhsa_system_sgpr_workgroup_info 0
		.amdhsa_system_vgpr_workitem_id 0
		.amdhsa_next_free_vgpr 51
		.amdhsa_next_free_sgpr 34
		.amdhsa_named_barrier_count 0
		.amdhsa_reserve_vcc 1
		.amdhsa_float_round_mode_32 0
		.amdhsa_float_round_mode_16_64 0
		.amdhsa_float_denorm_mode_32 3
		.amdhsa_float_denorm_mode_16_64 3
		.amdhsa_fp16_overflow 0
		.amdhsa_memory_ordered 1
		.amdhsa_forward_progress 1
		.amdhsa_inst_pref_size 1
		.amdhsa_round_robin_scheduling 0
		.amdhsa_exception_fp_ieee_invalid_op 0
		.amdhsa_exception_fp_denorm_src 0
		.amdhsa_exception_fp_ieee_div_zero 0
		.amdhsa_exception_fp_ieee_overflow 0
		.amdhsa_exception_fp_ieee_underflow 0
		.amdhsa_exception_fp_ieee_inexact 0
		.amdhsa_exception_int_div_zero 0
	.end_amdhsa_kernel
	.section	.text._Z35paged_attention_ll4mi_reduce_kernelIDF16_hLi64ELi64ELi256ELi5EEvPT0_PKfS3_PKT_PKiS8_iS3_,"axG",@progbits,_Z35paged_attention_ll4mi_reduce_kernelIDF16_hLi64ELi64ELi256ELi5EEvPT0_PKfS3_PKT_PKiS8_iS3_,comdat
.Lfunc_end22:
	.size	_Z35paged_attention_ll4mi_reduce_kernelIDF16_hLi64ELi64ELi256ELi5EEvPT0_PKfS3_PKT_PKiS8_iS3_, .Lfunc_end22-_Z35paged_attention_ll4mi_reduce_kernelIDF16_hLi64ELi64ELi256ELi5EEvPT0_PKfS3_PKT_PKiS8_iS3_
                                        ; -- End function
	.set _Z35paged_attention_ll4mi_reduce_kernelIDF16_hLi64ELi64ELi256ELi5EEvPT0_PKfS3_PKT_PKiS8_iS3_.num_vgpr, max(3, .L__assert_fail.num_vgpr)
	.set _Z35paged_attention_ll4mi_reduce_kernelIDF16_hLi64ELi64ELi256ELi5EEvPT0_PKfS3_PKT_PKiS8_iS3_.num_agpr, max(0, .L__assert_fail.num_agpr)
	.set _Z35paged_attention_ll4mi_reduce_kernelIDF16_hLi64ELi64ELi256ELi5EEvPT0_PKfS3_PKT_PKiS8_iS3_.numbered_sgpr, max(33, .L__assert_fail.numbered_sgpr)
	.set _Z35paged_attention_ll4mi_reduce_kernelIDF16_hLi64ELi64ELi256ELi5EEvPT0_PKfS3_PKT_PKiS8_iS3_.num_named_barrier, max(0, .L__assert_fail.num_named_barrier)
	.set _Z35paged_attention_ll4mi_reduce_kernelIDF16_hLi64ELi64ELi256ELi5EEvPT0_PKfS3_PKT_PKiS8_iS3_.private_seg_size, 0+max(.L__assert_fail.private_seg_size)
	.set _Z35paged_attention_ll4mi_reduce_kernelIDF16_hLi64ELi64ELi256ELi5EEvPT0_PKfS3_PKT_PKiS8_iS3_.uses_vcc, or(1, .L__assert_fail.uses_vcc)
	.set _Z35paged_attention_ll4mi_reduce_kernelIDF16_hLi64ELi64ELi256ELi5EEvPT0_PKfS3_PKT_PKiS8_iS3_.uses_flat_scratch, or(0, .L__assert_fail.uses_flat_scratch)
	.set _Z35paged_attention_ll4mi_reduce_kernelIDF16_hLi64ELi64ELi256ELi5EEvPT0_PKfS3_PKT_PKiS8_iS3_.has_dyn_sized_stack, or(0, .L__assert_fail.has_dyn_sized_stack)
	.set _Z35paged_attention_ll4mi_reduce_kernelIDF16_hLi64ELi64ELi256ELi5EEvPT0_PKfS3_PKT_PKiS8_iS3_.has_recursion, or(0, .L__assert_fail.has_recursion)
	.set _Z35paged_attention_ll4mi_reduce_kernelIDF16_hLi64ELi64ELi256ELi5EEvPT0_PKfS3_PKT_PKiS8_iS3_.has_indirect_call, or(0, .L__assert_fail.has_indirect_call)
	.section	.AMDGPU.csdata,"",@progbits
; Kernel info:
; codeLenInByte = 64
; TotalNumSgprs: 36
; NumVgprs: 51
; ScratchSize: 64
; MemoryBound: 0
; FloatMode: 240
; IeeeMode: 1
; LDSByteSize: 0 bytes/workgroup (compile time only)
; SGPRBlocks: 0
; VGPRBlocks: 3
; NumSGPRsForWavesPerEU: 36
; NumVGPRsForWavesPerEU: 51
; NamedBarCnt: 0
; Occupancy: 16
; WaveLimiterHint : 1
; COMPUTE_PGM_RSRC2:SCRATCH_EN: 1
; COMPUTE_PGM_RSRC2:USER_SGPR: 2
; COMPUTE_PGM_RSRC2:TRAP_HANDLER: 0
; COMPUTE_PGM_RSRC2:TGID_X_EN: 1
; COMPUTE_PGM_RSRC2:TGID_Y_EN: 0
; COMPUTE_PGM_RSRC2:TGID_Z_EN: 0
; COMPUTE_PGM_RSRC2:TIDIG_COMP_CNT: 0
	.section	.text._Z35paged_attention_ll4mi_reduce_kernelIDF16_hLi64ELi64ELi256ELi6EEvPT0_PKfS3_PKT_PKiS8_iS3_,"axG",@progbits,_Z35paged_attention_ll4mi_reduce_kernelIDF16_hLi64ELi64ELi256ELi6EEvPT0_PKfS3_PKT_PKiS8_iS3_,comdat
	.protected	_Z35paged_attention_ll4mi_reduce_kernelIDF16_hLi64ELi64ELi256ELi6EEvPT0_PKfS3_PKT_PKiS8_iS3_ ; -- Begin function _Z35paged_attention_ll4mi_reduce_kernelIDF16_hLi64ELi64ELi256ELi6EEvPT0_PKfS3_PKT_PKiS8_iS3_
	.globl	_Z35paged_attention_ll4mi_reduce_kernelIDF16_hLi64ELi64ELi256ELi6EEvPT0_PKfS3_PKT_PKiS8_iS3_
	.p2align	8
	.type	_Z35paged_attention_ll4mi_reduce_kernelIDF16_hLi64ELi64ELi256ELi6EEvPT0_PKfS3_PKT_PKiS8_iS3_,@function
_Z35paged_attention_ll4mi_reduce_kernelIDF16_hLi64ELi64ELi256ELi6EEvPT0_PKfS3_PKT_PKiS8_iS3_: ; @_Z35paged_attention_ll4mi_reduce_kernelIDF16_hLi64ELi64ELi256ELi6EEvPT0_PKfS3_PKT_PKiS8_iS3_
; %bb.0:
	s_get_pc_i64 s[2:3]
	s_add_nc_u64 s[2:3], s[2:3], __PRETTY_FUNCTION__._Z35paged_attention_ll4mi_reduce_kernelIDF16_hLi64ELi64ELi256ELi6EEvPT0_PKfS3_PKT_PKiS8_iS3_@rel64+4
	s_delay_alu instid0(SALU_CYCLE_1)
	v_dual_mov_b32 v0, 0xbdd :: v_dual_mov_b32 v1, s2
	v_mov_b32_e32 v2, s3
	s_add_nc_u64 s[8:9], s[0:1], 64
	s_get_pc_i64 s[0:1]
	s_add_nc_u64 s[0:1], s[0:1], __assert_fail@rel64+4
	s_mov_b32 s32, 0
	s_swap_pc_i64 s[30:31], s[0:1]
	.section	.rodata,"a",@progbits
	.p2align	6, 0x0
	.amdhsa_kernel _Z35paged_attention_ll4mi_reduce_kernelIDF16_hLi64ELi64ELi256ELi6EEvPT0_PKfS3_PKT_PKiS8_iS3_
		.amdhsa_group_segment_fixed_size 0
		.amdhsa_private_segment_fixed_size 64
		.amdhsa_kernarg_size 320
		.amdhsa_user_sgpr_count 2
		.amdhsa_user_sgpr_dispatch_ptr 0
		.amdhsa_user_sgpr_queue_ptr 0
		.amdhsa_user_sgpr_kernarg_segment_ptr 1
		.amdhsa_user_sgpr_dispatch_id 0
		.amdhsa_user_sgpr_kernarg_preload_length 0
		.amdhsa_user_sgpr_kernarg_preload_offset 0
		.amdhsa_user_sgpr_private_segment_size 0
		.amdhsa_wavefront_size32 1
		.amdhsa_uses_dynamic_stack 0
		.amdhsa_enable_private_segment 1
		.amdhsa_system_sgpr_workgroup_id_x 1
		.amdhsa_system_sgpr_workgroup_id_y 0
		.amdhsa_system_sgpr_workgroup_id_z 0
		.amdhsa_system_sgpr_workgroup_info 0
		.amdhsa_system_vgpr_workitem_id 0
		.amdhsa_next_free_vgpr 51
		.amdhsa_next_free_sgpr 34
		.amdhsa_named_barrier_count 0
		.amdhsa_reserve_vcc 1
		.amdhsa_float_round_mode_32 0
		.amdhsa_float_round_mode_16_64 0
		.amdhsa_float_denorm_mode_32 3
		.amdhsa_float_denorm_mode_16_64 3
		.amdhsa_fp16_overflow 0
		.amdhsa_memory_ordered 1
		.amdhsa_forward_progress 1
		.amdhsa_inst_pref_size 1
		.amdhsa_round_robin_scheduling 0
		.amdhsa_exception_fp_ieee_invalid_op 0
		.amdhsa_exception_fp_denorm_src 0
		.amdhsa_exception_fp_ieee_div_zero 0
		.amdhsa_exception_fp_ieee_overflow 0
		.amdhsa_exception_fp_ieee_underflow 0
		.amdhsa_exception_fp_ieee_inexact 0
		.amdhsa_exception_int_div_zero 0
	.end_amdhsa_kernel
	.section	.text._Z35paged_attention_ll4mi_reduce_kernelIDF16_hLi64ELi64ELi256ELi6EEvPT0_PKfS3_PKT_PKiS8_iS3_,"axG",@progbits,_Z35paged_attention_ll4mi_reduce_kernelIDF16_hLi64ELi64ELi256ELi6EEvPT0_PKfS3_PKT_PKiS8_iS3_,comdat
.Lfunc_end23:
	.size	_Z35paged_attention_ll4mi_reduce_kernelIDF16_hLi64ELi64ELi256ELi6EEvPT0_PKfS3_PKT_PKiS8_iS3_, .Lfunc_end23-_Z35paged_attention_ll4mi_reduce_kernelIDF16_hLi64ELi64ELi256ELi6EEvPT0_PKfS3_PKT_PKiS8_iS3_
                                        ; -- End function
	.set _Z35paged_attention_ll4mi_reduce_kernelIDF16_hLi64ELi64ELi256ELi6EEvPT0_PKfS3_PKT_PKiS8_iS3_.num_vgpr, max(3, .L__assert_fail.num_vgpr)
	.set _Z35paged_attention_ll4mi_reduce_kernelIDF16_hLi64ELi64ELi256ELi6EEvPT0_PKfS3_PKT_PKiS8_iS3_.num_agpr, max(0, .L__assert_fail.num_agpr)
	.set _Z35paged_attention_ll4mi_reduce_kernelIDF16_hLi64ELi64ELi256ELi6EEvPT0_PKfS3_PKT_PKiS8_iS3_.numbered_sgpr, max(33, .L__assert_fail.numbered_sgpr)
	.set _Z35paged_attention_ll4mi_reduce_kernelIDF16_hLi64ELi64ELi256ELi6EEvPT0_PKfS3_PKT_PKiS8_iS3_.num_named_barrier, max(0, .L__assert_fail.num_named_barrier)
	.set _Z35paged_attention_ll4mi_reduce_kernelIDF16_hLi64ELi64ELi256ELi6EEvPT0_PKfS3_PKT_PKiS8_iS3_.private_seg_size, 0+max(.L__assert_fail.private_seg_size)
	.set _Z35paged_attention_ll4mi_reduce_kernelIDF16_hLi64ELi64ELi256ELi6EEvPT0_PKfS3_PKT_PKiS8_iS3_.uses_vcc, or(1, .L__assert_fail.uses_vcc)
	.set _Z35paged_attention_ll4mi_reduce_kernelIDF16_hLi64ELi64ELi256ELi6EEvPT0_PKfS3_PKT_PKiS8_iS3_.uses_flat_scratch, or(0, .L__assert_fail.uses_flat_scratch)
	.set _Z35paged_attention_ll4mi_reduce_kernelIDF16_hLi64ELi64ELi256ELi6EEvPT0_PKfS3_PKT_PKiS8_iS3_.has_dyn_sized_stack, or(0, .L__assert_fail.has_dyn_sized_stack)
	.set _Z35paged_attention_ll4mi_reduce_kernelIDF16_hLi64ELi64ELi256ELi6EEvPT0_PKfS3_PKT_PKiS8_iS3_.has_recursion, or(0, .L__assert_fail.has_recursion)
	.set _Z35paged_attention_ll4mi_reduce_kernelIDF16_hLi64ELi64ELi256ELi6EEvPT0_PKfS3_PKT_PKiS8_iS3_.has_indirect_call, or(0, .L__assert_fail.has_indirect_call)
	.section	.AMDGPU.csdata,"",@progbits
; Kernel info:
; codeLenInByte = 64
; TotalNumSgprs: 36
; NumVgprs: 51
; ScratchSize: 64
; MemoryBound: 0
; FloatMode: 240
; IeeeMode: 1
; LDSByteSize: 0 bytes/workgroup (compile time only)
; SGPRBlocks: 0
; VGPRBlocks: 3
; NumSGPRsForWavesPerEU: 36
; NumVGPRsForWavesPerEU: 51
; NamedBarCnt: 0
; Occupancy: 16
; WaveLimiterHint : 1
; COMPUTE_PGM_RSRC2:SCRATCH_EN: 1
; COMPUTE_PGM_RSRC2:USER_SGPR: 2
; COMPUTE_PGM_RSRC2:TRAP_HANDLER: 0
; COMPUTE_PGM_RSRC2:TGID_X_EN: 1
; COMPUTE_PGM_RSRC2:TGID_Y_EN: 0
; COMPUTE_PGM_RSRC2:TGID_Z_EN: 0
; COMPUTE_PGM_RSRC2:TIDIG_COMP_CNT: 0
	.section	.text._Z35paged_attention_ll4mi_reduce_kernelIDF16_hLi64ELi64ELi256ELi7EEvPT0_PKfS3_PKT_PKiS8_iS3_,"axG",@progbits,_Z35paged_attention_ll4mi_reduce_kernelIDF16_hLi64ELi64ELi256ELi7EEvPT0_PKfS3_PKT_PKiS8_iS3_,comdat
	.protected	_Z35paged_attention_ll4mi_reduce_kernelIDF16_hLi64ELi64ELi256ELi7EEvPT0_PKfS3_PKT_PKiS8_iS3_ ; -- Begin function _Z35paged_attention_ll4mi_reduce_kernelIDF16_hLi64ELi64ELi256ELi7EEvPT0_PKfS3_PKT_PKiS8_iS3_
	.globl	_Z35paged_attention_ll4mi_reduce_kernelIDF16_hLi64ELi64ELi256ELi7EEvPT0_PKfS3_PKT_PKiS8_iS3_
	.p2align	8
	.type	_Z35paged_attention_ll4mi_reduce_kernelIDF16_hLi64ELi64ELi256ELi7EEvPT0_PKfS3_PKT_PKiS8_iS3_,@function
_Z35paged_attention_ll4mi_reduce_kernelIDF16_hLi64ELi64ELi256ELi7EEvPT0_PKfS3_PKT_PKiS8_iS3_: ; @_Z35paged_attention_ll4mi_reduce_kernelIDF16_hLi64ELi64ELi256ELi7EEvPT0_PKfS3_PKT_PKiS8_iS3_
; %bb.0:
	s_get_pc_i64 s[2:3]
	s_add_nc_u64 s[2:3], s[2:3], __PRETTY_FUNCTION__._Z35paged_attention_ll4mi_reduce_kernelIDF16_hLi64ELi64ELi256ELi7EEvPT0_PKfS3_PKT_PKiS8_iS3_@rel64+4
	s_delay_alu instid0(SALU_CYCLE_1)
	v_dual_mov_b32 v0, 0xbdd :: v_dual_mov_b32 v1, s2
	v_mov_b32_e32 v2, s3
	s_add_nc_u64 s[8:9], s[0:1], 64
	s_get_pc_i64 s[0:1]
	s_add_nc_u64 s[0:1], s[0:1], __assert_fail@rel64+4
	s_mov_b32 s32, 0
	s_swap_pc_i64 s[30:31], s[0:1]
	.section	.rodata,"a",@progbits
	.p2align	6, 0x0
	.amdhsa_kernel _Z35paged_attention_ll4mi_reduce_kernelIDF16_hLi64ELi64ELi256ELi7EEvPT0_PKfS3_PKT_PKiS8_iS3_
		.amdhsa_group_segment_fixed_size 0
		.amdhsa_private_segment_fixed_size 64
		.amdhsa_kernarg_size 320
		.amdhsa_user_sgpr_count 2
		.amdhsa_user_sgpr_dispatch_ptr 0
		.amdhsa_user_sgpr_queue_ptr 0
		.amdhsa_user_sgpr_kernarg_segment_ptr 1
		.amdhsa_user_sgpr_dispatch_id 0
		.amdhsa_user_sgpr_kernarg_preload_length 0
		.amdhsa_user_sgpr_kernarg_preload_offset 0
		.amdhsa_user_sgpr_private_segment_size 0
		.amdhsa_wavefront_size32 1
		.amdhsa_uses_dynamic_stack 0
		.amdhsa_enable_private_segment 1
		.amdhsa_system_sgpr_workgroup_id_x 1
		.amdhsa_system_sgpr_workgroup_id_y 0
		.amdhsa_system_sgpr_workgroup_id_z 0
		.amdhsa_system_sgpr_workgroup_info 0
		.amdhsa_system_vgpr_workitem_id 0
		.amdhsa_next_free_vgpr 51
		.amdhsa_next_free_sgpr 34
		.amdhsa_named_barrier_count 0
		.amdhsa_reserve_vcc 1
		.amdhsa_float_round_mode_32 0
		.amdhsa_float_round_mode_16_64 0
		.amdhsa_float_denorm_mode_32 3
		.amdhsa_float_denorm_mode_16_64 3
		.amdhsa_fp16_overflow 0
		.amdhsa_memory_ordered 1
		.amdhsa_forward_progress 1
		.amdhsa_inst_pref_size 1
		.amdhsa_round_robin_scheduling 0
		.amdhsa_exception_fp_ieee_invalid_op 0
		.amdhsa_exception_fp_denorm_src 0
		.amdhsa_exception_fp_ieee_div_zero 0
		.amdhsa_exception_fp_ieee_overflow 0
		.amdhsa_exception_fp_ieee_underflow 0
		.amdhsa_exception_fp_ieee_inexact 0
		.amdhsa_exception_int_div_zero 0
	.end_amdhsa_kernel
	.section	.text._Z35paged_attention_ll4mi_reduce_kernelIDF16_hLi64ELi64ELi256ELi7EEvPT0_PKfS3_PKT_PKiS8_iS3_,"axG",@progbits,_Z35paged_attention_ll4mi_reduce_kernelIDF16_hLi64ELi64ELi256ELi7EEvPT0_PKfS3_PKT_PKiS8_iS3_,comdat
.Lfunc_end24:
	.size	_Z35paged_attention_ll4mi_reduce_kernelIDF16_hLi64ELi64ELi256ELi7EEvPT0_PKfS3_PKT_PKiS8_iS3_, .Lfunc_end24-_Z35paged_attention_ll4mi_reduce_kernelIDF16_hLi64ELi64ELi256ELi7EEvPT0_PKfS3_PKT_PKiS8_iS3_
                                        ; -- End function
	.set _Z35paged_attention_ll4mi_reduce_kernelIDF16_hLi64ELi64ELi256ELi7EEvPT0_PKfS3_PKT_PKiS8_iS3_.num_vgpr, max(3, .L__assert_fail.num_vgpr)
	.set _Z35paged_attention_ll4mi_reduce_kernelIDF16_hLi64ELi64ELi256ELi7EEvPT0_PKfS3_PKT_PKiS8_iS3_.num_agpr, max(0, .L__assert_fail.num_agpr)
	.set _Z35paged_attention_ll4mi_reduce_kernelIDF16_hLi64ELi64ELi256ELi7EEvPT0_PKfS3_PKT_PKiS8_iS3_.numbered_sgpr, max(33, .L__assert_fail.numbered_sgpr)
	.set _Z35paged_attention_ll4mi_reduce_kernelIDF16_hLi64ELi64ELi256ELi7EEvPT0_PKfS3_PKT_PKiS8_iS3_.num_named_barrier, max(0, .L__assert_fail.num_named_barrier)
	.set _Z35paged_attention_ll4mi_reduce_kernelIDF16_hLi64ELi64ELi256ELi7EEvPT0_PKfS3_PKT_PKiS8_iS3_.private_seg_size, 0+max(.L__assert_fail.private_seg_size)
	.set _Z35paged_attention_ll4mi_reduce_kernelIDF16_hLi64ELi64ELi256ELi7EEvPT0_PKfS3_PKT_PKiS8_iS3_.uses_vcc, or(1, .L__assert_fail.uses_vcc)
	.set _Z35paged_attention_ll4mi_reduce_kernelIDF16_hLi64ELi64ELi256ELi7EEvPT0_PKfS3_PKT_PKiS8_iS3_.uses_flat_scratch, or(0, .L__assert_fail.uses_flat_scratch)
	.set _Z35paged_attention_ll4mi_reduce_kernelIDF16_hLi64ELi64ELi256ELi7EEvPT0_PKfS3_PKT_PKiS8_iS3_.has_dyn_sized_stack, or(0, .L__assert_fail.has_dyn_sized_stack)
	.set _Z35paged_attention_ll4mi_reduce_kernelIDF16_hLi64ELi64ELi256ELi7EEvPT0_PKfS3_PKT_PKiS8_iS3_.has_recursion, or(0, .L__assert_fail.has_recursion)
	.set _Z35paged_attention_ll4mi_reduce_kernelIDF16_hLi64ELi64ELi256ELi7EEvPT0_PKfS3_PKT_PKiS8_iS3_.has_indirect_call, or(0, .L__assert_fail.has_indirect_call)
	.section	.AMDGPU.csdata,"",@progbits
; Kernel info:
; codeLenInByte = 64
; TotalNumSgprs: 36
; NumVgprs: 51
; ScratchSize: 64
; MemoryBound: 0
; FloatMode: 240
; IeeeMode: 1
; LDSByteSize: 0 bytes/workgroup (compile time only)
; SGPRBlocks: 0
; VGPRBlocks: 3
; NumSGPRsForWavesPerEU: 36
; NumVGPRsForWavesPerEU: 51
; NamedBarCnt: 0
; Occupancy: 16
; WaveLimiterHint : 1
; COMPUTE_PGM_RSRC2:SCRATCH_EN: 1
; COMPUTE_PGM_RSRC2:USER_SGPR: 2
; COMPUTE_PGM_RSRC2:TRAP_HANDLER: 0
; COMPUTE_PGM_RSRC2:TGID_X_EN: 1
; COMPUTE_PGM_RSRC2:TGID_Y_EN: 0
; COMPUTE_PGM_RSRC2:TGID_Z_EN: 0
; COMPUTE_PGM_RSRC2:TIDIG_COMP_CNT: 0
	.section	.text._Z35paged_attention_ll4mi_reduce_kernelIDF16_hLi64ELi64ELi256ELi8EEvPT0_PKfS3_PKT_PKiS8_iS3_,"axG",@progbits,_Z35paged_attention_ll4mi_reduce_kernelIDF16_hLi64ELi64ELi256ELi8EEvPT0_PKfS3_PKT_PKiS8_iS3_,comdat
	.protected	_Z35paged_attention_ll4mi_reduce_kernelIDF16_hLi64ELi64ELi256ELi8EEvPT0_PKfS3_PKT_PKiS8_iS3_ ; -- Begin function _Z35paged_attention_ll4mi_reduce_kernelIDF16_hLi64ELi64ELi256ELi8EEvPT0_PKfS3_PKT_PKiS8_iS3_
	.globl	_Z35paged_attention_ll4mi_reduce_kernelIDF16_hLi64ELi64ELi256ELi8EEvPT0_PKfS3_PKT_PKiS8_iS3_
	.p2align	8
	.type	_Z35paged_attention_ll4mi_reduce_kernelIDF16_hLi64ELi64ELi256ELi8EEvPT0_PKfS3_PKT_PKiS8_iS3_,@function
_Z35paged_attention_ll4mi_reduce_kernelIDF16_hLi64ELi64ELi256ELi8EEvPT0_PKfS3_PKT_PKiS8_iS3_: ; @_Z35paged_attention_ll4mi_reduce_kernelIDF16_hLi64ELi64ELi256ELi8EEvPT0_PKfS3_PKT_PKiS8_iS3_
; %bb.0:
	s_get_pc_i64 s[2:3]
	s_add_nc_u64 s[2:3], s[2:3], __PRETTY_FUNCTION__._Z35paged_attention_ll4mi_reduce_kernelIDF16_hLi64ELi64ELi256ELi8EEvPT0_PKfS3_PKT_PKiS8_iS3_@rel64+4
	s_delay_alu instid0(SALU_CYCLE_1)
	v_dual_mov_b32 v0, 0xbdd :: v_dual_mov_b32 v1, s2
	v_mov_b32_e32 v2, s3
	s_add_nc_u64 s[8:9], s[0:1], 64
	s_get_pc_i64 s[0:1]
	s_add_nc_u64 s[0:1], s[0:1], __assert_fail@rel64+4
	s_mov_b32 s32, 0
	s_swap_pc_i64 s[30:31], s[0:1]
	.section	.rodata,"a",@progbits
	.p2align	6, 0x0
	.amdhsa_kernel _Z35paged_attention_ll4mi_reduce_kernelIDF16_hLi64ELi64ELi256ELi8EEvPT0_PKfS3_PKT_PKiS8_iS3_
		.amdhsa_group_segment_fixed_size 0
		.amdhsa_private_segment_fixed_size 64
		.amdhsa_kernarg_size 320
		.amdhsa_user_sgpr_count 2
		.amdhsa_user_sgpr_dispatch_ptr 0
		.amdhsa_user_sgpr_queue_ptr 0
		.amdhsa_user_sgpr_kernarg_segment_ptr 1
		.amdhsa_user_sgpr_dispatch_id 0
		.amdhsa_user_sgpr_kernarg_preload_length 0
		.amdhsa_user_sgpr_kernarg_preload_offset 0
		.amdhsa_user_sgpr_private_segment_size 0
		.amdhsa_wavefront_size32 1
		.amdhsa_uses_dynamic_stack 0
		.amdhsa_enable_private_segment 1
		.amdhsa_system_sgpr_workgroup_id_x 1
		.amdhsa_system_sgpr_workgroup_id_y 0
		.amdhsa_system_sgpr_workgroup_id_z 0
		.amdhsa_system_sgpr_workgroup_info 0
		.amdhsa_system_vgpr_workitem_id 0
		.amdhsa_next_free_vgpr 51
		.amdhsa_next_free_sgpr 34
		.amdhsa_named_barrier_count 0
		.amdhsa_reserve_vcc 1
		.amdhsa_float_round_mode_32 0
		.amdhsa_float_round_mode_16_64 0
		.amdhsa_float_denorm_mode_32 3
		.amdhsa_float_denorm_mode_16_64 3
		.amdhsa_fp16_overflow 0
		.amdhsa_memory_ordered 1
		.amdhsa_forward_progress 1
		.amdhsa_inst_pref_size 1
		.amdhsa_round_robin_scheduling 0
		.amdhsa_exception_fp_ieee_invalid_op 0
		.amdhsa_exception_fp_denorm_src 0
		.amdhsa_exception_fp_ieee_div_zero 0
		.amdhsa_exception_fp_ieee_overflow 0
		.amdhsa_exception_fp_ieee_underflow 0
		.amdhsa_exception_fp_ieee_inexact 0
		.amdhsa_exception_int_div_zero 0
	.end_amdhsa_kernel
	.section	.text._Z35paged_attention_ll4mi_reduce_kernelIDF16_hLi64ELi64ELi256ELi8EEvPT0_PKfS3_PKT_PKiS8_iS3_,"axG",@progbits,_Z35paged_attention_ll4mi_reduce_kernelIDF16_hLi64ELi64ELi256ELi8EEvPT0_PKfS3_PKT_PKiS8_iS3_,comdat
.Lfunc_end25:
	.size	_Z35paged_attention_ll4mi_reduce_kernelIDF16_hLi64ELi64ELi256ELi8EEvPT0_PKfS3_PKT_PKiS8_iS3_, .Lfunc_end25-_Z35paged_attention_ll4mi_reduce_kernelIDF16_hLi64ELi64ELi256ELi8EEvPT0_PKfS3_PKT_PKiS8_iS3_
                                        ; -- End function
	.set _Z35paged_attention_ll4mi_reduce_kernelIDF16_hLi64ELi64ELi256ELi8EEvPT0_PKfS3_PKT_PKiS8_iS3_.num_vgpr, max(3, .L__assert_fail.num_vgpr)
	.set _Z35paged_attention_ll4mi_reduce_kernelIDF16_hLi64ELi64ELi256ELi8EEvPT0_PKfS3_PKT_PKiS8_iS3_.num_agpr, max(0, .L__assert_fail.num_agpr)
	.set _Z35paged_attention_ll4mi_reduce_kernelIDF16_hLi64ELi64ELi256ELi8EEvPT0_PKfS3_PKT_PKiS8_iS3_.numbered_sgpr, max(33, .L__assert_fail.numbered_sgpr)
	.set _Z35paged_attention_ll4mi_reduce_kernelIDF16_hLi64ELi64ELi256ELi8EEvPT0_PKfS3_PKT_PKiS8_iS3_.num_named_barrier, max(0, .L__assert_fail.num_named_barrier)
	.set _Z35paged_attention_ll4mi_reduce_kernelIDF16_hLi64ELi64ELi256ELi8EEvPT0_PKfS3_PKT_PKiS8_iS3_.private_seg_size, 0+max(.L__assert_fail.private_seg_size)
	.set _Z35paged_attention_ll4mi_reduce_kernelIDF16_hLi64ELi64ELi256ELi8EEvPT0_PKfS3_PKT_PKiS8_iS3_.uses_vcc, or(1, .L__assert_fail.uses_vcc)
	.set _Z35paged_attention_ll4mi_reduce_kernelIDF16_hLi64ELi64ELi256ELi8EEvPT0_PKfS3_PKT_PKiS8_iS3_.uses_flat_scratch, or(0, .L__assert_fail.uses_flat_scratch)
	.set _Z35paged_attention_ll4mi_reduce_kernelIDF16_hLi64ELi64ELi256ELi8EEvPT0_PKfS3_PKT_PKiS8_iS3_.has_dyn_sized_stack, or(0, .L__assert_fail.has_dyn_sized_stack)
	.set _Z35paged_attention_ll4mi_reduce_kernelIDF16_hLi64ELi64ELi256ELi8EEvPT0_PKfS3_PKT_PKiS8_iS3_.has_recursion, or(0, .L__assert_fail.has_recursion)
	.set _Z35paged_attention_ll4mi_reduce_kernelIDF16_hLi64ELi64ELi256ELi8EEvPT0_PKfS3_PKT_PKiS8_iS3_.has_indirect_call, or(0, .L__assert_fail.has_indirect_call)
	.section	.AMDGPU.csdata,"",@progbits
; Kernel info:
; codeLenInByte = 64
; TotalNumSgprs: 36
; NumVgprs: 51
; ScratchSize: 64
; MemoryBound: 0
; FloatMode: 240
; IeeeMode: 1
; LDSByteSize: 0 bytes/workgroup (compile time only)
; SGPRBlocks: 0
; VGPRBlocks: 3
; NumSGPRsForWavesPerEU: 36
; NumVGPRsForWavesPerEU: 51
; NamedBarCnt: 0
; Occupancy: 16
; WaveLimiterHint : 1
; COMPUTE_PGM_RSRC2:SCRATCH_EN: 1
; COMPUTE_PGM_RSRC2:USER_SGPR: 2
; COMPUTE_PGM_RSRC2:TRAP_HANDLER: 0
; COMPUTE_PGM_RSRC2:TGID_X_EN: 1
; COMPUTE_PGM_RSRC2:TGID_Y_EN: 0
; COMPUTE_PGM_RSRC2:TGID_Z_EN: 0
; COMPUTE_PGM_RSRC2:TIDIG_COMP_CNT: 0
	.section	.text._Z39paged_attention_ll4mi_QKV_mfma16_kernelIDF16_DF16_LN4vllm18Fp8KVCacheDataTypeE0EhLi16ELi64ELi256ELb1ELi1EEvPKT_PKT0_S7_ifPKiS9_S9_iPKfiiiPfSC_PS2_PT2_iSB_SB_,"axG",@progbits,_Z39paged_attention_ll4mi_QKV_mfma16_kernelIDF16_DF16_LN4vllm18Fp8KVCacheDataTypeE0EhLi16ELi64ELi256ELb1ELi1EEvPKT_PKT0_S7_ifPKiS9_S9_iPKfiiiPfSC_PS2_PT2_iSB_SB_,comdat
	.protected	_Z39paged_attention_ll4mi_QKV_mfma16_kernelIDF16_DF16_LN4vllm18Fp8KVCacheDataTypeE0EhLi16ELi64ELi256ELb1ELi1EEvPKT_PKT0_S7_ifPKiS9_S9_iPKfiiiPfSC_PS2_PT2_iSB_SB_ ; -- Begin function _Z39paged_attention_ll4mi_QKV_mfma16_kernelIDF16_DF16_LN4vllm18Fp8KVCacheDataTypeE0EhLi16ELi64ELi256ELb1ELi1EEvPKT_PKT0_S7_ifPKiS9_S9_iPKfiiiPfSC_PS2_PT2_iSB_SB_
	.globl	_Z39paged_attention_ll4mi_QKV_mfma16_kernelIDF16_DF16_LN4vllm18Fp8KVCacheDataTypeE0EhLi16ELi64ELi256ELb1ELi1EEvPKT_PKT0_S7_ifPKiS9_S9_iPKfiiiPfSC_PS2_PT2_iSB_SB_
	.p2align	8
	.type	_Z39paged_attention_ll4mi_QKV_mfma16_kernelIDF16_DF16_LN4vllm18Fp8KVCacheDataTypeE0EhLi16ELi64ELi256ELb1ELi1EEvPKT_PKT0_S7_ifPKiS9_S9_iPKfiiiPfSC_PS2_PT2_iSB_SB_,@function
_Z39paged_attention_ll4mi_QKV_mfma16_kernelIDF16_DF16_LN4vllm18Fp8KVCacheDataTypeE0EhLi16ELi64ELi256ELb1ELi1EEvPKT_PKT0_S7_ifPKiS9_S9_iPKfiiiPfSC_PS2_PT2_iSB_SB_: ; @_Z39paged_attention_ll4mi_QKV_mfma16_kernelIDF16_DF16_LN4vllm18Fp8KVCacheDataTypeE0EhLi16ELi64ELi256ELb1ELi1EEvPKT_PKT0_S7_ifPKiS9_S9_iPKfiiiPfSC_PS2_PT2_iSB_SB_
; %bb.0:
	s_get_pc_i64 s[2:3]
	s_add_nc_u64 s[2:3], s[2:3], __PRETTY_FUNCTION__._Z39paged_attention_ll4mi_QKV_mfma16_kernelIDF16_DF16_LN4vllm18Fp8KVCacheDataTypeE0EhLi16ELi64ELi256ELb1ELi1EEvPKT_PKT0_S7_ifPKiS9_S9_iPKfiiiPfSC_PS2_PT2_iSB_SB_@rel64+4
	s_delay_alu instid0(SALU_CYCLE_1)
	v_dual_mov_b32 v0, 0xbb3 :: v_dual_mov_b32 v1, s2
	v_mov_b32_e32 v2, s3
	s_add_nc_u64 s[8:9], s[0:1], 0x90
	s_get_pc_i64 s[0:1]
	s_add_nc_u64 s[0:1], s[0:1], __assert_fail@rel64+4
	s_mov_b32 s32, 0
	s_swap_pc_i64 s[30:31], s[0:1]
	.section	.rodata,"a",@progbits
	.p2align	6, 0x0
	.amdhsa_kernel _Z39paged_attention_ll4mi_QKV_mfma16_kernelIDF16_DF16_LN4vllm18Fp8KVCacheDataTypeE0EhLi16ELi64ELi256ELb1ELi1EEvPKT_PKT0_S7_ifPKiS9_S9_iPKfiiiPfSC_PS2_PT2_iSB_SB_
		.amdhsa_group_segment_fixed_size 0
		.amdhsa_private_segment_fixed_size 64
		.amdhsa_kernarg_size 400
		.amdhsa_user_sgpr_count 2
		.amdhsa_user_sgpr_dispatch_ptr 0
		.amdhsa_user_sgpr_queue_ptr 0
		.amdhsa_user_sgpr_kernarg_segment_ptr 1
		.amdhsa_user_sgpr_dispatch_id 0
		.amdhsa_user_sgpr_kernarg_preload_length 0
		.amdhsa_user_sgpr_kernarg_preload_offset 0
		.amdhsa_user_sgpr_private_segment_size 0
		.amdhsa_wavefront_size32 1
		.amdhsa_uses_dynamic_stack 0
		.amdhsa_enable_private_segment 1
		.amdhsa_system_sgpr_workgroup_id_x 1
		.amdhsa_system_sgpr_workgroup_id_y 0
		.amdhsa_system_sgpr_workgroup_id_z 0
		.amdhsa_system_sgpr_workgroup_info 0
		.amdhsa_system_vgpr_workitem_id 0
		.amdhsa_next_free_vgpr 51
		.amdhsa_next_free_sgpr 34
		.amdhsa_named_barrier_count 0
		.amdhsa_reserve_vcc 1
		.amdhsa_float_round_mode_32 0
		.amdhsa_float_round_mode_16_64 0
		.amdhsa_float_denorm_mode_32 3
		.amdhsa_float_denorm_mode_16_64 3
		.amdhsa_fp16_overflow 0
		.amdhsa_memory_ordered 1
		.amdhsa_forward_progress 1
		.amdhsa_inst_pref_size 1
		.amdhsa_round_robin_scheduling 0
		.amdhsa_exception_fp_ieee_invalid_op 0
		.amdhsa_exception_fp_denorm_src 0
		.amdhsa_exception_fp_ieee_div_zero 0
		.amdhsa_exception_fp_ieee_overflow 0
		.amdhsa_exception_fp_ieee_underflow 0
		.amdhsa_exception_fp_ieee_inexact 0
		.amdhsa_exception_int_div_zero 0
	.end_amdhsa_kernel
	.section	.text._Z39paged_attention_ll4mi_QKV_mfma16_kernelIDF16_DF16_LN4vllm18Fp8KVCacheDataTypeE0EhLi16ELi64ELi256ELb1ELi1EEvPKT_PKT0_S7_ifPKiS9_S9_iPKfiiiPfSC_PS2_PT2_iSB_SB_,"axG",@progbits,_Z39paged_attention_ll4mi_QKV_mfma16_kernelIDF16_DF16_LN4vllm18Fp8KVCacheDataTypeE0EhLi16ELi64ELi256ELb1ELi1EEvPKT_PKT0_S7_ifPKiS9_S9_iPKfiiiPfSC_PS2_PT2_iSB_SB_,comdat
.Lfunc_end26:
	.size	_Z39paged_attention_ll4mi_QKV_mfma16_kernelIDF16_DF16_LN4vllm18Fp8KVCacheDataTypeE0EhLi16ELi64ELi256ELb1ELi1EEvPKT_PKT0_S7_ifPKiS9_S9_iPKfiiiPfSC_PS2_PT2_iSB_SB_, .Lfunc_end26-_Z39paged_attention_ll4mi_QKV_mfma16_kernelIDF16_DF16_LN4vllm18Fp8KVCacheDataTypeE0EhLi16ELi64ELi256ELb1ELi1EEvPKT_PKT0_S7_ifPKiS9_S9_iPKfiiiPfSC_PS2_PT2_iSB_SB_
                                        ; -- End function
	.set _Z39paged_attention_ll4mi_QKV_mfma16_kernelIDF16_DF16_LN4vllm18Fp8KVCacheDataTypeE0EhLi16ELi64ELi256ELb1ELi1EEvPKT_PKT0_S7_ifPKiS9_S9_iPKfiiiPfSC_PS2_PT2_iSB_SB_.num_vgpr, max(3, .L__assert_fail.num_vgpr)
	.set _Z39paged_attention_ll4mi_QKV_mfma16_kernelIDF16_DF16_LN4vllm18Fp8KVCacheDataTypeE0EhLi16ELi64ELi256ELb1ELi1EEvPKT_PKT0_S7_ifPKiS9_S9_iPKfiiiPfSC_PS2_PT2_iSB_SB_.num_agpr, max(0, .L__assert_fail.num_agpr)
	.set _Z39paged_attention_ll4mi_QKV_mfma16_kernelIDF16_DF16_LN4vllm18Fp8KVCacheDataTypeE0EhLi16ELi64ELi256ELb1ELi1EEvPKT_PKT0_S7_ifPKiS9_S9_iPKfiiiPfSC_PS2_PT2_iSB_SB_.numbered_sgpr, max(33, .L__assert_fail.numbered_sgpr)
	.set _Z39paged_attention_ll4mi_QKV_mfma16_kernelIDF16_DF16_LN4vllm18Fp8KVCacheDataTypeE0EhLi16ELi64ELi256ELb1ELi1EEvPKT_PKT0_S7_ifPKiS9_S9_iPKfiiiPfSC_PS2_PT2_iSB_SB_.num_named_barrier, max(0, .L__assert_fail.num_named_barrier)
	.set _Z39paged_attention_ll4mi_QKV_mfma16_kernelIDF16_DF16_LN4vllm18Fp8KVCacheDataTypeE0EhLi16ELi64ELi256ELb1ELi1EEvPKT_PKT0_S7_ifPKiS9_S9_iPKfiiiPfSC_PS2_PT2_iSB_SB_.private_seg_size, 0+max(.L__assert_fail.private_seg_size)
	.set _Z39paged_attention_ll4mi_QKV_mfma16_kernelIDF16_DF16_LN4vllm18Fp8KVCacheDataTypeE0EhLi16ELi64ELi256ELb1ELi1EEvPKT_PKT0_S7_ifPKiS9_S9_iPKfiiiPfSC_PS2_PT2_iSB_SB_.uses_vcc, or(1, .L__assert_fail.uses_vcc)
	.set _Z39paged_attention_ll4mi_QKV_mfma16_kernelIDF16_DF16_LN4vllm18Fp8KVCacheDataTypeE0EhLi16ELi64ELi256ELb1ELi1EEvPKT_PKT0_S7_ifPKiS9_S9_iPKfiiiPfSC_PS2_PT2_iSB_SB_.uses_flat_scratch, or(0, .L__assert_fail.uses_flat_scratch)
	.set _Z39paged_attention_ll4mi_QKV_mfma16_kernelIDF16_DF16_LN4vllm18Fp8KVCacheDataTypeE0EhLi16ELi64ELi256ELb1ELi1EEvPKT_PKT0_S7_ifPKiS9_S9_iPKfiiiPfSC_PS2_PT2_iSB_SB_.has_dyn_sized_stack, or(0, .L__assert_fail.has_dyn_sized_stack)
	.set _Z39paged_attention_ll4mi_QKV_mfma16_kernelIDF16_DF16_LN4vllm18Fp8KVCacheDataTypeE0EhLi16ELi64ELi256ELb1ELi1EEvPKT_PKT0_S7_ifPKiS9_S9_iPKfiiiPfSC_PS2_PT2_iSB_SB_.has_recursion, or(0, .L__assert_fail.has_recursion)
	.set _Z39paged_attention_ll4mi_QKV_mfma16_kernelIDF16_DF16_LN4vllm18Fp8KVCacheDataTypeE0EhLi16ELi64ELi256ELb1ELi1EEvPKT_PKT0_S7_ifPKiS9_S9_iPKfiiiPfSC_PS2_PT2_iSB_SB_.has_indirect_call, or(0, .L__assert_fail.has_indirect_call)
	.section	.AMDGPU.csdata,"",@progbits
; Kernel info:
; codeLenInByte = 68
; TotalNumSgprs: 36
; NumVgprs: 51
; ScratchSize: 64
; MemoryBound: 0
; FloatMode: 240
; IeeeMode: 1
; LDSByteSize: 0 bytes/workgroup (compile time only)
; SGPRBlocks: 0
; VGPRBlocks: 3
; NumSGPRsForWavesPerEU: 36
; NumVGPRsForWavesPerEU: 51
; NamedBarCnt: 0
; Occupancy: 16
; WaveLimiterHint : 1
; COMPUTE_PGM_RSRC2:SCRATCH_EN: 1
; COMPUTE_PGM_RSRC2:USER_SGPR: 2
; COMPUTE_PGM_RSRC2:TRAP_HANDLER: 0
; COMPUTE_PGM_RSRC2:TGID_X_EN: 1
; COMPUTE_PGM_RSRC2:TGID_Y_EN: 0
; COMPUTE_PGM_RSRC2:TGID_Z_EN: 0
; COMPUTE_PGM_RSRC2:TIDIG_COMP_CNT: 0
	.section	.text._Z39paged_attention_ll4mi_QKV_mfma16_kernelIDF16_DF16_LN4vllm18Fp8KVCacheDataTypeE0EhLi16ELi64ELi256ELb1ELi2EEvPKT_PKT0_S7_ifPKiS9_S9_iPKfiiiPfSC_PS2_PT2_iSB_SB_,"axG",@progbits,_Z39paged_attention_ll4mi_QKV_mfma16_kernelIDF16_DF16_LN4vllm18Fp8KVCacheDataTypeE0EhLi16ELi64ELi256ELb1ELi2EEvPKT_PKT0_S7_ifPKiS9_S9_iPKfiiiPfSC_PS2_PT2_iSB_SB_,comdat
	.protected	_Z39paged_attention_ll4mi_QKV_mfma16_kernelIDF16_DF16_LN4vllm18Fp8KVCacheDataTypeE0EhLi16ELi64ELi256ELb1ELi2EEvPKT_PKT0_S7_ifPKiS9_S9_iPKfiiiPfSC_PS2_PT2_iSB_SB_ ; -- Begin function _Z39paged_attention_ll4mi_QKV_mfma16_kernelIDF16_DF16_LN4vllm18Fp8KVCacheDataTypeE0EhLi16ELi64ELi256ELb1ELi2EEvPKT_PKT0_S7_ifPKiS9_S9_iPKfiiiPfSC_PS2_PT2_iSB_SB_
	.globl	_Z39paged_attention_ll4mi_QKV_mfma16_kernelIDF16_DF16_LN4vllm18Fp8KVCacheDataTypeE0EhLi16ELi64ELi256ELb1ELi2EEvPKT_PKT0_S7_ifPKiS9_S9_iPKfiiiPfSC_PS2_PT2_iSB_SB_
	.p2align	8
	.type	_Z39paged_attention_ll4mi_QKV_mfma16_kernelIDF16_DF16_LN4vllm18Fp8KVCacheDataTypeE0EhLi16ELi64ELi256ELb1ELi2EEvPKT_PKT0_S7_ifPKiS9_S9_iPKfiiiPfSC_PS2_PT2_iSB_SB_,@function
_Z39paged_attention_ll4mi_QKV_mfma16_kernelIDF16_DF16_LN4vllm18Fp8KVCacheDataTypeE0EhLi16ELi64ELi256ELb1ELi2EEvPKT_PKT0_S7_ifPKiS9_S9_iPKfiiiPfSC_PS2_PT2_iSB_SB_: ; @_Z39paged_attention_ll4mi_QKV_mfma16_kernelIDF16_DF16_LN4vllm18Fp8KVCacheDataTypeE0EhLi16ELi64ELi256ELb1ELi2EEvPKT_PKT0_S7_ifPKiS9_S9_iPKfiiiPfSC_PS2_PT2_iSB_SB_
; %bb.0:
	s_get_pc_i64 s[2:3]
	s_add_nc_u64 s[2:3], s[2:3], __PRETTY_FUNCTION__._Z39paged_attention_ll4mi_QKV_mfma16_kernelIDF16_DF16_LN4vllm18Fp8KVCacheDataTypeE0EhLi16ELi64ELi256ELb1ELi2EEvPKT_PKT0_S7_ifPKiS9_S9_iPKfiiiPfSC_PS2_PT2_iSB_SB_@rel64+4
	s_delay_alu instid0(SALU_CYCLE_1)
	v_dual_mov_b32 v0, 0xbb3 :: v_dual_mov_b32 v1, s2
	v_mov_b32_e32 v2, s3
	s_add_nc_u64 s[8:9], s[0:1], 0x90
	s_get_pc_i64 s[0:1]
	s_add_nc_u64 s[0:1], s[0:1], __assert_fail@rel64+4
	s_mov_b32 s32, 0
	s_swap_pc_i64 s[30:31], s[0:1]
	.section	.rodata,"a",@progbits
	.p2align	6, 0x0
	.amdhsa_kernel _Z39paged_attention_ll4mi_QKV_mfma16_kernelIDF16_DF16_LN4vllm18Fp8KVCacheDataTypeE0EhLi16ELi64ELi256ELb1ELi2EEvPKT_PKT0_S7_ifPKiS9_S9_iPKfiiiPfSC_PS2_PT2_iSB_SB_
		.amdhsa_group_segment_fixed_size 0
		.amdhsa_private_segment_fixed_size 64
		.amdhsa_kernarg_size 400
		.amdhsa_user_sgpr_count 2
		.amdhsa_user_sgpr_dispatch_ptr 0
		.amdhsa_user_sgpr_queue_ptr 0
		.amdhsa_user_sgpr_kernarg_segment_ptr 1
		.amdhsa_user_sgpr_dispatch_id 0
		.amdhsa_user_sgpr_kernarg_preload_length 0
		.amdhsa_user_sgpr_kernarg_preload_offset 0
		.amdhsa_user_sgpr_private_segment_size 0
		.amdhsa_wavefront_size32 1
		.amdhsa_uses_dynamic_stack 0
		.amdhsa_enable_private_segment 1
		.amdhsa_system_sgpr_workgroup_id_x 1
		.amdhsa_system_sgpr_workgroup_id_y 0
		.amdhsa_system_sgpr_workgroup_id_z 0
		.amdhsa_system_sgpr_workgroup_info 0
		.amdhsa_system_vgpr_workitem_id 0
		.amdhsa_next_free_vgpr 51
		.amdhsa_next_free_sgpr 34
		.amdhsa_named_barrier_count 0
		.amdhsa_reserve_vcc 1
		.amdhsa_float_round_mode_32 0
		.amdhsa_float_round_mode_16_64 0
		.amdhsa_float_denorm_mode_32 3
		.amdhsa_float_denorm_mode_16_64 3
		.amdhsa_fp16_overflow 0
		.amdhsa_memory_ordered 1
		.amdhsa_forward_progress 1
		.amdhsa_inst_pref_size 1
		.amdhsa_round_robin_scheduling 0
		.amdhsa_exception_fp_ieee_invalid_op 0
		.amdhsa_exception_fp_denorm_src 0
		.amdhsa_exception_fp_ieee_div_zero 0
		.amdhsa_exception_fp_ieee_overflow 0
		.amdhsa_exception_fp_ieee_underflow 0
		.amdhsa_exception_fp_ieee_inexact 0
		.amdhsa_exception_int_div_zero 0
	.end_amdhsa_kernel
	.section	.text._Z39paged_attention_ll4mi_QKV_mfma16_kernelIDF16_DF16_LN4vllm18Fp8KVCacheDataTypeE0EhLi16ELi64ELi256ELb1ELi2EEvPKT_PKT0_S7_ifPKiS9_S9_iPKfiiiPfSC_PS2_PT2_iSB_SB_,"axG",@progbits,_Z39paged_attention_ll4mi_QKV_mfma16_kernelIDF16_DF16_LN4vllm18Fp8KVCacheDataTypeE0EhLi16ELi64ELi256ELb1ELi2EEvPKT_PKT0_S7_ifPKiS9_S9_iPKfiiiPfSC_PS2_PT2_iSB_SB_,comdat
.Lfunc_end27:
	.size	_Z39paged_attention_ll4mi_QKV_mfma16_kernelIDF16_DF16_LN4vllm18Fp8KVCacheDataTypeE0EhLi16ELi64ELi256ELb1ELi2EEvPKT_PKT0_S7_ifPKiS9_S9_iPKfiiiPfSC_PS2_PT2_iSB_SB_, .Lfunc_end27-_Z39paged_attention_ll4mi_QKV_mfma16_kernelIDF16_DF16_LN4vllm18Fp8KVCacheDataTypeE0EhLi16ELi64ELi256ELb1ELi2EEvPKT_PKT0_S7_ifPKiS9_S9_iPKfiiiPfSC_PS2_PT2_iSB_SB_
                                        ; -- End function
	.set _Z39paged_attention_ll4mi_QKV_mfma16_kernelIDF16_DF16_LN4vllm18Fp8KVCacheDataTypeE0EhLi16ELi64ELi256ELb1ELi2EEvPKT_PKT0_S7_ifPKiS9_S9_iPKfiiiPfSC_PS2_PT2_iSB_SB_.num_vgpr, max(3, .L__assert_fail.num_vgpr)
	.set _Z39paged_attention_ll4mi_QKV_mfma16_kernelIDF16_DF16_LN4vllm18Fp8KVCacheDataTypeE0EhLi16ELi64ELi256ELb1ELi2EEvPKT_PKT0_S7_ifPKiS9_S9_iPKfiiiPfSC_PS2_PT2_iSB_SB_.num_agpr, max(0, .L__assert_fail.num_agpr)
	.set _Z39paged_attention_ll4mi_QKV_mfma16_kernelIDF16_DF16_LN4vllm18Fp8KVCacheDataTypeE0EhLi16ELi64ELi256ELb1ELi2EEvPKT_PKT0_S7_ifPKiS9_S9_iPKfiiiPfSC_PS2_PT2_iSB_SB_.numbered_sgpr, max(33, .L__assert_fail.numbered_sgpr)
	.set _Z39paged_attention_ll4mi_QKV_mfma16_kernelIDF16_DF16_LN4vllm18Fp8KVCacheDataTypeE0EhLi16ELi64ELi256ELb1ELi2EEvPKT_PKT0_S7_ifPKiS9_S9_iPKfiiiPfSC_PS2_PT2_iSB_SB_.num_named_barrier, max(0, .L__assert_fail.num_named_barrier)
	.set _Z39paged_attention_ll4mi_QKV_mfma16_kernelIDF16_DF16_LN4vllm18Fp8KVCacheDataTypeE0EhLi16ELi64ELi256ELb1ELi2EEvPKT_PKT0_S7_ifPKiS9_S9_iPKfiiiPfSC_PS2_PT2_iSB_SB_.private_seg_size, 0+max(.L__assert_fail.private_seg_size)
	.set _Z39paged_attention_ll4mi_QKV_mfma16_kernelIDF16_DF16_LN4vllm18Fp8KVCacheDataTypeE0EhLi16ELi64ELi256ELb1ELi2EEvPKT_PKT0_S7_ifPKiS9_S9_iPKfiiiPfSC_PS2_PT2_iSB_SB_.uses_vcc, or(1, .L__assert_fail.uses_vcc)
	.set _Z39paged_attention_ll4mi_QKV_mfma16_kernelIDF16_DF16_LN4vllm18Fp8KVCacheDataTypeE0EhLi16ELi64ELi256ELb1ELi2EEvPKT_PKT0_S7_ifPKiS9_S9_iPKfiiiPfSC_PS2_PT2_iSB_SB_.uses_flat_scratch, or(0, .L__assert_fail.uses_flat_scratch)
	.set _Z39paged_attention_ll4mi_QKV_mfma16_kernelIDF16_DF16_LN4vllm18Fp8KVCacheDataTypeE0EhLi16ELi64ELi256ELb1ELi2EEvPKT_PKT0_S7_ifPKiS9_S9_iPKfiiiPfSC_PS2_PT2_iSB_SB_.has_dyn_sized_stack, or(0, .L__assert_fail.has_dyn_sized_stack)
	.set _Z39paged_attention_ll4mi_QKV_mfma16_kernelIDF16_DF16_LN4vllm18Fp8KVCacheDataTypeE0EhLi16ELi64ELi256ELb1ELi2EEvPKT_PKT0_S7_ifPKiS9_S9_iPKfiiiPfSC_PS2_PT2_iSB_SB_.has_recursion, or(0, .L__assert_fail.has_recursion)
	.set _Z39paged_attention_ll4mi_QKV_mfma16_kernelIDF16_DF16_LN4vllm18Fp8KVCacheDataTypeE0EhLi16ELi64ELi256ELb1ELi2EEvPKT_PKT0_S7_ifPKiS9_S9_iPKfiiiPfSC_PS2_PT2_iSB_SB_.has_indirect_call, or(0, .L__assert_fail.has_indirect_call)
	.section	.AMDGPU.csdata,"",@progbits
; Kernel info:
; codeLenInByte = 68
; TotalNumSgprs: 36
; NumVgprs: 51
; ScratchSize: 64
; MemoryBound: 0
; FloatMode: 240
; IeeeMode: 1
; LDSByteSize: 0 bytes/workgroup (compile time only)
; SGPRBlocks: 0
; VGPRBlocks: 3
; NumSGPRsForWavesPerEU: 36
; NumVGPRsForWavesPerEU: 51
; NamedBarCnt: 0
; Occupancy: 16
; WaveLimiterHint : 1
; COMPUTE_PGM_RSRC2:SCRATCH_EN: 1
; COMPUTE_PGM_RSRC2:USER_SGPR: 2
; COMPUTE_PGM_RSRC2:TRAP_HANDLER: 0
; COMPUTE_PGM_RSRC2:TGID_X_EN: 1
; COMPUTE_PGM_RSRC2:TGID_Y_EN: 0
; COMPUTE_PGM_RSRC2:TGID_Z_EN: 0
; COMPUTE_PGM_RSRC2:TIDIG_COMP_CNT: 0
	.section	.text._Z39paged_attention_ll4mi_QKV_mfma16_kernelIDF16_DF16_LN4vllm18Fp8KVCacheDataTypeE0EhLi16ELi64ELi256ELb1ELi3EEvPKT_PKT0_S7_ifPKiS9_S9_iPKfiiiPfSC_PS2_PT2_iSB_SB_,"axG",@progbits,_Z39paged_attention_ll4mi_QKV_mfma16_kernelIDF16_DF16_LN4vllm18Fp8KVCacheDataTypeE0EhLi16ELi64ELi256ELb1ELi3EEvPKT_PKT0_S7_ifPKiS9_S9_iPKfiiiPfSC_PS2_PT2_iSB_SB_,comdat
	.protected	_Z39paged_attention_ll4mi_QKV_mfma16_kernelIDF16_DF16_LN4vllm18Fp8KVCacheDataTypeE0EhLi16ELi64ELi256ELb1ELi3EEvPKT_PKT0_S7_ifPKiS9_S9_iPKfiiiPfSC_PS2_PT2_iSB_SB_ ; -- Begin function _Z39paged_attention_ll4mi_QKV_mfma16_kernelIDF16_DF16_LN4vllm18Fp8KVCacheDataTypeE0EhLi16ELi64ELi256ELb1ELi3EEvPKT_PKT0_S7_ifPKiS9_S9_iPKfiiiPfSC_PS2_PT2_iSB_SB_
	.globl	_Z39paged_attention_ll4mi_QKV_mfma16_kernelIDF16_DF16_LN4vllm18Fp8KVCacheDataTypeE0EhLi16ELi64ELi256ELb1ELi3EEvPKT_PKT0_S7_ifPKiS9_S9_iPKfiiiPfSC_PS2_PT2_iSB_SB_
	.p2align	8
	.type	_Z39paged_attention_ll4mi_QKV_mfma16_kernelIDF16_DF16_LN4vllm18Fp8KVCacheDataTypeE0EhLi16ELi64ELi256ELb1ELi3EEvPKT_PKT0_S7_ifPKiS9_S9_iPKfiiiPfSC_PS2_PT2_iSB_SB_,@function
_Z39paged_attention_ll4mi_QKV_mfma16_kernelIDF16_DF16_LN4vllm18Fp8KVCacheDataTypeE0EhLi16ELi64ELi256ELb1ELi3EEvPKT_PKT0_S7_ifPKiS9_S9_iPKfiiiPfSC_PS2_PT2_iSB_SB_: ; @_Z39paged_attention_ll4mi_QKV_mfma16_kernelIDF16_DF16_LN4vllm18Fp8KVCacheDataTypeE0EhLi16ELi64ELi256ELb1ELi3EEvPKT_PKT0_S7_ifPKiS9_S9_iPKfiiiPfSC_PS2_PT2_iSB_SB_
; %bb.0:
	s_get_pc_i64 s[2:3]
	s_add_nc_u64 s[2:3], s[2:3], __PRETTY_FUNCTION__._Z39paged_attention_ll4mi_QKV_mfma16_kernelIDF16_DF16_LN4vllm18Fp8KVCacheDataTypeE0EhLi16ELi64ELi256ELb1ELi3EEvPKT_PKT0_S7_ifPKiS9_S9_iPKfiiiPfSC_PS2_PT2_iSB_SB_@rel64+4
	s_delay_alu instid0(SALU_CYCLE_1)
	v_dual_mov_b32 v0, 0xbb3 :: v_dual_mov_b32 v1, s2
	v_mov_b32_e32 v2, s3
	s_add_nc_u64 s[8:9], s[0:1], 0x90
	s_get_pc_i64 s[0:1]
	s_add_nc_u64 s[0:1], s[0:1], __assert_fail@rel64+4
	s_mov_b32 s32, 0
	s_swap_pc_i64 s[30:31], s[0:1]
	.section	.rodata,"a",@progbits
	.p2align	6, 0x0
	.amdhsa_kernel _Z39paged_attention_ll4mi_QKV_mfma16_kernelIDF16_DF16_LN4vllm18Fp8KVCacheDataTypeE0EhLi16ELi64ELi256ELb1ELi3EEvPKT_PKT0_S7_ifPKiS9_S9_iPKfiiiPfSC_PS2_PT2_iSB_SB_
		.amdhsa_group_segment_fixed_size 0
		.amdhsa_private_segment_fixed_size 64
		.amdhsa_kernarg_size 400
		.amdhsa_user_sgpr_count 2
		.amdhsa_user_sgpr_dispatch_ptr 0
		.amdhsa_user_sgpr_queue_ptr 0
		.amdhsa_user_sgpr_kernarg_segment_ptr 1
		.amdhsa_user_sgpr_dispatch_id 0
		.amdhsa_user_sgpr_kernarg_preload_length 0
		.amdhsa_user_sgpr_kernarg_preload_offset 0
		.amdhsa_user_sgpr_private_segment_size 0
		.amdhsa_wavefront_size32 1
		.amdhsa_uses_dynamic_stack 0
		.amdhsa_enable_private_segment 1
		.amdhsa_system_sgpr_workgroup_id_x 1
		.amdhsa_system_sgpr_workgroup_id_y 0
		.amdhsa_system_sgpr_workgroup_id_z 0
		.amdhsa_system_sgpr_workgroup_info 0
		.amdhsa_system_vgpr_workitem_id 0
		.amdhsa_next_free_vgpr 51
		.amdhsa_next_free_sgpr 34
		.amdhsa_named_barrier_count 0
		.amdhsa_reserve_vcc 1
		.amdhsa_float_round_mode_32 0
		.amdhsa_float_round_mode_16_64 0
		.amdhsa_float_denorm_mode_32 3
		.amdhsa_float_denorm_mode_16_64 3
		.amdhsa_fp16_overflow 0
		.amdhsa_memory_ordered 1
		.amdhsa_forward_progress 1
		.amdhsa_inst_pref_size 1
		.amdhsa_round_robin_scheduling 0
		.amdhsa_exception_fp_ieee_invalid_op 0
		.amdhsa_exception_fp_denorm_src 0
		.amdhsa_exception_fp_ieee_div_zero 0
		.amdhsa_exception_fp_ieee_overflow 0
		.amdhsa_exception_fp_ieee_underflow 0
		.amdhsa_exception_fp_ieee_inexact 0
		.amdhsa_exception_int_div_zero 0
	.end_amdhsa_kernel
	.section	.text._Z39paged_attention_ll4mi_QKV_mfma16_kernelIDF16_DF16_LN4vllm18Fp8KVCacheDataTypeE0EhLi16ELi64ELi256ELb1ELi3EEvPKT_PKT0_S7_ifPKiS9_S9_iPKfiiiPfSC_PS2_PT2_iSB_SB_,"axG",@progbits,_Z39paged_attention_ll4mi_QKV_mfma16_kernelIDF16_DF16_LN4vllm18Fp8KVCacheDataTypeE0EhLi16ELi64ELi256ELb1ELi3EEvPKT_PKT0_S7_ifPKiS9_S9_iPKfiiiPfSC_PS2_PT2_iSB_SB_,comdat
.Lfunc_end28:
	.size	_Z39paged_attention_ll4mi_QKV_mfma16_kernelIDF16_DF16_LN4vllm18Fp8KVCacheDataTypeE0EhLi16ELi64ELi256ELb1ELi3EEvPKT_PKT0_S7_ifPKiS9_S9_iPKfiiiPfSC_PS2_PT2_iSB_SB_, .Lfunc_end28-_Z39paged_attention_ll4mi_QKV_mfma16_kernelIDF16_DF16_LN4vllm18Fp8KVCacheDataTypeE0EhLi16ELi64ELi256ELb1ELi3EEvPKT_PKT0_S7_ifPKiS9_S9_iPKfiiiPfSC_PS2_PT2_iSB_SB_
                                        ; -- End function
	.set _Z39paged_attention_ll4mi_QKV_mfma16_kernelIDF16_DF16_LN4vllm18Fp8KVCacheDataTypeE0EhLi16ELi64ELi256ELb1ELi3EEvPKT_PKT0_S7_ifPKiS9_S9_iPKfiiiPfSC_PS2_PT2_iSB_SB_.num_vgpr, max(3, .L__assert_fail.num_vgpr)
	.set _Z39paged_attention_ll4mi_QKV_mfma16_kernelIDF16_DF16_LN4vllm18Fp8KVCacheDataTypeE0EhLi16ELi64ELi256ELb1ELi3EEvPKT_PKT0_S7_ifPKiS9_S9_iPKfiiiPfSC_PS2_PT2_iSB_SB_.num_agpr, max(0, .L__assert_fail.num_agpr)
	.set _Z39paged_attention_ll4mi_QKV_mfma16_kernelIDF16_DF16_LN4vllm18Fp8KVCacheDataTypeE0EhLi16ELi64ELi256ELb1ELi3EEvPKT_PKT0_S7_ifPKiS9_S9_iPKfiiiPfSC_PS2_PT2_iSB_SB_.numbered_sgpr, max(33, .L__assert_fail.numbered_sgpr)
	.set _Z39paged_attention_ll4mi_QKV_mfma16_kernelIDF16_DF16_LN4vllm18Fp8KVCacheDataTypeE0EhLi16ELi64ELi256ELb1ELi3EEvPKT_PKT0_S7_ifPKiS9_S9_iPKfiiiPfSC_PS2_PT2_iSB_SB_.num_named_barrier, max(0, .L__assert_fail.num_named_barrier)
	.set _Z39paged_attention_ll4mi_QKV_mfma16_kernelIDF16_DF16_LN4vllm18Fp8KVCacheDataTypeE0EhLi16ELi64ELi256ELb1ELi3EEvPKT_PKT0_S7_ifPKiS9_S9_iPKfiiiPfSC_PS2_PT2_iSB_SB_.private_seg_size, 0+max(.L__assert_fail.private_seg_size)
	.set _Z39paged_attention_ll4mi_QKV_mfma16_kernelIDF16_DF16_LN4vllm18Fp8KVCacheDataTypeE0EhLi16ELi64ELi256ELb1ELi3EEvPKT_PKT0_S7_ifPKiS9_S9_iPKfiiiPfSC_PS2_PT2_iSB_SB_.uses_vcc, or(1, .L__assert_fail.uses_vcc)
	.set _Z39paged_attention_ll4mi_QKV_mfma16_kernelIDF16_DF16_LN4vllm18Fp8KVCacheDataTypeE0EhLi16ELi64ELi256ELb1ELi3EEvPKT_PKT0_S7_ifPKiS9_S9_iPKfiiiPfSC_PS2_PT2_iSB_SB_.uses_flat_scratch, or(0, .L__assert_fail.uses_flat_scratch)
	.set _Z39paged_attention_ll4mi_QKV_mfma16_kernelIDF16_DF16_LN4vllm18Fp8KVCacheDataTypeE0EhLi16ELi64ELi256ELb1ELi3EEvPKT_PKT0_S7_ifPKiS9_S9_iPKfiiiPfSC_PS2_PT2_iSB_SB_.has_dyn_sized_stack, or(0, .L__assert_fail.has_dyn_sized_stack)
	.set _Z39paged_attention_ll4mi_QKV_mfma16_kernelIDF16_DF16_LN4vllm18Fp8KVCacheDataTypeE0EhLi16ELi64ELi256ELb1ELi3EEvPKT_PKT0_S7_ifPKiS9_S9_iPKfiiiPfSC_PS2_PT2_iSB_SB_.has_recursion, or(0, .L__assert_fail.has_recursion)
	.set _Z39paged_attention_ll4mi_QKV_mfma16_kernelIDF16_DF16_LN4vllm18Fp8KVCacheDataTypeE0EhLi16ELi64ELi256ELb1ELi3EEvPKT_PKT0_S7_ifPKiS9_S9_iPKfiiiPfSC_PS2_PT2_iSB_SB_.has_indirect_call, or(0, .L__assert_fail.has_indirect_call)
	.section	.AMDGPU.csdata,"",@progbits
; Kernel info:
; codeLenInByte = 68
; TotalNumSgprs: 36
; NumVgprs: 51
; ScratchSize: 64
; MemoryBound: 0
; FloatMode: 240
; IeeeMode: 1
; LDSByteSize: 0 bytes/workgroup (compile time only)
; SGPRBlocks: 0
; VGPRBlocks: 3
; NumSGPRsForWavesPerEU: 36
; NumVGPRsForWavesPerEU: 51
; NamedBarCnt: 0
; Occupancy: 16
; WaveLimiterHint : 1
; COMPUTE_PGM_RSRC2:SCRATCH_EN: 1
; COMPUTE_PGM_RSRC2:USER_SGPR: 2
; COMPUTE_PGM_RSRC2:TRAP_HANDLER: 0
; COMPUTE_PGM_RSRC2:TGID_X_EN: 1
; COMPUTE_PGM_RSRC2:TGID_Y_EN: 0
; COMPUTE_PGM_RSRC2:TGID_Z_EN: 0
; COMPUTE_PGM_RSRC2:TIDIG_COMP_CNT: 0
	.section	.text._Z39paged_attention_ll4mi_QKV_mfma16_kernelIDF16_DF16_LN4vllm18Fp8KVCacheDataTypeE0EhLi16ELi64ELi256ELb1ELi4EEvPKT_PKT0_S7_ifPKiS9_S9_iPKfiiiPfSC_PS2_PT2_iSB_SB_,"axG",@progbits,_Z39paged_attention_ll4mi_QKV_mfma16_kernelIDF16_DF16_LN4vllm18Fp8KVCacheDataTypeE0EhLi16ELi64ELi256ELb1ELi4EEvPKT_PKT0_S7_ifPKiS9_S9_iPKfiiiPfSC_PS2_PT2_iSB_SB_,comdat
	.protected	_Z39paged_attention_ll4mi_QKV_mfma16_kernelIDF16_DF16_LN4vllm18Fp8KVCacheDataTypeE0EhLi16ELi64ELi256ELb1ELi4EEvPKT_PKT0_S7_ifPKiS9_S9_iPKfiiiPfSC_PS2_PT2_iSB_SB_ ; -- Begin function _Z39paged_attention_ll4mi_QKV_mfma16_kernelIDF16_DF16_LN4vllm18Fp8KVCacheDataTypeE0EhLi16ELi64ELi256ELb1ELi4EEvPKT_PKT0_S7_ifPKiS9_S9_iPKfiiiPfSC_PS2_PT2_iSB_SB_
	.globl	_Z39paged_attention_ll4mi_QKV_mfma16_kernelIDF16_DF16_LN4vllm18Fp8KVCacheDataTypeE0EhLi16ELi64ELi256ELb1ELi4EEvPKT_PKT0_S7_ifPKiS9_S9_iPKfiiiPfSC_PS2_PT2_iSB_SB_
	.p2align	8
	.type	_Z39paged_attention_ll4mi_QKV_mfma16_kernelIDF16_DF16_LN4vllm18Fp8KVCacheDataTypeE0EhLi16ELi64ELi256ELb1ELi4EEvPKT_PKT0_S7_ifPKiS9_S9_iPKfiiiPfSC_PS2_PT2_iSB_SB_,@function
_Z39paged_attention_ll4mi_QKV_mfma16_kernelIDF16_DF16_LN4vllm18Fp8KVCacheDataTypeE0EhLi16ELi64ELi256ELb1ELi4EEvPKT_PKT0_S7_ifPKiS9_S9_iPKfiiiPfSC_PS2_PT2_iSB_SB_: ; @_Z39paged_attention_ll4mi_QKV_mfma16_kernelIDF16_DF16_LN4vllm18Fp8KVCacheDataTypeE0EhLi16ELi64ELi256ELb1ELi4EEvPKT_PKT0_S7_ifPKiS9_S9_iPKfiiiPfSC_PS2_PT2_iSB_SB_
; %bb.0:
	s_get_pc_i64 s[2:3]
	s_add_nc_u64 s[2:3], s[2:3], __PRETTY_FUNCTION__._Z39paged_attention_ll4mi_QKV_mfma16_kernelIDF16_DF16_LN4vllm18Fp8KVCacheDataTypeE0EhLi16ELi64ELi256ELb1ELi4EEvPKT_PKT0_S7_ifPKiS9_S9_iPKfiiiPfSC_PS2_PT2_iSB_SB_@rel64+4
	s_delay_alu instid0(SALU_CYCLE_1)
	v_dual_mov_b32 v0, 0xbb3 :: v_dual_mov_b32 v1, s2
	v_mov_b32_e32 v2, s3
	s_add_nc_u64 s[8:9], s[0:1], 0x90
	s_get_pc_i64 s[0:1]
	s_add_nc_u64 s[0:1], s[0:1], __assert_fail@rel64+4
	s_mov_b32 s32, 0
	s_swap_pc_i64 s[30:31], s[0:1]
	.section	.rodata,"a",@progbits
	.p2align	6, 0x0
	.amdhsa_kernel _Z39paged_attention_ll4mi_QKV_mfma16_kernelIDF16_DF16_LN4vllm18Fp8KVCacheDataTypeE0EhLi16ELi64ELi256ELb1ELi4EEvPKT_PKT0_S7_ifPKiS9_S9_iPKfiiiPfSC_PS2_PT2_iSB_SB_
		.amdhsa_group_segment_fixed_size 0
		.amdhsa_private_segment_fixed_size 64
		.amdhsa_kernarg_size 400
		.amdhsa_user_sgpr_count 2
		.amdhsa_user_sgpr_dispatch_ptr 0
		.amdhsa_user_sgpr_queue_ptr 0
		.amdhsa_user_sgpr_kernarg_segment_ptr 1
		.amdhsa_user_sgpr_dispatch_id 0
		.amdhsa_user_sgpr_kernarg_preload_length 0
		.amdhsa_user_sgpr_kernarg_preload_offset 0
		.amdhsa_user_sgpr_private_segment_size 0
		.amdhsa_wavefront_size32 1
		.amdhsa_uses_dynamic_stack 0
		.amdhsa_enable_private_segment 1
		.amdhsa_system_sgpr_workgroup_id_x 1
		.amdhsa_system_sgpr_workgroup_id_y 0
		.amdhsa_system_sgpr_workgroup_id_z 0
		.amdhsa_system_sgpr_workgroup_info 0
		.amdhsa_system_vgpr_workitem_id 0
		.amdhsa_next_free_vgpr 51
		.amdhsa_next_free_sgpr 34
		.amdhsa_named_barrier_count 0
		.amdhsa_reserve_vcc 1
		.amdhsa_float_round_mode_32 0
		.amdhsa_float_round_mode_16_64 0
		.amdhsa_float_denorm_mode_32 3
		.amdhsa_float_denorm_mode_16_64 3
		.amdhsa_fp16_overflow 0
		.amdhsa_memory_ordered 1
		.amdhsa_forward_progress 1
		.amdhsa_inst_pref_size 1
		.amdhsa_round_robin_scheduling 0
		.amdhsa_exception_fp_ieee_invalid_op 0
		.amdhsa_exception_fp_denorm_src 0
		.amdhsa_exception_fp_ieee_div_zero 0
		.amdhsa_exception_fp_ieee_overflow 0
		.amdhsa_exception_fp_ieee_underflow 0
		.amdhsa_exception_fp_ieee_inexact 0
		.amdhsa_exception_int_div_zero 0
	.end_amdhsa_kernel
	.section	.text._Z39paged_attention_ll4mi_QKV_mfma16_kernelIDF16_DF16_LN4vllm18Fp8KVCacheDataTypeE0EhLi16ELi64ELi256ELb1ELi4EEvPKT_PKT0_S7_ifPKiS9_S9_iPKfiiiPfSC_PS2_PT2_iSB_SB_,"axG",@progbits,_Z39paged_attention_ll4mi_QKV_mfma16_kernelIDF16_DF16_LN4vllm18Fp8KVCacheDataTypeE0EhLi16ELi64ELi256ELb1ELi4EEvPKT_PKT0_S7_ifPKiS9_S9_iPKfiiiPfSC_PS2_PT2_iSB_SB_,comdat
.Lfunc_end29:
	.size	_Z39paged_attention_ll4mi_QKV_mfma16_kernelIDF16_DF16_LN4vllm18Fp8KVCacheDataTypeE0EhLi16ELi64ELi256ELb1ELi4EEvPKT_PKT0_S7_ifPKiS9_S9_iPKfiiiPfSC_PS2_PT2_iSB_SB_, .Lfunc_end29-_Z39paged_attention_ll4mi_QKV_mfma16_kernelIDF16_DF16_LN4vllm18Fp8KVCacheDataTypeE0EhLi16ELi64ELi256ELb1ELi4EEvPKT_PKT0_S7_ifPKiS9_S9_iPKfiiiPfSC_PS2_PT2_iSB_SB_
                                        ; -- End function
	.set _Z39paged_attention_ll4mi_QKV_mfma16_kernelIDF16_DF16_LN4vllm18Fp8KVCacheDataTypeE0EhLi16ELi64ELi256ELb1ELi4EEvPKT_PKT0_S7_ifPKiS9_S9_iPKfiiiPfSC_PS2_PT2_iSB_SB_.num_vgpr, max(3, .L__assert_fail.num_vgpr)
	.set _Z39paged_attention_ll4mi_QKV_mfma16_kernelIDF16_DF16_LN4vllm18Fp8KVCacheDataTypeE0EhLi16ELi64ELi256ELb1ELi4EEvPKT_PKT0_S7_ifPKiS9_S9_iPKfiiiPfSC_PS2_PT2_iSB_SB_.num_agpr, max(0, .L__assert_fail.num_agpr)
	.set _Z39paged_attention_ll4mi_QKV_mfma16_kernelIDF16_DF16_LN4vllm18Fp8KVCacheDataTypeE0EhLi16ELi64ELi256ELb1ELi4EEvPKT_PKT0_S7_ifPKiS9_S9_iPKfiiiPfSC_PS2_PT2_iSB_SB_.numbered_sgpr, max(33, .L__assert_fail.numbered_sgpr)
	.set _Z39paged_attention_ll4mi_QKV_mfma16_kernelIDF16_DF16_LN4vllm18Fp8KVCacheDataTypeE0EhLi16ELi64ELi256ELb1ELi4EEvPKT_PKT0_S7_ifPKiS9_S9_iPKfiiiPfSC_PS2_PT2_iSB_SB_.num_named_barrier, max(0, .L__assert_fail.num_named_barrier)
	.set _Z39paged_attention_ll4mi_QKV_mfma16_kernelIDF16_DF16_LN4vllm18Fp8KVCacheDataTypeE0EhLi16ELi64ELi256ELb1ELi4EEvPKT_PKT0_S7_ifPKiS9_S9_iPKfiiiPfSC_PS2_PT2_iSB_SB_.private_seg_size, 0+max(.L__assert_fail.private_seg_size)
	.set _Z39paged_attention_ll4mi_QKV_mfma16_kernelIDF16_DF16_LN4vllm18Fp8KVCacheDataTypeE0EhLi16ELi64ELi256ELb1ELi4EEvPKT_PKT0_S7_ifPKiS9_S9_iPKfiiiPfSC_PS2_PT2_iSB_SB_.uses_vcc, or(1, .L__assert_fail.uses_vcc)
	.set _Z39paged_attention_ll4mi_QKV_mfma16_kernelIDF16_DF16_LN4vllm18Fp8KVCacheDataTypeE0EhLi16ELi64ELi256ELb1ELi4EEvPKT_PKT0_S7_ifPKiS9_S9_iPKfiiiPfSC_PS2_PT2_iSB_SB_.uses_flat_scratch, or(0, .L__assert_fail.uses_flat_scratch)
	.set _Z39paged_attention_ll4mi_QKV_mfma16_kernelIDF16_DF16_LN4vllm18Fp8KVCacheDataTypeE0EhLi16ELi64ELi256ELb1ELi4EEvPKT_PKT0_S7_ifPKiS9_S9_iPKfiiiPfSC_PS2_PT2_iSB_SB_.has_dyn_sized_stack, or(0, .L__assert_fail.has_dyn_sized_stack)
	.set _Z39paged_attention_ll4mi_QKV_mfma16_kernelIDF16_DF16_LN4vllm18Fp8KVCacheDataTypeE0EhLi16ELi64ELi256ELb1ELi4EEvPKT_PKT0_S7_ifPKiS9_S9_iPKfiiiPfSC_PS2_PT2_iSB_SB_.has_recursion, or(0, .L__assert_fail.has_recursion)
	.set _Z39paged_attention_ll4mi_QKV_mfma16_kernelIDF16_DF16_LN4vllm18Fp8KVCacheDataTypeE0EhLi16ELi64ELi256ELb1ELi4EEvPKT_PKT0_S7_ifPKiS9_S9_iPKfiiiPfSC_PS2_PT2_iSB_SB_.has_indirect_call, or(0, .L__assert_fail.has_indirect_call)
	.section	.AMDGPU.csdata,"",@progbits
; Kernel info:
; codeLenInByte = 68
; TotalNumSgprs: 36
; NumVgprs: 51
; ScratchSize: 64
; MemoryBound: 0
; FloatMode: 240
; IeeeMode: 1
; LDSByteSize: 0 bytes/workgroup (compile time only)
; SGPRBlocks: 0
; VGPRBlocks: 3
; NumSGPRsForWavesPerEU: 36
; NumVGPRsForWavesPerEU: 51
; NamedBarCnt: 0
; Occupancy: 16
; WaveLimiterHint : 1
; COMPUTE_PGM_RSRC2:SCRATCH_EN: 1
; COMPUTE_PGM_RSRC2:USER_SGPR: 2
; COMPUTE_PGM_RSRC2:TRAP_HANDLER: 0
; COMPUTE_PGM_RSRC2:TGID_X_EN: 1
; COMPUTE_PGM_RSRC2:TGID_Y_EN: 0
; COMPUTE_PGM_RSRC2:TGID_Z_EN: 0
; COMPUTE_PGM_RSRC2:TIDIG_COMP_CNT: 0
	.section	.text._Z35paged_attention_ll4mi_reduce_kernelIDF16_hLi64ELi64ELi256ELi9EEvPT0_PKfS3_PKT_PKiS8_iS3_,"axG",@progbits,_Z35paged_attention_ll4mi_reduce_kernelIDF16_hLi64ELi64ELi256ELi9EEvPT0_PKfS3_PKT_PKiS8_iS3_,comdat
	.protected	_Z35paged_attention_ll4mi_reduce_kernelIDF16_hLi64ELi64ELi256ELi9EEvPT0_PKfS3_PKT_PKiS8_iS3_ ; -- Begin function _Z35paged_attention_ll4mi_reduce_kernelIDF16_hLi64ELi64ELi256ELi9EEvPT0_PKfS3_PKT_PKiS8_iS3_
	.globl	_Z35paged_attention_ll4mi_reduce_kernelIDF16_hLi64ELi64ELi256ELi9EEvPT0_PKfS3_PKT_PKiS8_iS3_
	.p2align	8
	.type	_Z35paged_attention_ll4mi_reduce_kernelIDF16_hLi64ELi64ELi256ELi9EEvPT0_PKfS3_PKT_PKiS8_iS3_,@function
_Z35paged_attention_ll4mi_reduce_kernelIDF16_hLi64ELi64ELi256ELi9EEvPT0_PKfS3_PKT_PKiS8_iS3_: ; @_Z35paged_attention_ll4mi_reduce_kernelIDF16_hLi64ELi64ELi256ELi9EEvPT0_PKfS3_PKT_PKiS8_iS3_
; %bb.0:
	s_get_pc_i64 s[2:3]
	s_add_nc_u64 s[2:3], s[2:3], __PRETTY_FUNCTION__._Z35paged_attention_ll4mi_reduce_kernelIDF16_hLi64ELi64ELi256ELi9EEvPT0_PKfS3_PKT_PKiS8_iS3_@rel64+4
	s_delay_alu instid0(SALU_CYCLE_1)
	v_dual_mov_b32 v0, 0xbdd :: v_dual_mov_b32 v1, s2
	v_mov_b32_e32 v2, s3
	s_add_nc_u64 s[8:9], s[0:1], 64
	s_get_pc_i64 s[0:1]
	s_add_nc_u64 s[0:1], s[0:1], __assert_fail@rel64+4
	s_mov_b32 s32, 0
	s_swap_pc_i64 s[30:31], s[0:1]
	.section	.rodata,"a",@progbits
	.p2align	6, 0x0
	.amdhsa_kernel _Z35paged_attention_ll4mi_reduce_kernelIDF16_hLi64ELi64ELi256ELi9EEvPT0_PKfS3_PKT_PKiS8_iS3_
		.amdhsa_group_segment_fixed_size 0
		.amdhsa_private_segment_fixed_size 64
		.amdhsa_kernarg_size 320
		.amdhsa_user_sgpr_count 2
		.amdhsa_user_sgpr_dispatch_ptr 0
		.amdhsa_user_sgpr_queue_ptr 0
		.amdhsa_user_sgpr_kernarg_segment_ptr 1
		.amdhsa_user_sgpr_dispatch_id 0
		.amdhsa_user_sgpr_kernarg_preload_length 0
		.amdhsa_user_sgpr_kernarg_preload_offset 0
		.amdhsa_user_sgpr_private_segment_size 0
		.amdhsa_wavefront_size32 1
		.amdhsa_uses_dynamic_stack 0
		.amdhsa_enable_private_segment 1
		.amdhsa_system_sgpr_workgroup_id_x 1
		.amdhsa_system_sgpr_workgroup_id_y 0
		.amdhsa_system_sgpr_workgroup_id_z 0
		.amdhsa_system_sgpr_workgroup_info 0
		.amdhsa_system_vgpr_workitem_id 0
		.amdhsa_next_free_vgpr 51
		.amdhsa_next_free_sgpr 34
		.amdhsa_named_barrier_count 0
		.amdhsa_reserve_vcc 1
		.amdhsa_float_round_mode_32 0
		.amdhsa_float_round_mode_16_64 0
		.amdhsa_float_denorm_mode_32 3
		.amdhsa_float_denorm_mode_16_64 3
		.amdhsa_fp16_overflow 0
		.amdhsa_memory_ordered 1
		.amdhsa_forward_progress 1
		.amdhsa_inst_pref_size 1
		.amdhsa_round_robin_scheduling 0
		.amdhsa_exception_fp_ieee_invalid_op 0
		.amdhsa_exception_fp_denorm_src 0
		.amdhsa_exception_fp_ieee_div_zero 0
		.amdhsa_exception_fp_ieee_overflow 0
		.amdhsa_exception_fp_ieee_underflow 0
		.amdhsa_exception_fp_ieee_inexact 0
		.amdhsa_exception_int_div_zero 0
	.end_amdhsa_kernel
	.section	.text._Z35paged_attention_ll4mi_reduce_kernelIDF16_hLi64ELi64ELi256ELi9EEvPT0_PKfS3_PKT_PKiS8_iS3_,"axG",@progbits,_Z35paged_attention_ll4mi_reduce_kernelIDF16_hLi64ELi64ELi256ELi9EEvPT0_PKfS3_PKT_PKiS8_iS3_,comdat
.Lfunc_end30:
	.size	_Z35paged_attention_ll4mi_reduce_kernelIDF16_hLi64ELi64ELi256ELi9EEvPT0_PKfS3_PKT_PKiS8_iS3_, .Lfunc_end30-_Z35paged_attention_ll4mi_reduce_kernelIDF16_hLi64ELi64ELi256ELi9EEvPT0_PKfS3_PKT_PKiS8_iS3_
                                        ; -- End function
	.set _Z35paged_attention_ll4mi_reduce_kernelIDF16_hLi64ELi64ELi256ELi9EEvPT0_PKfS3_PKT_PKiS8_iS3_.num_vgpr, max(3, .L__assert_fail.num_vgpr)
	.set _Z35paged_attention_ll4mi_reduce_kernelIDF16_hLi64ELi64ELi256ELi9EEvPT0_PKfS3_PKT_PKiS8_iS3_.num_agpr, max(0, .L__assert_fail.num_agpr)
	.set _Z35paged_attention_ll4mi_reduce_kernelIDF16_hLi64ELi64ELi256ELi9EEvPT0_PKfS3_PKT_PKiS8_iS3_.numbered_sgpr, max(33, .L__assert_fail.numbered_sgpr)
	.set _Z35paged_attention_ll4mi_reduce_kernelIDF16_hLi64ELi64ELi256ELi9EEvPT0_PKfS3_PKT_PKiS8_iS3_.num_named_barrier, max(0, .L__assert_fail.num_named_barrier)
	.set _Z35paged_attention_ll4mi_reduce_kernelIDF16_hLi64ELi64ELi256ELi9EEvPT0_PKfS3_PKT_PKiS8_iS3_.private_seg_size, 0+max(.L__assert_fail.private_seg_size)
	.set _Z35paged_attention_ll4mi_reduce_kernelIDF16_hLi64ELi64ELi256ELi9EEvPT0_PKfS3_PKT_PKiS8_iS3_.uses_vcc, or(1, .L__assert_fail.uses_vcc)
	.set _Z35paged_attention_ll4mi_reduce_kernelIDF16_hLi64ELi64ELi256ELi9EEvPT0_PKfS3_PKT_PKiS8_iS3_.uses_flat_scratch, or(0, .L__assert_fail.uses_flat_scratch)
	.set _Z35paged_attention_ll4mi_reduce_kernelIDF16_hLi64ELi64ELi256ELi9EEvPT0_PKfS3_PKT_PKiS8_iS3_.has_dyn_sized_stack, or(0, .L__assert_fail.has_dyn_sized_stack)
	.set _Z35paged_attention_ll4mi_reduce_kernelIDF16_hLi64ELi64ELi256ELi9EEvPT0_PKfS3_PKT_PKiS8_iS3_.has_recursion, or(0, .L__assert_fail.has_recursion)
	.set _Z35paged_attention_ll4mi_reduce_kernelIDF16_hLi64ELi64ELi256ELi9EEvPT0_PKfS3_PKT_PKiS8_iS3_.has_indirect_call, or(0, .L__assert_fail.has_indirect_call)
	.section	.AMDGPU.csdata,"",@progbits
; Kernel info:
; codeLenInByte = 64
; TotalNumSgprs: 36
; NumVgprs: 51
; ScratchSize: 64
; MemoryBound: 0
; FloatMode: 240
; IeeeMode: 1
; LDSByteSize: 0 bytes/workgroup (compile time only)
; SGPRBlocks: 0
; VGPRBlocks: 3
; NumSGPRsForWavesPerEU: 36
; NumVGPRsForWavesPerEU: 51
; NamedBarCnt: 0
; Occupancy: 16
; WaveLimiterHint : 1
; COMPUTE_PGM_RSRC2:SCRATCH_EN: 1
; COMPUTE_PGM_RSRC2:USER_SGPR: 2
; COMPUTE_PGM_RSRC2:TRAP_HANDLER: 0
; COMPUTE_PGM_RSRC2:TGID_X_EN: 1
; COMPUTE_PGM_RSRC2:TGID_Y_EN: 0
; COMPUTE_PGM_RSRC2:TGID_Z_EN: 0
; COMPUTE_PGM_RSRC2:TIDIG_COMP_CNT: 0
	.section	.text._Z35paged_attention_ll4mi_reduce_kernelIDF16_hLi64ELi64ELi256ELi10EEvPT0_PKfS3_PKT_PKiS8_iS3_,"axG",@progbits,_Z35paged_attention_ll4mi_reduce_kernelIDF16_hLi64ELi64ELi256ELi10EEvPT0_PKfS3_PKT_PKiS8_iS3_,comdat
	.protected	_Z35paged_attention_ll4mi_reduce_kernelIDF16_hLi64ELi64ELi256ELi10EEvPT0_PKfS3_PKT_PKiS8_iS3_ ; -- Begin function _Z35paged_attention_ll4mi_reduce_kernelIDF16_hLi64ELi64ELi256ELi10EEvPT0_PKfS3_PKT_PKiS8_iS3_
	.globl	_Z35paged_attention_ll4mi_reduce_kernelIDF16_hLi64ELi64ELi256ELi10EEvPT0_PKfS3_PKT_PKiS8_iS3_
	.p2align	8
	.type	_Z35paged_attention_ll4mi_reduce_kernelIDF16_hLi64ELi64ELi256ELi10EEvPT0_PKfS3_PKT_PKiS8_iS3_,@function
_Z35paged_attention_ll4mi_reduce_kernelIDF16_hLi64ELi64ELi256ELi10EEvPT0_PKfS3_PKT_PKiS8_iS3_: ; @_Z35paged_attention_ll4mi_reduce_kernelIDF16_hLi64ELi64ELi256ELi10EEvPT0_PKfS3_PKT_PKiS8_iS3_
; %bb.0:
	s_get_pc_i64 s[2:3]
	s_add_nc_u64 s[2:3], s[2:3], __PRETTY_FUNCTION__._Z35paged_attention_ll4mi_reduce_kernelIDF16_hLi64ELi64ELi256ELi10EEvPT0_PKfS3_PKT_PKiS8_iS3_@rel64+4
	s_delay_alu instid0(SALU_CYCLE_1)
	v_dual_mov_b32 v0, 0xbdd :: v_dual_mov_b32 v1, s2
	v_mov_b32_e32 v2, s3
	s_add_nc_u64 s[8:9], s[0:1], 64
	s_get_pc_i64 s[0:1]
	s_add_nc_u64 s[0:1], s[0:1], __assert_fail@rel64+4
	s_mov_b32 s32, 0
	s_swap_pc_i64 s[30:31], s[0:1]
	.section	.rodata,"a",@progbits
	.p2align	6, 0x0
	.amdhsa_kernel _Z35paged_attention_ll4mi_reduce_kernelIDF16_hLi64ELi64ELi256ELi10EEvPT0_PKfS3_PKT_PKiS8_iS3_
		.amdhsa_group_segment_fixed_size 0
		.amdhsa_private_segment_fixed_size 64
		.amdhsa_kernarg_size 320
		.amdhsa_user_sgpr_count 2
		.amdhsa_user_sgpr_dispatch_ptr 0
		.amdhsa_user_sgpr_queue_ptr 0
		.amdhsa_user_sgpr_kernarg_segment_ptr 1
		.amdhsa_user_sgpr_dispatch_id 0
		.amdhsa_user_sgpr_kernarg_preload_length 0
		.amdhsa_user_sgpr_kernarg_preload_offset 0
		.amdhsa_user_sgpr_private_segment_size 0
		.amdhsa_wavefront_size32 1
		.amdhsa_uses_dynamic_stack 0
		.amdhsa_enable_private_segment 1
		.amdhsa_system_sgpr_workgroup_id_x 1
		.amdhsa_system_sgpr_workgroup_id_y 0
		.amdhsa_system_sgpr_workgroup_id_z 0
		.amdhsa_system_sgpr_workgroup_info 0
		.amdhsa_system_vgpr_workitem_id 0
		.amdhsa_next_free_vgpr 51
		.amdhsa_next_free_sgpr 34
		.amdhsa_named_barrier_count 0
		.amdhsa_reserve_vcc 1
		.amdhsa_float_round_mode_32 0
		.amdhsa_float_round_mode_16_64 0
		.amdhsa_float_denorm_mode_32 3
		.amdhsa_float_denorm_mode_16_64 3
		.amdhsa_fp16_overflow 0
		.amdhsa_memory_ordered 1
		.amdhsa_forward_progress 1
		.amdhsa_inst_pref_size 1
		.amdhsa_round_robin_scheduling 0
		.amdhsa_exception_fp_ieee_invalid_op 0
		.amdhsa_exception_fp_denorm_src 0
		.amdhsa_exception_fp_ieee_div_zero 0
		.amdhsa_exception_fp_ieee_overflow 0
		.amdhsa_exception_fp_ieee_underflow 0
		.amdhsa_exception_fp_ieee_inexact 0
		.amdhsa_exception_int_div_zero 0
	.end_amdhsa_kernel
	.section	.text._Z35paged_attention_ll4mi_reduce_kernelIDF16_hLi64ELi64ELi256ELi10EEvPT0_PKfS3_PKT_PKiS8_iS3_,"axG",@progbits,_Z35paged_attention_ll4mi_reduce_kernelIDF16_hLi64ELi64ELi256ELi10EEvPT0_PKfS3_PKT_PKiS8_iS3_,comdat
.Lfunc_end31:
	.size	_Z35paged_attention_ll4mi_reduce_kernelIDF16_hLi64ELi64ELi256ELi10EEvPT0_PKfS3_PKT_PKiS8_iS3_, .Lfunc_end31-_Z35paged_attention_ll4mi_reduce_kernelIDF16_hLi64ELi64ELi256ELi10EEvPT0_PKfS3_PKT_PKiS8_iS3_
                                        ; -- End function
	.set _Z35paged_attention_ll4mi_reduce_kernelIDF16_hLi64ELi64ELi256ELi10EEvPT0_PKfS3_PKT_PKiS8_iS3_.num_vgpr, max(3, .L__assert_fail.num_vgpr)
	.set _Z35paged_attention_ll4mi_reduce_kernelIDF16_hLi64ELi64ELi256ELi10EEvPT0_PKfS3_PKT_PKiS8_iS3_.num_agpr, max(0, .L__assert_fail.num_agpr)
	.set _Z35paged_attention_ll4mi_reduce_kernelIDF16_hLi64ELi64ELi256ELi10EEvPT0_PKfS3_PKT_PKiS8_iS3_.numbered_sgpr, max(33, .L__assert_fail.numbered_sgpr)
	.set _Z35paged_attention_ll4mi_reduce_kernelIDF16_hLi64ELi64ELi256ELi10EEvPT0_PKfS3_PKT_PKiS8_iS3_.num_named_barrier, max(0, .L__assert_fail.num_named_barrier)
	.set _Z35paged_attention_ll4mi_reduce_kernelIDF16_hLi64ELi64ELi256ELi10EEvPT0_PKfS3_PKT_PKiS8_iS3_.private_seg_size, 0+max(.L__assert_fail.private_seg_size)
	.set _Z35paged_attention_ll4mi_reduce_kernelIDF16_hLi64ELi64ELi256ELi10EEvPT0_PKfS3_PKT_PKiS8_iS3_.uses_vcc, or(1, .L__assert_fail.uses_vcc)
	.set _Z35paged_attention_ll4mi_reduce_kernelIDF16_hLi64ELi64ELi256ELi10EEvPT0_PKfS3_PKT_PKiS8_iS3_.uses_flat_scratch, or(0, .L__assert_fail.uses_flat_scratch)
	.set _Z35paged_attention_ll4mi_reduce_kernelIDF16_hLi64ELi64ELi256ELi10EEvPT0_PKfS3_PKT_PKiS8_iS3_.has_dyn_sized_stack, or(0, .L__assert_fail.has_dyn_sized_stack)
	.set _Z35paged_attention_ll4mi_reduce_kernelIDF16_hLi64ELi64ELi256ELi10EEvPT0_PKfS3_PKT_PKiS8_iS3_.has_recursion, or(0, .L__assert_fail.has_recursion)
	.set _Z35paged_attention_ll4mi_reduce_kernelIDF16_hLi64ELi64ELi256ELi10EEvPT0_PKfS3_PKT_PKiS8_iS3_.has_indirect_call, or(0, .L__assert_fail.has_indirect_call)
	.section	.AMDGPU.csdata,"",@progbits
; Kernel info:
; codeLenInByte = 64
; TotalNumSgprs: 36
; NumVgprs: 51
; ScratchSize: 64
; MemoryBound: 0
; FloatMode: 240
; IeeeMode: 1
; LDSByteSize: 0 bytes/workgroup (compile time only)
; SGPRBlocks: 0
; VGPRBlocks: 3
; NumSGPRsForWavesPerEU: 36
; NumVGPRsForWavesPerEU: 51
; NamedBarCnt: 0
; Occupancy: 16
; WaveLimiterHint : 1
; COMPUTE_PGM_RSRC2:SCRATCH_EN: 1
; COMPUTE_PGM_RSRC2:USER_SGPR: 2
; COMPUTE_PGM_RSRC2:TRAP_HANDLER: 0
; COMPUTE_PGM_RSRC2:TGID_X_EN: 1
; COMPUTE_PGM_RSRC2:TGID_Y_EN: 0
; COMPUTE_PGM_RSRC2:TGID_Z_EN: 0
; COMPUTE_PGM_RSRC2:TIDIG_COMP_CNT: 0
	.section	.text._Z35paged_attention_ll4mi_reduce_kernelIDF16_hLi64ELi64ELi256ELi11EEvPT0_PKfS3_PKT_PKiS8_iS3_,"axG",@progbits,_Z35paged_attention_ll4mi_reduce_kernelIDF16_hLi64ELi64ELi256ELi11EEvPT0_PKfS3_PKT_PKiS8_iS3_,comdat
	.protected	_Z35paged_attention_ll4mi_reduce_kernelIDF16_hLi64ELi64ELi256ELi11EEvPT0_PKfS3_PKT_PKiS8_iS3_ ; -- Begin function _Z35paged_attention_ll4mi_reduce_kernelIDF16_hLi64ELi64ELi256ELi11EEvPT0_PKfS3_PKT_PKiS8_iS3_
	.globl	_Z35paged_attention_ll4mi_reduce_kernelIDF16_hLi64ELi64ELi256ELi11EEvPT0_PKfS3_PKT_PKiS8_iS3_
	.p2align	8
	.type	_Z35paged_attention_ll4mi_reduce_kernelIDF16_hLi64ELi64ELi256ELi11EEvPT0_PKfS3_PKT_PKiS8_iS3_,@function
_Z35paged_attention_ll4mi_reduce_kernelIDF16_hLi64ELi64ELi256ELi11EEvPT0_PKfS3_PKT_PKiS8_iS3_: ; @_Z35paged_attention_ll4mi_reduce_kernelIDF16_hLi64ELi64ELi256ELi11EEvPT0_PKfS3_PKT_PKiS8_iS3_
; %bb.0:
	s_get_pc_i64 s[2:3]
	s_add_nc_u64 s[2:3], s[2:3], __PRETTY_FUNCTION__._Z35paged_attention_ll4mi_reduce_kernelIDF16_hLi64ELi64ELi256ELi11EEvPT0_PKfS3_PKT_PKiS8_iS3_@rel64+4
	s_delay_alu instid0(SALU_CYCLE_1)
	v_dual_mov_b32 v0, 0xbdd :: v_dual_mov_b32 v1, s2
	v_mov_b32_e32 v2, s3
	s_add_nc_u64 s[8:9], s[0:1], 64
	s_get_pc_i64 s[0:1]
	s_add_nc_u64 s[0:1], s[0:1], __assert_fail@rel64+4
	s_mov_b32 s32, 0
	s_swap_pc_i64 s[30:31], s[0:1]
	.section	.rodata,"a",@progbits
	.p2align	6, 0x0
	.amdhsa_kernel _Z35paged_attention_ll4mi_reduce_kernelIDF16_hLi64ELi64ELi256ELi11EEvPT0_PKfS3_PKT_PKiS8_iS3_
		.amdhsa_group_segment_fixed_size 0
		.amdhsa_private_segment_fixed_size 64
		.amdhsa_kernarg_size 320
		.amdhsa_user_sgpr_count 2
		.amdhsa_user_sgpr_dispatch_ptr 0
		.amdhsa_user_sgpr_queue_ptr 0
		.amdhsa_user_sgpr_kernarg_segment_ptr 1
		.amdhsa_user_sgpr_dispatch_id 0
		.amdhsa_user_sgpr_kernarg_preload_length 0
		.amdhsa_user_sgpr_kernarg_preload_offset 0
		.amdhsa_user_sgpr_private_segment_size 0
		.amdhsa_wavefront_size32 1
		.amdhsa_uses_dynamic_stack 0
		.amdhsa_enable_private_segment 1
		.amdhsa_system_sgpr_workgroup_id_x 1
		.amdhsa_system_sgpr_workgroup_id_y 0
		.amdhsa_system_sgpr_workgroup_id_z 0
		.amdhsa_system_sgpr_workgroup_info 0
		.amdhsa_system_vgpr_workitem_id 0
		.amdhsa_next_free_vgpr 51
		.amdhsa_next_free_sgpr 34
		.amdhsa_named_barrier_count 0
		.amdhsa_reserve_vcc 1
		.amdhsa_float_round_mode_32 0
		.amdhsa_float_round_mode_16_64 0
		.amdhsa_float_denorm_mode_32 3
		.amdhsa_float_denorm_mode_16_64 3
		.amdhsa_fp16_overflow 0
		.amdhsa_memory_ordered 1
		.amdhsa_forward_progress 1
		.amdhsa_inst_pref_size 1
		.amdhsa_round_robin_scheduling 0
		.amdhsa_exception_fp_ieee_invalid_op 0
		.amdhsa_exception_fp_denorm_src 0
		.amdhsa_exception_fp_ieee_div_zero 0
		.amdhsa_exception_fp_ieee_overflow 0
		.amdhsa_exception_fp_ieee_underflow 0
		.amdhsa_exception_fp_ieee_inexact 0
		.amdhsa_exception_int_div_zero 0
	.end_amdhsa_kernel
	.section	.text._Z35paged_attention_ll4mi_reduce_kernelIDF16_hLi64ELi64ELi256ELi11EEvPT0_PKfS3_PKT_PKiS8_iS3_,"axG",@progbits,_Z35paged_attention_ll4mi_reduce_kernelIDF16_hLi64ELi64ELi256ELi11EEvPT0_PKfS3_PKT_PKiS8_iS3_,comdat
.Lfunc_end32:
	.size	_Z35paged_attention_ll4mi_reduce_kernelIDF16_hLi64ELi64ELi256ELi11EEvPT0_PKfS3_PKT_PKiS8_iS3_, .Lfunc_end32-_Z35paged_attention_ll4mi_reduce_kernelIDF16_hLi64ELi64ELi256ELi11EEvPT0_PKfS3_PKT_PKiS8_iS3_
                                        ; -- End function
	.set _Z35paged_attention_ll4mi_reduce_kernelIDF16_hLi64ELi64ELi256ELi11EEvPT0_PKfS3_PKT_PKiS8_iS3_.num_vgpr, max(3, .L__assert_fail.num_vgpr)
	.set _Z35paged_attention_ll4mi_reduce_kernelIDF16_hLi64ELi64ELi256ELi11EEvPT0_PKfS3_PKT_PKiS8_iS3_.num_agpr, max(0, .L__assert_fail.num_agpr)
	.set _Z35paged_attention_ll4mi_reduce_kernelIDF16_hLi64ELi64ELi256ELi11EEvPT0_PKfS3_PKT_PKiS8_iS3_.numbered_sgpr, max(33, .L__assert_fail.numbered_sgpr)
	.set _Z35paged_attention_ll4mi_reduce_kernelIDF16_hLi64ELi64ELi256ELi11EEvPT0_PKfS3_PKT_PKiS8_iS3_.num_named_barrier, max(0, .L__assert_fail.num_named_barrier)
	.set _Z35paged_attention_ll4mi_reduce_kernelIDF16_hLi64ELi64ELi256ELi11EEvPT0_PKfS3_PKT_PKiS8_iS3_.private_seg_size, 0+max(.L__assert_fail.private_seg_size)
	.set _Z35paged_attention_ll4mi_reduce_kernelIDF16_hLi64ELi64ELi256ELi11EEvPT0_PKfS3_PKT_PKiS8_iS3_.uses_vcc, or(1, .L__assert_fail.uses_vcc)
	.set _Z35paged_attention_ll4mi_reduce_kernelIDF16_hLi64ELi64ELi256ELi11EEvPT0_PKfS3_PKT_PKiS8_iS3_.uses_flat_scratch, or(0, .L__assert_fail.uses_flat_scratch)
	.set _Z35paged_attention_ll4mi_reduce_kernelIDF16_hLi64ELi64ELi256ELi11EEvPT0_PKfS3_PKT_PKiS8_iS3_.has_dyn_sized_stack, or(0, .L__assert_fail.has_dyn_sized_stack)
	.set _Z35paged_attention_ll4mi_reduce_kernelIDF16_hLi64ELi64ELi256ELi11EEvPT0_PKfS3_PKT_PKiS8_iS3_.has_recursion, or(0, .L__assert_fail.has_recursion)
	.set _Z35paged_attention_ll4mi_reduce_kernelIDF16_hLi64ELi64ELi256ELi11EEvPT0_PKfS3_PKT_PKiS8_iS3_.has_indirect_call, or(0, .L__assert_fail.has_indirect_call)
	.section	.AMDGPU.csdata,"",@progbits
; Kernel info:
; codeLenInByte = 64
; TotalNumSgprs: 36
; NumVgprs: 51
; ScratchSize: 64
; MemoryBound: 0
; FloatMode: 240
; IeeeMode: 1
; LDSByteSize: 0 bytes/workgroup (compile time only)
; SGPRBlocks: 0
; VGPRBlocks: 3
; NumSGPRsForWavesPerEU: 36
; NumVGPRsForWavesPerEU: 51
; NamedBarCnt: 0
; Occupancy: 16
; WaveLimiterHint : 1
; COMPUTE_PGM_RSRC2:SCRATCH_EN: 1
; COMPUTE_PGM_RSRC2:USER_SGPR: 2
; COMPUTE_PGM_RSRC2:TRAP_HANDLER: 0
; COMPUTE_PGM_RSRC2:TGID_X_EN: 1
; COMPUTE_PGM_RSRC2:TGID_Y_EN: 0
; COMPUTE_PGM_RSRC2:TGID_Z_EN: 0
; COMPUTE_PGM_RSRC2:TIDIG_COMP_CNT: 0
	.section	.text._Z35paged_attention_ll4mi_reduce_kernelIDF16_hLi64ELi64ELi256ELi12EEvPT0_PKfS3_PKT_PKiS8_iS3_,"axG",@progbits,_Z35paged_attention_ll4mi_reduce_kernelIDF16_hLi64ELi64ELi256ELi12EEvPT0_PKfS3_PKT_PKiS8_iS3_,comdat
	.protected	_Z35paged_attention_ll4mi_reduce_kernelIDF16_hLi64ELi64ELi256ELi12EEvPT0_PKfS3_PKT_PKiS8_iS3_ ; -- Begin function _Z35paged_attention_ll4mi_reduce_kernelIDF16_hLi64ELi64ELi256ELi12EEvPT0_PKfS3_PKT_PKiS8_iS3_
	.globl	_Z35paged_attention_ll4mi_reduce_kernelIDF16_hLi64ELi64ELi256ELi12EEvPT0_PKfS3_PKT_PKiS8_iS3_
	.p2align	8
	.type	_Z35paged_attention_ll4mi_reduce_kernelIDF16_hLi64ELi64ELi256ELi12EEvPT0_PKfS3_PKT_PKiS8_iS3_,@function
_Z35paged_attention_ll4mi_reduce_kernelIDF16_hLi64ELi64ELi256ELi12EEvPT0_PKfS3_PKT_PKiS8_iS3_: ; @_Z35paged_attention_ll4mi_reduce_kernelIDF16_hLi64ELi64ELi256ELi12EEvPT0_PKfS3_PKT_PKiS8_iS3_
; %bb.0:
	s_get_pc_i64 s[2:3]
	s_add_nc_u64 s[2:3], s[2:3], __PRETTY_FUNCTION__._Z35paged_attention_ll4mi_reduce_kernelIDF16_hLi64ELi64ELi256ELi12EEvPT0_PKfS3_PKT_PKiS8_iS3_@rel64+4
	s_delay_alu instid0(SALU_CYCLE_1)
	v_dual_mov_b32 v0, 0xbdd :: v_dual_mov_b32 v1, s2
	v_mov_b32_e32 v2, s3
	s_add_nc_u64 s[8:9], s[0:1], 64
	s_get_pc_i64 s[0:1]
	s_add_nc_u64 s[0:1], s[0:1], __assert_fail@rel64+4
	s_mov_b32 s32, 0
	s_swap_pc_i64 s[30:31], s[0:1]
	.section	.rodata,"a",@progbits
	.p2align	6, 0x0
	.amdhsa_kernel _Z35paged_attention_ll4mi_reduce_kernelIDF16_hLi64ELi64ELi256ELi12EEvPT0_PKfS3_PKT_PKiS8_iS3_
		.amdhsa_group_segment_fixed_size 0
		.amdhsa_private_segment_fixed_size 64
		.amdhsa_kernarg_size 320
		.amdhsa_user_sgpr_count 2
		.amdhsa_user_sgpr_dispatch_ptr 0
		.amdhsa_user_sgpr_queue_ptr 0
		.amdhsa_user_sgpr_kernarg_segment_ptr 1
		.amdhsa_user_sgpr_dispatch_id 0
		.amdhsa_user_sgpr_kernarg_preload_length 0
		.amdhsa_user_sgpr_kernarg_preload_offset 0
		.amdhsa_user_sgpr_private_segment_size 0
		.amdhsa_wavefront_size32 1
		.amdhsa_uses_dynamic_stack 0
		.amdhsa_enable_private_segment 1
		.amdhsa_system_sgpr_workgroup_id_x 1
		.amdhsa_system_sgpr_workgroup_id_y 0
		.amdhsa_system_sgpr_workgroup_id_z 0
		.amdhsa_system_sgpr_workgroup_info 0
		.amdhsa_system_vgpr_workitem_id 0
		.amdhsa_next_free_vgpr 51
		.amdhsa_next_free_sgpr 34
		.amdhsa_named_barrier_count 0
		.amdhsa_reserve_vcc 1
		.amdhsa_float_round_mode_32 0
		.amdhsa_float_round_mode_16_64 0
		.amdhsa_float_denorm_mode_32 3
		.amdhsa_float_denorm_mode_16_64 3
		.amdhsa_fp16_overflow 0
		.amdhsa_memory_ordered 1
		.amdhsa_forward_progress 1
		.amdhsa_inst_pref_size 1
		.amdhsa_round_robin_scheduling 0
		.amdhsa_exception_fp_ieee_invalid_op 0
		.amdhsa_exception_fp_denorm_src 0
		.amdhsa_exception_fp_ieee_div_zero 0
		.amdhsa_exception_fp_ieee_overflow 0
		.amdhsa_exception_fp_ieee_underflow 0
		.amdhsa_exception_fp_ieee_inexact 0
		.amdhsa_exception_int_div_zero 0
	.end_amdhsa_kernel
	.section	.text._Z35paged_attention_ll4mi_reduce_kernelIDF16_hLi64ELi64ELi256ELi12EEvPT0_PKfS3_PKT_PKiS8_iS3_,"axG",@progbits,_Z35paged_attention_ll4mi_reduce_kernelIDF16_hLi64ELi64ELi256ELi12EEvPT0_PKfS3_PKT_PKiS8_iS3_,comdat
.Lfunc_end33:
	.size	_Z35paged_attention_ll4mi_reduce_kernelIDF16_hLi64ELi64ELi256ELi12EEvPT0_PKfS3_PKT_PKiS8_iS3_, .Lfunc_end33-_Z35paged_attention_ll4mi_reduce_kernelIDF16_hLi64ELi64ELi256ELi12EEvPT0_PKfS3_PKT_PKiS8_iS3_
                                        ; -- End function
	.set _Z35paged_attention_ll4mi_reduce_kernelIDF16_hLi64ELi64ELi256ELi12EEvPT0_PKfS3_PKT_PKiS8_iS3_.num_vgpr, max(3, .L__assert_fail.num_vgpr)
	.set _Z35paged_attention_ll4mi_reduce_kernelIDF16_hLi64ELi64ELi256ELi12EEvPT0_PKfS3_PKT_PKiS8_iS3_.num_agpr, max(0, .L__assert_fail.num_agpr)
	.set _Z35paged_attention_ll4mi_reduce_kernelIDF16_hLi64ELi64ELi256ELi12EEvPT0_PKfS3_PKT_PKiS8_iS3_.numbered_sgpr, max(33, .L__assert_fail.numbered_sgpr)
	.set _Z35paged_attention_ll4mi_reduce_kernelIDF16_hLi64ELi64ELi256ELi12EEvPT0_PKfS3_PKT_PKiS8_iS3_.num_named_barrier, max(0, .L__assert_fail.num_named_barrier)
	.set _Z35paged_attention_ll4mi_reduce_kernelIDF16_hLi64ELi64ELi256ELi12EEvPT0_PKfS3_PKT_PKiS8_iS3_.private_seg_size, 0+max(.L__assert_fail.private_seg_size)
	.set _Z35paged_attention_ll4mi_reduce_kernelIDF16_hLi64ELi64ELi256ELi12EEvPT0_PKfS3_PKT_PKiS8_iS3_.uses_vcc, or(1, .L__assert_fail.uses_vcc)
	.set _Z35paged_attention_ll4mi_reduce_kernelIDF16_hLi64ELi64ELi256ELi12EEvPT0_PKfS3_PKT_PKiS8_iS3_.uses_flat_scratch, or(0, .L__assert_fail.uses_flat_scratch)
	.set _Z35paged_attention_ll4mi_reduce_kernelIDF16_hLi64ELi64ELi256ELi12EEvPT0_PKfS3_PKT_PKiS8_iS3_.has_dyn_sized_stack, or(0, .L__assert_fail.has_dyn_sized_stack)
	.set _Z35paged_attention_ll4mi_reduce_kernelIDF16_hLi64ELi64ELi256ELi12EEvPT0_PKfS3_PKT_PKiS8_iS3_.has_recursion, or(0, .L__assert_fail.has_recursion)
	.set _Z35paged_attention_ll4mi_reduce_kernelIDF16_hLi64ELi64ELi256ELi12EEvPT0_PKfS3_PKT_PKiS8_iS3_.has_indirect_call, or(0, .L__assert_fail.has_indirect_call)
	.section	.AMDGPU.csdata,"",@progbits
; Kernel info:
; codeLenInByte = 64
; TotalNumSgprs: 36
; NumVgprs: 51
; ScratchSize: 64
; MemoryBound: 0
; FloatMode: 240
; IeeeMode: 1
; LDSByteSize: 0 bytes/workgroup (compile time only)
; SGPRBlocks: 0
; VGPRBlocks: 3
; NumSGPRsForWavesPerEU: 36
; NumVGPRsForWavesPerEU: 51
; NamedBarCnt: 0
; Occupancy: 16
; WaveLimiterHint : 1
; COMPUTE_PGM_RSRC2:SCRATCH_EN: 1
; COMPUTE_PGM_RSRC2:USER_SGPR: 2
; COMPUTE_PGM_RSRC2:TRAP_HANDLER: 0
; COMPUTE_PGM_RSRC2:TGID_X_EN: 1
; COMPUTE_PGM_RSRC2:TGID_Y_EN: 0
; COMPUTE_PGM_RSRC2:TGID_Z_EN: 0
; COMPUTE_PGM_RSRC2:TIDIG_COMP_CNT: 0
	.section	.text._Z35paged_attention_ll4mi_reduce_kernelIDF16_hLi64ELi64ELi256ELi13EEvPT0_PKfS3_PKT_PKiS8_iS3_,"axG",@progbits,_Z35paged_attention_ll4mi_reduce_kernelIDF16_hLi64ELi64ELi256ELi13EEvPT0_PKfS3_PKT_PKiS8_iS3_,comdat
	.protected	_Z35paged_attention_ll4mi_reduce_kernelIDF16_hLi64ELi64ELi256ELi13EEvPT0_PKfS3_PKT_PKiS8_iS3_ ; -- Begin function _Z35paged_attention_ll4mi_reduce_kernelIDF16_hLi64ELi64ELi256ELi13EEvPT0_PKfS3_PKT_PKiS8_iS3_
	.globl	_Z35paged_attention_ll4mi_reduce_kernelIDF16_hLi64ELi64ELi256ELi13EEvPT0_PKfS3_PKT_PKiS8_iS3_
	.p2align	8
	.type	_Z35paged_attention_ll4mi_reduce_kernelIDF16_hLi64ELi64ELi256ELi13EEvPT0_PKfS3_PKT_PKiS8_iS3_,@function
_Z35paged_attention_ll4mi_reduce_kernelIDF16_hLi64ELi64ELi256ELi13EEvPT0_PKfS3_PKT_PKiS8_iS3_: ; @_Z35paged_attention_ll4mi_reduce_kernelIDF16_hLi64ELi64ELi256ELi13EEvPT0_PKfS3_PKT_PKiS8_iS3_
; %bb.0:
	s_get_pc_i64 s[2:3]
	s_add_nc_u64 s[2:3], s[2:3], __PRETTY_FUNCTION__._Z35paged_attention_ll4mi_reduce_kernelIDF16_hLi64ELi64ELi256ELi13EEvPT0_PKfS3_PKT_PKiS8_iS3_@rel64+4
	s_delay_alu instid0(SALU_CYCLE_1)
	v_dual_mov_b32 v0, 0xbdd :: v_dual_mov_b32 v1, s2
	v_mov_b32_e32 v2, s3
	s_add_nc_u64 s[8:9], s[0:1], 64
	s_get_pc_i64 s[0:1]
	s_add_nc_u64 s[0:1], s[0:1], __assert_fail@rel64+4
	s_mov_b32 s32, 0
	s_swap_pc_i64 s[30:31], s[0:1]
	.section	.rodata,"a",@progbits
	.p2align	6, 0x0
	.amdhsa_kernel _Z35paged_attention_ll4mi_reduce_kernelIDF16_hLi64ELi64ELi256ELi13EEvPT0_PKfS3_PKT_PKiS8_iS3_
		.amdhsa_group_segment_fixed_size 0
		.amdhsa_private_segment_fixed_size 64
		.amdhsa_kernarg_size 320
		.amdhsa_user_sgpr_count 2
		.amdhsa_user_sgpr_dispatch_ptr 0
		.amdhsa_user_sgpr_queue_ptr 0
		.amdhsa_user_sgpr_kernarg_segment_ptr 1
		.amdhsa_user_sgpr_dispatch_id 0
		.amdhsa_user_sgpr_kernarg_preload_length 0
		.amdhsa_user_sgpr_kernarg_preload_offset 0
		.amdhsa_user_sgpr_private_segment_size 0
		.amdhsa_wavefront_size32 1
		.amdhsa_uses_dynamic_stack 0
		.amdhsa_enable_private_segment 1
		.amdhsa_system_sgpr_workgroup_id_x 1
		.amdhsa_system_sgpr_workgroup_id_y 0
		.amdhsa_system_sgpr_workgroup_id_z 0
		.amdhsa_system_sgpr_workgroup_info 0
		.amdhsa_system_vgpr_workitem_id 0
		.amdhsa_next_free_vgpr 51
		.amdhsa_next_free_sgpr 34
		.amdhsa_named_barrier_count 0
		.amdhsa_reserve_vcc 1
		.amdhsa_float_round_mode_32 0
		.amdhsa_float_round_mode_16_64 0
		.amdhsa_float_denorm_mode_32 3
		.amdhsa_float_denorm_mode_16_64 3
		.amdhsa_fp16_overflow 0
		.amdhsa_memory_ordered 1
		.amdhsa_forward_progress 1
		.amdhsa_inst_pref_size 1
		.amdhsa_round_robin_scheduling 0
		.amdhsa_exception_fp_ieee_invalid_op 0
		.amdhsa_exception_fp_denorm_src 0
		.amdhsa_exception_fp_ieee_div_zero 0
		.amdhsa_exception_fp_ieee_overflow 0
		.amdhsa_exception_fp_ieee_underflow 0
		.amdhsa_exception_fp_ieee_inexact 0
		.amdhsa_exception_int_div_zero 0
	.end_amdhsa_kernel
	.section	.text._Z35paged_attention_ll4mi_reduce_kernelIDF16_hLi64ELi64ELi256ELi13EEvPT0_PKfS3_PKT_PKiS8_iS3_,"axG",@progbits,_Z35paged_attention_ll4mi_reduce_kernelIDF16_hLi64ELi64ELi256ELi13EEvPT0_PKfS3_PKT_PKiS8_iS3_,comdat
.Lfunc_end34:
	.size	_Z35paged_attention_ll4mi_reduce_kernelIDF16_hLi64ELi64ELi256ELi13EEvPT0_PKfS3_PKT_PKiS8_iS3_, .Lfunc_end34-_Z35paged_attention_ll4mi_reduce_kernelIDF16_hLi64ELi64ELi256ELi13EEvPT0_PKfS3_PKT_PKiS8_iS3_
                                        ; -- End function
	.set _Z35paged_attention_ll4mi_reduce_kernelIDF16_hLi64ELi64ELi256ELi13EEvPT0_PKfS3_PKT_PKiS8_iS3_.num_vgpr, max(3, .L__assert_fail.num_vgpr)
	.set _Z35paged_attention_ll4mi_reduce_kernelIDF16_hLi64ELi64ELi256ELi13EEvPT0_PKfS3_PKT_PKiS8_iS3_.num_agpr, max(0, .L__assert_fail.num_agpr)
	.set _Z35paged_attention_ll4mi_reduce_kernelIDF16_hLi64ELi64ELi256ELi13EEvPT0_PKfS3_PKT_PKiS8_iS3_.numbered_sgpr, max(33, .L__assert_fail.numbered_sgpr)
	.set _Z35paged_attention_ll4mi_reduce_kernelIDF16_hLi64ELi64ELi256ELi13EEvPT0_PKfS3_PKT_PKiS8_iS3_.num_named_barrier, max(0, .L__assert_fail.num_named_barrier)
	.set _Z35paged_attention_ll4mi_reduce_kernelIDF16_hLi64ELi64ELi256ELi13EEvPT0_PKfS3_PKT_PKiS8_iS3_.private_seg_size, 0+max(.L__assert_fail.private_seg_size)
	.set _Z35paged_attention_ll4mi_reduce_kernelIDF16_hLi64ELi64ELi256ELi13EEvPT0_PKfS3_PKT_PKiS8_iS3_.uses_vcc, or(1, .L__assert_fail.uses_vcc)
	.set _Z35paged_attention_ll4mi_reduce_kernelIDF16_hLi64ELi64ELi256ELi13EEvPT0_PKfS3_PKT_PKiS8_iS3_.uses_flat_scratch, or(0, .L__assert_fail.uses_flat_scratch)
	.set _Z35paged_attention_ll4mi_reduce_kernelIDF16_hLi64ELi64ELi256ELi13EEvPT0_PKfS3_PKT_PKiS8_iS3_.has_dyn_sized_stack, or(0, .L__assert_fail.has_dyn_sized_stack)
	.set _Z35paged_attention_ll4mi_reduce_kernelIDF16_hLi64ELi64ELi256ELi13EEvPT0_PKfS3_PKT_PKiS8_iS3_.has_recursion, or(0, .L__assert_fail.has_recursion)
	.set _Z35paged_attention_ll4mi_reduce_kernelIDF16_hLi64ELi64ELi256ELi13EEvPT0_PKfS3_PKT_PKiS8_iS3_.has_indirect_call, or(0, .L__assert_fail.has_indirect_call)
	.section	.AMDGPU.csdata,"",@progbits
; Kernel info:
; codeLenInByte = 64
; TotalNumSgprs: 36
; NumVgprs: 51
; ScratchSize: 64
; MemoryBound: 0
; FloatMode: 240
; IeeeMode: 1
; LDSByteSize: 0 bytes/workgroup (compile time only)
; SGPRBlocks: 0
; VGPRBlocks: 3
; NumSGPRsForWavesPerEU: 36
; NumVGPRsForWavesPerEU: 51
; NamedBarCnt: 0
; Occupancy: 16
; WaveLimiterHint : 1
; COMPUTE_PGM_RSRC2:SCRATCH_EN: 1
; COMPUTE_PGM_RSRC2:USER_SGPR: 2
; COMPUTE_PGM_RSRC2:TRAP_HANDLER: 0
; COMPUTE_PGM_RSRC2:TGID_X_EN: 1
; COMPUTE_PGM_RSRC2:TGID_Y_EN: 0
; COMPUTE_PGM_RSRC2:TGID_Z_EN: 0
; COMPUTE_PGM_RSRC2:TIDIG_COMP_CNT: 0
	.section	.text._Z35paged_attention_ll4mi_reduce_kernelIDF16_hLi64ELi64ELi256ELi14EEvPT0_PKfS3_PKT_PKiS8_iS3_,"axG",@progbits,_Z35paged_attention_ll4mi_reduce_kernelIDF16_hLi64ELi64ELi256ELi14EEvPT0_PKfS3_PKT_PKiS8_iS3_,comdat
	.protected	_Z35paged_attention_ll4mi_reduce_kernelIDF16_hLi64ELi64ELi256ELi14EEvPT0_PKfS3_PKT_PKiS8_iS3_ ; -- Begin function _Z35paged_attention_ll4mi_reduce_kernelIDF16_hLi64ELi64ELi256ELi14EEvPT0_PKfS3_PKT_PKiS8_iS3_
	.globl	_Z35paged_attention_ll4mi_reduce_kernelIDF16_hLi64ELi64ELi256ELi14EEvPT0_PKfS3_PKT_PKiS8_iS3_
	.p2align	8
	.type	_Z35paged_attention_ll4mi_reduce_kernelIDF16_hLi64ELi64ELi256ELi14EEvPT0_PKfS3_PKT_PKiS8_iS3_,@function
_Z35paged_attention_ll4mi_reduce_kernelIDF16_hLi64ELi64ELi256ELi14EEvPT0_PKfS3_PKT_PKiS8_iS3_: ; @_Z35paged_attention_ll4mi_reduce_kernelIDF16_hLi64ELi64ELi256ELi14EEvPT0_PKfS3_PKT_PKiS8_iS3_
; %bb.0:
	s_get_pc_i64 s[2:3]
	s_add_nc_u64 s[2:3], s[2:3], __PRETTY_FUNCTION__._Z35paged_attention_ll4mi_reduce_kernelIDF16_hLi64ELi64ELi256ELi14EEvPT0_PKfS3_PKT_PKiS8_iS3_@rel64+4
	s_delay_alu instid0(SALU_CYCLE_1)
	v_dual_mov_b32 v0, 0xbdd :: v_dual_mov_b32 v1, s2
	v_mov_b32_e32 v2, s3
	s_add_nc_u64 s[8:9], s[0:1], 64
	s_get_pc_i64 s[0:1]
	s_add_nc_u64 s[0:1], s[0:1], __assert_fail@rel64+4
	s_mov_b32 s32, 0
	s_swap_pc_i64 s[30:31], s[0:1]
	.section	.rodata,"a",@progbits
	.p2align	6, 0x0
	.amdhsa_kernel _Z35paged_attention_ll4mi_reduce_kernelIDF16_hLi64ELi64ELi256ELi14EEvPT0_PKfS3_PKT_PKiS8_iS3_
		.amdhsa_group_segment_fixed_size 0
		.amdhsa_private_segment_fixed_size 64
		.amdhsa_kernarg_size 320
		.amdhsa_user_sgpr_count 2
		.amdhsa_user_sgpr_dispatch_ptr 0
		.amdhsa_user_sgpr_queue_ptr 0
		.amdhsa_user_sgpr_kernarg_segment_ptr 1
		.amdhsa_user_sgpr_dispatch_id 0
		.amdhsa_user_sgpr_kernarg_preload_length 0
		.amdhsa_user_sgpr_kernarg_preload_offset 0
		.amdhsa_user_sgpr_private_segment_size 0
		.amdhsa_wavefront_size32 1
		.amdhsa_uses_dynamic_stack 0
		.amdhsa_enable_private_segment 1
		.amdhsa_system_sgpr_workgroup_id_x 1
		.amdhsa_system_sgpr_workgroup_id_y 0
		.amdhsa_system_sgpr_workgroup_id_z 0
		.amdhsa_system_sgpr_workgroup_info 0
		.amdhsa_system_vgpr_workitem_id 0
		.amdhsa_next_free_vgpr 51
		.amdhsa_next_free_sgpr 34
		.amdhsa_named_barrier_count 0
		.amdhsa_reserve_vcc 1
		.amdhsa_float_round_mode_32 0
		.amdhsa_float_round_mode_16_64 0
		.amdhsa_float_denorm_mode_32 3
		.amdhsa_float_denorm_mode_16_64 3
		.amdhsa_fp16_overflow 0
		.amdhsa_memory_ordered 1
		.amdhsa_forward_progress 1
		.amdhsa_inst_pref_size 1
		.amdhsa_round_robin_scheduling 0
		.amdhsa_exception_fp_ieee_invalid_op 0
		.amdhsa_exception_fp_denorm_src 0
		.amdhsa_exception_fp_ieee_div_zero 0
		.amdhsa_exception_fp_ieee_overflow 0
		.amdhsa_exception_fp_ieee_underflow 0
		.amdhsa_exception_fp_ieee_inexact 0
		.amdhsa_exception_int_div_zero 0
	.end_amdhsa_kernel
	.section	.text._Z35paged_attention_ll4mi_reduce_kernelIDF16_hLi64ELi64ELi256ELi14EEvPT0_PKfS3_PKT_PKiS8_iS3_,"axG",@progbits,_Z35paged_attention_ll4mi_reduce_kernelIDF16_hLi64ELi64ELi256ELi14EEvPT0_PKfS3_PKT_PKiS8_iS3_,comdat
.Lfunc_end35:
	.size	_Z35paged_attention_ll4mi_reduce_kernelIDF16_hLi64ELi64ELi256ELi14EEvPT0_PKfS3_PKT_PKiS8_iS3_, .Lfunc_end35-_Z35paged_attention_ll4mi_reduce_kernelIDF16_hLi64ELi64ELi256ELi14EEvPT0_PKfS3_PKT_PKiS8_iS3_
                                        ; -- End function
	.set _Z35paged_attention_ll4mi_reduce_kernelIDF16_hLi64ELi64ELi256ELi14EEvPT0_PKfS3_PKT_PKiS8_iS3_.num_vgpr, max(3, .L__assert_fail.num_vgpr)
	.set _Z35paged_attention_ll4mi_reduce_kernelIDF16_hLi64ELi64ELi256ELi14EEvPT0_PKfS3_PKT_PKiS8_iS3_.num_agpr, max(0, .L__assert_fail.num_agpr)
	.set _Z35paged_attention_ll4mi_reduce_kernelIDF16_hLi64ELi64ELi256ELi14EEvPT0_PKfS3_PKT_PKiS8_iS3_.numbered_sgpr, max(33, .L__assert_fail.numbered_sgpr)
	.set _Z35paged_attention_ll4mi_reduce_kernelIDF16_hLi64ELi64ELi256ELi14EEvPT0_PKfS3_PKT_PKiS8_iS3_.num_named_barrier, max(0, .L__assert_fail.num_named_barrier)
	.set _Z35paged_attention_ll4mi_reduce_kernelIDF16_hLi64ELi64ELi256ELi14EEvPT0_PKfS3_PKT_PKiS8_iS3_.private_seg_size, 0+max(.L__assert_fail.private_seg_size)
	.set _Z35paged_attention_ll4mi_reduce_kernelIDF16_hLi64ELi64ELi256ELi14EEvPT0_PKfS3_PKT_PKiS8_iS3_.uses_vcc, or(1, .L__assert_fail.uses_vcc)
	.set _Z35paged_attention_ll4mi_reduce_kernelIDF16_hLi64ELi64ELi256ELi14EEvPT0_PKfS3_PKT_PKiS8_iS3_.uses_flat_scratch, or(0, .L__assert_fail.uses_flat_scratch)
	.set _Z35paged_attention_ll4mi_reduce_kernelIDF16_hLi64ELi64ELi256ELi14EEvPT0_PKfS3_PKT_PKiS8_iS3_.has_dyn_sized_stack, or(0, .L__assert_fail.has_dyn_sized_stack)
	.set _Z35paged_attention_ll4mi_reduce_kernelIDF16_hLi64ELi64ELi256ELi14EEvPT0_PKfS3_PKT_PKiS8_iS3_.has_recursion, or(0, .L__assert_fail.has_recursion)
	.set _Z35paged_attention_ll4mi_reduce_kernelIDF16_hLi64ELi64ELi256ELi14EEvPT0_PKfS3_PKT_PKiS8_iS3_.has_indirect_call, or(0, .L__assert_fail.has_indirect_call)
	.section	.AMDGPU.csdata,"",@progbits
; Kernel info:
; codeLenInByte = 64
; TotalNumSgprs: 36
; NumVgprs: 51
; ScratchSize: 64
; MemoryBound: 0
; FloatMode: 240
; IeeeMode: 1
; LDSByteSize: 0 bytes/workgroup (compile time only)
; SGPRBlocks: 0
; VGPRBlocks: 3
; NumSGPRsForWavesPerEU: 36
; NumVGPRsForWavesPerEU: 51
; NamedBarCnt: 0
; Occupancy: 16
; WaveLimiterHint : 1
; COMPUTE_PGM_RSRC2:SCRATCH_EN: 1
; COMPUTE_PGM_RSRC2:USER_SGPR: 2
; COMPUTE_PGM_RSRC2:TRAP_HANDLER: 0
; COMPUTE_PGM_RSRC2:TGID_X_EN: 1
; COMPUTE_PGM_RSRC2:TGID_Y_EN: 0
; COMPUTE_PGM_RSRC2:TGID_Z_EN: 0
; COMPUTE_PGM_RSRC2:TIDIG_COMP_CNT: 0
	.section	.text._Z35paged_attention_ll4mi_reduce_kernelIDF16_hLi64ELi64ELi256ELi15EEvPT0_PKfS3_PKT_PKiS8_iS3_,"axG",@progbits,_Z35paged_attention_ll4mi_reduce_kernelIDF16_hLi64ELi64ELi256ELi15EEvPT0_PKfS3_PKT_PKiS8_iS3_,comdat
	.protected	_Z35paged_attention_ll4mi_reduce_kernelIDF16_hLi64ELi64ELi256ELi15EEvPT0_PKfS3_PKT_PKiS8_iS3_ ; -- Begin function _Z35paged_attention_ll4mi_reduce_kernelIDF16_hLi64ELi64ELi256ELi15EEvPT0_PKfS3_PKT_PKiS8_iS3_
	.globl	_Z35paged_attention_ll4mi_reduce_kernelIDF16_hLi64ELi64ELi256ELi15EEvPT0_PKfS3_PKT_PKiS8_iS3_
	.p2align	8
	.type	_Z35paged_attention_ll4mi_reduce_kernelIDF16_hLi64ELi64ELi256ELi15EEvPT0_PKfS3_PKT_PKiS8_iS3_,@function
_Z35paged_attention_ll4mi_reduce_kernelIDF16_hLi64ELi64ELi256ELi15EEvPT0_PKfS3_PKT_PKiS8_iS3_: ; @_Z35paged_attention_ll4mi_reduce_kernelIDF16_hLi64ELi64ELi256ELi15EEvPT0_PKfS3_PKT_PKiS8_iS3_
; %bb.0:
	s_get_pc_i64 s[2:3]
	s_add_nc_u64 s[2:3], s[2:3], __PRETTY_FUNCTION__._Z35paged_attention_ll4mi_reduce_kernelIDF16_hLi64ELi64ELi256ELi15EEvPT0_PKfS3_PKT_PKiS8_iS3_@rel64+4
	s_delay_alu instid0(SALU_CYCLE_1)
	v_dual_mov_b32 v0, 0xbdd :: v_dual_mov_b32 v1, s2
	v_mov_b32_e32 v2, s3
	s_add_nc_u64 s[8:9], s[0:1], 64
	s_get_pc_i64 s[0:1]
	s_add_nc_u64 s[0:1], s[0:1], __assert_fail@rel64+4
	s_mov_b32 s32, 0
	s_swap_pc_i64 s[30:31], s[0:1]
	.section	.rodata,"a",@progbits
	.p2align	6, 0x0
	.amdhsa_kernel _Z35paged_attention_ll4mi_reduce_kernelIDF16_hLi64ELi64ELi256ELi15EEvPT0_PKfS3_PKT_PKiS8_iS3_
		.amdhsa_group_segment_fixed_size 0
		.amdhsa_private_segment_fixed_size 64
		.amdhsa_kernarg_size 320
		.amdhsa_user_sgpr_count 2
		.amdhsa_user_sgpr_dispatch_ptr 0
		.amdhsa_user_sgpr_queue_ptr 0
		.amdhsa_user_sgpr_kernarg_segment_ptr 1
		.amdhsa_user_sgpr_dispatch_id 0
		.amdhsa_user_sgpr_kernarg_preload_length 0
		.amdhsa_user_sgpr_kernarg_preload_offset 0
		.amdhsa_user_sgpr_private_segment_size 0
		.amdhsa_wavefront_size32 1
		.amdhsa_uses_dynamic_stack 0
		.amdhsa_enable_private_segment 1
		.amdhsa_system_sgpr_workgroup_id_x 1
		.amdhsa_system_sgpr_workgroup_id_y 0
		.amdhsa_system_sgpr_workgroup_id_z 0
		.amdhsa_system_sgpr_workgroup_info 0
		.amdhsa_system_vgpr_workitem_id 0
		.amdhsa_next_free_vgpr 51
		.amdhsa_next_free_sgpr 34
		.amdhsa_named_barrier_count 0
		.amdhsa_reserve_vcc 1
		.amdhsa_float_round_mode_32 0
		.amdhsa_float_round_mode_16_64 0
		.amdhsa_float_denorm_mode_32 3
		.amdhsa_float_denorm_mode_16_64 3
		.amdhsa_fp16_overflow 0
		.amdhsa_memory_ordered 1
		.amdhsa_forward_progress 1
		.amdhsa_inst_pref_size 1
		.amdhsa_round_robin_scheduling 0
		.amdhsa_exception_fp_ieee_invalid_op 0
		.amdhsa_exception_fp_denorm_src 0
		.amdhsa_exception_fp_ieee_div_zero 0
		.amdhsa_exception_fp_ieee_overflow 0
		.amdhsa_exception_fp_ieee_underflow 0
		.amdhsa_exception_fp_ieee_inexact 0
		.amdhsa_exception_int_div_zero 0
	.end_amdhsa_kernel
	.section	.text._Z35paged_attention_ll4mi_reduce_kernelIDF16_hLi64ELi64ELi256ELi15EEvPT0_PKfS3_PKT_PKiS8_iS3_,"axG",@progbits,_Z35paged_attention_ll4mi_reduce_kernelIDF16_hLi64ELi64ELi256ELi15EEvPT0_PKfS3_PKT_PKiS8_iS3_,comdat
.Lfunc_end36:
	.size	_Z35paged_attention_ll4mi_reduce_kernelIDF16_hLi64ELi64ELi256ELi15EEvPT0_PKfS3_PKT_PKiS8_iS3_, .Lfunc_end36-_Z35paged_attention_ll4mi_reduce_kernelIDF16_hLi64ELi64ELi256ELi15EEvPT0_PKfS3_PKT_PKiS8_iS3_
                                        ; -- End function
	.set _Z35paged_attention_ll4mi_reduce_kernelIDF16_hLi64ELi64ELi256ELi15EEvPT0_PKfS3_PKT_PKiS8_iS3_.num_vgpr, max(3, .L__assert_fail.num_vgpr)
	.set _Z35paged_attention_ll4mi_reduce_kernelIDF16_hLi64ELi64ELi256ELi15EEvPT0_PKfS3_PKT_PKiS8_iS3_.num_agpr, max(0, .L__assert_fail.num_agpr)
	.set _Z35paged_attention_ll4mi_reduce_kernelIDF16_hLi64ELi64ELi256ELi15EEvPT0_PKfS3_PKT_PKiS8_iS3_.numbered_sgpr, max(33, .L__assert_fail.numbered_sgpr)
	.set _Z35paged_attention_ll4mi_reduce_kernelIDF16_hLi64ELi64ELi256ELi15EEvPT0_PKfS3_PKT_PKiS8_iS3_.num_named_barrier, max(0, .L__assert_fail.num_named_barrier)
	.set _Z35paged_attention_ll4mi_reduce_kernelIDF16_hLi64ELi64ELi256ELi15EEvPT0_PKfS3_PKT_PKiS8_iS3_.private_seg_size, 0+max(.L__assert_fail.private_seg_size)
	.set _Z35paged_attention_ll4mi_reduce_kernelIDF16_hLi64ELi64ELi256ELi15EEvPT0_PKfS3_PKT_PKiS8_iS3_.uses_vcc, or(1, .L__assert_fail.uses_vcc)
	.set _Z35paged_attention_ll4mi_reduce_kernelIDF16_hLi64ELi64ELi256ELi15EEvPT0_PKfS3_PKT_PKiS8_iS3_.uses_flat_scratch, or(0, .L__assert_fail.uses_flat_scratch)
	.set _Z35paged_attention_ll4mi_reduce_kernelIDF16_hLi64ELi64ELi256ELi15EEvPT0_PKfS3_PKT_PKiS8_iS3_.has_dyn_sized_stack, or(0, .L__assert_fail.has_dyn_sized_stack)
	.set _Z35paged_attention_ll4mi_reduce_kernelIDF16_hLi64ELi64ELi256ELi15EEvPT0_PKfS3_PKT_PKiS8_iS3_.has_recursion, or(0, .L__assert_fail.has_recursion)
	.set _Z35paged_attention_ll4mi_reduce_kernelIDF16_hLi64ELi64ELi256ELi15EEvPT0_PKfS3_PKT_PKiS8_iS3_.has_indirect_call, or(0, .L__assert_fail.has_indirect_call)
	.section	.AMDGPU.csdata,"",@progbits
; Kernel info:
; codeLenInByte = 64
; TotalNumSgprs: 36
; NumVgprs: 51
; ScratchSize: 64
; MemoryBound: 0
; FloatMode: 240
; IeeeMode: 1
; LDSByteSize: 0 bytes/workgroup (compile time only)
; SGPRBlocks: 0
; VGPRBlocks: 3
; NumSGPRsForWavesPerEU: 36
; NumVGPRsForWavesPerEU: 51
; NamedBarCnt: 0
; Occupancy: 16
; WaveLimiterHint : 1
; COMPUTE_PGM_RSRC2:SCRATCH_EN: 1
; COMPUTE_PGM_RSRC2:USER_SGPR: 2
; COMPUTE_PGM_RSRC2:TRAP_HANDLER: 0
; COMPUTE_PGM_RSRC2:TGID_X_EN: 1
; COMPUTE_PGM_RSRC2:TGID_Y_EN: 0
; COMPUTE_PGM_RSRC2:TGID_Z_EN: 0
; COMPUTE_PGM_RSRC2:TIDIG_COMP_CNT: 0
	.section	.text._Z35paged_attention_ll4mi_reduce_kernelIDF16_hLi64ELi64ELi256ELi16EEvPT0_PKfS3_PKT_PKiS8_iS3_,"axG",@progbits,_Z35paged_attention_ll4mi_reduce_kernelIDF16_hLi64ELi64ELi256ELi16EEvPT0_PKfS3_PKT_PKiS8_iS3_,comdat
	.protected	_Z35paged_attention_ll4mi_reduce_kernelIDF16_hLi64ELi64ELi256ELi16EEvPT0_PKfS3_PKT_PKiS8_iS3_ ; -- Begin function _Z35paged_attention_ll4mi_reduce_kernelIDF16_hLi64ELi64ELi256ELi16EEvPT0_PKfS3_PKT_PKiS8_iS3_
	.globl	_Z35paged_attention_ll4mi_reduce_kernelIDF16_hLi64ELi64ELi256ELi16EEvPT0_PKfS3_PKT_PKiS8_iS3_
	.p2align	8
	.type	_Z35paged_attention_ll4mi_reduce_kernelIDF16_hLi64ELi64ELi256ELi16EEvPT0_PKfS3_PKT_PKiS8_iS3_,@function
_Z35paged_attention_ll4mi_reduce_kernelIDF16_hLi64ELi64ELi256ELi16EEvPT0_PKfS3_PKT_PKiS8_iS3_: ; @_Z35paged_attention_ll4mi_reduce_kernelIDF16_hLi64ELi64ELi256ELi16EEvPT0_PKfS3_PKT_PKiS8_iS3_
; %bb.0:
	s_get_pc_i64 s[2:3]
	s_add_nc_u64 s[2:3], s[2:3], __PRETTY_FUNCTION__._Z35paged_attention_ll4mi_reduce_kernelIDF16_hLi64ELi64ELi256ELi16EEvPT0_PKfS3_PKT_PKiS8_iS3_@rel64+4
	s_delay_alu instid0(SALU_CYCLE_1)
	v_dual_mov_b32 v0, 0xbdd :: v_dual_mov_b32 v1, s2
	v_mov_b32_e32 v2, s3
	s_add_nc_u64 s[8:9], s[0:1], 64
	s_get_pc_i64 s[0:1]
	s_add_nc_u64 s[0:1], s[0:1], __assert_fail@rel64+4
	s_mov_b32 s32, 0
	s_swap_pc_i64 s[30:31], s[0:1]
	.section	.rodata,"a",@progbits
	.p2align	6, 0x0
	.amdhsa_kernel _Z35paged_attention_ll4mi_reduce_kernelIDF16_hLi64ELi64ELi256ELi16EEvPT0_PKfS3_PKT_PKiS8_iS3_
		.amdhsa_group_segment_fixed_size 0
		.amdhsa_private_segment_fixed_size 64
		.amdhsa_kernarg_size 320
		.amdhsa_user_sgpr_count 2
		.amdhsa_user_sgpr_dispatch_ptr 0
		.amdhsa_user_sgpr_queue_ptr 0
		.amdhsa_user_sgpr_kernarg_segment_ptr 1
		.amdhsa_user_sgpr_dispatch_id 0
		.amdhsa_user_sgpr_kernarg_preload_length 0
		.amdhsa_user_sgpr_kernarg_preload_offset 0
		.amdhsa_user_sgpr_private_segment_size 0
		.amdhsa_wavefront_size32 1
		.amdhsa_uses_dynamic_stack 0
		.amdhsa_enable_private_segment 1
		.amdhsa_system_sgpr_workgroup_id_x 1
		.amdhsa_system_sgpr_workgroup_id_y 0
		.amdhsa_system_sgpr_workgroup_id_z 0
		.amdhsa_system_sgpr_workgroup_info 0
		.amdhsa_system_vgpr_workitem_id 0
		.amdhsa_next_free_vgpr 51
		.amdhsa_next_free_sgpr 34
		.amdhsa_named_barrier_count 0
		.amdhsa_reserve_vcc 1
		.amdhsa_float_round_mode_32 0
		.amdhsa_float_round_mode_16_64 0
		.amdhsa_float_denorm_mode_32 3
		.amdhsa_float_denorm_mode_16_64 3
		.amdhsa_fp16_overflow 0
		.amdhsa_memory_ordered 1
		.amdhsa_forward_progress 1
		.amdhsa_inst_pref_size 1
		.amdhsa_round_robin_scheduling 0
		.amdhsa_exception_fp_ieee_invalid_op 0
		.amdhsa_exception_fp_denorm_src 0
		.amdhsa_exception_fp_ieee_div_zero 0
		.amdhsa_exception_fp_ieee_overflow 0
		.amdhsa_exception_fp_ieee_underflow 0
		.amdhsa_exception_fp_ieee_inexact 0
		.amdhsa_exception_int_div_zero 0
	.end_amdhsa_kernel
	.section	.text._Z35paged_attention_ll4mi_reduce_kernelIDF16_hLi64ELi64ELi256ELi16EEvPT0_PKfS3_PKT_PKiS8_iS3_,"axG",@progbits,_Z35paged_attention_ll4mi_reduce_kernelIDF16_hLi64ELi64ELi256ELi16EEvPT0_PKfS3_PKT_PKiS8_iS3_,comdat
.Lfunc_end37:
	.size	_Z35paged_attention_ll4mi_reduce_kernelIDF16_hLi64ELi64ELi256ELi16EEvPT0_PKfS3_PKT_PKiS8_iS3_, .Lfunc_end37-_Z35paged_attention_ll4mi_reduce_kernelIDF16_hLi64ELi64ELi256ELi16EEvPT0_PKfS3_PKT_PKiS8_iS3_
                                        ; -- End function
	.set _Z35paged_attention_ll4mi_reduce_kernelIDF16_hLi64ELi64ELi256ELi16EEvPT0_PKfS3_PKT_PKiS8_iS3_.num_vgpr, max(3, .L__assert_fail.num_vgpr)
	.set _Z35paged_attention_ll4mi_reduce_kernelIDF16_hLi64ELi64ELi256ELi16EEvPT0_PKfS3_PKT_PKiS8_iS3_.num_agpr, max(0, .L__assert_fail.num_agpr)
	.set _Z35paged_attention_ll4mi_reduce_kernelIDF16_hLi64ELi64ELi256ELi16EEvPT0_PKfS3_PKT_PKiS8_iS3_.numbered_sgpr, max(33, .L__assert_fail.numbered_sgpr)
	.set _Z35paged_attention_ll4mi_reduce_kernelIDF16_hLi64ELi64ELi256ELi16EEvPT0_PKfS3_PKT_PKiS8_iS3_.num_named_barrier, max(0, .L__assert_fail.num_named_barrier)
	.set _Z35paged_attention_ll4mi_reduce_kernelIDF16_hLi64ELi64ELi256ELi16EEvPT0_PKfS3_PKT_PKiS8_iS3_.private_seg_size, 0+max(.L__assert_fail.private_seg_size)
	.set _Z35paged_attention_ll4mi_reduce_kernelIDF16_hLi64ELi64ELi256ELi16EEvPT0_PKfS3_PKT_PKiS8_iS3_.uses_vcc, or(1, .L__assert_fail.uses_vcc)
	.set _Z35paged_attention_ll4mi_reduce_kernelIDF16_hLi64ELi64ELi256ELi16EEvPT0_PKfS3_PKT_PKiS8_iS3_.uses_flat_scratch, or(0, .L__assert_fail.uses_flat_scratch)
	.set _Z35paged_attention_ll4mi_reduce_kernelIDF16_hLi64ELi64ELi256ELi16EEvPT0_PKfS3_PKT_PKiS8_iS3_.has_dyn_sized_stack, or(0, .L__assert_fail.has_dyn_sized_stack)
	.set _Z35paged_attention_ll4mi_reduce_kernelIDF16_hLi64ELi64ELi256ELi16EEvPT0_PKfS3_PKT_PKiS8_iS3_.has_recursion, or(0, .L__assert_fail.has_recursion)
	.set _Z35paged_attention_ll4mi_reduce_kernelIDF16_hLi64ELi64ELi256ELi16EEvPT0_PKfS3_PKT_PKiS8_iS3_.has_indirect_call, or(0, .L__assert_fail.has_indirect_call)
	.section	.AMDGPU.csdata,"",@progbits
; Kernel info:
; codeLenInByte = 64
; TotalNumSgprs: 36
; NumVgprs: 51
; ScratchSize: 64
; MemoryBound: 0
; FloatMode: 240
; IeeeMode: 1
; LDSByteSize: 0 bytes/workgroup (compile time only)
; SGPRBlocks: 0
; VGPRBlocks: 3
; NumSGPRsForWavesPerEU: 36
; NumVGPRsForWavesPerEU: 51
; NamedBarCnt: 0
; Occupancy: 16
; WaveLimiterHint : 1
; COMPUTE_PGM_RSRC2:SCRATCH_EN: 1
; COMPUTE_PGM_RSRC2:USER_SGPR: 2
; COMPUTE_PGM_RSRC2:TRAP_HANDLER: 0
; COMPUTE_PGM_RSRC2:TGID_X_EN: 1
; COMPUTE_PGM_RSRC2:TGID_Y_EN: 0
; COMPUTE_PGM_RSRC2:TGID_Z_EN: 0
; COMPUTE_PGM_RSRC2:TIDIG_COMP_CNT: 0
	.section	.text._Z38paged_attention_ll4mi_QKV_mfma4_kernelIDF16_DF16_LN4vllm18Fp8KVCacheDataTypeE0EhLi16ELi64ELi256ELb0ELi1EEvPKT_PKT0_S7_ifPKiS9_S9_iPKfiiiPfSC_PS2_PT2_iSB_SB_,"axG",@progbits,_Z38paged_attention_ll4mi_QKV_mfma4_kernelIDF16_DF16_LN4vllm18Fp8KVCacheDataTypeE0EhLi16ELi64ELi256ELb0ELi1EEvPKT_PKT0_S7_ifPKiS9_S9_iPKfiiiPfSC_PS2_PT2_iSB_SB_,comdat
	.protected	_Z38paged_attention_ll4mi_QKV_mfma4_kernelIDF16_DF16_LN4vllm18Fp8KVCacheDataTypeE0EhLi16ELi64ELi256ELb0ELi1EEvPKT_PKT0_S7_ifPKiS9_S9_iPKfiiiPfSC_PS2_PT2_iSB_SB_ ; -- Begin function _Z38paged_attention_ll4mi_QKV_mfma4_kernelIDF16_DF16_LN4vllm18Fp8KVCacheDataTypeE0EhLi16ELi64ELi256ELb0ELi1EEvPKT_PKT0_S7_ifPKiS9_S9_iPKfiiiPfSC_PS2_PT2_iSB_SB_
	.globl	_Z38paged_attention_ll4mi_QKV_mfma4_kernelIDF16_DF16_LN4vllm18Fp8KVCacheDataTypeE0EhLi16ELi64ELi256ELb0ELi1EEvPKT_PKT0_S7_ifPKiS9_S9_iPKfiiiPfSC_PS2_PT2_iSB_SB_
	.p2align	8
	.type	_Z38paged_attention_ll4mi_QKV_mfma4_kernelIDF16_DF16_LN4vllm18Fp8KVCacheDataTypeE0EhLi16ELi64ELi256ELb0ELi1EEvPKT_PKT0_S7_ifPKiS9_S9_iPKfiiiPfSC_PS2_PT2_iSB_SB_,@function
_Z38paged_attention_ll4mi_QKV_mfma4_kernelIDF16_DF16_LN4vllm18Fp8KVCacheDataTypeE0EhLi16ELi64ELi256ELb0ELi1EEvPKT_PKT0_S7_ifPKiS9_S9_iPKfiiiPfSC_PS2_PT2_iSB_SB_: ; @_Z38paged_attention_ll4mi_QKV_mfma4_kernelIDF16_DF16_LN4vllm18Fp8KVCacheDataTypeE0EhLi16ELi64ELi256ELb0ELi1EEvPKT_PKT0_S7_ifPKiS9_S9_iPKfiiiPfSC_PS2_PT2_iSB_SB_
; %bb.0:
	s_get_pc_i64 s[2:3]
	s_add_nc_u64 s[2:3], s[2:3], __PRETTY_FUNCTION__._Z38paged_attention_ll4mi_QKV_mfma4_kernelIDF16_DF16_LN4vllm18Fp8KVCacheDataTypeE0EhLi16ELi64ELi256ELb0ELi1EEvPKT_PKT0_S7_ifPKiS9_S9_iPKfiiiPfSC_PS2_PT2_iSB_SB_@rel64+4
	s_delay_alu instid0(SALU_CYCLE_1)
	v_dual_mov_b32 v0, 0xbce :: v_dual_mov_b32 v1, s2
	v_mov_b32_e32 v2, s3
	s_add_nc_u64 s[8:9], s[0:1], 0x90
	s_get_pc_i64 s[0:1]
	s_add_nc_u64 s[0:1], s[0:1], __assert_fail@rel64+4
	s_mov_b32 s32, 0
	s_swap_pc_i64 s[30:31], s[0:1]
	.section	.rodata,"a",@progbits
	.p2align	6, 0x0
	.amdhsa_kernel _Z38paged_attention_ll4mi_QKV_mfma4_kernelIDF16_DF16_LN4vllm18Fp8KVCacheDataTypeE0EhLi16ELi64ELi256ELb0ELi1EEvPKT_PKT0_S7_ifPKiS9_S9_iPKfiiiPfSC_PS2_PT2_iSB_SB_
		.amdhsa_group_segment_fixed_size 0
		.amdhsa_private_segment_fixed_size 64
		.amdhsa_kernarg_size 400
		.amdhsa_user_sgpr_count 2
		.amdhsa_user_sgpr_dispatch_ptr 0
		.amdhsa_user_sgpr_queue_ptr 0
		.amdhsa_user_sgpr_kernarg_segment_ptr 1
		.amdhsa_user_sgpr_dispatch_id 0
		.amdhsa_user_sgpr_kernarg_preload_length 0
		.amdhsa_user_sgpr_kernarg_preload_offset 0
		.amdhsa_user_sgpr_private_segment_size 0
		.amdhsa_wavefront_size32 1
		.amdhsa_uses_dynamic_stack 0
		.amdhsa_enable_private_segment 1
		.amdhsa_system_sgpr_workgroup_id_x 1
		.amdhsa_system_sgpr_workgroup_id_y 0
		.amdhsa_system_sgpr_workgroup_id_z 0
		.amdhsa_system_sgpr_workgroup_info 0
		.amdhsa_system_vgpr_workitem_id 0
		.amdhsa_next_free_vgpr 51
		.amdhsa_next_free_sgpr 34
		.amdhsa_named_barrier_count 0
		.amdhsa_reserve_vcc 1
		.amdhsa_float_round_mode_32 0
		.amdhsa_float_round_mode_16_64 0
		.amdhsa_float_denorm_mode_32 3
		.amdhsa_float_denorm_mode_16_64 3
		.amdhsa_fp16_overflow 0
		.amdhsa_memory_ordered 1
		.amdhsa_forward_progress 1
		.amdhsa_inst_pref_size 1
		.amdhsa_round_robin_scheduling 0
		.amdhsa_exception_fp_ieee_invalid_op 0
		.amdhsa_exception_fp_denorm_src 0
		.amdhsa_exception_fp_ieee_div_zero 0
		.amdhsa_exception_fp_ieee_overflow 0
		.amdhsa_exception_fp_ieee_underflow 0
		.amdhsa_exception_fp_ieee_inexact 0
		.amdhsa_exception_int_div_zero 0
	.end_amdhsa_kernel
	.section	.text._Z38paged_attention_ll4mi_QKV_mfma4_kernelIDF16_DF16_LN4vllm18Fp8KVCacheDataTypeE0EhLi16ELi64ELi256ELb0ELi1EEvPKT_PKT0_S7_ifPKiS9_S9_iPKfiiiPfSC_PS2_PT2_iSB_SB_,"axG",@progbits,_Z38paged_attention_ll4mi_QKV_mfma4_kernelIDF16_DF16_LN4vllm18Fp8KVCacheDataTypeE0EhLi16ELi64ELi256ELb0ELi1EEvPKT_PKT0_S7_ifPKiS9_S9_iPKfiiiPfSC_PS2_PT2_iSB_SB_,comdat
.Lfunc_end38:
	.size	_Z38paged_attention_ll4mi_QKV_mfma4_kernelIDF16_DF16_LN4vllm18Fp8KVCacheDataTypeE0EhLi16ELi64ELi256ELb0ELi1EEvPKT_PKT0_S7_ifPKiS9_S9_iPKfiiiPfSC_PS2_PT2_iSB_SB_, .Lfunc_end38-_Z38paged_attention_ll4mi_QKV_mfma4_kernelIDF16_DF16_LN4vllm18Fp8KVCacheDataTypeE0EhLi16ELi64ELi256ELb0ELi1EEvPKT_PKT0_S7_ifPKiS9_S9_iPKfiiiPfSC_PS2_PT2_iSB_SB_
                                        ; -- End function
	.set _Z38paged_attention_ll4mi_QKV_mfma4_kernelIDF16_DF16_LN4vllm18Fp8KVCacheDataTypeE0EhLi16ELi64ELi256ELb0ELi1EEvPKT_PKT0_S7_ifPKiS9_S9_iPKfiiiPfSC_PS2_PT2_iSB_SB_.num_vgpr, max(3, .L__assert_fail.num_vgpr)
	.set _Z38paged_attention_ll4mi_QKV_mfma4_kernelIDF16_DF16_LN4vllm18Fp8KVCacheDataTypeE0EhLi16ELi64ELi256ELb0ELi1EEvPKT_PKT0_S7_ifPKiS9_S9_iPKfiiiPfSC_PS2_PT2_iSB_SB_.num_agpr, max(0, .L__assert_fail.num_agpr)
	.set _Z38paged_attention_ll4mi_QKV_mfma4_kernelIDF16_DF16_LN4vllm18Fp8KVCacheDataTypeE0EhLi16ELi64ELi256ELb0ELi1EEvPKT_PKT0_S7_ifPKiS9_S9_iPKfiiiPfSC_PS2_PT2_iSB_SB_.numbered_sgpr, max(33, .L__assert_fail.numbered_sgpr)
	.set _Z38paged_attention_ll4mi_QKV_mfma4_kernelIDF16_DF16_LN4vllm18Fp8KVCacheDataTypeE0EhLi16ELi64ELi256ELb0ELi1EEvPKT_PKT0_S7_ifPKiS9_S9_iPKfiiiPfSC_PS2_PT2_iSB_SB_.num_named_barrier, max(0, .L__assert_fail.num_named_barrier)
	.set _Z38paged_attention_ll4mi_QKV_mfma4_kernelIDF16_DF16_LN4vllm18Fp8KVCacheDataTypeE0EhLi16ELi64ELi256ELb0ELi1EEvPKT_PKT0_S7_ifPKiS9_S9_iPKfiiiPfSC_PS2_PT2_iSB_SB_.private_seg_size, 0+max(.L__assert_fail.private_seg_size)
	.set _Z38paged_attention_ll4mi_QKV_mfma4_kernelIDF16_DF16_LN4vllm18Fp8KVCacheDataTypeE0EhLi16ELi64ELi256ELb0ELi1EEvPKT_PKT0_S7_ifPKiS9_S9_iPKfiiiPfSC_PS2_PT2_iSB_SB_.uses_vcc, or(1, .L__assert_fail.uses_vcc)
	.set _Z38paged_attention_ll4mi_QKV_mfma4_kernelIDF16_DF16_LN4vllm18Fp8KVCacheDataTypeE0EhLi16ELi64ELi256ELb0ELi1EEvPKT_PKT0_S7_ifPKiS9_S9_iPKfiiiPfSC_PS2_PT2_iSB_SB_.uses_flat_scratch, or(0, .L__assert_fail.uses_flat_scratch)
	.set _Z38paged_attention_ll4mi_QKV_mfma4_kernelIDF16_DF16_LN4vllm18Fp8KVCacheDataTypeE0EhLi16ELi64ELi256ELb0ELi1EEvPKT_PKT0_S7_ifPKiS9_S9_iPKfiiiPfSC_PS2_PT2_iSB_SB_.has_dyn_sized_stack, or(0, .L__assert_fail.has_dyn_sized_stack)
	.set _Z38paged_attention_ll4mi_QKV_mfma4_kernelIDF16_DF16_LN4vllm18Fp8KVCacheDataTypeE0EhLi16ELi64ELi256ELb0ELi1EEvPKT_PKT0_S7_ifPKiS9_S9_iPKfiiiPfSC_PS2_PT2_iSB_SB_.has_recursion, or(0, .L__assert_fail.has_recursion)
	.set _Z38paged_attention_ll4mi_QKV_mfma4_kernelIDF16_DF16_LN4vllm18Fp8KVCacheDataTypeE0EhLi16ELi64ELi256ELb0ELi1EEvPKT_PKT0_S7_ifPKiS9_S9_iPKfiiiPfSC_PS2_PT2_iSB_SB_.has_indirect_call, or(0, .L__assert_fail.has_indirect_call)
	.section	.AMDGPU.csdata,"",@progbits
; Kernel info:
; codeLenInByte = 68
; TotalNumSgprs: 36
; NumVgprs: 51
; ScratchSize: 64
; MemoryBound: 0
; FloatMode: 240
; IeeeMode: 1
; LDSByteSize: 0 bytes/workgroup (compile time only)
; SGPRBlocks: 0
; VGPRBlocks: 3
; NumSGPRsForWavesPerEU: 36
; NumVGPRsForWavesPerEU: 51
; NamedBarCnt: 0
; Occupancy: 16
; WaveLimiterHint : 1
; COMPUTE_PGM_RSRC2:SCRATCH_EN: 1
; COMPUTE_PGM_RSRC2:USER_SGPR: 2
; COMPUTE_PGM_RSRC2:TRAP_HANDLER: 0
; COMPUTE_PGM_RSRC2:TGID_X_EN: 1
; COMPUTE_PGM_RSRC2:TGID_Y_EN: 0
; COMPUTE_PGM_RSRC2:TGID_Z_EN: 0
; COMPUTE_PGM_RSRC2:TIDIG_COMP_CNT: 0
	.section	.text._Z38paged_attention_ll4mi_QKV_mfma4_kernelIDF16_DF16_LN4vllm18Fp8KVCacheDataTypeE0EhLi16ELi64ELi256ELb0ELi2EEvPKT_PKT0_S7_ifPKiS9_S9_iPKfiiiPfSC_PS2_PT2_iSB_SB_,"axG",@progbits,_Z38paged_attention_ll4mi_QKV_mfma4_kernelIDF16_DF16_LN4vllm18Fp8KVCacheDataTypeE0EhLi16ELi64ELi256ELb0ELi2EEvPKT_PKT0_S7_ifPKiS9_S9_iPKfiiiPfSC_PS2_PT2_iSB_SB_,comdat
	.protected	_Z38paged_attention_ll4mi_QKV_mfma4_kernelIDF16_DF16_LN4vllm18Fp8KVCacheDataTypeE0EhLi16ELi64ELi256ELb0ELi2EEvPKT_PKT0_S7_ifPKiS9_S9_iPKfiiiPfSC_PS2_PT2_iSB_SB_ ; -- Begin function _Z38paged_attention_ll4mi_QKV_mfma4_kernelIDF16_DF16_LN4vllm18Fp8KVCacheDataTypeE0EhLi16ELi64ELi256ELb0ELi2EEvPKT_PKT0_S7_ifPKiS9_S9_iPKfiiiPfSC_PS2_PT2_iSB_SB_
	.globl	_Z38paged_attention_ll4mi_QKV_mfma4_kernelIDF16_DF16_LN4vllm18Fp8KVCacheDataTypeE0EhLi16ELi64ELi256ELb0ELi2EEvPKT_PKT0_S7_ifPKiS9_S9_iPKfiiiPfSC_PS2_PT2_iSB_SB_
	.p2align	8
	.type	_Z38paged_attention_ll4mi_QKV_mfma4_kernelIDF16_DF16_LN4vllm18Fp8KVCacheDataTypeE0EhLi16ELi64ELi256ELb0ELi2EEvPKT_PKT0_S7_ifPKiS9_S9_iPKfiiiPfSC_PS2_PT2_iSB_SB_,@function
_Z38paged_attention_ll4mi_QKV_mfma4_kernelIDF16_DF16_LN4vllm18Fp8KVCacheDataTypeE0EhLi16ELi64ELi256ELb0ELi2EEvPKT_PKT0_S7_ifPKiS9_S9_iPKfiiiPfSC_PS2_PT2_iSB_SB_: ; @_Z38paged_attention_ll4mi_QKV_mfma4_kernelIDF16_DF16_LN4vllm18Fp8KVCacheDataTypeE0EhLi16ELi64ELi256ELb0ELi2EEvPKT_PKT0_S7_ifPKiS9_S9_iPKfiiiPfSC_PS2_PT2_iSB_SB_
; %bb.0:
	s_get_pc_i64 s[2:3]
	s_add_nc_u64 s[2:3], s[2:3], __PRETTY_FUNCTION__._Z38paged_attention_ll4mi_QKV_mfma4_kernelIDF16_DF16_LN4vllm18Fp8KVCacheDataTypeE0EhLi16ELi64ELi256ELb0ELi2EEvPKT_PKT0_S7_ifPKiS9_S9_iPKfiiiPfSC_PS2_PT2_iSB_SB_@rel64+4
	s_delay_alu instid0(SALU_CYCLE_1)
	v_dual_mov_b32 v0, 0xbce :: v_dual_mov_b32 v1, s2
	v_mov_b32_e32 v2, s3
	s_add_nc_u64 s[8:9], s[0:1], 0x90
	s_get_pc_i64 s[0:1]
	s_add_nc_u64 s[0:1], s[0:1], __assert_fail@rel64+4
	s_mov_b32 s32, 0
	s_swap_pc_i64 s[30:31], s[0:1]
	.section	.rodata,"a",@progbits
	.p2align	6, 0x0
	.amdhsa_kernel _Z38paged_attention_ll4mi_QKV_mfma4_kernelIDF16_DF16_LN4vllm18Fp8KVCacheDataTypeE0EhLi16ELi64ELi256ELb0ELi2EEvPKT_PKT0_S7_ifPKiS9_S9_iPKfiiiPfSC_PS2_PT2_iSB_SB_
		.amdhsa_group_segment_fixed_size 0
		.amdhsa_private_segment_fixed_size 64
		.amdhsa_kernarg_size 400
		.amdhsa_user_sgpr_count 2
		.amdhsa_user_sgpr_dispatch_ptr 0
		.amdhsa_user_sgpr_queue_ptr 0
		.amdhsa_user_sgpr_kernarg_segment_ptr 1
		.amdhsa_user_sgpr_dispatch_id 0
		.amdhsa_user_sgpr_kernarg_preload_length 0
		.amdhsa_user_sgpr_kernarg_preload_offset 0
		.amdhsa_user_sgpr_private_segment_size 0
		.amdhsa_wavefront_size32 1
		.amdhsa_uses_dynamic_stack 0
		.amdhsa_enable_private_segment 1
		.amdhsa_system_sgpr_workgroup_id_x 1
		.amdhsa_system_sgpr_workgroup_id_y 0
		.amdhsa_system_sgpr_workgroup_id_z 0
		.amdhsa_system_sgpr_workgroup_info 0
		.amdhsa_system_vgpr_workitem_id 0
		.amdhsa_next_free_vgpr 51
		.amdhsa_next_free_sgpr 34
		.amdhsa_named_barrier_count 0
		.amdhsa_reserve_vcc 1
		.amdhsa_float_round_mode_32 0
		.amdhsa_float_round_mode_16_64 0
		.amdhsa_float_denorm_mode_32 3
		.amdhsa_float_denorm_mode_16_64 3
		.amdhsa_fp16_overflow 0
		.amdhsa_memory_ordered 1
		.amdhsa_forward_progress 1
		.amdhsa_inst_pref_size 1
		.amdhsa_round_robin_scheduling 0
		.amdhsa_exception_fp_ieee_invalid_op 0
		.amdhsa_exception_fp_denorm_src 0
		.amdhsa_exception_fp_ieee_div_zero 0
		.amdhsa_exception_fp_ieee_overflow 0
		.amdhsa_exception_fp_ieee_underflow 0
		.amdhsa_exception_fp_ieee_inexact 0
		.amdhsa_exception_int_div_zero 0
	.end_amdhsa_kernel
	.section	.text._Z38paged_attention_ll4mi_QKV_mfma4_kernelIDF16_DF16_LN4vllm18Fp8KVCacheDataTypeE0EhLi16ELi64ELi256ELb0ELi2EEvPKT_PKT0_S7_ifPKiS9_S9_iPKfiiiPfSC_PS2_PT2_iSB_SB_,"axG",@progbits,_Z38paged_attention_ll4mi_QKV_mfma4_kernelIDF16_DF16_LN4vllm18Fp8KVCacheDataTypeE0EhLi16ELi64ELi256ELb0ELi2EEvPKT_PKT0_S7_ifPKiS9_S9_iPKfiiiPfSC_PS2_PT2_iSB_SB_,comdat
.Lfunc_end39:
	.size	_Z38paged_attention_ll4mi_QKV_mfma4_kernelIDF16_DF16_LN4vllm18Fp8KVCacheDataTypeE0EhLi16ELi64ELi256ELb0ELi2EEvPKT_PKT0_S7_ifPKiS9_S9_iPKfiiiPfSC_PS2_PT2_iSB_SB_, .Lfunc_end39-_Z38paged_attention_ll4mi_QKV_mfma4_kernelIDF16_DF16_LN4vllm18Fp8KVCacheDataTypeE0EhLi16ELi64ELi256ELb0ELi2EEvPKT_PKT0_S7_ifPKiS9_S9_iPKfiiiPfSC_PS2_PT2_iSB_SB_
                                        ; -- End function
	.set _Z38paged_attention_ll4mi_QKV_mfma4_kernelIDF16_DF16_LN4vllm18Fp8KVCacheDataTypeE0EhLi16ELi64ELi256ELb0ELi2EEvPKT_PKT0_S7_ifPKiS9_S9_iPKfiiiPfSC_PS2_PT2_iSB_SB_.num_vgpr, max(3, .L__assert_fail.num_vgpr)
	.set _Z38paged_attention_ll4mi_QKV_mfma4_kernelIDF16_DF16_LN4vllm18Fp8KVCacheDataTypeE0EhLi16ELi64ELi256ELb0ELi2EEvPKT_PKT0_S7_ifPKiS9_S9_iPKfiiiPfSC_PS2_PT2_iSB_SB_.num_agpr, max(0, .L__assert_fail.num_agpr)
	.set _Z38paged_attention_ll4mi_QKV_mfma4_kernelIDF16_DF16_LN4vllm18Fp8KVCacheDataTypeE0EhLi16ELi64ELi256ELb0ELi2EEvPKT_PKT0_S7_ifPKiS9_S9_iPKfiiiPfSC_PS2_PT2_iSB_SB_.numbered_sgpr, max(33, .L__assert_fail.numbered_sgpr)
	.set _Z38paged_attention_ll4mi_QKV_mfma4_kernelIDF16_DF16_LN4vllm18Fp8KVCacheDataTypeE0EhLi16ELi64ELi256ELb0ELi2EEvPKT_PKT0_S7_ifPKiS9_S9_iPKfiiiPfSC_PS2_PT2_iSB_SB_.num_named_barrier, max(0, .L__assert_fail.num_named_barrier)
	.set _Z38paged_attention_ll4mi_QKV_mfma4_kernelIDF16_DF16_LN4vllm18Fp8KVCacheDataTypeE0EhLi16ELi64ELi256ELb0ELi2EEvPKT_PKT0_S7_ifPKiS9_S9_iPKfiiiPfSC_PS2_PT2_iSB_SB_.private_seg_size, 0+max(.L__assert_fail.private_seg_size)
	.set _Z38paged_attention_ll4mi_QKV_mfma4_kernelIDF16_DF16_LN4vllm18Fp8KVCacheDataTypeE0EhLi16ELi64ELi256ELb0ELi2EEvPKT_PKT0_S7_ifPKiS9_S9_iPKfiiiPfSC_PS2_PT2_iSB_SB_.uses_vcc, or(1, .L__assert_fail.uses_vcc)
	.set _Z38paged_attention_ll4mi_QKV_mfma4_kernelIDF16_DF16_LN4vllm18Fp8KVCacheDataTypeE0EhLi16ELi64ELi256ELb0ELi2EEvPKT_PKT0_S7_ifPKiS9_S9_iPKfiiiPfSC_PS2_PT2_iSB_SB_.uses_flat_scratch, or(0, .L__assert_fail.uses_flat_scratch)
	.set _Z38paged_attention_ll4mi_QKV_mfma4_kernelIDF16_DF16_LN4vllm18Fp8KVCacheDataTypeE0EhLi16ELi64ELi256ELb0ELi2EEvPKT_PKT0_S7_ifPKiS9_S9_iPKfiiiPfSC_PS2_PT2_iSB_SB_.has_dyn_sized_stack, or(0, .L__assert_fail.has_dyn_sized_stack)
	.set _Z38paged_attention_ll4mi_QKV_mfma4_kernelIDF16_DF16_LN4vllm18Fp8KVCacheDataTypeE0EhLi16ELi64ELi256ELb0ELi2EEvPKT_PKT0_S7_ifPKiS9_S9_iPKfiiiPfSC_PS2_PT2_iSB_SB_.has_recursion, or(0, .L__assert_fail.has_recursion)
	.set _Z38paged_attention_ll4mi_QKV_mfma4_kernelIDF16_DF16_LN4vllm18Fp8KVCacheDataTypeE0EhLi16ELi64ELi256ELb0ELi2EEvPKT_PKT0_S7_ifPKiS9_S9_iPKfiiiPfSC_PS2_PT2_iSB_SB_.has_indirect_call, or(0, .L__assert_fail.has_indirect_call)
	.section	.AMDGPU.csdata,"",@progbits
; Kernel info:
; codeLenInByte = 68
; TotalNumSgprs: 36
; NumVgprs: 51
; ScratchSize: 64
; MemoryBound: 0
; FloatMode: 240
; IeeeMode: 1
; LDSByteSize: 0 bytes/workgroup (compile time only)
; SGPRBlocks: 0
; VGPRBlocks: 3
; NumSGPRsForWavesPerEU: 36
; NumVGPRsForWavesPerEU: 51
; NamedBarCnt: 0
; Occupancy: 16
; WaveLimiterHint : 1
; COMPUTE_PGM_RSRC2:SCRATCH_EN: 1
; COMPUTE_PGM_RSRC2:USER_SGPR: 2
; COMPUTE_PGM_RSRC2:TRAP_HANDLER: 0
; COMPUTE_PGM_RSRC2:TGID_X_EN: 1
; COMPUTE_PGM_RSRC2:TGID_Y_EN: 0
; COMPUTE_PGM_RSRC2:TGID_Z_EN: 0
; COMPUTE_PGM_RSRC2:TIDIG_COMP_CNT: 0
	.section	.text._Z38paged_attention_ll4mi_QKV_mfma4_kernelIDF16_DF16_LN4vllm18Fp8KVCacheDataTypeE0EhLi16ELi64ELi256ELb0ELi3EEvPKT_PKT0_S7_ifPKiS9_S9_iPKfiiiPfSC_PS2_PT2_iSB_SB_,"axG",@progbits,_Z38paged_attention_ll4mi_QKV_mfma4_kernelIDF16_DF16_LN4vllm18Fp8KVCacheDataTypeE0EhLi16ELi64ELi256ELb0ELi3EEvPKT_PKT0_S7_ifPKiS9_S9_iPKfiiiPfSC_PS2_PT2_iSB_SB_,comdat
	.protected	_Z38paged_attention_ll4mi_QKV_mfma4_kernelIDF16_DF16_LN4vllm18Fp8KVCacheDataTypeE0EhLi16ELi64ELi256ELb0ELi3EEvPKT_PKT0_S7_ifPKiS9_S9_iPKfiiiPfSC_PS2_PT2_iSB_SB_ ; -- Begin function _Z38paged_attention_ll4mi_QKV_mfma4_kernelIDF16_DF16_LN4vllm18Fp8KVCacheDataTypeE0EhLi16ELi64ELi256ELb0ELi3EEvPKT_PKT0_S7_ifPKiS9_S9_iPKfiiiPfSC_PS2_PT2_iSB_SB_
	.globl	_Z38paged_attention_ll4mi_QKV_mfma4_kernelIDF16_DF16_LN4vllm18Fp8KVCacheDataTypeE0EhLi16ELi64ELi256ELb0ELi3EEvPKT_PKT0_S7_ifPKiS9_S9_iPKfiiiPfSC_PS2_PT2_iSB_SB_
	.p2align	8
	.type	_Z38paged_attention_ll4mi_QKV_mfma4_kernelIDF16_DF16_LN4vllm18Fp8KVCacheDataTypeE0EhLi16ELi64ELi256ELb0ELi3EEvPKT_PKT0_S7_ifPKiS9_S9_iPKfiiiPfSC_PS2_PT2_iSB_SB_,@function
_Z38paged_attention_ll4mi_QKV_mfma4_kernelIDF16_DF16_LN4vllm18Fp8KVCacheDataTypeE0EhLi16ELi64ELi256ELb0ELi3EEvPKT_PKT0_S7_ifPKiS9_S9_iPKfiiiPfSC_PS2_PT2_iSB_SB_: ; @_Z38paged_attention_ll4mi_QKV_mfma4_kernelIDF16_DF16_LN4vllm18Fp8KVCacheDataTypeE0EhLi16ELi64ELi256ELb0ELi3EEvPKT_PKT0_S7_ifPKiS9_S9_iPKfiiiPfSC_PS2_PT2_iSB_SB_
; %bb.0:
	s_get_pc_i64 s[2:3]
	s_add_nc_u64 s[2:3], s[2:3], __PRETTY_FUNCTION__._Z38paged_attention_ll4mi_QKV_mfma4_kernelIDF16_DF16_LN4vllm18Fp8KVCacheDataTypeE0EhLi16ELi64ELi256ELb0ELi3EEvPKT_PKT0_S7_ifPKiS9_S9_iPKfiiiPfSC_PS2_PT2_iSB_SB_@rel64+4
	s_delay_alu instid0(SALU_CYCLE_1)
	v_dual_mov_b32 v0, 0xbce :: v_dual_mov_b32 v1, s2
	v_mov_b32_e32 v2, s3
	s_add_nc_u64 s[8:9], s[0:1], 0x90
	s_get_pc_i64 s[0:1]
	s_add_nc_u64 s[0:1], s[0:1], __assert_fail@rel64+4
	s_mov_b32 s32, 0
	s_swap_pc_i64 s[30:31], s[0:1]
	.section	.rodata,"a",@progbits
	.p2align	6, 0x0
	.amdhsa_kernel _Z38paged_attention_ll4mi_QKV_mfma4_kernelIDF16_DF16_LN4vllm18Fp8KVCacheDataTypeE0EhLi16ELi64ELi256ELb0ELi3EEvPKT_PKT0_S7_ifPKiS9_S9_iPKfiiiPfSC_PS2_PT2_iSB_SB_
		.amdhsa_group_segment_fixed_size 0
		.amdhsa_private_segment_fixed_size 64
		.amdhsa_kernarg_size 400
		.amdhsa_user_sgpr_count 2
		.amdhsa_user_sgpr_dispatch_ptr 0
		.amdhsa_user_sgpr_queue_ptr 0
		.amdhsa_user_sgpr_kernarg_segment_ptr 1
		.amdhsa_user_sgpr_dispatch_id 0
		.amdhsa_user_sgpr_kernarg_preload_length 0
		.amdhsa_user_sgpr_kernarg_preload_offset 0
		.amdhsa_user_sgpr_private_segment_size 0
		.amdhsa_wavefront_size32 1
		.amdhsa_uses_dynamic_stack 0
		.amdhsa_enable_private_segment 1
		.amdhsa_system_sgpr_workgroup_id_x 1
		.amdhsa_system_sgpr_workgroup_id_y 0
		.amdhsa_system_sgpr_workgroup_id_z 0
		.amdhsa_system_sgpr_workgroup_info 0
		.amdhsa_system_vgpr_workitem_id 0
		.amdhsa_next_free_vgpr 51
		.amdhsa_next_free_sgpr 34
		.amdhsa_named_barrier_count 0
		.amdhsa_reserve_vcc 1
		.amdhsa_float_round_mode_32 0
		.amdhsa_float_round_mode_16_64 0
		.amdhsa_float_denorm_mode_32 3
		.amdhsa_float_denorm_mode_16_64 3
		.amdhsa_fp16_overflow 0
		.amdhsa_memory_ordered 1
		.amdhsa_forward_progress 1
		.amdhsa_inst_pref_size 1
		.amdhsa_round_robin_scheduling 0
		.amdhsa_exception_fp_ieee_invalid_op 0
		.amdhsa_exception_fp_denorm_src 0
		.amdhsa_exception_fp_ieee_div_zero 0
		.amdhsa_exception_fp_ieee_overflow 0
		.amdhsa_exception_fp_ieee_underflow 0
		.amdhsa_exception_fp_ieee_inexact 0
		.amdhsa_exception_int_div_zero 0
	.end_amdhsa_kernel
	.section	.text._Z38paged_attention_ll4mi_QKV_mfma4_kernelIDF16_DF16_LN4vllm18Fp8KVCacheDataTypeE0EhLi16ELi64ELi256ELb0ELi3EEvPKT_PKT0_S7_ifPKiS9_S9_iPKfiiiPfSC_PS2_PT2_iSB_SB_,"axG",@progbits,_Z38paged_attention_ll4mi_QKV_mfma4_kernelIDF16_DF16_LN4vllm18Fp8KVCacheDataTypeE0EhLi16ELi64ELi256ELb0ELi3EEvPKT_PKT0_S7_ifPKiS9_S9_iPKfiiiPfSC_PS2_PT2_iSB_SB_,comdat
.Lfunc_end40:
	.size	_Z38paged_attention_ll4mi_QKV_mfma4_kernelIDF16_DF16_LN4vllm18Fp8KVCacheDataTypeE0EhLi16ELi64ELi256ELb0ELi3EEvPKT_PKT0_S7_ifPKiS9_S9_iPKfiiiPfSC_PS2_PT2_iSB_SB_, .Lfunc_end40-_Z38paged_attention_ll4mi_QKV_mfma4_kernelIDF16_DF16_LN4vllm18Fp8KVCacheDataTypeE0EhLi16ELi64ELi256ELb0ELi3EEvPKT_PKT0_S7_ifPKiS9_S9_iPKfiiiPfSC_PS2_PT2_iSB_SB_
                                        ; -- End function
	.set _Z38paged_attention_ll4mi_QKV_mfma4_kernelIDF16_DF16_LN4vllm18Fp8KVCacheDataTypeE0EhLi16ELi64ELi256ELb0ELi3EEvPKT_PKT0_S7_ifPKiS9_S9_iPKfiiiPfSC_PS2_PT2_iSB_SB_.num_vgpr, max(3, .L__assert_fail.num_vgpr)
	.set _Z38paged_attention_ll4mi_QKV_mfma4_kernelIDF16_DF16_LN4vllm18Fp8KVCacheDataTypeE0EhLi16ELi64ELi256ELb0ELi3EEvPKT_PKT0_S7_ifPKiS9_S9_iPKfiiiPfSC_PS2_PT2_iSB_SB_.num_agpr, max(0, .L__assert_fail.num_agpr)
	.set _Z38paged_attention_ll4mi_QKV_mfma4_kernelIDF16_DF16_LN4vllm18Fp8KVCacheDataTypeE0EhLi16ELi64ELi256ELb0ELi3EEvPKT_PKT0_S7_ifPKiS9_S9_iPKfiiiPfSC_PS2_PT2_iSB_SB_.numbered_sgpr, max(33, .L__assert_fail.numbered_sgpr)
	.set _Z38paged_attention_ll4mi_QKV_mfma4_kernelIDF16_DF16_LN4vllm18Fp8KVCacheDataTypeE0EhLi16ELi64ELi256ELb0ELi3EEvPKT_PKT0_S7_ifPKiS9_S9_iPKfiiiPfSC_PS2_PT2_iSB_SB_.num_named_barrier, max(0, .L__assert_fail.num_named_barrier)
	.set _Z38paged_attention_ll4mi_QKV_mfma4_kernelIDF16_DF16_LN4vllm18Fp8KVCacheDataTypeE0EhLi16ELi64ELi256ELb0ELi3EEvPKT_PKT0_S7_ifPKiS9_S9_iPKfiiiPfSC_PS2_PT2_iSB_SB_.private_seg_size, 0+max(.L__assert_fail.private_seg_size)
	.set _Z38paged_attention_ll4mi_QKV_mfma4_kernelIDF16_DF16_LN4vllm18Fp8KVCacheDataTypeE0EhLi16ELi64ELi256ELb0ELi3EEvPKT_PKT0_S7_ifPKiS9_S9_iPKfiiiPfSC_PS2_PT2_iSB_SB_.uses_vcc, or(1, .L__assert_fail.uses_vcc)
	.set _Z38paged_attention_ll4mi_QKV_mfma4_kernelIDF16_DF16_LN4vllm18Fp8KVCacheDataTypeE0EhLi16ELi64ELi256ELb0ELi3EEvPKT_PKT0_S7_ifPKiS9_S9_iPKfiiiPfSC_PS2_PT2_iSB_SB_.uses_flat_scratch, or(0, .L__assert_fail.uses_flat_scratch)
	.set _Z38paged_attention_ll4mi_QKV_mfma4_kernelIDF16_DF16_LN4vllm18Fp8KVCacheDataTypeE0EhLi16ELi64ELi256ELb0ELi3EEvPKT_PKT0_S7_ifPKiS9_S9_iPKfiiiPfSC_PS2_PT2_iSB_SB_.has_dyn_sized_stack, or(0, .L__assert_fail.has_dyn_sized_stack)
	.set _Z38paged_attention_ll4mi_QKV_mfma4_kernelIDF16_DF16_LN4vllm18Fp8KVCacheDataTypeE0EhLi16ELi64ELi256ELb0ELi3EEvPKT_PKT0_S7_ifPKiS9_S9_iPKfiiiPfSC_PS2_PT2_iSB_SB_.has_recursion, or(0, .L__assert_fail.has_recursion)
	.set _Z38paged_attention_ll4mi_QKV_mfma4_kernelIDF16_DF16_LN4vllm18Fp8KVCacheDataTypeE0EhLi16ELi64ELi256ELb0ELi3EEvPKT_PKT0_S7_ifPKiS9_S9_iPKfiiiPfSC_PS2_PT2_iSB_SB_.has_indirect_call, or(0, .L__assert_fail.has_indirect_call)
	.section	.AMDGPU.csdata,"",@progbits
; Kernel info:
; codeLenInByte = 68
; TotalNumSgprs: 36
; NumVgprs: 51
; ScratchSize: 64
; MemoryBound: 0
; FloatMode: 240
; IeeeMode: 1
; LDSByteSize: 0 bytes/workgroup (compile time only)
; SGPRBlocks: 0
; VGPRBlocks: 3
; NumSGPRsForWavesPerEU: 36
; NumVGPRsForWavesPerEU: 51
; NamedBarCnt: 0
; Occupancy: 16
; WaveLimiterHint : 1
; COMPUTE_PGM_RSRC2:SCRATCH_EN: 1
; COMPUTE_PGM_RSRC2:USER_SGPR: 2
; COMPUTE_PGM_RSRC2:TRAP_HANDLER: 0
; COMPUTE_PGM_RSRC2:TGID_X_EN: 1
; COMPUTE_PGM_RSRC2:TGID_Y_EN: 0
; COMPUTE_PGM_RSRC2:TGID_Z_EN: 0
; COMPUTE_PGM_RSRC2:TIDIG_COMP_CNT: 0
	.section	.text._Z38paged_attention_ll4mi_QKV_mfma4_kernelIDF16_DF16_LN4vllm18Fp8KVCacheDataTypeE0EhLi16ELi64ELi256ELb0ELi4EEvPKT_PKT0_S7_ifPKiS9_S9_iPKfiiiPfSC_PS2_PT2_iSB_SB_,"axG",@progbits,_Z38paged_attention_ll4mi_QKV_mfma4_kernelIDF16_DF16_LN4vllm18Fp8KVCacheDataTypeE0EhLi16ELi64ELi256ELb0ELi4EEvPKT_PKT0_S7_ifPKiS9_S9_iPKfiiiPfSC_PS2_PT2_iSB_SB_,comdat
	.protected	_Z38paged_attention_ll4mi_QKV_mfma4_kernelIDF16_DF16_LN4vllm18Fp8KVCacheDataTypeE0EhLi16ELi64ELi256ELb0ELi4EEvPKT_PKT0_S7_ifPKiS9_S9_iPKfiiiPfSC_PS2_PT2_iSB_SB_ ; -- Begin function _Z38paged_attention_ll4mi_QKV_mfma4_kernelIDF16_DF16_LN4vllm18Fp8KVCacheDataTypeE0EhLi16ELi64ELi256ELb0ELi4EEvPKT_PKT0_S7_ifPKiS9_S9_iPKfiiiPfSC_PS2_PT2_iSB_SB_
	.globl	_Z38paged_attention_ll4mi_QKV_mfma4_kernelIDF16_DF16_LN4vllm18Fp8KVCacheDataTypeE0EhLi16ELi64ELi256ELb0ELi4EEvPKT_PKT0_S7_ifPKiS9_S9_iPKfiiiPfSC_PS2_PT2_iSB_SB_
	.p2align	8
	.type	_Z38paged_attention_ll4mi_QKV_mfma4_kernelIDF16_DF16_LN4vllm18Fp8KVCacheDataTypeE0EhLi16ELi64ELi256ELb0ELi4EEvPKT_PKT0_S7_ifPKiS9_S9_iPKfiiiPfSC_PS2_PT2_iSB_SB_,@function
_Z38paged_attention_ll4mi_QKV_mfma4_kernelIDF16_DF16_LN4vllm18Fp8KVCacheDataTypeE0EhLi16ELi64ELi256ELb0ELi4EEvPKT_PKT0_S7_ifPKiS9_S9_iPKfiiiPfSC_PS2_PT2_iSB_SB_: ; @_Z38paged_attention_ll4mi_QKV_mfma4_kernelIDF16_DF16_LN4vllm18Fp8KVCacheDataTypeE0EhLi16ELi64ELi256ELb0ELi4EEvPKT_PKT0_S7_ifPKiS9_S9_iPKfiiiPfSC_PS2_PT2_iSB_SB_
; %bb.0:
	s_get_pc_i64 s[2:3]
	s_add_nc_u64 s[2:3], s[2:3], __PRETTY_FUNCTION__._Z38paged_attention_ll4mi_QKV_mfma4_kernelIDF16_DF16_LN4vllm18Fp8KVCacheDataTypeE0EhLi16ELi64ELi256ELb0ELi4EEvPKT_PKT0_S7_ifPKiS9_S9_iPKfiiiPfSC_PS2_PT2_iSB_SB_@rel64+4
	s_delay_alu instid0(SALU_CYCLE_1)
	v_dual_mov_b32 v0, 0xbce :: v_dual_mov_b32 v1, s2
	v_mov_b32_e32 v2, s3
	s_add_nc_u64 s[8:9], s[0:1], 0x90
	s_get_pc_i64 s[0:1]
	s_add_nc_u64 s[0:1], s[0:1], __assert_fail@rel64+4
	s_mov_b32 s32, 0
	s_swap_pc_i64 s[30:31], s[0:1]
	.section	.rodata,"a",@progbits
	.p2align	6, 0x0
	.amdhsa_kernel _Z38paged_attention_ll4mi_QKV_mfma4_kernelIDF16_DF16_LN4vllm18Fp8KVCacheDataTypeE0EhLi16ELi64ELi256ELb0ELi4EEvPKT_PKT0_S7_ifPKiS9_S9_iPKfiiiPfSC_PS2_PT2_iSB_SB_
		.amdhsa_group_segment_fixed_size 0
		.amdhsa_private_segment_fixed_size 64
		.amdhsa_kernarg_size 400
		.amdhsa_user_sgpr_count 2
		.amdhsa_user_sgpr_dispatch_ptr 0
		.amdhsa_user_sgpr_queue_ptr 0
		.amdhsa_user_sgpr_kernarg_segment_ptr 1
		.amdhsa_user_sgpr_dispatch_id 0
		.amdhsa_user_sgpr_kernarg_preload_length 0
		.amdhsa_user_sgpr_kernarg_preload_offset 0
		.amdhsa_user_sgpr_private_segment_size 0
		.amdhsa_wavefront_size32 1
		.amdhsa_uses_dynamic_stack 0
		.amdhsa_enable_private_segment 1
		.amdhsa_system_sgpr_workgroup_id_x 1
		.amdhsa_system_sgpr_workgroup_id_y 0
		.amdhsa_system_sgpr_workgroup_id_z 0
		.amdhsa_system_sgpr_workgroup_info 0
		.amdhsa_system_vgpr_workitem_id 0
		.amdhsa_next_free_vgpr 51
		.amdhsa_next_free_sgpr 34
		.amdhsa_named_barrier_count 0
		.amdhsa_reserve_vcc 1
		.amdhsa_float_round_mode_32 0
		.amdhsa_float_round_mode_16_64 0
		.amdhsa_float_denorm_mode_32 3
		.amdhsa_float_denorm_mode_16_64 3
		.amdhsa_fp16_overflow 0
		.amdhsa_memory_ordered 1
		.amdhsa_forward_progress 1
		.amdhsa_inst_pref_size 1
		.amdhsa_round_robin_scheduling 0
		.amdhsa_exception_fp_ieee_invalid_op 0
		.amdhsa_exception_fp_denorm_src 0
		.amdhsa_exception_fp_ieee_div_zero 0
		.amdhsa_exception_fp_ieee_overflow 0
		.amdhsa_exception_fp_ieee_underflow 0
		.amdhsa_exception_fp_ieee_inexact 0
		.amdhsa_exception_int_div_zero 0
	.end_amdhsa_kernel
	.section	.text._Z38paged_attention_ll4mi_QKV_mfma4_kernelIDF16_DF16_LN4vllm18Fp8KVCacheDataTypeE0EhLi16ELi64ELi256ELb0ELi4EEvPKT_PKT0_S7_ifPKiS9_S9_iPKfiiiPfSC_PS2_PT2_iSB_SB_,"axG",@progbits,_Z38paged_attention_ll4mi_QKV_mfma4_kernelIDF16_DF16_LN4vllm18Fp8KVCacheDataTypeE0EhLi16ELi64ELi256ELb0ELi4EEvPKT_PKT0_S7_ifPKiS9_S9_iPKfiiiPfSC_PS2_PT2_iSB_SB_,comdat
.Lfunc_end41:
	.size	_Z38paged_attention_ll4mi_QKV_mfma4_kernelIDF16_DF16_LN4vllm18Fp8KVCacheDataTypeE0EhLi16ELi64ELi256ELb0ELi4EEvPKT_PKT0_S7_ifPKiS9_S9_iPKfiiiPfSC_PS2_PT2_iSB_SB_, .Lfunc_end41-_Z38paged_attention_ll4mi_QKV_mfma4_kernelIDF16_DF16_LN4vllm18Fp8KVCacheDataTypeE0EhLi16ELi64ELi256ELb0ELi4EEvPKT_PKT0_S7_ifPKiS9_S9_iPKfiiiPfSC_PS2_PT2_iSB_SB_
                                        ; -- End function
	.set _Z38paged_attention_ll4mi_QKV_mfma4_kernelIDF16_DF16_LN4vllm18Fp8KVCacheDataTypeE0EhLi16ELi64ELi256ELb0ELi4EEvPKT_PKT0_S7_ifPKiS9_S9_iPKfiiiPfSC_PS2_PT2_iSB_SB_.num_vgpr, max(3, .L__assert_fail.num_vgpr)
	.set _Z38paged_attention_ll4mi_QKV_mfma4_kernelIDF16_DF16_LN4vllm18Fp8KVCacheDataTypeE0EhLi16ELi64ELi256ELb0ELi4EEvPKT_PKT0_S7_ifPKiS9_S9_iPKfiiiPfSC_PS2_PT2_iSB_SB_.num_agpr, max(0, .L__assert_fail.num_agpr)
	.set _Z38paged_attention_ll4mi_QKV_mfma4_kernelIDF16_DF16_LN4vllm18Fp8KVCacheDataTypeE0EhLi16ELi64ELi256ELb0ELi4EEvPKT_PKT0_S7_ifPKiS9_S9_iPKfiiiPfSC_PS2_PT2_iSB_SB_.numbered_sgpr, max(33, .L__assert_fail.numbered_sgpr)
	.set _Z38paged_attention_ll4mi_QKV_mfma4_kernelIDF16_DF16_LN4vllm18Fp8KVCacheDataTypeE0EhLi16ELi64ELi256ELb0ELi4EEvPKT_PKT0_S7_ifPKiS9_S9_iPKfiiiPfSC_PS2_PT2_iSB_SB_.num_named_barrier, max(0, .L__assert_fail.num_named_barrier)
	.set _Z38paged_attention_ll4mi_QKV_mfma4_kernelIDF16_DF16_LN4vllm18Fp8KVCacheDataTypeE0EhLi16ELi64ELi256ELb0ELi4EEvPKT_PKT0_S7_ifPKiS9_S9_iPKfiiiPfSC_PS2_PT2_iSB_SB_.private_seg_size, 0+max(.L__assert_fail.private_seg_size)
	.set _Z38paged_attention_ll4mi_QKV_mfma4_kernelIDF16_DF16_LN4vllm18Fp8KVCacheDataTypeE0EhLi16ELi64ELi256ELb0ELi4EEvPKT_PKT0_S7_ifPKiS9_S9_iPKfiiiPfSC_PS2_PT2_iSB_SB_.uses_vcc, or(1, .L__assert_fail.uses_vcc)
	.set _Z38paged_attention_ll4mi_QKV_mfma4_kernelIDF16_DF16_LN4vllm18Fp8KVCacheDataTypeE0EhLi16ELi64ELi256ELb0ELi4EEvPKT_PKT0_S7_ifPKiS9_S9_iPKfiiiPfSC_PS2_PT2_iSB_SB_.uses_flat_scratch, or(0, .L__assert_fail.uses_flat_scratch)
	.set _Z38paged_attention_ll4mi_QKV_mfma4_kernelIDF16_DF16_LN4vllm18Fp8KVCacheDataTypeE0EhLi16ELi64ELi256ELb0ELi4EEvPKT_PKT0_S7_ifPKiS9_S9_iPKfiiiPfSC_PS2_PT2_iSB_SB_.has_dyn_sized_stack, or(0, .L__assert_fail.has_dyn_sized_stack)
	.set _Z38paged_attention_ll4mi_QKV_mfma4_kernelIDF16_DF16_LN4vllm18Fp8KVCacheDataTypeE0EhLi16ELi64ELi256ELb0ELi4EEvPKT_PKT0_S7_ifPKiS9_S9_iPKfiiiPfSC_PS2_PT2_iSB_SB_.has_recursion, or(0, .L__assert_fail.has_recursion)
	.set _Z38paged_attention_ll4mi_QKV_mfma4_kernelIDF16_DF16_LN4vllm18Fp8KVCacheDataTypeE0EhLi16ELi64ELi256ELb0ELi4EEvPKT_PKT0_S7_ifPKiS9_S9_iPKfiiiPfSC_PS2_PT2_iSB_SB_.has_indirect_call, or(0, .L__assert_fail.has_indirect_call)
	.section	.AMDGPU.csdata,"",@progbits
; Kernel info:
; codeLenInByte = 68
; TotalNumSgprs: 36
; NumVgprs: 51
; ScratchSize: 64
; MemoryBound: 0
; FloatMode: 240
; IeeeMode: 1
; LDSByteSize: 0 bytes/workgroup (compile time only)
; SGPRBlocks: 0
; VGPRBlocks: 3
; NumSGPRsForWavesPerEU: 36
; NumVGPRsForWavesPerEU: 51
; NamedBarCnt: 0
; Occupancy: 16
; WaveLimiterHint : 1
; COMPUTE_PGM_RSRC2:SCRATCH_EN: 1
; COMPUTE_PGM_RSRC2:USER_SGPR: 2
; COMPUTE_PGM_RSRC2:TRAP_HANDLER: 0
; COMPUTE_PGM_RSRC2:TGID_X_EN: 1
; COMPUTE_PGM_RSRC2:TGID_Y_EN: 0
; COMPUTE_PGM_RSRC2:TGID_Z_EN: 0
; COMPUTE_PGM_RSRC2:TIDIG_COMP_CNT: 0
	.section	.text._Z39paged_attention_ll4mi_QKV_mfma16_kernelIDF16_DF16_LN4vllm18Fp8KVCacheDataTypeE0EhLi16ELi64ELi256ELb0ELi5EEvPKT_PKT0_S7_ifPKiS9_S9_iPKfiiiPfSC_PS2_PT2_iSB_SB_,"axG",@progbits,_Z39paged_attention_ll4mi_QKV_mfma16_kernelIDF16_DF16_LN4vllm18Fp8KVCacheDataTypeE0EhLi16ELi64ELi256ELb0ELi5EEvPKT_PKT0_S7_ifPKiS9_S9_iPKfiiiPfSC_PS2_PT2_iSB_SB_,comdat
	.protected	_Z39paged_attention_ll4mi_QKV_mfma16_kernelIDF16_DF16_LN4vllm18Fp8KVCacheDataTypeE0EhLi16ELi64ELi256ELb0ELi5EEvPKT_PKT0_S7_ifPKiS9_S9_iPKfiiiPfSC_PS2_PT2_iSB_SB_ ; -- Begin function _Z39paged_attention_ll4mi_QKV_mfma16_kernelIDF16_DF16_LN4vllm18Fp8KVCacheDataTypeE0EhLi16ELi64ELi256ELb0ELi5EEvPKT_PKT0_S7_ifPKiS9_S9_iPKfiiiPfSC_PS2_PT2_iSB_SB_
	.globl	_Z39paged_attention_ll4mi_QKV_mfma16_kernelIDF16_DF16_LN4vllm18Fp8KVCacheDataTypeE0EhLi16ELi64ELi256ELb0ELi5EEvPKT_PKT0_S7_ifPKiS9_S9_iPKfiiiPfSC_PS2_PT2_iSB_SB_
	.p2align	8
	.type	_Z39paged_attention_ll4mi_QKV_mfma16_kernelIDF16_DF16_LN4vllm18Fp8KVCacheDataTypeE0EhLi16ELi64ELi256ELb0ELi5EEvPKT_PKT0_S7_ifPKiS9_S9_iPKfiiiPfSC_PS2_PT2_iSB_SB_,@function
_Z39paged_attention_ll4mi_QKV_mfma16_kernelIDF16_DF16_LN4vllm18Fp8KVCacheDataTypeE0EhLi16ELi64ELi256ELb0ELi5EEvPKT_PKT0_S7_ifPKiS9_S9_iPKfiiiPfSC_PS2_PT2_iSB_SB_: ; @_Z39paged_attention_ll4mi_QKV_mfma16_kernelIDF16_DF16_LN4vllm18Fp8KVCacheDataTypeE0EhLi16ELi64ELi256ELb0ELi5EEvPKT_PKT0_S7_ifPKiS9_S9_iPKfiiiPfSC_PS2_PT2_iSB_SB_
; %bb.0:
	s_get_pc_i64 s[2:3]
	s_add_nc_u64 s[2:3], s[2:3], __PRETTY_FUNCTION__._Z39paged_attention_ll4mi_QKV_mfma16_kernelIDF16_DF16_LN4vllm18Fp8KVCacheDataTypeE0EhLi16ELi64ELi256ELb0ELi5EEvPKT_PKT0_S7_ifPKiS9_S9_iPKfiiiPfSC_PS2_PT2_iSB_SB_@rel64+4
	s_delay_alu instid0(SALU_CYCLE_1)
	v_dual_mov_b32 v0, 0xbb3 :: v_dual_mov_b32 v1, s2
	v_mov_b32_e32 v2, s3
	s_add_nc_u64 s[8:9], s[0:1], 0x90
	s_get_pc_i64 s[0:1]
	s_add_nc_u64 s[0:1], s[0:1], __assert_fail@rel64+4
	s_mov_b32 s32, 0
	s_swap_pc_i64 s[30:31], s[0:1]
	.section	.rodata,"a",@progbits
	.p2align	6, 0x0
	.amdhsa_kernel _Z39paged_attention_ll4mi_QKV_mfma16_kernelIDF16_DF16_LN4vllm18Fp8KVCacheDataTypeE0EhLi16ELi64ELi256ELb0ELi5EEvPKT_PKT0_S7_ifPKiS9_S9_iPKfiiiPfSC_PS2_PT2_iSB_SB_
		.amdhsa_group_segment_fixed_size 0
		.amdhsa_private_segment_fixed_size 64
		.amdhsa_kernarg_size 400
		.amdhsa_user_sgpr_count 2
		.amdhsa_user_sgpr_dispatch_ptr 0
		.amdhsa_user_sgpr_queue_ptr 0
		.amdhsa_user_sgpr_kernarg_segment_ptr 1
		.amdhsa_user_sgpr_dispatch_id 0
		.amdhsa_user_sgpr_kernarg_preload_length 0
		.amdhsa_user_sgpr_kernarg_preload_offset 0
		.amdhsa_user_sgpr_private_segment_size 0
		.amdhsa_wavefront_size32 1
		.amdhsa_uses_dynamic_stack 0
		.amdhsa_enable_private_segment 1
		.amdhsa_system_sgpr_workgroup_id_x 1
		.amdhsa_system_sgpr_workgroup_id_y 0
		.amdhsa_system_sgpr_workgroup_id_z 0
		.amdhsa_system_sgpr_workgroup_info 0
		.amdhsa_system_vgpr_workitem_id 0
		.amdhsa_next_free_vgpr 51
		.amdhsa_next_free_sgpr 34
		.amdhsa_named_barrier_count 0
		.amdhsa_reserve_vcc 1
		.amdhsa_float_round_mode_32 0
		.amdhsa_float_round_mode_16_64 0
		.amdhsa_float_denorm_mode_32 3
		.amdhsa_float_denorm_mode_16_64 3
		.amdhsa_fp16_overflow 0
		.amdhsa_memory_ordered 1
		.amdhsa_forward_progress 1
		.amdhsa_inst_pref_size 1
		.amdhsa_round_robin_scheduling 0
		.amdhsa_exception_fp_ieee_invalid_op 0
		.amdhsa_exception_fp_denorm_src 0
		.amdhsa_exception_fp_ieee_div_zero 0
		.amdhsa_exception_fp_ieee_overflow 0
		.amdhsa_exception_fp_ieee_underflow 0
		.amdhsa_exception_fp_ieee_inexact 0
		.amdhsa_exception_int_div_zero 0
	.end_amdhsa_kernel
	.section	.text._Z39paged_attention_ll4mi_QKV_mfma16_kernelIDF16_DF16_LN4vllm18Fp8KVCacheDataTypeE0EhLi16ELi64ELi256ELb0ELi5EEvPKT_PKT0_S7_ifPKiS9_S9_iPKfiiiPfSC_PS2_PT2_iSB_SB_,"axG",@progbits,_Z39paged_attention_ll4mi_QKV_mfma16_kernelIDF16_DF16_LN4vllm18Fp8KVCacheDataTypeE0EhLi16ELi64ELi256ELb0ELi5EEvPKT_PKT0_S7_ifPKiS9_S9_iPKfiiiPfSC_PS2_PT2_iSB_SB_,comdat
.Lfunc_end42:
	.size	_Z39paged_attention_ll4mi_QKV_mfma16_kernelIDF16_DF16_LN4vllm18Fp8KVCacheDataTypeE0EhLi16ELi64ELi256ELb0ELi5EEvPKT_PKT0_S7_ifPKiS9_S9_iPKfiiiPfSC_PS2_PT2_iSB_SB_, .Lfunc_end42-_Z39paged_attention_ll4mi_QKV_mfma16_kernelIDF16_DF16_LN4vllm18Fp8KVCacheDataTypeE0EhLi16ELi64ELi256ELb0ELi5EEvPKT_PKT0_S7_ifPKiS9_S9_iPKfiiiPfSC_PS2_PT2_iSB_SB_
                                        ; -- End function
	.set _Z39paged_attention_ll4mi_QKV_mfma16_kernelIDF16_DF16_LN4vllm18Fp8KVCacheDataTypeE0EhLi16ELi64ELi256ELb0ELi5EEvPKT_PKT0_S7_ifPKiS9_S9_iPKfiiiPfSC_PS2_PT2_iSB_SB_.num_vgpr, max(3, .L__assert_fail.num_vgpr)
	.set _Z39paged_attention_ll4mi_QKV_mfma16_kernelIDF16_DF16_LN4vllm18Fp8KVCacheDataTypeE0EhLi16ELi64ELi256ELb0ELi5EEvPKT_PKT0_S7_ifPKiS9_S9_iPKfiiiPfSC_PS2_PT2_iSB_SB_.num_agpr, max(0, .L__assert_fail.num_agpr)
	.set _Z39paged_attention_ll4mi_QKV_mfma16_kernelIDF16_DF16_LN4vllm18Fp8KVCacheDataTypeE0EhLi16ELi64ELi256ELb0ELi5EEvPKT_PKT0_S7_ifPKiS9_S9_iPKfiiiPfSC_PS2_PT2_iSB_SB_.numbered_sgpr, max(33, .L__assert_fail.numbered_sgpr)
	.set _Z39paged_attention_ll4mi_QKV_mfma16_kernelIDF16_DF16_LN4vllm18Fp8KVCacheDataTypeE0EhLi16ELi64ELi256ELb0ELi5EEvPKT_PKT0_S7_ifPKiS9_S9_iPKfiiiPfSC_PS2_PT2_iSB_SB_.num_named_barrier, max(0, .L__assert_fail.num_named_barrier)
	.set _Z39paged_attention_ll4mi_QKV_mfma16_kernelIDF16_DF16_LN4vllm18Fp8KVCacheDataTypeE0EhLi16ELi64ELi256ELb0ELi5EEvPKT_PKT0_S7_ifPKiS9_S9_iPKfiiiPfSC_PS2_PT2_iSB_SB_.private_seg_size, 0+max(.L__assert_fail.private_seg_size)
	.set _Z39paged_attention_ll4mi_QKV_mfma16_kernelIDF16_DF16_LN4vllm18Fp8KVCacheDataTypeE0EhLi16ELi64ELi256ELb0ELi5EEvPKT_PKT0_S7_ifPKiS9_S9_iPKfiiiPfSC_PS2_PT2_iSB_SB_.uses_vcc, or(1, .L__assert_fail.uses_vcc)
	.set _Z39paged_attention_ll4mi_QKV_mfma16_kernelIDF16_DF16_LN4vllm18Fp8KVCacheDataTypeE0EhLi16ELi64ELi256ELb0ELi5EEvPKT_PKT0_S7_ifPKiS9_S9_iPKfiiiPfSC_PS2_PT2_iSB_SB_.uses_flat_scratch, or(0, .L__assert_fail.uses_flat_scratch)
	.set _Z39paged_attention_ll4mi_QKV_mfma16_kernelIDF16_DF16_LN4vllm18Fp8KVCacheDataTypeE0EhLi16ELi64ELi256ELb0ELi5EEvPKT_PKT0_S7_ifPKiS9_S9_iPKfiiiPfSC_PS2_PT2_iSB_SB_.has_dyn_sized_stack, or(0, .L__assert_fail.has_dyn_sized_stack)
	.set _Z39paged_attention_ll4mi_QKV_mfma16_kernelIDF16_DF16_LN4vllm18Fp8KVCacheDataTypeE0EhLi16ELi64ELi256ELb0ELi5EEvPKT_PKT0_S7_ifPKiS9_S9_iPKfiiiPfSC_PS2_PT2_iSB_SB_.has_recursion, or(0, .L__assert_fail.has_recursion)
	.set _Z39paged_attention_ll4mi_QKV_mfma16_kernelIDF16_DF16_LN4vllm18Fp8KVCacheDataTypeE0EhLi16ELi64ELi256ELb0ELi5EEvPKT_PKT0_S7_ifPKiS9_S9_iPKfiiiPfSC_PS2_PT2_iSB_SB_.has_indirect_call, or(0, .L__assert_fail.has_indirect_call)
	.section	.AMDGPU.csdata,"",@progbits
; Kernel info:
; codeLenInByte = 68
; TotalNumSgprs: 36
; NumVgprs: 51
; ScratchSize: 64
; MemoryBound: 0
; FloatMode: 240
; IeeeMode: 1
; LDSByteSize: 0 bytes/workgroup (compile time only)
; SGPRBlocks: 0
; VGPRBlocks: 3
; NumSGPRsForWavesPerEU: 36
; NumVGPRsForWavesPerEU: 51
; NamedBarCnt: 0
; Occupancy: 16
; WaveLimiterHint : 1
; COMPUTE_PGM_RSRC2:SCRATCH_EN: 1
; COMPUTE_PGM_RSRC2:USER_SGPR: 2
; COMPUTE_PGM_RSRC2:TRAP_HANDLER: 0
; COMPUTE_PGM_RSRC2:TGID_X_EN: 1
; COMPUTE_PGM_RSRC2:TGID_Y_EN: 0
; COMPUTE_PGM_RSRC2:TGID_Z_EN: 0
; COMPUTE_PGM_RSRC2:TIDIG_COMP_CNT: 0
	.section	.text._Z39paged_attention_ll4mi_QKV_mfma16_kernelIDF16_DF16_LN4vllm18Fp8KVCacheDataTypeE0EhLi16ELi64ELi256ELb0ELi6EEvPKT_PKT0_S7_ifPKiS9_S9_iPKfiiiPfSC_PS2_PT2_iSB_SB_,"axG",@progbits,_Z39paged_attention_ll4mi_QKV_mfma16_kernelIDF16_DF16_LN4vllm18Fp8KVCacheDataTypeE0EhLi16ELi64ELi256ELb0ELi6EEvPKT_PKT0_S7_ifPKiS9_S9_iPKfiiiPfSC_PS2_PT2_iSB_SB_,comdat
	.protected	_Z39paged_attention_ll4mi_QKV_mfma16_kernelIDF16_DF16_LN4vllm18Fp8KVCacheDataTypeE0EhLi16ELi64ELi256ELb0ELi6EEvPKT_PKT0_S7_ifPKiS9_S9_iPKfiiiPfSC_PS2_PT2_iSB_SB_ ; -- Begin function _Z39paged_attention_ll4mi_QKV_mfma16_kernelIDF16_DF16_LN4vllm18Fp8KVCacheDataTypeE0EhLi16ELi64ELi256ELb0ELi6EEvPKT_PKT0_S7_ifPKiS9_S9_iPKfiiiPfSC_PS2_PT2_iSB_SB_
	.globl	_Z39paged_attention_ll4mi_QKV_mfma16_kernelIDF16_DF16_LN4vllm18Fp8KVCacheDataTypeE0EhLi16ELi64ELi256ELb0ELi6EEvPKT_PKT0_S7_ifPKiS9_S9_iPKfiiiPfSC_PS2_PT2_iSB_SB_
	.p2align	8
	.type	_Z39paged_attention_ll4mi_QKV_mfma16_kernelIDF16_DF16_LN4vllm18Fp8KVCacheDataTypeE0EhLi16ELi64ELi256ELb0ELi6EEvPKT_PKT0_S7_ifPKiS9_S9_iPKfiiiPfSC_PS2_PT2_iSB_SB_,@function
_Z39paged_attention_ll4mi_QKV_mfma16_kernelIDF16_DF16_LN4vllm18Fp8KVCacheDataTypeE0EhLi16ELi64ELi256ELb0ELi6EEvPKT_PKT0_S7_ifPKiS9_S9_iPKfiiiPfSC_PS2_PT2_iSB_SB_: ; @_Z39paged_attention_ll4mi_QKV_mfma16_kernelIDF16_DF16_LN4vllm18Fp8KVCacheDataTypeE0EhLi16ELi64ELi256ELb0ELi6EEvPKT_PKT0_S7_ifPKiS9_S9_iPKfiiiPfSC_PS2_PT2_iSB_SB_
; %bb.0:
	s_get_pc_i64 s[2:3]
	s_add_nc_u64 s[2:3], s[2:3], __PRETTY_FUNCTION__._Z39paged_attention_ll4mi_QKV_mfma16_kernelIDF16_DF16_LN4vllm18Fp8KVCacheDataTypeE0EhLi16ELi64ELi256ELb0ELi6EEvPKT_PKT0_S7_ifPKiS9_S9_iPKfiiiPfSC_PS2_PT2_iSB_SB_@rel64+4
	s_delay_alu instid0(SALU_CYCLE_1)
	v_dual_mov_b32 v0, 0xbb3 :: v_dual_mov_b32 v1, s2
	v_mov_b32_e32 v2, s3
	s_add_nc_u64 s[8:9], s[0:1], 0x90
	s_get_pc_i64 s[0:1]
	s_add_nc_u64 s[0:1], s[0:1], __assert_fail@rel64+4
	s_mov_b32 s32, 0
	s_swap_pc_i64 s[30:31], s[0:1]
	.section	.rodata,"a",@progbits
	.p2align	6, 0x0
	.amdhsa_kernel _Z39paged_attention_ll4mi_QKV_mfma16_kernelIDF16_DF16_LN4vllm18Fp8KVCacheDataTypeE0EhLi16ELi64ELi256ELb0ELi6EEvPKT_PKT0_S7_ifPKiS9_S9_iPKfiiiPfSC_PS2_PT2_iSB_SB_
		.amdhsa_group_segment_fixed_size 0
		.amdhsa_private_segment_fixed_size 64
		.amdhsa_kernarg_size 400
		.amdhsa_user_sgpr_count 2
		.amdhsa_user_sgpr_dispatch_ptr 0
		.amdhsa_user_sgpr_queue_ptr 0
		.amdhsa_user_sgpr_kernarg_segment_ptr 1
		.amdhsa_user_sgpr_dispatch_id 0
		.amdhsa_user_sgpr_kernarg_preload_length 0
		.amdhsa_user_sgpr_kernarg_preload_offset 0
		.amdhsa_user_sgpr_private_segment_size 0
		.amdhsa_wavefront_size32 1
		.amdhsa_uses_dynamic_stack 0
		.amdhsa_enable_private_segment 1
		.amdhsa_system_sgpr_workgroup_id_x 1
		.amdhsa_system_sgpr_workgroup_id_y 0
		.amdhsa_system_sgpr_workgroup_id_z 0
		.amdhsa_system_sgpr_workgroup_info 0
		.amdhsa_system_vgpr_workitem_id 0
		.amdhsa_next_free_vgpr 51
		.amdhsa_next_free_sgpr 34
		.amdhsa_named_barrier_count 0
		.amdhsa_reserve_vcc 1
		.amdhsa_float_round_mode_32 0
		.amdhsa_float_round_mode_16_64 0
		.amdhsa_float_denorm_mode_32 3
		.amdhsa_float_denorm_mode_16_64 3
		.amdhsa_fp16_overflow 0
		.amdhsa_memory_ordered 1
		.amdhsa_forward_progress 1
		.amdhsa_inst_pref_size 1
		.amdhsa_round_robin_scheduling 0
		.amdhsa_exception_fp_ieee_invalid_op 0
		.amdhsa_exception_fp_denorm_src 0
		.amdhsa_exception_fp_ieee_div_zero 0
		.amdhsa_exception_fp_ieee_overflow 0
		.amdhsa_exception_fp_ieee_underflow 0
		.amdhsa_exception_fp_ieee_inexact 0
		.amdhsa_exception_int_div_zero 0
	.end_amdhsa_kernel
	.section	.text._Z39paged_attention_ll4mi_QKV_mfma16_kernelIDF16_DF16_LN4vllm18Fp8KVCacheDataTypeE0EhLi16ELi64ELi256ELb0ELi6EEvPKT_PKT0_S7_ifPKiS9_S9_iPKfiiiPfSC_PS2_PT2_iSB_SB_,"axG",@progbits,_Z39paged_attention_ll4mi_QKV_mfma16_kernelIDF16_DF16_LN4vllm18Fp8KVCacheDataTypeE0EhLi16ELi64ELi256ELb0ELi6EEvPKT_PKT0_S7_ifPKiS9_S9_iPKfiiiPfSC_PS2_PT2_iSB_SB_,comdat
.Lfunc_end43:
	.size	_Z39paged_attention_ll4mi_QKV_mfma16_kernelIDF16_DF16_LN4vllm18Fp8KVCacheDataTypeE0EhLi16ELi64ELi256ELb0ELi6EEvPKT_PKT0_S7_ifPKiS9_S9_iPKfiiiPfSC_PS2_PT2_iSB_SB_, .Lfunc_end43-_Z39paged_attention_ll4mi_QKV_mfma16_kernelIDF16_DF16_LN4vllm18Fp8KVCacheDataTypeE0EhLi16ELi64ELi256ELb0ELi6EEvPKT_PKT0_S7_ifPKiS9_S9_iPKfiiiPfSC_PS2_PT2_iSB_SB_
                                        ; -- End function
	.set _Z39paged_attention_ll4mi_QKV_mfma16_kernelIDF16_DF16_LN4vllm18Fp8KVCacheDataTypeE0EhLi16ELi64ELi256ELb0ELi6EEvPKT_PKT0_S7_ifPKiS9_S9_iPKfiiiPfSC_PS2_PT2_iSB_SB_.num_vgpr, max(3, .L__assert_fail.num_vgpr)
	.set _Z39paged_attention_ll4mi_QKV_mfma16_kernelIDF16_DF16_LN4vllm18Fp8KVCacheDataTypeE0EhLi16ELi64ELi256ELb0ELi6EEvPKT_PKT0_S7_ifPKiS9_S9_iPKfiiiPfSC_PS2_PT2_iSB_SB_.num_agpr, max(0, .L__assert_fail.num_agpr)
	.set _Z39paged_attention_ll4mi_QKV_mfma16_kernelIDF16_DF16_LN4vllm18Fp8KVCacheDataTypeE0EhLi16ELi64ELi256ELb0ELi6EEvPKT_PKT0_S7_ifPKiS9_S9_iPKfiiiPfSC_PS2_PT2_iSB_SB_.numbered_sgpr, max(33, .L__assert_fail.numbered_sgpr)
	.set _Z39paged_attention_ll4mi_QKV_mfma16_kernelIDF16_DF16_LN4vllm18Fp8KVCacheDataTypeE0EhLi16ELi64ELi256ELb0ELi6EEvPKT_PKT0_S7_ifPKiS9_S9_iPKfiiiPfSC_PS2_PT2_iSB_SB_.num_named_barrier, max(0, .L__assert_fail.num_named_barrier)
	.set _Z39paged_attention_ll4mi_QKV_mfma16_kernelIDF16_DF16_LN4vllm18Fp8KVCacheDataTypeE0EhLi16ELi64ELi256ELb0ELi6EEvPKT_PKT0_S7_ifPKiS9_S9_iPKfiiiPfSC_PS2_PT2_iSB_SB_.private_seg_size, 0+max(.L__assert_fail.private_seg_size)
	.set _Z39paged_attention_ll4mi_QKV_mfma16_kernelIDF16_DF16_LN4vllm18Fp8KVCacheDataTypeE0EhLi16ELi64ELi256ELb0ELi6EEvPKT_PKT0_S7_ifPKiS9_S9_iPKfiiiPfSC_PS2_PT2_iSB_SB_.uses_vcc, or(1, .L__assert_fail.uses_vcc)
	.set _Z39paged_attention_ll4mi_QKV_mfma16_kernelIDF16_DF16_LN4vllm18Fp8KVCacheDataTypeE0EhLi16ELi64ELi256ELb0ELi6EEvPKT_PKT0_S7_ifPKiS9_S9_iPKfiiiPfSC_PS2_PT2_iSB_SB_.uses_flat_scratch, or(0, .L__assert_fail.uses_flat_scratch)
	.set _Z39paged_attention_ll4mi_QKV_mfma16_kernelIDF16_DF16_LN4vllm18Fp8KVCacheDataTypeE0EhLi16ELi64ELi256ELb0ELi6EEvPKT_PKT0_S7_ifPKiS9_S9_iPKfiiiPfSC_PS2_PT2_iSB_SB_.has_dyn_sized_stack, or(0, .L__assert_fail.has_dyn_sized_stack)
	.set _Z39paged_attention_ll4mi_QKV_mfma16_kernelIDF16_DF16_LN4vllm18Fp8KVCacheDataTypeE0EhLi16ELi64ELi256ELb0ELi6EEvPKT_PKT0_S7_ifPKiS9_S9_iPKfiiiPfSC_PS2_PT2_iSB_SB_.has_recursion, or(0, .L__assert_fail.has_recursion)
	.set _Z39paged_attention_ll4mi_QKV_mfma16_kernelIDF16_DF16_LN4vllm18Fp8KVCacheDataTypeE0EhLi16ELi64ELi256ELb0ELi6EEvPKT_PKT0_S7_ifPKiS9_S9_iPKfiiiPfSC_PS2_PT2_iSB_SB_.has_indirect_call, or(0, .L__assert_fail.has_indirect_call)
	.section	.AMDGPU.csdata,"",@progbits
; Kernel info:
; codeLenInByte = 68
; TotalNumSgprs: 36
; NumVgprs: 51
; ScratchSize: 64
; MemoryBound: 0
; FloatMode: 240
; IeeeMode: 1
; LDSByteSize: 0 bytes/workgroup (compile time only)
; SGPRBlocks: 0
; VGPRBlocks: 3
; NumSGPRsForWavesPerEU: 36
; NumVGPRsForWavesPerEU: 51
; NamedBarCnt: 0
; Occupancy: 16
; WaveLimiterHint : 1
; COMPUTE_PGM_RSRC2:SCRATCH_EN: 1
; COMPUTE_PGM_RSRC2:USER_SGPR: 2
; COMPUTE_PGM_RSRC2:TRAP_HANDLER: 0
; COMPUTE_PGM_RSRC2:TGID_X_EN: 1
; COMPUTE_PGM_RSRC2:TGID_Y_EN: 0
; COMPUTE_PGM_RSRC2:TGID_Z_EN: 0
; COMPUTE_PGM_RSRC2:TIDIG_COMP_CNT: 0
	.section	.text._Z39paged_attention_ll4mi_QKV_mfma16_kernelIDF16_DF16_LN4vllm18Fp8KVCacheDataTypeE0EhLi16ELi64ELi256ELb0ELi7EEvPKT_PKT0_S7_ifPKiS9_S9_iPKfiiiPfSC_PS2_PT2_iSB_SB_,"axG",@progbits,_Z39paged_attention_ll4mi_QKV_mfma16_kernelIDF16_DF16_LN4vllm18Fp8KVCacheDataTypeE0EhLi16ELi64ELi256ELb0ELi7EEvPKT_PKT0_S7_ifPKiS9_S9_iPKfiiiPfSC_PS2_PT2_iSB_SB_,comdat
	.protected	_Z39paged_attention_ll4mi_QKV_mfma16_kernelIDF16_DF16_LN4vllm18Fp8KVCacheDataTypeE0EhLi16ELi64ELi256ELb0ELi7EEvPKT_PKT0_S7_ifPKiS9_S9_iPKfiiiPfSC_PS2_PT2_iSB_SB_ ; -- Begin function _Z39paged_attention_ll4mi_QKV_mfma16_kernelIDF16_DF16_LN4vllm18Fp8KVCacheDataTypeE0EhLi16ELi64ELi256ELb0ELi7EEvPKT_PKT0_S7_ifPKiS9_S9_iPKfiiiPfSC_PS2_PT2_iSB_SB_
	.globl	_Z39paged_attention_ll4mi_QKV_mfma16_kernelIDF16_DF16_LN4vllm18Fp8KVCacheDataTypeE0EhLi16ELi64ELi256ELb0ELi7EEvPKT_PKT0_S7_ifPKiS9_S9_iPKfiiiPfSC_PS2_PT2_iSB_SB_
	.p2align	8
	.type	_Z39paged_attention_ll4mi_QKV_mfma16_kernelIDF16_DF16_LN4vllm18Fp8KVCacheDataTypeE0EhLi16ELi64ELi256ELb0ELi7EEvPKT_PKT0_S7_ifPKiS9_S9_iPKfiiiPfSC_PS2_PT2_iSB_SB_,@function
_Z39paged_attention_ll4mi_QKV_mfma16_kernelIDF16_DF16_LN4vllm18Fp8KVCacheDataTypeE0EhLi16ELi64ELi256ELb0ELi7EEvPKT_PKT0_S7_ifPKiS9_S9_iPKfiiiPfSC_PS2_PT2_iSB_SB_: ; @_Z39paged_attention_ll4mi_QKV_mfma16_kernelIDF16_DF16_LN4vllm18Fp8KVCacheDataTypeE0EhLi16ELi64ELi256ELb0ELi7EEvPKT_PKT0_S7_ifPKiS9_S9_iPKfiiiPfSC_PS2_PT2_iSB_SB_
; %bb.0:
	s_get_pc_i64 s[2:3]
	s_add_nc_u64 s[2:3], s[2:3], __PRETTY_FUNCTION__._Z39paged_attention_ll4mi_QKV_mfma16_kernelIDF16_DF16_LN4vllm18Fp8KVCacheDataTypeE0EhLi16ELi64ELi256ELb0ELi7EEvPKT_PKT0_S7_ifPKiS9_S9_iPKfiiiPfSC_PS2_PT2_iSB_SB_@rel64+4
	s_delay_alu instid0(SALU_CYCLE_1)
	v_dual_mov_b32 v0, 0xbb3 :: v_dual_mov_b32 v1, s2
	v_mov_b32_e32 v2, s3
	s_add_nc_u64 s[8:9], s[0:1], 0x90
	s_get_pc_i64 s[0:1]
	s_add_nc_u64 s[0:1], s[0:1], __assert_fail@rel64+4
	s_mov_b32 s32, 0
	s_swap_pc_i64 s[30:31], s[0:1]
	.section	.rodata,"a",@progbits
	.p2align	6, 0x0
	.amdhsa_kernel _Z39paged_attention_ll4mi_QKV_mfma16_kernelIDF16_DF16_LN4vllm18Fp8KVCacheDataTypeE0EhLi16ELi64ELi256ELb0ELi7EEvPKT_PKT0_S7_ifPKiS9_S9_iPKfiiiPfSC_PS2_PT2_iSB_SB_
		.amdhsa_group_segment_fixed_size 0
		.amdhsa_private_segment_fixed_size 64
		.amdhsa_kernarg_size 400
		.amdhsa_user_sgpr_count 2
		.amdhsa_user_sgpr_dispatch_ptr 0
		.amdhsa_user_sgpr_queue_ptr 0
		.amdhsa_user_sgpr_kernarg_segment_ptr 1
		.amdhsa_user_sgpr_dispatch_id 0
		.amdhsa_user_sgpr_kernarg_preload_length 0
		.amdhsa_user_sgpr_kernarg_preload_offset 0
		.amdhsa_user_sgpr_private_segment_size 0
		.amdhsa_wavefront_size32 1
		.amdhsa_uses_dynamic_stack 0
		.amdhsa_enable_private_segment 1
		.amdhsa_system_sgpr_workgroup_id_x 1
		.amdhsa_system_sgpr_workgroup_id_y 0
		.amdhsa_system_sgpr_workgroup_id_z 0
		.amdhsa_system_sgpr_workgroup_info 0
		.amdhsa_system_vgpr_workitem_id 0
		.amdhsa_next_free_vgpr 51
		.amdhsa_next_free_sgpr 34
		.amdhsa_named_barrier_count 0
		.amdhsa_reserve_vcc 1
		.amdhsa_float_round_mode_32 0
		.amdhsa_float_round_mode_16_64 0
		.amdhsa_float_denorm_mode_32 3
		.amdhsa_float_denorm_mode_16_64 3
		.amdhsa_fp16_overflow 0
		.amdhsa_memory_ordered 1
		.amdhsa_forward_progress 1
		.amdhsa_inst_pref_size 1
		.amdhsa_round_robin_scheduling 0
		.amdhsa_exception_fp_ieee_invalid_op 0
		.amdhsa_exception_fp_denorm_src 0
		.amdhsa_exception_fp_ieee_div_zero 0
		.amdhsa_exception_fp_ieee_overflow 0
		.amdhsa_exception_fp_ieee_underflow 0
		.amdhsa_exception_fp_ieee_inexact 0
		.amdhsa_exception_int_div_zero 0
	.end_amdhsa_kernel
	.section	.text._Z39paged_attention_ll4mi_QKV_mfma16_kernelIDF16_DF16_LN4vllm18Fp8KVCacheDataTypeE0EhLi16ELi64ELi256ELb0ELi7EEvPKT_PKT0_S7_ifPKiS9_S9_iPKfiiiPfSC_PS2_PT2_iSB_SB_,"axG",@progbits,_Z39paged_attention_ll4mi_QKV_mfma16_kernelIDF16_DF16_LN4vllm18Fp8KVCacheDataTypeE0EhLi16ELi64ELi256ELb0ELi7EEvPKT_PKT0_S7_ifPKiS9_S9_iPKfiiiPfSC_PS2_PT2_iSB_SB_,comdat
.Lfunc_end44:
	.size	_Z39paged_attention_ll4mi_QKV_mfma16_kernelIDF16_DF16_LN4vllm18Fp8KVCacheDataTypeE0EhLi16ELi64ELi256ELb0ELi7EEvPKT_PKT0_S7_ifPKiS9_S9_iPKfiiiPfSC_PS2_PT2_iSB_SB_, .Lfunc_end44-_Z39paged_attention_ll4mi_QKV_mfma16_kernelIDF16_DF16_LN4vllm18Fp8KVCacheDataTypeE0EhLi16ELi64ELi256ELb0ELi7EEvPKT_PKT0_S7_ifPKiS9_S9_iPKfiiiPfSC_PS2_PT2_iSB_SB_
                                        ; -- End function
	.set _Z39paged_attention_ll4mi_QKV_mfma16_kernelIDF16_DF16_LN4vllm18Fp8KVCacheDataTypeE0EhLi16ELi64ELi256ELb0ELi7EEvPKT_PKT0_S7_ifPKiS9_S9_iPKfiiiPfSC_PS2_PT2_iSB_SB_.num_vgpr, max(3, .L__assert_fail.num_vgpr)
	.set _Z39paged_attention_ll4mi_QKV_mfma16_kernelIDF16_DF16_LN4vllm18Fp8KVCacheDataTypeE0EhLi16ELi64ELi256ELb0ELi7EEvPKT_PKT0_S7_ifPKiS9_S9_iPKfiiiPfSC_PS2_PT2_iSB_SB_.num_agpr, max(0, .L__assert_fail.num_agpr)
	.set _Z39paged_attention_ll4mi_QKV_mfma16_kernelIDF16_DF16_LN4vllm18Fp8KVCacheDataTypeE0EhLi16ELi64ELi256ELb0ELi7EEvPKT_PKT0_S7_ifPKiS9_S9_iPKfiiiPfSC_PS2_PT2_iSB_SB_.numbered_sgpr, max(33, .L__assert_fail.numbered_sgpr)
	.set _Z39paged_attention_ll4mi_QKV_mfma16_kernelIDF16_DF16_LN4vllm18Fp8KVCacheDataTypeE0EhLi16ELi64ELi256ELb0ELi7EEvPKT_PKT0_S7_ifPKiS9_S9_iPKfiiiPfSC_PS2_PT2_iSB_SB_.num_named_barrier, max(0, .L__assert_fail.num_named_barrier)
	.set _Z39paged_attention_ll4mi_QKV_mfma16_kernelIDF16_DF16_LN4vllm18Fp8KVCacheDataTypeE0EhLi16ELi64ELi256ELb0ELi7EEvPKT_PKT0_S7_ifPKiS9_S9_iPKfiiiPfSC_PS2_PT2_iSB_SB_.private_seg_size, 0+max(.L__assert_fail.private_seg_size)
	.set _Z39paged_attention_ll4mi_QKV_mfma16_kernelIDF16_DF16_LN4vllm18Fp8KVCacheDataTypeE0EhLi16ELi64ELi256ELb0ELi7EEvPKT_PKT0_S7_ifPKiS9_S9_iPKfiiiPfSC_PS2_PT2_iSB_SB_.uses_vcc, or(1, .L__assert_fail.uses_vcc)
	.set _Z39paged_attention_ll4mi_QKV_mfma16_kernelIDF16_DF16_LN4vllm18Fp8KVCacheDataTypeE0EhLi16ELi64ELi256ELb0ELi7EEvPKT_PKT0_S7_ifPKiS9_S9_iPKfiiiPfSC_PS2_PT2_iSB_SB_.uses_flat_scratch, or(0, .L__assert_fail.uses_flat_scratch)
	.set _Z39paged_attention_ll4mi_QKV_mfma16_kernelIDF16_DF16_LN4vllm18Fp8KVCacheDataTypeE0EhLi16ELi64ELi256ELb0ELi7EEvPKT_PKT0_S7_ifPKiS9_S9_iPKfiiiPfSC_PS2_PT2_iSB_SB_.has_dyn_sized_stack, or(0, .L__assert_fail.has_dyn_sized_stack)
	.set _Z39paged_attention_ll4mi_QKV_mfma16_kernelIDF16_DF16_LN4vllm18Fp8KVCacheDataTypeE0EhLi16ELi64ELi256ELb0ELi7EEvPKT_PKT0_S7_ifPKiS9_S9_iPKfiiiPfSC_PS2_PT2_iSB_SB_.has_recursion, or(0, .L__assert_fail.has_recursion)
	.set _Z39paged_attention_ll4mi_QKV_mfma16_kernelIDF16_DF16_LN4vllm18Fp8KVCacheDataTypeE0EhLi16ELi64ELi256ELb0ELi7EEvPKT_PKT0_S7_ifPKiS9_S9_iPKfiiiPfSC_PS2_PT2_iSB_SB_.has_indirect_call, or(0, .L__assert_fail.has_indirect_call)
	.section	.AMDGPU.csdata,"",@progbits
; Kernel info:
; codeLenInByte = 68
; TotalNumSgprs: 36
; NumVgprs: 51
; ScratchSize: 64
; MemoryBound: 0
; FloatMode: 240
; IeeeMode: 1
; LDSByteSize: 0 bytes/workgroup (compile time only)
; SGPRBlocks: 0
; VGPRBlocks: 3
; NumSGPRsForWavesPerEU: 36
; NumVGPRsForWavesPerEU: 51
; NamedBarCnt: 0
; Occupancy: 16
; WaveLimiterHint : 1
; COMPUTE_PGM_RSRC2:SCRATCH_EN: 1
; COMPUTE_PGM_RSRC2:USER_SGPR: 2
; COMPUTE_PGM_RSRC2:TRAP_HANDLER: 0
; COMPUTE_PGM_RSRC2:TGID_X_EN: 1
; COMPUTE_PGM_RSRC2:TGID_Y_EN: 0
; COMPUTE_PGM_RSRC2:TGID_Z_EN: 0
; COMPUTE_PGM_RSRC2:TIDIG_COMP_CNT: 0
	.section	.text._Z39paged_attention_ll4mi_QKV_mfma16_kernelIDF16_DF16_LN4vllm18Fp8KVCacheDataTypeE0EhLi16ELi64ELi256ELb0ELi8EEvPKT_PKT0_S7_ifPKiS9_S9_iPKfiiiPfSC_PS2_PT2_iSB_SB_,"axG",@progbits,_Z39paged_attention_ll4mi_QKV_mfma16_kernelIDF16_DF16_LN4vllm18Fp8KVCacheDataTypeE0EhLi16ELi64ELi256ELb0ELi8EEvPKT_PKT0_S7_ifPKiS9_S9_iPKfiiiPfSC_PS2_PT2_iSB_SB_,comdat
	.protected	_Z39paged_attention_ll4mi_QKV_mfma16_kernelIDF16_DF16_LN4vllm18Fp8KVCacheDataTypeE0EhLi16ELi64ELi256ELb0ELi8EEvPKT_PKT0_S7_ifPKiS9_S9_iPKfiiiPfSC_PS2_PT2_iSB_SB_ ; -- Begin function _Z39paged_attention_ll4mi_QKV_mfma16_kernelIDF16_DF16_LN4vllm18Fp8KVCacheDataTypeE0EhLi16ELi64ELi256ELb0ELi8EEvPKT_PKT0_S7_ifPKiS9_S9_iPKfiiiPfSC_PS2_PT2_iSB_SB_
	.globl	_Z39paged_attention_ll4mi_QKV_mfma16_kernelIDF16_DF16_LN4vllm18Fp8KVCacheDataTypeE0EhLi16ELi64ELi256ELb0ELi8EEvPKT_PKT0_S7_ifPKiS9_S9_iPKfiiiPfSC_PS2_PT2_iSB_SB_
	.p2align	8
	.type	_Z39paged_attention_ll4mi_QKV_mfma16_kernelIDF16_DF16_LN4vllm18Fp8KVCacheDataTypeE0EhLi16ELi64ELi256ELb0ELi8EEvPKT_PKT0_S7_ifPKiS9_S9_iPKfiiiPfSC_PS2_PT2_iSB_SB_,@function
_Z39paged_attention_ll4mi_QKV_mfma16_kernelIDF16_DF16_LN4vllm18Fp8KVCacheDataTypeE0EhLi16ELi64ELi256ELb0ELi8EEvPKT_PKT0_S7_ifPKiS9_S9_iPKfiiiPfSC_PS2_PT2_iSB_SB_: ; @_Z39paged_attention_ll4mi_QKV_mfma16_kernelIDF16_DF16_LN4vllm18Fp8KVCacheDataTypeE0EhLi16ELi64ELi256ELb0ELi8EEvPKT_PKT0_S7_ifPKiS9_S9_iPKfiiiPfSC_PS2_PT2_iSB_SB_
; %bb.0:
	s_get_pc_i64 s[2:3]
	s_add_nc_u64 s[2:3], s[2:3], __PRETTY_FUNCTION__._Z39paged_attention_ll4mi_QKV_mfma16_kernelIDF16_DF16_LN4vllm18Fp8KVCacheDataTypeE0EhLi16ELi64ELi256ELb0ELi8EEvPKT_PKT0_S7_ifPKiS9_S9_iPKfiiiPfSC_PS2_PT2_iSB_SB_@rel64+4
	s_delay_alu instid0(SALU_CYCLE_1)
	v_dual_mov_b32 v0, 0xbb3 :: v_dual_mov_b32 v1, s2
	v_mov_b32_e32 v2, s3
	s_add_nc_u64 s[8:9], s[0:1], 0x90
	s_get_pc_i64 s[0:1]
	s_add_nc_u64 s[0:1], s[0:1], __assert_fail@rel64+4
	s_mov_b32 s32, 0
	s_swap_pc_i64 s[30:31], s[0:1]
	.section	.rodata,"a",@progbits
	.p2align	6, 0x0
	.amdhsa_kernel _Z39paged_attention_ll4mi_QKV_mfma16_kernelIDF16_DF16_LN4vllm18Fp8KVCacheDataTypeE0EhLi16ELi64ELi256ELb0ELi8EEvPKT_PKT0_S7_ifPKiS9_S9_iPKfiiiPfSC_PS2_PT2_iSB_SB_
		.amdhsa_group_segment_fixed_size 0
		.amdhsa_private_segment_fixed_size 64
		.amdhsa_kernarg_size 400
		.amdhsa_user_sgpr_count 2
		.amdhsa_user_sgpr_dispatch_ptr 0
		.amdhsa_user_sgpr_queue_ptr 0
		.amdhsa_user_sgpr_kernarg_segment_ptr 1
		.amdhsa_user_sgpr_dispatch_id 0
		.amdhsa_user_sgpr_kernarg_preload_length 0
		.amdhsa_user_sgpr_kernarg_preload_offset 0
		.amdhsa_user_sgpr_private_segment_size 0
		.amdhsa_wavefront_size32 1
		.amdhsa_uses_dynamic_stack 0
		.amdhsa_enable_private_segment 1
		.amdhsa_system_sgpr_workgroup_id_x 1
		.amdhsa_system_sgpr_workgroup_id_y 0
		.amdhsa_system_sgpr_workgroup_id_z 0
		.amdhsa_system_sgpr_workgroup_info 0
		.amdhsa_system_vgpr_workitem_id 0
		.amdhsa_next_free_vgpr 51
		.amdhsa_next_free_sgpr 34
		.amdhsa_named_barrier_count 0
		.amdhsa_reserve_vcc 1
		.amdhsa_float_round_mode_32 0
		.amdhsa_float_round_mode_16_64 0
		.amdhsa_float_denorm_mode_32 3
		.amdhsa_float_denorm_mode_16_64 3
		.amdhsa_fp16_overflow 0
		.amdhsa_memory_ordered 1
		.amdhsa_forward_progress 1
		.amdhsa_inst_pref_size 1
		.amdhsa_round_robin_scheduling 0
		.amdhsa_exception_fp_ieee_invalid_op 0
		.amdhsa_exception_fp_denorm_src 0
		.amdhsa_exception_fp_ieee_div_zero 0
		.amdhsa_exception_fp_ieee_overflow 0
		.amdhsa_exception_fp_ieee_underflow 0
		.amdhsa_exception_fp_ieee_inexact 0
		.amdhsa_exception_int_div_zero 0
	.end_amdhsa_kernel
	.section	.text._Z39paged_attention_ll4mi_QKV_mfma16_kernelIDF16_DF16_LN4vllm18Fp8KVCacheDataTypeE0EhLi16ELi64ELi256ELb0ELi8EEvPKT_PKT0_S7_ifPKiS9_S9_iPKfiiiPfSC_PS2_PT2_iSB_SB_,"axG",@progbits,_Z39paged_attention_ll4mi_QKV_mfma16_kernelIDF16_DF16_LN4vllm18Fp8KVCacheDataTypeE0EhLi16ELi64ELi256ELb0ELi8EEvPKT_PKT0_S7_ifPKiS9_S9_iPKfiiiPfSC_PS2_PT2_iSB_SB_,comdat
.Lfunc_end45:
	.size	_Z39paged_attention_ll4mi_QKV_mfma16_kernelIDF16_DF16_LN4vllm18Fp8KVCacheDataTypeE0EhLi16ELi64ELi256ELb0ELi8EEvPKT_PKT0_S7_ifPKiS9_S9_iPKfiiiPfSC_PS2_PT2_iSB_SB_, .Lfunc_end45-_Z39paged_attention_ll4mi_QKV_mfma16_kernelIDF16_DF16_LN4vllm18Fp8KVCacheDataTypeE0EhLi16ELi64ELi256ELb0ELi8EEvPKT_PKT0_S7_ifPKiS9_S9_iPKfiiiPfSC_PS2_PT2_iSB_SB_
                                        ; -- End function
	.set _Z39paged_attention_ll4mi_QKV_mfma16_kernelIDF16_DF16_LN4vllm18Fp8KVCacheDataTypeE0EhLi16ELi64ELi256ELb0ELi8EEvPKT_PKT0_S7_ifPKiS9_S9_iPKfiiiPfSC_PS2_PT2_iSB_SB_.num_vgpr, max(3, .L__assert_fail.num_vgpr)
	.set _Z39paged_attention_ll4mi_QKV_mfma16_kernelIDF16_DF16_LN4vllm18Fp8KVCacheDataTypeE0EhLi16ELi64ELi256ELb0ELi8EEvPKT_PKT0_S7_ifPKiS9_S9_iPKfiiiPfSC_PS2_PT2_iSB_SB_.num_agpr, max(0, .L__assert_fail.num_agpr)
	.set _Z39paged_attention_ll4mi_QKV_mfma16_kernelIDF16_DF16_LN4vllm18Fp8KVCacheDataTypeE0EhLi16ELi64ELi256ELb0ELi8EEvPKT_PKT0_S7_ifPKiS9_S9_iPKfiiiPfSC_PS2_PT2_iSB_SB_.numbered_sgpr, max(33, .L__assert_fail.numbered_sgpr)
	.set _Z39paged_attention_ll4mi_QKV_mfma16_kernelIDF16_DF16_LN4vllm18Fp8KVCacheDataTypeE0EhLi16ELi64ELi256ELb0ELi8EEvPKT_PKT0_S7_ifPKiS9_S9_iPKfiiiPfSC_PS2_PT2_iSB_SB_.num_named_barrier, max(0, .L__assert_fail.num_named_barrier)
	.set _Z39paged_attention_ll4mi_QKV_mfma16_kernelIDF16_DF16_LN4vllm18Fp8KVCacheDataTypeE0EhLi16ELi64ELi256ELb0ELi8EEvPKT_PKT0_S7_ifPKiS9_S9_iPKfiiiPfSC_PS2_PT2_iSB_SB_.private_seg_size, 0+max(.L__assert_fail.private_seg_size)
	.set _Z39paged_attention_ll4mi_QKV_mfma16_kernelIDF16_DF16_LN4vllm18Fp8KVCacheDataTypeE0EhLi16ELi64ELi256ELb0ELi8EEvPKT_PKT0_S7_ifPKiS9_S9_iPKfiiiPfSC_PS2_PT2_iSB_SB_.uses_vcc, or(1, .L__assert_fail.uses_vcc)
	.set _Z39paged_attention_ll4mi_QKV_mfma16_kernelIDF16_DF16_LN4vllm18Fp8KVCacheDataTypeE0EhLi16ELi64ELi256ELb0ELi8EEvPKT_PKT0_S7_ifPKiS9_S9_iPKfiiiPfSC_PS2_PT2_iSB_SB_.uses_flat_scratch, or(0, .L__assert_fail.uses_flat_scratch)
	.set _Z39paged_attention_ll4mi_QKV_mfma16_kernelIDF16_DF16_LN4vllm18Fp8KVCacheDataTypeE0EhLi16ELi64ELi256ELb0ELi8EEvPKT_PKT0_S7_ifPKiS9_S9_iPKfiiiPfSC_PS2_PT2_iSB_SB_.has_dyn_sized_stack, or(0, .L__assert_fail.has_dyn_sized_stack)
	.set _Z39paged_attention_ll4mi_QKV_mfma16_kernelIDF16_DF16_LN4vllm18Fp8KVCacheDataTypeE0EhLi16ELi64ELi256ELb0ELi8EEvPKT_PKT0_S7_ifPKiS9_S9_iPKfiiiPfSC_PS2_PT2_iSB_SB_.has_recursion, or(0, .L__assert_fail.has_recursion)
	.set _Z39paged_attention_ll4mi_QKV_mfma16_kernelIDF16_DF16_LN4vllm18Fp8KVCacheDataTypeE0EhLi16ELi64ELi256ELb0ELi8EEvPKT_PKT0_S7_ifPKiS9_S9_iPKfiiiPfSC_PS2_PT2_iSB_SB_.has_indirect_call, or(0, .L__assert_fail.has_indirect_call)
	.section	.AMDGPU.csdata,"",@progbits
; Kernel info:
; codeLenInByte = 68
; TotalNumSgprs: 36
; NumVgprs: 51
; ScratchSize: 64
; MemoryBound: 0
; FloatMode: 240
; IeeeMode: 1
; LDSByteSize: 0 bytes/workgroup (compile time only)
; SGPRBlocks: 0
; VGPRBlocks: 3
; NumSGPRsForWavesPerEU: 36
; NumVGPRsForWavesPerEU: 51
; NamedBarCnt: 0
; Occupancy: 16
; WaveLimiterHint : 1
; COMPUTE_PGM_RSRC2:SCRATCH_EN: 1
; COMPUTE_PGM_RSRC2:USER_SGPR: 2
; COMPUTE_PGM_RSRC2:TRAP_HANDLER: 0
; COMPUTE_PGM_RSRC2:TGID_X_EN: 1
; COMPUTE_PGM_RSRC2:TGID_Y_EN: 0
; COMPUTE_PGM_RSRC2:TGID_Z_EN: 0
; COMPUTE_PGM_RSRC2:TIDIG_COMP_CNT: 0
	.section	.text._Z39paged_attention_ll4mi_QKV_mfma16_kernelIDF16_DF16_LN4vllm18Fp8KVCacheDataTypeE0EhLi16ELi64ELi256ELb0ELi9EEvPKT_PKT0_S7_ifPKiS9_S9_iPKfiiiPfSC_PS2_PT2_iSB_SB_,"axG",@progbits,_Z39paged_attention_ll4mi_QKV_mfma16_kernelIDF16_DF16_LN4vllm18Fp8KVCacheDataTypeE0EhLi16ELi64ELi256ELb0ELi9EEvPKT_PKT0_S7_ifPKiS9_S9_iPKfiiiPfSC_PS2_PT2_iSB_SB_,comdat
	.protected	_Z39paged_attention_ll4mi_QKV_mfma16_kernelIDF16_DF16_LN4vllm18Fp8KVCacheDataTypeE0EhLi16ELi64ELi256ELb0ELi9EEvPKT_PKT0_S7_ifPKiS9_S9_iPKfiiiPfSC_PS2_PT2_iSB_SB_ ; -- Begin function _Z39paged_attention_ll4mi_QKV_mfma16_kernelIDF16_DF16_LN4vllm18Fp8KVCacheDataTypeE0EhLi16ELi64ELi256ELb0ELi9EEvPKT_PKT0_S7_ifPKiS9_S9_iPKfiiiPfSC_PS2_PT2_iSB_SB_
	.globl	_Z39paged_attention_ll4mi_QKV_mfma16_kernelIDF16_DF16_LN4vllm18Fp8KVCacheDataTypeE0EhLi16ELi64ELi256ELb0ELi9EEvPKT_PKT0_S7_ifPKiS9_S9_iPKfiiiPfSC_PS2_PT2_iSB_SB_
	.p2align	8
	.type	_Z39paged_attention_ll4mi_QKV_mfma16_kernelIDF16_DF16_LN4vllm18Fp8KVCacheDataTypeE0EhLi16ELi64ELi256ELb0ELi9EEvPKT_PKT0_S7_ifPKiS9_S9_iPKfiiiPfSC_PS2_PT2_iSB_SB_,@function
_Z39paged_attention_ll4mi_QKV_mfma16_kernelIDF16_DF16_LN4vllm18Fp8KVCacheDataTypeE0EhLi16ELi64ELi256ELb0ELi9EEvPKT_PKT0_S7_ifPKiS9_S9_iPKfiiiPfSC_PS2_PT2_iSB_SB_: ; @_Z39paged_attention_ll4mi_QKV_mfma16_kernelIDF16_DF16_LN4vllm18Fp8KVCacheDataTypeE0EhLi16ELi64ELi256ELb0ELi9EEvPKT_PKT0_S7_ifPKiS9_S9_iPKfiiiPfSC_PS2_PT2_iSB_SB_
; %bb.0:
	s_get_pc_i64 s[2:3]
	s_add_nc_u64 s[2:3], s[2:3], __PRETTY_FUNCTION__._Z39paged_attention_ll4mi_QKV_mfma16_kernelIDF16_DF16_LN4vllm18Fp8KVCacheDataTypeE0EhLi16ELi64ELi256ELb0ELi9EEvPKT_PKT0_S7_ifPKiS9_S9_iPKfiiiPfSC_PS2_PT2_iSB_SB_@rel64+4
	s_delay_alu instid0(SALU_CYCLE_1)
	v_dual_mov_b32 v0, 0xbb3 :: v_dual_mov_b32 v1, s2
	v_mov_b32_e32 v2, s3
	s_add_nc_u64 s[8:9], s[0:1], 0x90
	s_get_pc_i64 s[0:1]
	s_add_nc_u64 s[0:1], s[0:1], __assert_fail@rel64+4
	s_mov_b32 s32, 0
	s_swap_pc_i64 s[30:31], s[0:1]
	.section	.rodata,"a",@progbits
	.p2align	6, 0x0
	.amdhsa_kernel _Z39paged_attention_ll4mi_QKV_mfma16_kernelIDF16_DF16_LN4vllm18Fp8KVCacheDataTypeE0EhLi16ELi64ELi256ELb0ELi9EEvPKT_PKT0_S7_ifPKiS9_S9_iPKfiiiPfSC_PS2_PT2_iSB_SB_
		.amdhsa_group_segment_fixed_size 0
		.amdhsa_private_segment_fixed_size 64
		.amdhsa_kernarg_size 400
		.amdhsa_user_sgpr_count 2
		.amdhsa_user_sgpr_dispatch_ptr 0
		.amdhsa_user_sgpr_queue_ptr 0
		.amdhsa_user_sgpr_kernarg_segment_ptr 1
		.amdhsa_user_sgpr_dispatch_id 0
		.amdhsa_user_sgpr_kernarg_preload_length 0
		.amdhsa_user_sgpr_kernarg_preload_offset 0
		.amdhsa_user_sgpr_private_segment_size 0
		.amdhsa_wavefront_size32 1
		.amdhsa_uses_dynamic_stack 0
		.amdhsa_enable_private_segment 1
		.amdhsa_system_sgpr_workgroup_id_x 1
		.amdhsa_system_sgpr_workgroup_id_y 0
		.amdhsa_system_sgpr_workgroup_id_z 0
		.amdhsa_system_sgpr_workgroup_info 0
		.amdhsa_system_vgpr_workitem_id 0
		.amdhsa_next_free_vgpr 51
		.amdhsa_next_free_sgpr 34
		.amdhsa_named_barrier_count 0
		.amdhsa_reserve_vcc 1
		.amdhsa_float_round_mode_32 0
		.amdhsa_float_round_mode_16_64 0
		.amdhsa_float_denorm_mode_32 3
		.amdhsa_float_denorm_mode_16_64 3
		.amdhsa_fp16_overflow 0
		.amdhsa_memory_ordered 1
		.amdhsa_forward_progress 1
		.amdhsa_inst_pref_size 1
		.amdhsa_round_robin_scheduling 0
		.amdhsa_exception_fp_ieee_invalid_op 0
		.amdhsa_exception_fp_denorm_src 0
		.amdhsa_exception_fp_ieee_div_zero 0
		.amdhsa_exception_fp_ieee_overflow 0
		.amdhsa_exception_fp_ieee_underflow 0
		.amdhsa_exception_fp_ieee_inexact 0
		.amdhsa_exception_int_div_zero 0
	.end_amdhsa_kernel
	.section	.text._Z39paged_attention_ll4mi_QKV_mfma16_kernelIDF16_DF16_LN4vllm18Fp8KVCacheDataTypeE0EhLi16ELi64ELi256ELb0ELi9EEvPKT_PKT0_S7_ifPKiS9_S9_iPKfiiiPfSC_PS2_PT2_iSB_SB_,"axG",@progbits,_Z39paged_attention_ll4mi_QKV_mfma16_kernelIDF16_DF16_LN4vllm18Fp8KVCacheDataTypeE0EhLi16ELi64ELi256ELb0ELi9EEvPKT_PKT0_S7_ifPKiS9_S9_iPKfiiiPfSC_PS2_PT2_iSB_SB_,comdat
.Lfunc_end46:
	.size	_Z39paged_attention_ll4mi_QKV_mfma16_kernelIDF16_DF16_LN4vllm18Fp8KVCacheDataTypeE0EhLi16ELi64ELi256ELb0ELi9EEvPKT_PKT0_S7_ifPKiS9_S9_iPKfiiiPfSC_PS2_PT2_iSB_SB_, .Lfunc_end46-_Z39paged_attention_ll4mi_QKV_mfma16_kernelIDF16_DF16_LN4vllm18Fp8KVCacheDataTypeE0EhLi16ELi64ELi256ELb0ELi9EEvPKT_PKT0_S7_ifPKiS9_S9_iPKfiiiPfSC_PS2_PT2_iSB_SB_
                                        ; -- End function
	.set _Z39paged_attention_ll4mi_QKV_mfma16_kernelIDF16_DF16_LN4vllm18Fp8KVCacheDataTypeE0EhLi16ELi64ELi256ELb0ELi9EEvPKT_PKT0_S7_ifPKiS9_S9_iPKfiiiPfSC_PS2_PT2_iSB_SB_.num_vgpr, max(3, .L__assert_fail.num_vgpr)
	.set _Z39paged_attention_ll4mi_QKV_mfma16_kernelIDF16_DF16_LN4vllm18Fp8KVCacheDataTypeE0EhLi16ELi64ELi256ELb0ELi9EEvPKT_PKT0_S7_ifPKiS9_S9_iPKfiiiPfSC_PS2_PT2_iSB_SB_.num_agpr, max(0, .L__assert_fail.num_agpr)
	.set _Z39paged_attention_ll4mi_QKV_mfma16_kernelIDF16_DF16_LN4vllm18Fp8KVCacheDataTypeE0EhLi16ELi64ELi256ELb0ELi9EEvPKT_PKT0_S7_ifPKiS9_S9_iPKfiiiPfSC_PS2_PT2_iSB_SB_.numbered_sgpr, max(33, .L__assert_fail.numbered_sgpr)
	.set _Z39paged_attention_ll4mi_QKV_mfma16_kernelIDF16_DF16_LN4vllm18Fp8KVCacheDataTypeE0EhLi16ELi64ELi256ELb0ELi9EEvPKT_PKT0_S7_ifPKiS9_S9_iPKfiiiPfSC_PS2_PT2_iSB_SB_.num_named_barrier, max(0, .L__assert_fail.num_named_barrier)
	.set _Z39paged_attention_ll4mi_QKV_mfma16_kernelIDF16_DF16_LN4vllm18Fp8KVCacheDataTypeE0EhLi16ELi64ELi256ELb0ELi9EEvPKT_PKT0_S7_ifPKiS9_S9_iPKfiiiPfSC_PS2_PT2_iSB_SB_.private_seg_size, 0+max(.L__assert_fail.private_seg_size)
	.set _Z39paged_attention_ll4mi_QKV_mfma16_kernelIDF16_DF16_LN4vllm18Fp8KVCacheDataTypeE0EhLi16ELi64ELi256ELb0ELi9EEvPKT_PKT0_S7_ifPKiS9_S9_iPKfiiiPfSC_PS2_PT2_iSB_SB_.uses_vcc, or(1, .L__assert_fail.uses_vcc)
	.set _Z39paged_attention_ll4mi_QKV_mfma16_kernelIDF16_DF16_LN4vllm18Fp8KVCacheDataTypeE0EhLi16ELi64ELi256ELb0ELi9EEvPKT_PKT0_S7_ifPKiS9_S9_iPKfiiiPfSC_PS2_PT2_iSB_SB_.uses_flat_scratch, or(0, .L__assert_fail.uses_flat_scratch)
	.set _Z39paged_attention_ll4mi_QKV_mfma16_kernelIDF16_DF16_LN4vllm18Fp8KVCacheDataTypeE0EhLi16ELi64ELi256ELb0ELi9EEvPKT_PKT0_S7_ifPKiS9_S9_iPKfiiiPfSC_PS2_PT2_iSB_SB_.has_dyn_sized_stack, or(0, .L__assert_fail.has_dyn_sized_stack)
	.set _Z39paged_attention_ll4mi_QKV_mfma16_kernelIDF16_DF16_LN4vllm18Fp8KVCacheDataTypeE0EhLi16ELi64ELi256ELb0ELi9EEvPKT_PKT0_S7_ifPKiS9_S9_iPKfiiiPfSC_PS2_PT2_iSB_SB_.has_recursion, or(0, .L__assert_fail.has_recursion)
	.set _Z39paged_attention_ll4mi_QKV_mfma16_kernelIDF16_DF16_LN4vllm18Fp8KVCacheDataTypeE0EhLi16ELi64ELi256ELb0ELi9EEvPKT_PKT0_S7_ifPKiS9_S9_iPKfiiiPfSC_PS2_PT2_iSB_SB_.has_indirect_call, or(0, .L__assert_fail.has_indirect_call)
	.section	.AMDGPU.csdata,"",@progbits
; Kernel info:
; codeLenInByte = 68
; TotalNumSgprs: 36
; NumVgprs: 51
; ScratchSize: 64
; MemoryBound: 0
; FloatMode: 240
; IeeeMode: 1
; LDSByteSize: 0 bytes/workgroup (compile time only)
; SGPRBlocks: 0
; VGPRBlocks: 3
; NumSGPRsForWavesPerEU: 36
; NumVGPRsForWavesPerEU: 51
; NamedBarCnt: 0
; Occupancy: 16
; WaveLimiterHint : 1
; COMPUTE_PGM_RSRC2:SCRATCH_EN: 1
; COMPUTE_PGM_RSRC2:USER_SGPR: 2
; COMPUTE_PGM_RSRC2:TRAP_HANDLER: 0
; COMPUTE_PGM_RSRC2:TGID_X_EN: 1
; COMPUTE_PGM_RSRC2:TGID_Y_EN: 0
; COMPUTE_PGM_RSRC2:TGID_Z_EN: 0
; COMPUTE_PGM_RSRC2:TIDIG_COMP_CNT: 0
	.section	.text._Z39paged_attention_ll4mi_QKV_mfma16_kernelIDF16_DF16_LN4vllm18Fp8KVCacheDataTypeE0EhLi16ELi64ELi256ELb0ELi10EEvPKT_PKT0_S7_ifPKiS9_S9_iPKfiiiPfSC_PS2_PT2_iSB_SB_,"axG",@progbits,_Z39paged_attention_ll4mi_QKV_mfma16_kernelIDF16_DF16_LN4vllm18Fp8KVCacheDataTypeE0EhLi16ELi64ELi256ELb0ELi10EEvPKT_PKT0_S7_ifPKiS9_S9_iPKfiiiPfSC_PS2_PT2_iSB_SB_,comdat
	.protected	_Z39paged_attention_ll4mi_QKV_mfma16_kernelIDF16_DF16_LN4vllm18Fp8KVCacheDataTypeE0EhLi16ELi64ELi256ELb0ELi10EEvPKT_PKT0_S7_ifPKiS9_S9_iPKfiiiPfSC_PS2_PT2_iSB_SB_ ; -- Begin function _Z39paged_attention_ll4mi_QKV_mfma16_kernelIDF16_DF16_LN4vllm18Fp8KVCacheDataTypeE0EhLi16ELi64ELi256ELb0ELi10EEvPKT_PKT0_S7_ifPKiS9_S9_iPKfiiiPfSC_PS2_PT2_iSB_SB_
	.globl	_Z39paged_attention_ll4mi_QKV_mfma16_kernelIDF16_DF16_LN4vllm18Fp8KVCacheDataTypeE0EhLi16ELi64ELi256ELb0ELi10EEvPKT_PKT0_S7_ifPKiS9_S9_iPKfiiiPfSC_PS2_PT2_iSB_SB_
	.p2align	8
	.type	_Z39paged_attention_ll4mi_QKV_mfma16_kernelIDF16_DF16_LN4vllm18Fp8KVCacheDataTypeE0EhLi16ELi64ELi256ELb0ELi10EEvPKT_PKT0_S7_ifPKiS9_S9_iPKfiiiPfSC_PS2_PT2_iSB_SB_,@function
_Z39paged_attention_ll4mi_QKV_mfma16_kernelIDF16_DF16_LN4vllm18Fp8KVCacheDataTypeE0EhLi16ELi64ELi256ELb0ELi10EEvPKT_PKT0_S7_ifPKiS9_S9_iPKfiiiPfSC_PS2_PT2_iSB_SB_: ; @_Z39paged_attention_ll4mi_QKV_mfma16_kernelIDF16_DF16_LN4vllm18Fp8KVCacheDataTypeE0EhLi16ELi64ELi256ELb0ELi10EEvPKT_PKT0_S7_ifPKiS9_S9_iPKfiiiPfSC_PS2_PT2_iSB_SB_
; %bb.0:
	s_get_pc_i64 s[2:3]
	s_add_nc_u64 s[2:3], s[2:3], __PRETTY_FUNCTION__._Z39paged_attention_ll4mi_QKV_mfma16_kernelIDF16_DF16_LN4vllm18Fp8KVCacheDataTypeE0EhLi16ELi64ELi256ELb0ELi10EEvPKT_PKT0_S7_ifPKiS9_S9_iPKfiiiPfSC_PS2_PT2_iSB_SB_@rel64+4
	s_delay_alu instid0(SALU_CYCLE_1)
	v_dual_mov_b32 v0, 0xbb3 :: v_dual_mov_b32 v1, s2
	v_mov_b32_e32 v2, s3
	s_add_nc_u64 s[8:9], s[0:1], 0x90
	s_get_pc_i64 s[0:1]
	s_add_nc_u64 s[0:1], s[0:1], __assert_fail@rel64+4
	s_mov_b32 s32, 0
	s_swap_pc_i64 s[30:31], s[0:1]
	.section	.rodata,"a",@progbits
	.p2align	6, 0x0
	.amdhsa_kernel _Z39paged_attention_ll4mi_QKV_mfma16_kernelIDF16_DF16_LN4vllm18Fp8KVCacheDataTypeE0EhLi16ELi64ELi256ELb0ELi10EEvPKT_PKT0_S7_ifPKiS9_S9_iPKfiiiPfSC_PS2_PT2_iSB_SB_
		.amdhsa_group_segment_fixed_size 0
		.amdhsa_private_segment_fixed_size 64
		.amdhsa_kernarg_size 400
		.amdhsa_user_sgpr_count 2
		.amdhsa_user_sgpr_dispatch_ptr 0
		.amdhsa_user_sgpr_queue_ptr 0
		.amdhsa_user_sgpr_kernarg_segment_ptr 1
		.amdhsa_user_sgpr_dispatch_id 0
		.amdhsa_user_sgpr_kernarg_preload_length 0
		.amdhsa_user_sgpr_kernarg_preload_offset 0
		.amdhsa_user_sgpr_private_segment_size 0
		.amdhsa_wavefront_size32 1
		.amdhsa_uses_dynamic_stack 0
		.amdhsa_enable_private_segment 1
		.amdhsa_system_sgpr_workgroup_id_x 1
		.amdhsa_system_sgpr_workgroup_id_y 0
		.amdhsa_system_sgpr_workgroup_id_z 0
		.amdhsa_system_sgpr_workgroup_info 0
		.amdhsa_system_vgpr_workitem_id 0
		.amdhsa_next_free_vgpr 51
		.amdhsa_next_free_sgpr 34
		.amdhsa_named_barrier_count 0
		.amdhsa_reserve_vcc 1
		.amdhsa_float_round_mode_32 0
		.amdhsa_float_round_mode_16_64 0
		.amdhsa_float_denorm_mode_32 3
		.amdhsa_float_denorm_mode_16_64 3
		.amdhsa_fp16_overflow 0
		.amdhsa_memory_ordered 1
		.amdhsa_forward_progress 1
		.amdhsa_inst_pref_size 1
		.amdhsa_round_robin_scheduling 0
		.amdhsa_exception_fp_ieee_invalid_op 0
		.amdhsa_exception_fp_denorm_src 0
		.amdhsa_exception_fp_ieee_div_zero 0
		.amdhsa_exception_fp_ieee_overflow 0
		.amdhsa_exception_fp_ieee_underflow 0
		.amdhsa_exception_fp_ieee_inexact 0
		.amdhsa_exception_int_div_zero 0
	.end_amdhsa_kernel
	.section	.text._Z39paged_attention_ll4mi_QKV_mfma16_kernelIDF16_DF16_LN4vllm18Fp8KVCacheDataTypeE0EhLi16ELi64ELi256ELb0ELi10EEvPKT_PKT0_S7_ifPKiS9_S9_iPKfiiiPfSC_PS2_PT2_iSB_SB_,"axG",@progbits,_Z39paged_attention_ll4mi_QKV_mfma16_kernelIDF16_DF16_LN4vllm18Fp8KVCacheDataTypeE0EhLi16ELi64ELi256ELb0ELi10EEvPKT_PKT0_S7_ifPKiS9_S9_iPKfiiiPfSC_PS2_PT2_iSB_SB_,comdat
.Lfunc_end47:
	.size	_Z39paged_attention_ll4mi_QKV_mfma16_kernelIDF16_DF16_LN4vllm18Fp8KVCacheDataTypeE0EhLi16ELi64ELi256ELb0ELi10EEvPKT_PKT0_S7_ifPKiS9_S9_iPKfiiiPfSC_PS2_PT2_iSB_SB_, .Lfunc_end47-_Z39paged_attention_ll4mi_QKV_mfma16_kernelIDF16_DF16_LN4vllm18Fp8KVCacheDataTypeE0EhLi16ELi64ELi256ELb0ELi10EEvPKT_PKT0_S7_ifPKiS9_S9_iPKfiiiPfSC_PS2_PT2_iSB_SB_
                                        ; -- End function
	.set _Z39paged_attention_ll4mi_QKV_mfma16_kernelIDF16_DF16_LN4vllm18Fp8KVCacheDataTypeE0EhLi16ELi64ELi256ELb0ELi10EEvPKT_PKT0_S7_ifPKiS9_S9_iPKfiiiPfSC_PS2_PT2_iSB_SB_.num_vgpr, max(3, .L__assert_fail.num_vgpr)
	.set _Z39paged_attention_ll4mi_QKV_mfma16_kernelIDF16_DF16_LN4vllm18Fp8KVCacheDataTypeE0EhLi16ELi64ELi256ELb0ELi10EEvPKT_PKT0_S7_ifPKiS9_S9_iPKfiiiPfSC_PS2_PT2_iSB_SB_.num_agpr, max(0, .L__assert_fail.num_agpr)
	.set _Z39paged_attention_ll4mi_QKV_mfma16_kernelIDF16_DF16_LN4vllm18Fp8KVCacheDataTypeE0EhLi16ELi64ELi256ELb0ELi10EEvPKT_PKT0_S7_ifPKiS9_S9_iPKfiiiPfSC_PS2_PT2_iSB_SB_.numbered_sgpr, max(33, .L__assert_fail.numbered_sgpr)
	.set _Z39paged_attention_ll4mi_QKV_mfma16_kernelIDF16_DF16_LN4vllm18Fp8KVCacheDataTypeE0EhLi16ELi64ELi256ELb0ELi10EEvPKT_PKT0_S7_ifPKiS9_S9_iPKfiiiPfSC_PS2_PT2_iSB_SB_.num_named_barrier, max(0, .L__assert_fail.num_named_barrier)
	.set _Z39paged_attention_ll4mi_QKV_mfma16_kernelIDF16_DF16_LN4vllm18Fp8KVCacheDataTypeE0EhLi16ELi64ELi256ELb0ELi10EEvPKT_PKT0_S7_ifPKiS9_S9_iPKfiiiPfSC_PS2_PT2_iSB_SB_.private_seg_size, 0+max(.L__assert_fail.private_seg_size)
	.set _Z39paged_attention_ll4mi_QKV_mfma16_kernelIDF16_DF16_LN4vllm18Fp8KVCacheDataTypeE0EhLi16ELi64ELi256ELb0ELi10EEvPKT_PKT0_S7_ifPKiS9_S9_iPKfiiiPfSC_PS2_PT2_iSB_SB_.uses_vcc, or(1, .L__assert_fail.uses_vcc)
	.set _Z39paged_attention_ll4mi_QKV_mfma16_kernelIDF16_DF16_LN4vllm18Fp8KVCacheDataTypeE0EhLi16ELi64ELi256ELb0ELi10EEvPKT_PKT0_S7_ifPKiS9_S9_iPKfiiiPfSC_PS2_PT2_iSB_SB_.uses_flat_scratch, or(0, .L__assert_fail.uses_flat_scratch)
	.set _Z39paged_attention_ll4mi_QKV_mfma16_kernelIDF16_DF16_LN4vllm18Fp8KVCacheDataTypeE0EhLi16ELi64ELi256ELb0ELi10EEvPKT_PKT0_S7_ifPKiS9_S9_iPKfiiiPfSC_PS2_PT2_iSB_SB_.has_dyn_sized_stack, or(0, .L__assert_fail.has_dyn_sized_stack)
	.set _Z39paged_attention_ll4mi_QKV_mfma16_kernelIDF16_DF16_LN4vllm18Fp8KVCacheDataTypeE0EhLi16ELi64ELi256ELb0ELi10EEvPKT_PKT0_S7_ifPKiS9_S9_iPKfiiiPfSC_PS2_PT2_iSB_SB_.has_recursion, or(0, .L__assert_fail.has_recursion)
	.set _Z39paged_attention_ll4mi_QKV_mfma16_kernelIDF16_DF16_LN4vllm18Fp8KVCacheDataTypeE0EhLi16ELi64ELi256ELb0ELi10EEvPKT_PKT0_S7_ifPKiS9_S9_iPKfiiiPfSC_PS2_PT2_iSB_SB_.has_indirect_call, or(0, .L__assert_fail.has_indirect_call)
	.section	.AMDGPU.csdata,"",@progbits
; Kernel info:
; codeLenInByte = 68
; TotalNumSgprs: 36
; NumVgprs: 51
; ScratchSize: 64
; MemoryBound: 0
; FloatMode: 240
; IeeeMode: 1
; LDSByteSize: 0 bytes/workgroup (compile time only)
; SGPRBlocks: 0
; VGPRBlocks: 3
; NumSGPRsForWavesPerEU: 36
; NumVGPRsForWavesPerEU: 51
; NamedBarCnt: 0
; Occupancy: 16
; WaveLimiterHint : 1
; COMPUTE_PGM_RSRC2:SCRATCH_EN: 1
; COMPUTE_PGM_RSRC2:USER_SGPR: 2
; COMPUTE_PGM_RSRC2:TRAP_HANDLER: 0
; COMPUTE_PGM_RSRC2:TGID_X_EN: 1
; COMPUTE_PGM_RSRC2:TGID_Y_EN: 0
; COMPUTE_PGM_RSRC2:TGID_Z_EN: 0
; COMPUTE_PGM_RSRC2:TIDIG_COMP_CNT: 0
	.section	.text._Z39paged_attention_ll4mi_QKV_mfma16_kernelIDF16_DF16_LN4vllm18Fp8KVCacheDataTypeE0EhLi16ELi64ELi256ELb0ELi11EEvPKT_PKT0_S7_ifPKiS9_S9_iPKfiiiPfSC_PS2_PT2_iSB_SB_,"axG",@progbits,_Z39paged_attention_ll4mi_QKV_mfma16_kernelIDF16_DF16_LN4vllm18Fp8KVCacheDataTypeE0EhLi16ELi64ELi256ELb0ELi11EEvPKT_PKT0_S7_ifPKiS9_S9_iPKfiiiPfSC_PS2_PT2_iSB_SB_,comdat
	.protected	_Z39paged_attention_ll4mi_QKV_mfma16_kernelIDF16_DF16_LN4vllm18Fp8KVCacheDataTypeE0EhLi16ELi64ELi256ELb0ELi11EEvPKT_PKT0_S7_ifPKiS9_S9_iPKfiiiPfSC_PS2_PT2_iSB_SB_ ; -- Begin function _Z39paged_attention_ll4mi_QKV_mfma16_kernelIDF16_DF16_LN4vllm18Fp8KVCacheDataTypeE0EhLi16ELi64ELi256ELb0ELi11EEvPKT_PKT0_S7_ifPKiS9_S9_iPKfiiiPfSC_PS2_PT2_iSB_SB_
	.globl	_Z39paged_attention_ll4mi_QKV_mfma16_kernelIDF16_DF16_LN4vllm18Fp8KVCacheDataTypeE0EhLi16ELi64ELi256ELb0ELi11EEvPKT_PKT0_S7_ifPKiS9_S9_iPKfiiiPfSC_PS2_PT2_iSB_SB_
	.p2align	8
	.type	_Z39paged_attention_ll4mi_QKV_mfma16_kernelIDF16_DF16_LN4vllm18Fp8KVCacheDataTypeE0EhLi16ELi64ELi256ELb0ELi11EEvPKT_PKT0_S7_ifPKiS9_S9_iPKfiiiPfSC_PS2_PT2_iSB_SB_,@function
_Z39paged_attention_ll4mi_QKV_mfma16_kernelIDF16_DF16_LN4vllm18Fp8KVCacheDataTypeE0EhLi16ELi64ELi256ELb0ELi11EEvPKT_PKT0_S7_ifPKiS9_S9_iPKfiiiPfSC_PS2_PT2_iSB_SB_: ; @_Z39paged_attention_ll4mi_QKV_mfma16_kernelIDF16_DF16_LN4vllm18Fp8KVCacheDataTypeE0EhLi16ELi64ELi256ELb0ELi11EEvPKT_PKT0_S7_ifPKiS9_S9_iPKfiiiPfSC_PS2_PT2_iSB_SB_
; %bb.0:
	s_get_pc_i64 s[2:3]
	s_add_nc_u64 s[2:3], s[2:3], __PRETTY_FUNCTION__._Z39paged_attention_ll4mi_QKV_mfma16_kernelIDF16_DF16_LN4vllm18Fp8KVCacheDataTypeE0EhLi16ELi64ELi256ELb0ELi11EEvPKT_PKT0_S7_ifPKiS9_S9_iPKfiiiPfSC_PS2_PT2_iSB_SB_@rel64+4
	s_delay_alu instid0(SALU_CYCLE_1)
	v_dual_mov_b32 v0, 0xbb3 :: v_dual_mov_b32 v1, s2
	v_mov_b32_e32 v2, s3
	s_add_nc_u64 s[8:9], s[0:1], 0x90
	s_get_pc_i64 s[0:1]
	s_add_nc_u64 s[0:1], s[0:1], __assert_fail@rel64+4
	s_mov_b32 s32, 0
	s_swap_pc_i64 s[30:31], s[0:1]
	.section	.rodata,"a",@progbits
	.p2align	6, 0x0
	.amdhsa_kernel _Z39paged_attention_ll4mi_QKV_mfma16_kernelIDF16_DF16_LN4vllm18Fp8KVCacheDataTypeE0EhLi16ELi64ELi256ELb0ELi11EEvPKT_PKT0_S7_ifPKiS9_S9_iPKfiiiPfSC_PS2_PT2_iSB_SB_
		.amdhsa_group_segment_fixed_size 0
		.amdhsa_private_segment_fixed_size 64
		.amdhsa_kernarg_size 400
		.amdhsa_user_sgpr_count 2
		.amdhsa_user_sgpr_dispatch_ptr 0
		.amdhsa_user_sgpr_queue_ptr 0
		.amdhsa_user_sgpr_kernarg_segment_ptr 1
		.amdhsa_user_sgpr_dispatch_id 0
		.amdhsa_user_sgpr_kernarg_preload_length 0
		.amdhsa_user_sgpr_kernarg_preload_offset 0
		.amdhsa_user_sgpr_private_segment_size 0
		.amdhsa_wavefront_size32 1
		.amdhsa_uses_dynamic_stack 0
		.amdhsa_enable_private_segment 1
		.amdhsa_system_sgpr_workgroup_id_x 1
		.amdhsa_system_sgpr_workgroup_id_y 0
		.amdhsa_system_sgpr_workgroup_id_z 0
		.amdhsa_system_sgpr_workgroup_info 0
		.amdhsa_system_vgpr_workitem_id 0
		.amdhsa_next_free_vgpr 51
		.amdhsa_next_free_sgpr 34
		.amdhsa_named_barrier_count 0
		.amdhsa_reserve_vcc 1
		.amdhsa_float_round_mode_32 0
		.amdhsa_float_round_mode_16_64 0
		.amdhsa_float_denorm_mode_32 3
		.amdhsa_float_denorm_mode_16_64 3
		.amdhsa_fp16_overflow 0
		.amdhsa_memory_ordered 1
		.amdhsa_forward_progress 1
		.amdhsa_inst_pref_size 1
		.amdhsa_round_robin_scheduling 0
		.amdhsa_exception_fp_ieee_invalid_op 0
		.amdhsa_exception_fp_denorm_src 0
		.amdhsa_exception_fp_ieee_div_zero 0
		.amdhsa_exception_fp_ieee_overflow 0
		.amdhsa_exception_fp_ieee_underflow 0
		.amdhsa_exception_fp_ieee_inexact 0
		.amdhsa_exception_int_div_zero 0
	.end_amdhsa_kernel
	.section	.text._Z39paged_attention_ll4mi_QKV_mfma16_kernelIDF16_DF16_LN4vllm18Fp8KVCacheDataTypeE0EhLi16ELi64ELi256ELb0ELi11EEvPKT_PKT0_S7_ifPKiS9_S9_iPKfiiiPfSC_PS2_PT2_iSB_SB_,"axG",@progbits,_Z39paged_attention_ll4mi_QKV_mfma16_kernelIDF16_DF16_LN4vllm18Fp8KVCacheDataTypeE0EhLi16ELi64ELi256ELb0ELi11EEvPKT_PKT0_S7_ifPKiS9_S9_iPKfiiiPfSC_PS2_PT2_iSB_SB_,comdat
.Lfunc_end48:
	.size	_Z39paged_attention_ll4mi_QKV_mfma16_kernelIDF16_DF16_LN4vllm18Fp8KVCacheDataTypeE0EhLi16ELi64ELi256ELb0ELi11EEvPKT_PKT0_S7_ifPKiS9_S9_iPKfiiiPfSC_PS2_PT2_iSB_SB_, .Lfunc_end48-_Z39paged_attention_ll4mi_QKV_mfma16_kernelIDF16_DF16_LN4vllm18Fp8KVCacheDataTypeE0EhLi16ELi64ELi256ELb0ELi11EEvPKT_PKT0_S7_ifPKiS9_S9_iPKfiiiPfSC_PS2_PT2_iSB_SB_
                                        ; -- End function
	.set _Z39paged_attention_ll4mi_QKV_mfma16_kernelIDF16_DF16_LN4vllm18Fp8KVCacheDataTypeE0EhLi16ELi64ELi256ELb0ELi11EEvPKT_PKT0_S7_ifPKiS9_S9_iPKfiiiPfSC_PS2_PT2_iSB_SB_.num_vgpr, max(3, .L__assert_fail.num_vgpr)
	.set _Z39paged_attention_ll4mi_QKV_mfma16_kernelIDF16_DF16_LN4vllm18Fp8KVCacheDataTypeE0EhLi16ELi64ELi256ELb0ELi11EEvPKT_PKT0_S7_ifPKiS9_S9_iPKfiiiPfSC_PS2_PT2_iSB_SB_.num_agpr, max(0, .L__assert_fail.num_agpr)
	.set _Z39paged_attention_ll4mi_QKV_mfma16_kernelIDF16_DF16_LN4vllm18Fp8KVCacheDataTypeE0EhLi16ELi64ELi256ELb0ELi11EEvPKT_PKT0_S7_ifPKiS9_S9_iPKfiiiPfSC_PS2_PT2_iSB_SB_.numbered_sgpr, max(33, .L__assert_fail.numbered_sgpr)
	.set _Z39paged_attention_ll4mi_QKV_mfma16_kernelIDF16_DF16_LN4vllm18Fp8KVCacheDataTypeE0EhLi16ELi64ELi256ELb0ELi11EEvPKT_PKT0_S7_ifPKiS9_S9_iPKfiiiPfSC_PS2_PT2_iSB_SB_.num_named_barrier, max(0, .L__assert_fail.num_named_barrier)
	.set _Z39paged_attention_ll4mi_QKV_mfma16_kernelIDF16_DF16_LN4vllm18Fp8KVCacheDataTypeE0EhLi16ELi64ELi256ELb0ELi11EEvPKT_PKT0_S7_ifPKiS9_S9_iPKfiiiPfSC_PS2_PT2_iSB_SB_.private_seg_size, 0+max(.L__assert_fail.private_seg_size)
	.set _Z39paged_attention_ll4mi_QKV_mfma16_kernelIDF16_DF16_LN4vllm18Fp8KVCacheDataTypeE0EhLi16ELi64ELi256ELb0ELi11EEvPKT_PKT0_S7_ifPKiS9_S9_iPKfiiiPfSC_PS2_PT2_iSB_SB_.uses_vcc, or(1, .L__assert_fail.uses_vcc)
	.set _Z39paged_attention_ll4mi_QKV_mfma16_kernelIDF16_DF16_LN4vllm18Fp8KVCacheDataTypeE0EhLi16ELi64ELi256ELb0ELi11EEvPKT_PKT0_S7_ifPKiS9_S9_iPKfiiiPfSC_PS2_PT2_iSB_SB_.uses_flat_scratch, or(0, .L__assert_fail.uses_flat_scratch)
	.set _Z39paged_attention_ll4mi_QKV_mfma16_kernelIDF16_DF16_LN4vllm18Fp8KVCacheDataTypeE0EhLi16ELi64ELi256ELb0ELi11EEvPKT_PKT0_S7_ifPKiS9_S9_iPKfiiiPfSC_PS2_PT2_iSB_SB_.has_dyn_sized_stack, or(0, .L__assert_fail.has_dyn_sized_stack)
	.set _Z39paged_attention_ll4mi_QKV_mfma16_kernelIDF16_DF16_LN4vllm18Fp8KVCacheDataTypeE0EhLi16ELi64ELi256ELb0ELi11EEvPKT_PKT0_S7_ifPKiS9_S9_iPKfiiiPfSC_PS2_PT2_iSB_SB_.has_recursion, or(0, .L__assert_fail.has_recursion)
	.set _Z39paged_attention_ll4mi_QKV_mfma16_kernelIDF16_DF16_LN4vllm18Fp8KVCacheDataTypeE0EhLi16ELi64ELi256ELb0ELi11EEvPKT_PKT0_S7_ifPKiS9_S9_iPKfiiiPfSC_PS2_PT2_iSB_SB_.has_indirect_call, or(0, .L__assert_fail.has_indirect_call)
	.section	.AMDGPU.csdata,"",@progbits
; Kernel info:
; codeLenInByte = 68
; TotalNumSgprs: 36
; NumVgprs: 51
; ScratchSize: 64
; MemoryBound: 0
; FloatMode: 240
; IeeeMode: 1
; LDSByteSize: 0 bytes/workgroup (compile time only)
; SGPRBlocks: 0
; VGPRBlocks: 3
; NumSGPRsForWavesPerEU: 36
; NumVGPRsForWavesPerEU: 51
; NamedBarCnt: 0
; Occupancy: 16
; WaveLimiterHint : 1
; COMPUTE_PGM_RSRC2:SCRATCH_EN: 1
; COMPUTE_PGM_RSRC2:USER_SGPR: 2
; COMPUTE_PGM_RSRC2:TRAP_HANDLER: 0
; COMPUTE_PGM_RSRC2:TGID_X_EN: 1
; COMPUTE_PGM_RSRC2:TGID_Y_EN: 0
; COMPUTE_PGM_RSRC2:TGID_Z_EN: 0
; COMPUTE_PGM_RSRC2:TIDIG_COMP_CNT: 0
	.section	.text._Z39paged_attention_ll4mi_QKV_mfma16_kernelIDF16_DF16_LN4vllm18Fp8KVCacheDataTypeE0EhLi16ELi64ELi256ELb0ELi12EEvPKT_PKT0_S7_ifPKiS9_S9_iPKfiiiPfSC_PS2_PT2_iSB_SB_,"axG",@progbits,_Z39paged_attention_ll4mi_QKV_mfma16_kernelIDF16_DF16_LN4vllm18Fp8KVCacheDataTypeE0EhLi16ELi64ELi256ELb0ELi12EEvPKT_PKT0_S7_ifPKiS9_S9_iPKfiiiPfSC_PS2_PT2_iSB_SB_,comdat
	.protected	_Z39paged_attention_ll4mi_QKV_mfma16_kernelIDF16_DF16_LN4vllm18Fp8KVCacheDataTypeE0EhLi16ELi64ELi256ELb0ELi12EEvPKT_PKT0_S7_ifPKiS9_S9_iPKfiiiPfSC_PS2_PT2_iSB_SB_ ; -- Begin function _Z39paged_attention_ll4mi_QKV_mfma16_kernelIDF16_DF16_LN4vllm18Fp8KVCacheDataTypeE0EhLi16ELi64ELi256ELb0ELi12EEvPKT_PKT0_S7_ifPKiS9_S9_iPKfiiiPfSC_PS2_PT2_iSB_SB_
	.globl	_Z39paged_attention_ll4mi_QKV_mfma16_kernelIDF16_DF16_LN4vllm18Fp8KVCacheDataTypeE0EhLi16ELi64ELi256ELb0ELi12EEvPKT_PKT0_S7_ifPKiS9_S9_iPKfiiiPfSC_PS2_PT2_iSB_SB_
	.p2align	8
	.type	_Z39paged_attention_ll4mi_QKV_mfma16_kernelIDF16_DF16_LN4vllm18Fp8KVCacheDataTypeE0EhLi16ELi64ELi256ELb0ELi12EEvPKT_PKT0_S7_ifPKiS9_S9_iPKfiiiPfSC_PS2_PT2_iSB_SB_,@function
_Z39paged_attention_ll4mi_QKV_mfma16_kernelIDF16_DF16_LN4vllm18Fp8KVCacheDataTypeE0EhLi16ELi64ELi256ELb0ELi12EEvPKT_PKT0_S7_ifPKiS9_S9_iPKfiiiPfSC_PS2_PT2_iSB_SB_: ; @_Z39paged_attention_ll4mi_QKV_mfma16_kernelIDF16_DF16_LN4vllm18Fp8KVCacheDataTypeE0EhLi16ELi64ELi256ELb0ELi12EEvPKT_PKT0_S7_ifPKiS9_S9_iPKfiiiPfSC_PS2_PT2_iSB_SB_
; %bb.0:
	s_get_pc_i64 s[2:3]
	s_add_nc_u64 s[2:3], s[2:3], __PRETTY_FUNCTION__._Z39paged_attention_ll4mi_QKV_mfma16_kernelIDF16_DF16_LN4vllm18Fp8KVCacheDataTypeE0EhLi16ELi64ELi256ELb0ELi12EEvPKT_PKT0_S7_ifPKiS9_S9_iPKfiiiPfSC_PS2_PT2_iSB_SB_@rel64+4
	s_delay_alu instid0(SALU_CYCLE_1)
	v_dual_mov_b32 v0, 0xbb3 :: v_dual_mov_b32 v1, s2
	v_mov_b32_e32 v2, s3
	s_add_nc_u64 s[8:9], s[0:1], 0x90
	s_get_pc_i64 s[0:1]
	s_add_nc_u64 s[0:1], s[0:1], __assert_fail@rel64+4
	s_mov_b32 s32, 0
	s_swap_pc_i64 s[30:31], s[0:1]
	.section	.rodata,"a",@progbits
	.p2align	6, 0x0
	.amdhsa_kernel _Z39paged_attention_ll4mi_QKV_mfma16_kernelIDF16_DF16_LN4vllm18Fp8KVCacheDataTypeE0EhLi16ELi64ELi256ELb0ELi12EEvPKT_PKT0_S7_ifPKiS9_S9_iPKfiiiPfSC_PS2_PT2_iSB_SB_
		.amdhsa_group_segment_fixed_size 0
		.amdhsa_private_segment_fixed_size 64
		.amdhsa_kernarg_size 400
		.amdhsa_user_sgpr_count 2
		.amdhsa_user_sgpr_dispatch_ptr 0
		.amdhsa_user_sgpr_queue_ptr 0
		.amdhsa_user_sgpr_kernarg_segment_ptr 1
		.amdhsa_user_sgpr_dispatch_id 0
		.amdhsa_user_sgpr_kernarg_preload_length 0
		.amdhsa_user_sgpr_kernarg_preload_offset 0
		.amdhsa_user_sgpr_private_segment_size 0
		.amdhsa_wavefront_size32 1
		.amdhsa_uses_dynamic_stack 0
		.amdhsa_enable_private_segment 1
		.amdhsa_system_sgpr_workgroup_id_x 1
		.amdhsa_system_sgpr_workgroup_id_y 0
		.amdhsa_system_sgpr_workgroup_id_z 0
		.amdhsa_system_sgpr_workgroup_info 0
		.amdhsa_system_vgpr_workitem_id 0
		.amdhsa_next_free_vgpr 51
		.amdhsa_next_free_sgpr 34
		.amdhsa_named_barrier_count 0
		.amdhsa_reserve_vcc 1
		.amdhsa_float_round_mode_32 0
		.amdhsa_float_round_mode_16_64 0
		.amdhsa_float_denorm_mode_32 3
		.amdhsa_float_denorm_mode_16_64 3
		.amdhsa_fp16_overflow 0
		.amdhsa_memory_ordered 1
		.amdhsa_forward_progress 1
		.amdhsa_inst_pref_size 1
		.amdhsa_round_robin_scheduling 0
		.amdhsa_exception_fp_ieee_invalid_op 0
		.amdhsa_exception_fp_denorm_src 0
		.amdhsa_exception_fp_ieee_div_zero 0
		.amdhsa_exception_fp_ieee_overflow 0
		.amdhsa_exception_fp_ieee_underflow 0
		.amdhsa_exception_fp_ieee_inexact 0
		.amdhsa_exception_int_div_zero 0
	.end_amdhsa_kernel
	.section	.text._Z39paged_attention_ll4mi_QKV_mfma16_kernelIDF16_DF16_LN4vllm18Fp8KVCacheDataTypeE0EhLi16ELi64ELi256ELb0ELi12EEvPKT_PKT0_S7_ifPKiS9_S9_iPKfiiiPfSC_PS2_PT2_iSB_SB_,"axG",@progbits,_Z39paged_attention_ll4mi_QKV_mfma16_kernelIDF16_DF16_LN4vllm18Fp8KVCacheDataTypeE0EhLi16ELi64ELi256ELb0ELi12EEvPKT_PKT0_S7_ifPKiS9_S9_iPKfiiiPfSC_PS2_PT2_iSB_SB_,comdat
.Lfunc_end49:
	.size	_Z39paged_attention_ll4mi_QKV_mfma16_kernelIDF16_DF16_LN4vllm18Fp8KVCacheDataTypeE0EhLi16ELi64ELi256ELb0ELi12EEvPKT_PKT0_S7_ifPKiS9_S9_iPKfiiiPfSC_PS2_PT2_iSB_SB_, .Lfunc_end49-_Z39paged_attention_ll4mi_QKV_mfma16_kernelIDF16_DF16_LN4vllm18Fp8KVCacheDataTypeE0EhLi16ELi64ELi256ELb0ELi12EEvPKT_PKT0_S7_ifPKiS9_S9_iPKfiiiPfSC_PS2_PT2_iSB_SB_
                                        ; -- End function
	.set _Z39paged_attention_ll4mi_QKV_mfma16_kernelIDF16_DF16_LN4vllm18Fp8KVCacheDataTypeE0EhLi16ELi64ELi256ELb0ELi12EEvPKT_PKT0_S7_ifPKiS9_S9_iPKfiiiPfSC_PS2_PT2_iSB_SB_.num_vgpr, max(3, .L__assert_fail.num_vgpr)
	.set _Z39paged_attention_ll4mi_QKV_mfma16_kernelIDF16_DF16_LN4vllm18Fp8KVCacheDataTypeE0EhLi16ELi64ELi256ELb0ELi12EEvPKT_PKT0_S7_ifPKiS9_S9_iPKfiiiPfSC_PS2_PT2_iSB_SB_.num_agpr, max(0, .L__assert_fail.num_agpr)
	.set _Z39paged_attention_ll4mi_QKV_mfma16_kernelIDF16_DF16_LN4vllm18Fp8KVCacheDataTypeE0EhLi16ELi64ELi256ELb0ELi12EEvPKT_PKT0_S7_ifPKiS9_S9_iPKfiiiPfSC_PS2_PT2_iSB_SB_.numbered_sgpr, max(33, .L__assert_fail.numbered_sgpr)
	.set _Z39paged_attention_ll4mi_QKV_mfma16_kernelIDF16_DF16_LN4vllm18Fp8KVCacheDataTypeE0EhLi16ELi64ELi256ELb0ELi12EEvPKT_PKT0_S7_ifPKiS9_S9_iPKfiiiPfSC_PS2_PT2_iSB_SB_.num_named_barrier, max(0, .L__assert_fail.num_named_barrier)
	.set _Z39paged_attention_ll4mi_QKV_mfma16_kernelIDF16_DF16_LN4vllm18Fp8KVCacheDataTypeE0EhLi16ELi64ELi256ELb0ELi12EEvPKT_PKT0_S7_ifPKiS9_S9_iPKfiiiPfSC_PS2_PT2_iSB_SB_.private_seg_size, 0+max(.L__assert_fail.private_seg_size)
	.set _Z39paged_attention_ll4mi_QKV_mfma16_kernelIDF16_DF16_LN4vllm18Fp8KVCacheDataTypeE0EhLi16ELi64ELi256ELb0ELi12EEvPKT_PKT0_S7_ifPKiS9_S9_iPKfiiiPfSC_PS2_PT2_iSB_SB_.uses_vcc, or(1, .L__assert_fail.uses_vcc)
	.set _Z39paged_attention_ll4mi_QKV_mfma16_kernelIDF16_DF16_LN4vllm18Fp8KVCacheDataTypeE0EhLi16ELi64ELi256ELb0ELi12EEvPKT_PKT0_S7_ifPKiS9_S9_iPKfiiiPfSC_PS2_PT2_iSB_SB_.uses_flat_scratch, or(0, .L__assert_fail.uses_flat_scratch)
	.set _Z39paged_attention_ll4mi_QKV_mfma16_kernelIDF16_DF16_LN4vllm18Fp8KVCacheDataTypeE0EhLi16ELi64ELi256ELb0ELi12EEvPKT_PKT0_S7_ifPKiS9_S9_iPKfiiiPfSC_PS2_PT2_iSB_SB_.has_dyn_sized_stack, or(0, .L__assert_fail.has_dyn_sized_stack)
	.set _Z39paged_attention_ll4mi_QKV_mfma16_kernelIDF16_DF16_LN4vllm18Fp8KVCacheDataTypeE0EhLi16ELi64ELi256ELb0ELi12EEvPKT_PKT0_S7_ifPKiS9_S9_iPKfiiiPfSC_PS2_PT2_iSB_SB_.has_recursion, or(0, .L__assert_fail.has_recursion)
	.set _Z39paged_attention_ll4mi_QKV_mfma16_kernelIDF16_DF16_LN4vllm18Fp8KVCacheDataTypeE0EhLi16ELi64ELi256ELb0ELi12EEvPKT_PKT0_S7_ifPKiS9_S9_iPKfiiiPfSC_PS2_PT2_iSB_SB_.has_indirect_call, or(0, .L__assert_fail.has_indirect_call)
	.section	.AMDGPU.csdata,"",@progbits
; Kernel info:
; codeLenInByte = 68
; TotalNumSgprs: 36
; NumVgprs: 51
; ScratchSize: 64
; MemoryBound: 0
; FloatMode: 240
; IeeeMode: 1
; LDSByteSize: 0 bytes/workgroup (compile time only)
; SGPRBlocks: 0
; VGPRBlocks: 3
; NumSGPRsForWavesPerEU: 36
; NumVGPRsForWavesPerEU: 51
; NamedBarCnt: 0
; Occupancy: 16
; WaveLimiterHint : 1
; COMPUTE_PGM_RSRC2:SCRATCH_EN: 1
; COMPUTE_PGM_RSRC2:USER_SGPR: 2
; COMPUTE_PGM_RSRC2:TRAP_HANDLER: 0
; COMPUTE_PGM_RSRC2:TGID_X_EN: 1
; COMPUTE_PGM_RSRC2:TGID_Y_EN: 0
; COMPUTE_PGM_RSRC2:TGID_Z_EN: 0
; COMPUTE_PGM_RSRC2:TIDIG_COMP_CNT: 0
	.section	.text._Z39paged_attention_ll4mi_QKV_mfma16_kernelIDF16_DF16_LN4vllm18Fp8KVCacheDataTypeE0EhLi16ELi64ELi256ELb0ELi13EEvPKT_PKT0_S7_ifPKiS9_S9_iPKfiiiPfSC_PS2_PT2_iSB_SB_,"axG",@progbits,_Z39paged_attention_ll4mi_QKV_mfma16_kernelIDF16_DF16_LN4vllm18Fp8KVCacheDataTypeE0EhLi16ELi64ELi256ELb0ELi13EEvPKT_PKT0_S7_ifPKiS9_S9_iPKfiiiPfSC_PS2_PT2_iSB_SB_,comdat
	.protected	_Z39paged_attention_ll4mi_QKV_mfma16_kernelIDF16_DF16_LN4vllm18Fp8KVCacheDataTypeE0EhLi16ELi64ELi256ELb0ELi13EEvPKT_PKT0_S7_ifPKiS9_S9_iPKfiiiPfSC_PS2_PT2_iSB_SB_ ; -- Begin function _Z39paged_attention_ll4mi_QKV_mfma16_kernelIDF16_DF16_LN4vllm18Fp8KVCacheDataTypeE0EhLi16ELi64ELi256ELb0ELi13EEvPKT_PKT0_S7_ifPKiS9_S9_iPKfiiiPfSC_PS2_PT2_iSB_SB_
	.globl	_Z39paged_attention_ll4mi_QKV_mfma16_kernelIDF16_DF16_LN4vllm18Fp8KVCacheDataTypeE0EhLi16ELi64ELi256ELb0ELi13EEvPKT_PKT0_S7_ifPKiS9_S9_iPKfiiiPfSC_PS2_PT2_iSB_SB_
	.p2align	8
	.type	_Z39paged_attention_ll4mi_QKV_mfma16_kernelIDF16_DF16_LN4vllm18Fp8KVCacheDataTypeE0EhLi16ELi64ELi256ELb0ELi13EEvPKT_PKT0_S7_ifPKiS9_S9_iPKfiiiPfSC_PS2_PT2_iSB_SB_,@function
_Z39paged_attention_ll4mi_QKV_mfma16_kernelIDF16_DF16_LN4vllm18Fp8KVCacheDataTypeE0EhLi16ELi64ELi256ELb0ELi13EEvPKT_PKT0_S7_ifPKiS9_S9_iPKfiiiPfSC_PS2_PT2_iSB_SB_: ; @_Z39paged_attention_ll4mi_QKV_mfma16_kernelIDF16_DF16_LN4vllm18Fp8KVCacheDataTypeE0EhLi16ELi64ELi256ELb0ELi13EEvPKT_PKT0_S7_ifPKiS9_S9_iPKfiiiPfSC_PS2_PT2_iSB_SB_
; %bb.0:
	s_get_pc_i64 s[2:3]
	s_add_nc_u64 s[2:3], s[2:3], __PRETTY_FUNCTION__._Z39paged_attention_ll4mi_QKV_mfma16_kernelIDF16_DF16_LN4vllm18Fp8KVCacheDataTypeE0EhLi16ELi64ELi256ELb0ELi13EEvPKT_PKT0_S7_ifPKiS9_S9_iPKfiiiPfSC_PS2_PT2_iSB_SB_@rel64+4
	s_delay_alu instid0(SALU_CYCLE_1)
	v_dual_mov_b32 v0, 0xbb3 :: v_dual_mov_b32 v1, s2
	v_mov_b32_e32 v2, s3
	s_add_nc_u64 s[8:9], s[0:1], 0x90
	s_get_pc_i64 s[0:1]
	s_add_nc_u64 s[0:1], s[0:1], __assert_fail@rel64+4
	s_mov_b32 s32, 0
	s_swap_pc_i64 s[30:31], s[0:1]
	.section	.rodata,"a",@progbits
	.p2align	6, 0x0
	.amdhsa_kernel _Z39paged_attention_ll4mi_QKV_mfma16_kernelIDF16_DF16_LN4vllm18Fp8KVCacheDataTypeE0EhLi16ELi64ELi256ELb0ELi13EEvPKT_PKT0_S7_ifPKiS9_S9_iPKfiiiPfSC_PS2_PT2_iSB_SB_
		.amdhsa_group_segment_fixed_size 0
		.amdhsa_private_segment_fixed_size 64
		.amdhsa_kernarg_size 400
		.amdhsa_user_sgpr_count 2
		.amdhsa_user_sgpr_dispatch_ptr 0
		.amdhsa_user_sgpr_queue_ptr 0
		.amdhsa_user_sgpr_kernarg_segment_ptr 1
		.amdhsa_user_sgpr_dispatch_id 0
		.amdhsa_user_sgpr_kernarg_preload_length 0
		.amdhsa_user_sgpr_kernarg_preload_offset 0
		.amdhsa_user_sgpr_private_segment_size 0
		.amdhsa_wavefront_size32 1
		.amdhsa_uses_dynamic_stack 0
		.amdhsa_enable_private_segment 1
		.amdhsa_system_sgpr_workgroup_id_x 1
		.amdhsa_system_sgpr_workgroup_id_y 0
		.amdhsa_system_sgpr_workgroup_id_z 0
		.amdhsa_system_sgpr_workgroup_info 0
		.amdhsa_system_vgpr_workitem_id 0
		.amdhsa_next_free_vgpr 51
		.amdhsa_next_free_sgpr 34
		.amdhsa_named_barrier_count 0
		.amdhsa_reserve_vcc 1
		.amdhsa_float_round_mode_32 0
		.amdhsa_float_round_mode_16_64 0
		.amdhsa_float_denorm_mode_32 3
		.amdhsa_float_denorm_mode_16_64 3
		.amdhsa_fp16_overflow 0
		.amdhsa_memory_ordered 1
		.amdhsa_forward_progress 1
		.amdhsa_inst_pref_size 1
		.amdhsa_round_robin_scheduling 0
		.amdhsa_exception_fp_ieee_invalid_op 0
		.amdhsa_exception_fp_denorm_src 0
		.amdhsa_exception_fp_ieee_div_zero 0
		.amdhsa_exception_fp_ieee_overflow 0
		.amdhsa_exception_fp_ieee_underflow 0
		.amdhsa_exception_fp_ieee_inexact 0
		.amdhsa_exception_int_div_zero 0
	.end_amdhsa_kernel
	.section	.text._Z39paged_attention_ll4mi_QKV_mfma16_kernelIDF16_DF16_LN4vllm18Fp8KVCacheDataTypeE0EhLi16ELi64ELi256ELb0ELi13EEvPKT_PKT0_S7_ifPKiS9_S9_iPKfiiiPfSC_PS2_PT2_iSB_SB_,"axG",@progbits,_Z39paged_attention_ll4mi_QKV_mfma16_kernelIDF16_DF16_LN4vllm18Fp8KVCacheDataTypeE0EhLi16ELi64ELi256ELb0ELi13EEvPKT_PKT0_S7_ifPKiS9_S9_iPKfiiiPfSC_PS2_PT2_iSB_SB_,comdat
.Lfunc_end50:
	.size	_Z39paged_attention_ll4mi_QKV_mfma16_kernelIDF16_DF16_LN4vllm18Fp8KVCacheDataTypeE0EhLi16ELi64ELi256ELb0ELi13EEvPKT_PKT0_S7_ifPKiS9_S9_iPKfiiiPfSC_PS2_PT2_iSB_SB_, .Lfunc_end50-_Z39paged_attention_ll4mi_QKV_mfma16_kernelIDF16_DF16_LN4vllm18Fp8KVCacheDataTypeE0EhLi16ELi64ELi256ELb0ELi13EEvPKT_PKT0_S7_ifPKiS9_S9_iPKfiiiPfSC_PS2_PT2_iSB_SB_
                                        ; -- End function
	.set _Z39paged_attention_ll4mi_QKV_mfma16_kernelIDF16_DF16_LN4vllm18Fp8KVCacheDataTypeE0EhLi16ELi64ELi256ELb0ELi13EEvPKT_PKT0_S7_ifPKiS9_S9_iPKfiiiPfSC_PS2_PT2_iSB_SB_.num_vgpr, max(3, .L__assert_fail.num_vgpr)
	.set _Z39paged_attention_ll4mi_QKV_mfma16_kernelIDF16_DF16_LN4vllm18Fp8KVCacheDataTypeE0EhLi16ELi64ELi256ELb0ELi13EEvPKT_PKT0_S7_ifPKiS9_S9_iPKfiiiPfSC_PS2_PT2_iSB_SB_.num_agpr, max(0, .L__assert_fail.num_agpr)
	.set _Z39paged_attention_ll4mi_QKV_mfma16_kernelIDF16_DF16_LN4vllm18Fp8KVCacheDataTypeE0EhLi16ELi64ELi256ELb0ELi13EEvPKT_PKT0_S7_ifPKiS9_S9_iPKfiiiPfSC_PS2_PT2_iSB_SB_.numbered_sgpr, max(33, .L__assert_fail.numbered_sgpr)
	.set _Z39paged_attention_ll4mi_QKV_mfma16_kernelIDF16_DF16_LN4vllm18Fp8KVCacheDataTypeE0EhLi16ELi64ELi256ELb0ELi13EEvPKT_PKT0_S7_ifPKiS9_S9_iPKfiiiPfSC_PS2_PT2_iSB_SB_.num_named_barrier, max(0, .L__assert_fail.num_named_barrier)
	.set _Z39paged_attention_ll4mi_QKV_mfma16_kernelIDF16_DF16_LN4vllm18Fp8KVCacheDataTypeE0EhLi16ELi64ELi256ELb0ELi13EEvPKT_PKT0_S7_ifPKiS9_S9_iPKfiiiPfSC_PS2_PT2_iSB_SB_.private_seg_size, 0+max(.L__assert_fail.private_seg_size)
	.set _Z39paged_attention_ll4mi_QKV_mfma16_kernelIDF16_DF16_LN4vllm18Fp8KVCacheDataTypeE0EhLi16ELi64ELi256ELb0ELi13EEvPKT_PKT0_S7_ifPKiS9_S9_iPKfiiiPfSC_PS2_PT2_iSB_SB_.uses_vcc, or(1, .L__assert_fail.uses_vcc)
	.set _Z39paged_attention_ll4mi_QKV_mfma16_kernelIDF16_DF16_LN4vllm18Fp8KVCacheDataTypeE0EhLi16ELi64ELi256ELb0ELi13EEvPKT_PKT0_S7_ifPKiS9_S9_iPKfiiiPfSC_PS2_PT2_iSB_SB_.uses_flat_scratch, or(0, .L__assert_fail.uses_flat_scratch)
	.set _Z39paged_attention_ll4mi_QKV_mfma16_kernelIDF16_DF16_LN4vllm18Fp8KVCacheDataTypeE0EhLi16ELi64ELi256ELb0ELi13EEvPKT_PKT0_S7_ifPKiS9_S9_iPKfiiiPfSC_PS2_PT2_iSB_SB_.has_dyn_sized_stack, or(0, .L__assert_fail.has_dyn_sized_stack)
	.set _Z39paged_attention_ll4mi_QKV_mfma16_kernelIDF16_DF16_LN4vllm18Fp8KVCacheDataTypeE0EhLi16ELi64ELi256ELb0ELi13EEvPKT_PKT0_S7_ifPKiS9_S9_iPKfiiiPfSC_PS2_PT2_iSB_SB_.has_recursion, or(0, .L__assert_fail.has_recursion)
	.set _Z39paged_attention_ll4mi_QKV_mfma16_kernelIDF16_DF16_LN4vllm18Fp8KVCacheDataTypeE0EhLi16ELi64ELi256ELb0ELi13EEvPKT_PKT0_S7_ifPKiS9_S9_iPKfiiiPfSC_PS2_PT2_iSB_SB_.has_indirect_call, or(0, .L__assert_fail.has_indirect_call)
	.section	.AMDGPU.csdata,"",@progbits
; Kernel info:
; codeLenInByte = 68
; TotalNumSgprs: 36
; NumVgprs: 51
; ScratchSize: 64
; MemoryBound: 0
; FloatMode: 240
; IeeeMode: 1
; LDSByteSize: 0 bytes/workgroup (compile time only)
; SGPRBlocks: 0
; VGPRBlocks: 3
; NumSGPRsForWavesPerEU: 36
; NumVGPRsForWavesPerEU: 51
; NamedBarCnt: 0
; Occupancy: 16
; WaveLimiterHint : 1
; COMPUTE_PGM_RSRC2:SCRATCH_EN: 1
; COMPUTE_PGM_RSRC2:USER_SGPR: 2
; COMPUTE_PGM_RSRC2:TRAP_HANDLER: 0
; COMPUTE_PGM_RSRC2:TGID_X_EN: 1
; COMPUTE_PGM_RSRC2:TGID_Y_EN: 0
; COMPUTE_PGM_RSRC2:TGID_Z_EN: 0
; COMPUTE_PGM_RSRC2:TIDIG_COMP_CNT: 0
	.section	.text._Z39paged_attention_ll4mi_QKV_mfma16_kernelIDF16_DF16_LN4vllm18Fp8KVCacheDataTypeE0EhLi16ELi64ELi256ELb0ELi14EEvPKT_PKT0_S7_ifPKiS9_S9_iPKfiiiPfSC_PS2_PT2_iSB_SB_,"axG",@progbits,_Z39paged_attention_ll4mi_QKV_mfma16_kernelIDF16_DF16_LN4vllm18Fp8KVCacheDataTypeE0EhLi16ELi64ELi256ELb0ELi14EEvPKT_PKT0_S7_ifPKiS9_S9_iPKfiiiPfSC_PS2_PT2_iSB_SB_,comdat
	.protected	_Z39paged_attention_ll4mi_QKV_mfma16_kernelIDF16_DF16_LN4vllm18Fp8KVCacheDataTypeE0EhLi16ELi64ELi256ELb0ELi14EEvPKT_PKT0_S7_ifPKiS9_S9_iPKfiiiPfSC_PS2_PT2_iSB_SB_ ; -- Begin function _Z39paged_attention_ll4mi_QKV_mfma16_kernelIDF16_DF16_LN4vllm18Fp8KVCacheDataTypeE0EhLi16ELi64ELi256ELb0ELi14EEvPKT_PKT0_S7_ifPKiS9_S9_iPKfiiiPfSC_PS2_PT2_iSB_SB_
	.globl	_Z39paged_attention_ll4mi_QKV_mfma16_kernelIDF16_DF16_LN4vllm18Fp8KVCacheDataTypeE0EhLi16ELi64ELi256ELb0ELi14EEvPKT_PKT0_S7_ifPKiS9_S9_iPKfiiiPfSC_PS2_PT2_iSB_SB_
	.p2align	8
	.type	_Z39paged_attention_ll4mi_QKV_mfma16_kernelIDF16_DF16_LN4vllm18Fp8KVCacheDataTypeE0EhLi16ELi64ELi256ELb0ELi14EEvPKT_PKT0_S7_ifPKiS9_S9_iPKfiiiPfSC_PS2_PT2_iSB_SB_,@function
_Z39paged_attention_ll4mi_QKV_mfma16_kernelIDF16_DF16_LN4vllm18Fp8KVCacheDataTypeE0EhLi16ELi64ELi256ELb0ELi14EEvPKT_PKT0_S7_ifPKiS9_S9_iPKfiiiPfSC_PS2_PT2_iSB_SB_: ; @_Z39paged_attention_ll4mi_QKV_mfma16_kernelIDF16_DF16_LN4vllm18Fp8KVCacheDataTypeE0EhLi16ELi64ELi256ELb0ELi14EEvPKT_PKT0_S7_ifPKiS9_S9_iPKfiiiPfSC_PS2_PT2_iSB_SB_
; %bb.0:
	s_get_pc_i64 s[2:3]
	s_add_nc_u64 s[2:3], s[2:3], __PRETTY_FUNCTION__._Z39paged_attention_ll4mi_QKV_mfma16_kernelIDF16_DF16_LN4vllm18Fp8KVCacheDataTypeE0EhLi16ELi64ELi256ELb0ELi14EEvPKT_PKT0_S7_ifPKiS9_S9_iPKfiiiPfSC_PS2_PT2_iSB_SB_@rel64+4
	s_delay_alu instid0(SALU_CYCLE_1)
	v_dual_mov_b32 v0, 0xbb3 :: v_dual_mov_b32 v1, s2
	v_mov_b32_e32 v2, s3
	s_add_nc_u64 s[8:9], s[0:1], 0x90
	s_get_pc_i64 s[0:1]
	s_add_nc_u64 s[0:1], s[0:1], __assert_fail@rel64+4
	s_mov_b32 s32, 0
	s_swap_pc_i64 s[30:31], s[0:1]
	.section	.rodata,"a",@progbits
	.p2align	6, 0x0
	.amdhsa_kernel _Z39paged_attention_ll4mi_QKV_mfma16_kernelIDF16_DF16_LN4vllm18Fp8KVCacheDataTypeE0EhLi16ELi64ELi256ELb0ELi14EEvPKT_PKT0_S7_ifPKiS9_S9_iPKfiiiPfSC_PS2_PT2_iSB_SB_
		.amdhsa_group_segment_fixed_size 0
		.amdhsa_private_segment_fixed_size 64
		.amdhsa_kernarg_size 400
		.amdhsa_user_sgpr_count 2
		.amdhsa_user_sgpr_dispatch_ptr 0
		.amdhsa_user_sgpr_queue_ptr 0
		.amdhsa_user_sgpr_kernarg_segment_ptr 1
		.amdhsa_user_sgpr_dispatch_id 0
		.amdhsa_user_sgpr_kernarg_preload_length 0
		.amdhsa_user_sgpr_kernarg_preload_offset 0
		.amdhsa_user_sgpr_private_segment_size 0
		.amdhsa_wavefront_size32 1
		.amdhsa_uses_dynamic_stack 0
		.amdhsa_enable_private_segment 1
		.amdhsa_system_sgpr_workgroup_id_x 1
		.amdhsa_system_sgpr_workgroup_id_y 0
		.amdhsa_system_sgpr_workgroup_id_z 0
		.amdhsa_system_sgpr_workgroup_info 0
		.amdhsa_system_vgpr_workitem_id 0
		.amdhsa_next_free_vgpr 51
		.amdhsa_next_free_sgpr 34
		.amdhsa_named_barrier_count 0
		.amdhsa_reserve_vcc 1
		.amdhsa_float_round_mode_32 0
		.amdhsa_float_round_mode_16_64 0
		.amdhsa_float_denorm_mode_32 3
		.amdhsa_float_denorm_mode_16_64 3
		.amdhsa_fp16_overflow 0
		.amdhsa_memory_ordered 1
		.amdhsa_forward_progress 1
		.amdhsa_inst_pref_size 1
		.amdhsa_round_robin_scheduling 0
		.amdhsa_exception_fp_ieee_invalid_op 0
		.amdhsa_exception_fp_denorm_src 0
		.amdhsa_exception_fp_ieee_div_zero 0
		.amdhsa_exception_fp_ieee_overflow 0
		.amdhsa_exception_fp_ieee_underflow 0
		.amdhsa_exception_fp_ieee_inexact 0
		.amdhsa_exception_int_div_zero 0
	.end_amdhsa_kernel
	.section	.text._Z39paged_attention_ll4mi_QKV_mfma16_kernelIDF16_DF16_LN4vllm18Fp8KVCacheDataTypeE0EhLi16ELi64ELi256ELb0ELi14EEvPKT_PKT0_S7_ifPKiS9_S9_iPKfiiiPfSC_PS2_PT2_iSB_SB_,"axG",@progbits,_Z39paged_attention_ll4mi_QKV_mfma16_kernelIDF16_DF16_LN4vllm18Fp8KVCacheDataTypeE0EhLi16ELi64ELi256ELb0ELi14EEvPKT_PKT0_S7_ifPKiS9_S9_iPKfiiiPfSC_PS2_PT2_iSB_SB_,comdat
.Lfunc_end51:
	.size	_Z39paged_attention_ll4mi_QKV_mfma16_kernelIDF16_DF16_LN4vllm18Fp8KVCacheDataTypeE0EhLi16ELi64ELi256ELb0ELi14EEvPKT_PKT0_S7_ifPKiS9_S9_iPKfiiiPfSC_PS2_PT2_iSB_SB_, .Lfunc_end51-_Z39paged_attention_ll4mi_QKV_mfma16_kernelIDF16_DF16_LN4vllm18Fp8KVCacheDataTypeE0EhLi16ELi64ELi256ELb0ELi14EEvPKT_PKT0_S7_ifPKiS9_S9_iPKfiiiPfSC_PS2_PT2_iSB_SB_
                                        ; -- End function
	.set _Z39paged_attention_ll4mi_QKV_mfma16_kernelIDF16_DF16_LN4vllm18Fp8KVCacheDataTypeE0EhLi16ELi64ELi256ELb0ELi14EEvPKT_PKT0_S7_ifPKiS9_S9_iPKfiiiPfSC_PS2_PT2_iSB_SB_.num_vgpr, max(3, .L__assert_fail.num_vgpr)
	.set _Z39paged_attention_ll4mi_QKV_mfma16_kernelIDF16_DF16_LN4vllm18Fp8KVCacheDataTypeE0EhLi16ELi64ELi256ELb0ELi14EEvPKT_PKT0_S7_ifPKiS9_S9_iPKfiiiPfSC_PS2_PT2_iSB_SB_.num_agpr, max(0, .L__assert_fail.num_agpr)
	.set _Z39paged_attention_ll4mi_QKV_mfma16_kernelIDF16_DF16_LN4vllm18Fp8KVCacheDataTypeE0EhLi16ELi64ELi256ELb0ELi14EEvPKT_PKT0_S7_ifPKiS9_S9_iPKfiiiPfSC_PS2_PT2_iSB_SB_.numbered_sgpr, max(33, .L__assert_fail.numbered_sgpr)
	.set _Z39paged_attention_ll4mi_QKV_mfma16_kernelIDF16_DF16_LN4vllm18Fp8KVCacheDataTypeE0EhLi16ELi64ELi256ELb0ELi14EEvPKT_PKT0_S7_ifPKiS9_S9_iPKfiiiPfSC_PS2_PT2_iSB_SB_.num_named_barrier, max(0, .L__assert_fail.num_named_barrier)
	.set _Z39paged_attention_ll4mi_QKV_mfma16_kernelIDF16_DF16_LN4vllm18Fp8KVCacheDataTypeE0EhLi16ELi64ELi256ELb0ELi14EEvPKT_PKT0_S7_ifPKiS9_S9_iPKfiiiPfSC_PS2_PT2_iSB_SB_.private_seg_size, 0+max(.L__assert_fail.private_seg_size)
	.set _Z39paged_attention_ll4mi_QKV_mfma16_kernelIDF16_DF16_LN4vllm18Fp8KVCacheDataTypeE0EhLi16ELi64ELi256ELb0ELi14EEvPKT_PKT0_S7_ifPKiS9_S9_iPKfiiiPfSC_PS2_PT2_iSB_SB_.uses_vcc, or(1, .L__assert_fail.uses_vcc)
	.set _Z39paged_attention_ll4mi_QKV_mfma16_kernelIDF16_DF16_LN4vllm18Fp8KVCacheDataTypeE0EhLi16ELi64ELi256ELb0ELi14EEvPKT_PKT0_S7_ifPKiS9_S9_iPKfiiiPfSC_PS2_PT2_iSB_SB_.uses_flat_scratch, or(0, .L__assert_fail.uses_flat_scratch)
	.set _Z39paged_attention_ll4mi_QKV_mfma16_kernelIDF16_DF16_LN4vllm18Fp8KVCacheDataTypeE0EhLi16ELi64ELi256ELb0ELi14EEvPKT_PKT0_S7_ifPKiS9_S9_iPKfiiiPfSC_PS2_PT2_iSB_SB_.has_dyn_sized_stack, or(0, .L__assert_fail.has_dyn_sized_stack)
	.set _Z39paged_attention_ll4mi_QKV_mfma16_kernelIDF16_DF16_LN4vllm18Fp8KVCacheDataTypeE0EhLi16ELi64ELi256ELb0ELi14EEvPKT_PKT0_S7_ifPKiS9_S9_iPKfiiiPfSC_PS2_PT2_iSB_SB_.has_recursion, or(0, .L__assert_fail.has_recursion)
	.set _Z39paged_attention_ll4mi_QKV_mfma16_kernelIDF16_DF16_LN4vllm18Fp8KVCacheDataTypeE0EhLi16ELi64ELi256ELb0ELi14EEvPKT_PKT0_S7_ifPKiS9_S9_iPKfiiiPfSC_PS2_PT2_iSB_SB_.has_indirect_call, or(0, .L__assert_fail.has_indirect_call)
	.section	.AMDGPU.csdata,"",@progbits
; Kernel info:
; codeLenInByte = 68
; TotalNumSgprs: 36
; NumVgprs: 51
; ScratchSize: 64
; MemoryBound: 0
; FloatMode: 240
; IeeeMode: 1
; LDSByteSize: 0 bytes/workgroup (compile time only)
; SGPRBlocks: 0
; VGPRBlocks: 3
; NumSGPRsForWavesPerEU: 36
; NumVGPRsForWavesPerEU: 51
; NamedBarCnt: 0
; Occupancy: 16
; WaveLimiterHint : 1
; COMPUTE_PGM_RSRC2:SCRATCH_EN: 1
; COMPUTE_PGM_RSRC2:USER_SGPR: 2
; COMPUTE_PGM_RSRC2:TRAP_HANDLER: 0
; COMPUTE_PGM_RSRC2:TGID_X_EN: 1
; COMPUTE_PGM_RSRC2:TGID_Y_EN: 0
; COMPUTE_PGM_RSRC2:TGID_Z_EN: 0
; COMPUTE_PGM_RSRC2:TIDIG_COMP_CNT: 0
	.section	.text._Z39paged_attention_ll4mi_QKV_mfma16_kernelIDF16_DF16_LN4vllm18Fp8KVCacheDataTypeE0EhLi16ELi64ELi256ELb0ELi15EEvPKT_PKT0_S7_ifPKiS9_S9_iPKfiiiPfSC_PS2_PT2_iSB_SB_,"axG",@progbits,_Z39paged_attention_ll4mi_QKV_mfma16_kernelIDF16_DF16_LN4vllm18Fp8KVCacheDataTypeE0EhLi16ELi64ELi256ELb0ELi15EEvPKT_PKT0_S7_ifPKiS9_S9_iPKfiiiPfSC_PS2_PT2_iSB_SB_,comdat
	.protected	_Z39paged_attention_ll4mi_QKV_mfma16_kernelIDF16_DF16_LN4vllm18Fp8KVCacheDataTypeE0EhLi16ELi64ELi256ELb0ELi15EEvPKT_PKT0_S7_ifPKiS9_S9_iPKfiiiPfSC_PS2_PT2_iSB_SB_ ; -- Begin function _Z39paged_attention_ll4mi_QKV_mfma16_kernelIDF16_DF16_LN4vllm18Fp8KVCacheDataTypeE0EhLi16ELi64ELi256ELb0ELi15EEvPKT_PKT0_S7_ifPKiS9_S9_iPKfiiiPfSC_PS2_PT2_iSB_SB_
	.globl	_Z39paged_attention_ll4mi_QKV_mfma16_kernelIDF16_DF16_LN4vllm18Fp8KVCacheDataTypeE0EhLi16ELi64ELi256ELb0ELi15EEvPKT_PKT0_S7_ifPKiS9_S9_iPKfiiiPfSC_PS2_PT2_iSB_SB_
	.p2align	8
	.type	_Z39paged_attention_ll4mi_QKV_mfma16_kernelIDF16_DF16_LN4vllm18Fp8KVCacheDataTypeE0EhLi16ELi64ELi256ELb0ELi15EEvPKT_PKT0_S7_ifPKiS9_S9_iPKfiiiPfSC_PS2_PT2_iSB_SB_,@function
_Z39paged_attention_ll4mi_QKV_mfma16_kernelIDF16_DF16_LN4vllm18Fp8KVCacheDataTypeE0EhLi16ELi64ELi256ELb0ELi15EEvPKT_PKT0_S7_ifPKiS9_S9_iPKfiiiPfSC_PS2_PT2_iSB_SB_: ; @_Z39paged_attention_ll4mi_QKV_mfma16_kernelIDF16_DF16_LN4vllm18Fp8KVCacheDataTypeE0EhLi16ELi64ELi256ELb0ELi15EEvPKT_PKT0_S7_ifPKiS9_S9_iPKfiiiPfSC_PS2_PT2_iSB_SB_
; %bb.0:
	s_get_pc_i64 s[2:3]
	s_add_nc_u64 s[2:3], s[2:3], __PRETTY_FUNCTION__._Z39paged_attention_ll4mi_QKV_mfma16_kernelIDF16_DF16_LN4vllm18Fp8KVCacheDataTypeE0EhLi16ELi64ELi256ELb0ELi15EEvPKT_PKT0_S7_ifPKiS9_S9_iPKfiiiPfSC_PS2_PT2_iSB_SB_@rel64+4
	s_delay_alu instid0(SALU_CYCLE_1)
	v_dual_mov_b32 v0, 0xbb3 :: v_dual_mov_b32 v1, s2
	v_mov_b32_e32 v2, s3
	s_add_nc_u64 s[8:9], s[0:1], 0x90
	s_get_pc_i64 s[0:1]
	s_add_nc_u64 s[0:1], s[0:1], __assert_fail@rel64+4
	s_mov_b32 s32, 0
	s_swap_pc_i64 s[30:31], s[0:1]
	.section	.rodata,"a",@progbits
	.p2align	6, 0x0
	.amdhsa_kernel _Z39paged_attention_ll4mi_QKV_mfma16_kernelIDF16_DF16_LN4vllm18Fp8KVCacheDataTypeE0EhLi16ELi64ELi256ELb0ELi15EEvPKT_PKT0_S7_ifPKiS9_S9_iPKfiiiPfSC_PS2_PT2_iSB_SB_
		.amdhsa_group_segment_fixed_size 0
		.amdhsa_private_segment_fixed_size 64
		.amdhsa_kernarg_size 400
		.amdhsa_user_sgpr_count 2
		.amdhsa_user_sgpr_dispatch_ptr 0
		.amdhsa_user_sgpr_queue_ptr 0
		.amdhsa_user_sgpr_kernarg_segment_ptr 1
		.amdhsa_user_sgpr_dispatch_id 0
		.amdhsa_user_sgpr_kernarg_preload_length 0
		.amdhsa_user_sgpr_kernarg_preload_offset 0
		.amdhsa_user_sgpr_private_segment_size 0
		.amdhsa_wavefront_size32 1
		.amdhsa_uses_dynamic_stack 0
		.amdhsa_enable_private_segment 1
		.amdhsa_system_sgpr_workgroup_id_x 1
		.amdhsa_system_sgpr_workgroup_id_y 0
		.amdhsa_system_sgpr_workgroup_id_z 0
		.amdhsa_system_sgpr_workgroup_info 0
		.amdhsa_system_vgpr_workitem_id 0
		.amdhsa_next_free_vgpr 51
		.amdhsa_next_free_sgpr 34
		.amdhsa_named_barrier_count 0
		.amdhsa_reserve_vcc 1
		.amdhsa_float_round_mode_32 0
		.amdhsa_float_round_mode_16_64 0
		.amdhsa_float_denorm_mode_32 3
		.amdhsa_float_denorm_mode_16_64 3
		.amdhsa_fp16_overflow 0
		.amdhsa_memory_ordered 1
		.amdhsa_forward_progress 1
		.amdhsa_inst_pref_size 1
		.amdhsa_round_robin_scheduling 0
		.amdhsa_exception_fp_ieee_invalid_op 0
		.amdhsa_exception_fp_denorm_src 0
		.amdhsa_exception_fp_ieee_div_zero 0
		.amdhsa_exception_fp_ieee_overflow 0
		.amdhsa_exception_fp_ieee_underflow 0
		.amdhsa_exception_fp_ieee_inexact 0
		.amdhsa_exception_int_div_zero 0
	.end_amdhsa_kernel
	.section	.text._Z39paged_attention_ll4mi_QKV_mfma16_kernelIDF16_DF16_LN4vllm18Fp8KVCacheDataTypeE0EhLi16ELi64ELi256ELb0ELi15EEvPKT_PKT0_S7_ifPKiS9_S9_iPKfiiiPfSC_PS2_PT2_iSB_SB_,"axG",@progbits,_Z39paged_attention_ll4mi_QKV_mfma16_kernelIDF16_DF16_LN4vllm18Fp8KVCacheDataTypeE0EhLi16ELi64ELi256ELb0ELi15EEvPKT_PKT0_S7_ifPKiS9_S9_iPKfiiiPfSC_PS2_PT2_iSB_SB_,comdat
.Lfunc_end52:
	.size	_Z39paged_attention_ll4mi_QKV_mfma16_kernelIDF16_DF16_LN4vllm18Fp8KVCacheDataTypeE0EhLi16ELi64ELi256ELb0ELi15EEvPKT_PKT0_S7_ifPKiS9_S9_iPKfiiiPfSC_PS2_PT2_iSB_SB_, .Lfunc_end52-_Z39paged_attention_ll4mi_QKV_mfma16_kernelIDF16_DF16_LN4vllm18Fp8KVCacheDataTypeE0EhLi16ELi64ELi256ELb0ELi15EEvPKT_PKT0_S7_ifPKiS9_S9_iPKfiiiPfSC_PS2_PT2_iSB_SB_
                                        ; -- End function
	.set _Z39paged_attention_ll4mi_QKV_mfma16_kernelIDF16_DF16_LN4vllm18Fp8KVCacheDataTypeE0EhLi16ELi64ELi256ELb0ELi15EEvPKT_PKT0_S7_ifPKiS9_S9_iPKfiiiPfSC_PS2_PT2_iSB_SB_.num_vgpr, max(3, .L__assert_fail.num_vgpr)
	.set _Z39paged_attention_ll4mi_QKV_mfma16_kernelIDF16_DF16_LN4vllm18Fp8KVCacheDataTypeE0EhLi16ELi64ELi256ELb0ELi15EEvPKT_PKT0_S7_ifPKiS9_S9_iPKfiiiPfSC_PS2_PT2_iSB_SB_.num_agpr, max(0, .L__assert_fail.num_agpr)
	.set _Z39paged_attention_ll4mi_QKV_mfma16_kernelIDF16_DF16_LN4vllm18Fp8KVCacheDataTypeE0EhLi16ELi64ELi256ELb0ELi15EEvPKT_PKT0_S7_ifPKiS9_S9_iPKfiiiPfSC_PS2_PT2_iSB_SB_.numbered_sgpr, max(33, .L__assert_fail.numbered_sgpr)
	.set _Z39paged_attention_ll4mi_QKV_mfma16_kernelIDF16_DF16_LN4vllm18Fp8KVCacheDataTypeE0EhLi16ELi64ELi256ELb0ELi15EEvPKT_PKT0_S7_ifPKiS9_S9_iPKfiiiPfSC_PS2_PT2_iSB_SB_.num_named_barrier, max(0, .L__assert_fail.num_named_barrier)
	.set _Z39paged_attention_ll4mi_QKV_mfma16_kernelIDF16_DF16_LN4vllm18Fp8KVCacheDataTypeE0EhLi16ELi64ELi256ELb0ELi15EEvPKT_PKT0_S7_ifPKiS9_S9_iPKfiiiPfSC_PS2_PT2_iSB_SB_.private_seg_size, 0+max(.L__assert_fail.private_seg_size)
	.set _Z39paged_attention_ll4mi_QKV_mfma16_kernelIDF16_DF16_LN4vllm18Fp8KVCacheDataTypeE0EhLi16ELi64ELi256ELb0ELi15EEvPKT_PKT0_S7_ifPKiS9_S9_iPKfiiiPfSC_PS2_PT2_iSB_SB_.uses_vcc, or(1, .L__assert_fail.uses_vcc)
	.set _Z39paged_attention_ll4mi_QKV_mfma16_kernelIDF16_DF16_LN4vllm18Fp8KVCacheDataTypeE0EhLi16ELi64ELi256ELb0ELi15EEvPKT_PKT0_S7_ifPKiS9_S9_iPKfiiiPfSC_PS2_PT2_iSB_SB_.uses_flat_scratch, or(0, .L__assert_fail.uses_flat_scratch)
	.set _Z39paged_attention_ll4mi_QKV_mfma16_kernelIDF16_DF16_LN4vllm18Fp8KVCacheDataTypeE0EhLi16ELi64ELi256ELb0ELi15EEvPKT_PKT0_S7_ifPKiS9_S9_iPKfiiiPfSC_PS2_PT2_iSB_SB_.has_dyn_sized_stack, or(0, .L__assert_fail.has_dyn_sized_stack)
	.set _Z39paged_attention_ll4mi_QKV_mfma16_kernelIDF16_DF16_LN4vllm18Fp8KVCacheDataTypeE0EhLi16ELi64ELi256ELb0ELi15EEvPKT_PKT0_S7_ifPKiS9_S9_iPKfiiiPfSC_PS2_PT2_iSB_SB_.has_recursion, or(0, .L__assert_fail.has_recursion)
	.set _Z39paged_attention_ll4mi_QKV_mfma16_kernelIDF16_DF16_LN4vllm18Fp8KVCacheDataTypeE0EhLi16ELi64ELi256ELb0ELi15EEvPKT_PKT0_S7_ifPKiS9_S9_iPKfiiiPfSC_PS2_PT2_iSB_SB_.has_indirect_call, or(0, .L__assert_fail.has_indirect_call)
	.section	.AMDGPU.csdata,"",@progbits
; Kernel info:
; codeLenInByte = 68
; TotalNumSgprs: 36
; NumVgprs: 51
; ScratchSize: 64
; MemoryBound: 0
; FloatMode: 240
; IeeeMode: 1
; LDSByteSize: 0 bytes/workgroup (compile time only)
; SGPRBlocks: 0
; VGPRBlocks: 3
; NumSGPRsForWavesPerEU: 36
; NumVGPRsForWavesPerEU: 51
; NamedBarCnt: 0
; Occupancy: 16
; WaveLimiterHint : 1
; COMPUTE_PGM_RSRC2:SCRATCH_EN: 1
; COMPUTE_PGM_RSRC2:USER_SGPR: 2
; COMPUTE_PGM_RSRC2:TRAP_HANDLER: 0
; COMPUTE_PGM_RSRC2:TGID_X_EN: 1
; COMPUTE_PGM_RSRC2:TGID_Y_EN: 0
; COMPUTE_PGM_RSRC2:TGID_Z_EN: 0
; COMPUTE_PGM_RSRC2:TIDIG_COMP_CNT: 0
	.section	.text._Z39paged_attention_ll4mi_QKV_mfma16_kernelIDF16_DF16_LN4vllm18Fp8KVCacheDataTypeE0EhLi16ELi64ELi256ELb0ELi16EEvPKT_PKT0_S7_ifPKiS9_S9_iPKfiiiPfSC_PS2_PT2_iSB_SB_,"axG",@progbits,_Z39paged_attention_ll4mi_QKV_mfma16_kernelIDF16_DF16_LN4vllm18Fp8KVCacheDataTypeE0EhLi16ELi64ELi256ELb0ELi16EEvPKT_PKT0_S7_ifPKiS9_S9_iPKfiiiPfSC_PS2_PT2_iSB_SB_,comdat
	.protected	_Z39paged_attention_ll4mi_QKV_mfma16_kernelIDF16_DF16_LN4vllm18Fp8KVCacheDataTypeE0EhLi16ELi64ELi256ELb0ELi16EEvPKT_PKT0_S7_ifPKiS9_S9_iPKfiiiPfSC_PS2_PT2_iSB_SB_ ; -- Begin function _Z39paged_attention_ll4mi_QKV_mfma16_kernelIDF16_DF16_LN4vllm18Fp8KVCacheDataTypeE0EhLi16ELi64ELi256ELb0ELi16EEvPKT_PKT0_S7_ifPKiS9_S9_iPKfiiiPfSC_PS2_PT2_iSB_SB_
	.globl	_Z39paged_attention_ll4mi_QKV_mfma16_kernelIDF16_DF16_LN4vllm18Fp8KVCacheDataTypeE0EhLi16ELi64ELi256ELb0ELi16EEvPKT_PKT0_S7_ifPKiS9_S9_iPKfiiiPfSC_PS2_PT2_iSB_SB_
	.p2align	8
	.type	_Z39paged_attention_ll4mi_QKV_mfma16_kernelIDF16_DF16_LN4vllm18Fp8KVCacheDataTypeE0EhLi16ELi64ELi256ELb0ELi16EEvPKT_PKT0_S7_ifPKiS9_S9_iPKfiiiPfSC_PS2_PT2_iSB_SB_,@function
_Z39paged_attention_ll4mi_QKV_mfma16_kernelIDF16_DF16_LN4vllm18Fp8KVCacheDataTypeE0EhLi16ELi64ELi256ELb0ELi16EEvPKT_PKT0_S7_ifPKiS9_S9_iPKfiiiPfSC_PS2_PT2_iSB_SB_: ; @_Z39paged_attention_ll4mi_QKV_mfma16_kernelIDF16_DF16_LN4vllm18Fp8KVCacheDataTypeE0EhLi16ELi64ELi256ELb0ELi16EEvPKT_PKT0_S7_ifPKiS9_S9_iPKfiiiPfSC_PS2_PT2_iSB_SB_
; %bb.0:
	s_get_pc_i64 s[2:3]
	s_add_nc_u64 s[2:3], s[2:3], __PRETTY_FUNCTION__._Z39paged_attention_ll4mi_QKV_mfma16_kernelIDF16_DF16_LN4vllm18Fp8KVCacheDataTypeE0EhLi16ELi64ELi256ELb0ELi16EEvPKT_PKT0_S7_ifPKiS9_S9_iPKfiiiPfSC_PS2_PT2_iSB_SB_@rel64+4
	s_delay_alu instid0(SALU_CYCLE_1)
	v_dual_mov_b32 v0, 0xbb3 :: v_dual_mov_b32 v1, s2
	v_mov_b32_e32 v2, s3
	s_add_nc_u64 s[8:9], s[0:1], 0x90
	s_get_pc_i64 s[0:1]
	s_add_nc_u64 s[0:1], s[0:1], __assert_fail@rel64+4
	s_mov_b32 s32, 0
	s_swap_pc_i64 s[30:31], s[0:1]
	.section	.rodata,"a",@progbits
	.p2align	6, 0x0
	.amdhsa_kernel _Z39paged_attention_ll4mi_QKV_mfma16_kernelIDF16_DF16_LN4vllm18Fp8KVCacheDataTypeE0EhLi16ELi64ELi256ELb0ELi16EEvPKT_PKT0_S7_ifPKiS9_S9_iPKfiiiPfSC_PS2_PT2_iSB_SB_
		.amdhsa_group_segment_fixed_size 0
		.amdhsa_private_segment_fixed_size 64
		.amdhsa_kernarg_size 400
		.amdhsa_user_sgpr_count 2
		.amdhsa_user_sgpr_dispatch_ptr 0
		.amdhsa_user_sgpr_queue_ptr 0
		.amdhsa_user_sgpr_kernarg_segment_ptr 1
		.amdhsa_user_sgpr_dispatch_id 0
		.amdhsa_user_sgpr_kernarg_preload_length 0
		.amdhsa_user_sgpr_kernarg_preload_offset 0
		.amdhsa_user_sgpr_private_segment_size 0
		.amdhsa_wavefront_size32 1
		.amdhsa_uses_dynamic_stack 0
		.amdhsa_enable_private_segment 1
		.amdhsa_system_sgpr_workgroup_id_x 1
		.amdhsa_system_sgpr_workgroup_id_y 0
		.amdhsa_system_sgpr_workgroup_id_z 0
		.amdhsa_system_sgpr_workgroup_info 0
		.amdhsa_system_vgpr_workitem_id 0
		.amdhsa_next_free_vgpr 51
		.amdhsa_next_free_sgpr 34
		.amdhsa_named_barrier_count 0
		.amdhsa_reserve_vcc 1
		.amdhsa_float_round_mode_32 0
		.amdhsa_float_round_mode_16_64 0
		.amdhsa_float_denorm_mode_32 3
		.amdhsa_float_denorm_mode_16_64 3
		.amdhsa_fp16_overflow 0
		.amdhsa_memory_ordered 1
		.amdhsa_forward_progress 1
		.amdhsa_inst_pref_size 1
		.amdhsa_round_robin_scheduling 0
		.amdhsa_exception_fp_ieee_invalid_op 0
		.amdhsa_exception_fp_denorm_src 0
		.amdhsa_exception_fp_ieee_div_zero 0
		.amdhsa_exception_fp_ieee_overflow 0
		.amdhsa_exception_fp_ieee_underflow 0
		.amdhsa_exception_fp_ieee_inexact 0
		.amdhsa_exception_int_div_zero 0
	.end_amdhsa_kernel
	.section	.text._Z39paged_attention_ll4mi_QKV_mfma16_kernelIDF16_DF16_LN4vllm18Fp8KVCacheDataTypeE0EhLi16ELi64ELi256ELb0ELi16EEvPKT_PKT0_S7_ifPKiS9_S9_iPKfiiiPfSC_PS2_PT2_iSB_SB_,"axG",@progbits,_Z39paged_attention_ll4mi_QKV_mfma16_kernelIDF16_DF16_LN4vllm18Fp8KVCacheDataTypeE0EhLi16ELi64ELi256ELb0ELi16EEvPKT_PKT0_S7_ifPKiS9_S9_iPKfiiiPfSC_PS2_PT2_iSB_SB_,comdat
.Lfunc_end53:
	.size	_Z39paged_attention_ll4mi_QKV_mfma16_kernelIDF16_DF16_LN4vllm18Fp8KVCacheDataTypeE0EhLi16ELi64ELi256ELb0ELi16EEvPKT_PKT0_S7_ifPKiS9_S9_iPKfiiiPfSC_PS2_PT2_iSB_SB_, .Lfunc_end53-_Z39paged_attention_ll4mi_QKV_mfma16_kernelIDF16_DF16_LN4vllm18Fp8KVCacheDataTypeE0EhLi16ELi64ELi256ELb0ELi16EEvPKT_PKT0_S7_ifPKiS9_S9_iPKfiiiPfSC_PS2_PT2_iSB_SB_
                                        ; -- End function
	.set _Z39paged_attention_ll4mi_QKV_mfma16_kernelIDF16_DF16_LN4vllm18Fp8KVCacheDataTypeE0EhLi16ELi64ELi256ELb0ELi16EEvPKT_PKT0_S7_ifPKiS9_S9_iPKfiiiPfSC_PS2_PT2_iSB_SB_.num_vgpr, max(3, .L__assert_fail.num_vgpr)
	.set _Z39paged_attention_ll4mi_QKV_mfma16_kernelIDF16_DF16_LN4vllm18Fp8KVCacheDataTypeE0EhLi16ELi64ELi256ELb0ELi16EEvPKT_PKT0_S7_ifPKiS9_S9_iPKfiiiPfSC_PS2_PT2_iSB_SB_.num_agpr, max(0, .L__assert_fail.num_agpr)
	.set _Z39paged_attention_ll4mi_QKV_mfma16_kernelIDF16_DF16_LN4vllm18Fp8KVCacheDataTypeE0EhLi16ELi64ELi256ELb0ELi16EEvPKT_PKT0_S7_ifPKiS9_S9_iPKfiiiPfSC_PS2_PT2_iSB_SB_.numbered_sgpr, max(33, .L__assert_fail.numbered_sgpr)
	.set _Z39paged_attention_ll4mi_QKV_mfma16_kernelIDF16_DF16_LN4vllm18Fp8KVCacheDataTypeE0EhLi16ELi64ELi256ELb0ELi16EEvPKT_PKT0_S7_ifPKiS9_S9_iPKfiiiPfSC_PS2_PT2_iSB_SB_.num_named_barrier, max(0, .L__assert_fail.num_named_barrier)
	.set _Z39paged_attention_ll4mi_QKV_mfma16_kernelIDF16_DF16_LN4vllm18Fp8KVCacheDataTypeE0EhLi16ELi64ELi256ELb0ELi16EEvPKT_PKT0_S7_ifPKiS9_S9_iPKfiiiPfSC_PS2_PT2_iSB_SB_.private_seg_size, 0+max(.L__assert_fail.private_seg_size)
	.set _Z39paged_attention_ll4mi_QKV_mfma16_kernelIDF16_DF16_LN4vllm18Fp8KVCacheDataTypeE0EhLi16ELi64ELi256ELb0ELi16EEvPKT_PKT0_S7_ifPKiS9_S9_iPKfiiiPfSC_PS2_PT2_iSB_SB_.uses_vcc, or(1, .L__assert_fail.uses_vcc)
	.set _Z39paged_attention_ll4mi_QKV_mfma16_kernelIDF16_DF16_LN4vllm18Fp8KVCacheDataTypeE0EhLi16ELi64ELi256ELb0ELi16EEvPKT_PKT0_S7_ifPKiS9_S9_iPKfiiiPfSC_PS2_PT2_iSB_SB_.uses_flat_scratch, or(0, .L__assert_fail.uses_flat_scratch)
	.set _Z39paged_attention_ll4mi_QKV_mfma16_kernelIDF16_DF16_LN4vllm18Fp8KVCacheDataTypeE0EhLi16ELi64ELi256ELb0ELi16EEvPKT_PKT0_S7_ifPKiS9_S9_iPKfiiiPfSC_PS2_PT2_iSB_SB_.has_dyn_sized_stack, or(0, .L__assert_fail.has_dyn_sized_stack)
	.set _Z39paged_attention_ll4mi_QKV_mfma16_kernelIDF16_DF16_LN4vllm18Fp8KVCacheDataTypeE0EhLi16ELi64ELi256ELb0ELi16EEvPKT_PKT0_S7_ifPKiS9_S9_iPKfiiiPfSC_PS2_PT2_iSB_SB_.has_recursion, or(0, .L__assert_fail.has_recursion)
	.set _Z39paged_attention_ll4mi_QKV_mfma16_kernelIDF16_DF16_LN4vllm18Fp8KVCacheDataTypeE0EhLi16ELi64ELi256ELb0ELi16EEvPKT_PKT0_S7_ifPKiS9_S9_iPKfiiiPfSC_PS2_PT2_iSB_SB_.has_indirect_call, or(0, .L__assert_fail.has_indirect_call)
	.section	.AMDGPU.csdata,"",@progbits
; Kernel info:
; codeLenInByte = 68
; TotalNumSgprs: 36
; NumVgprs: 51
; ScratchSize: 64
; MemoryBound: 0
; FloatMode: 240
; IeeeMode: 1
; LDSByteSize: 0 bytes/workgroup (compile time only)
; SGPRBlocks: 0
; VGPRBlocks: 3
; NumSGPRsForWavesPerEU: 36
; NumVGPRsForWavesPerEU: 51
; NamedBarCnt: 0
; Occupancy: 16
; WaveLimiterHint : 1
; COMPUTE_PGM_RSRC2:SCRATCH_EN: 1
; COMPUTE_PGM_RSRC2:USER_SGPR: 2
; COMPUTE_PGM_RSRC2:TRAP_HANDLER: 0
; COMPUTE_PGM_RSRC2:TGID_X_EN: 1
; COMPUTE_PGM_RSRC2:TGID_Y_EN: 0
; COMPUTE_PGM_RSRC2:TGID_Z_EN: 0
; COMPUTE_PGM_RSRC2:TIDIG_COMP_CNT: 0
	.section	.text._Z39paged_attention_ll4mi_QKV_mfma16_kernelIDF16_DF16_LN4vllm18Fp8KVCacheDataTypeE0EhLi16ELi64ELi256ELb0ELi1EEvPKT_PKT0_S7_ifPKiS9_S9_iPKfiiiPfSC_PS2_PT2_iSB_SB_,"axG",@progbits,_Z39paged_attention_ll4mi_QKV_mfma16_kernelIDF16_DF16_LN4vllm18Fp8KVCacheDataTypeE0EhLi16ELi64ELi256ELb0ELi1EEvPKT_PKT0_S7_ifPKiS9_S9_iPKfiiiPfSC_PS2_PT2_iSB_SB_,comdat
	.protected	_Z39paged_attention_ll4mi_QKV_mfma16_kernelIDF16_DF16_LN4vllm18Fp8KVCacheDataTypeE0EhLi16ELi64ELi256ELb0ELi1EEvPKT_PKT0_S7_ifPKiS9_S9_iPKfiiiPfSC_PS2_PT2_iSB_SB_ ; -- Begin function _Z39paged_attention_ll4mi_QKV_mfma16_kernelIDF16_DF16_LN4vllm18Fp8KVCacheDataTypeE0EhLi16ELi64ELi256ELb0ELi1EEvPKT_PKT0_S7_ifPKiS9_S9_iPKfiiiPfSC_PS2_PT2_iSB_SB_
	.globl	_Z39paged_attention_ll4mi_QKV_mfma16_kernelIDF16_DF16_LN4vllm18Fp8KVCacheDataTypeE0EhLi16ELi64ELi256ELb0ELi1EEvPKT_PKT0_S7_ifPKiS9_S9_iPKfiiiPfSC_PS2_PT2_iSB_SB_
	.p2align	8
	.type	_Z39paged_attention_ll4mi_QKV_mfma16_kernelIDF16_DF16_LN4vllm18Fp8KVCacheDataTypeE0EhLi16ELi64ELi256ELb0ELi1EEvPKT_PKT0_S7_ifPKiS9_S9_iPKfiiiPfSC_PS2_PT2_iSB_SB_,@function
_Z39paged_attention_ll4mi_QKV_mfma16_kernelIDF16_DF16_LN4vllm18Fp8KVCacheDataTypeE0EhLi16ELi64ELi256ELb0ELi1EEvPKT_PKT0_S7_ifPKiS9_S9_iPKfiiiPfSC_PS2_PT2_iSB_SB_: ; @_Z39paged_attention_ll4mi_QKV_mfma16_kernelIDF16_DF16_LN4vllm18Fp8KVCacheDataTypeE0EhLi16ELi64ELi256ELb0ELi1EEvPKT_PKT0_S7_ifPKiS9_S9_iPKfiiiPfSC_PS2_PT2_iSB_SB_
; %bb.0:
	s_get_pc_i64 s[2:3]
	s_add_nc_u64 s[2:3], s[2:3], __PRETTY_FUNCTION__._Z39paged_attention_ll4mi_QKV_mfma16_kernelIDF16_DF16_LN4vllm18Fp8KVCacheDataTypeE0EhLi16ELi64ELi256ELb0ELi1EEvPKT_PKT0_S7_ifPKiS9_S9_iPKfiiiPfSC_PS2_PT2_iSB_SB_@rel64+4
	s_delay_alu instid0(SALU_CYCLE_1)
	v_dual_mov_b32 v0, 0xbb3 :: v_dual_mov_b32 v1, s2
	v_mov_b32_e32 v2, s3
	s_add_nc_u64 s[8:9], s[0:1], 0x90
	s_get_pc_i64 s[0:1]
	s_add_nc_u64 s[0:1], s[0:1], __assert_fail@rel64+4
	s_mov_b32 s32, 0
	s_swap_pc_i64 s[30:31], s[0:1]
	.section	.rodata,"a",@progbits
	.p2align	6, 0x0
	.amdhsa_kernel _Z39paged_attention_ll4mi_QKV_mfma16_kernelIDF16_DF16_LN4vllm18Fp8KVCacheDataTypeE0EhLi16ELi64ELi256ELb0ELi1EEvPKT_PKT0_S7_ifPKiS9_S9_iPKfiiiPfSC_PS2_PT2_iSB_SB_
		.amdhsa_group_segment_fixed_size 0
		.amdhsa_private_segment_fixed_size 64
		.amdhsa_kernarg_size 400
		.amdhsa_user_sgpr_count 2
		.amdhsa_user_sgpr_dispatch_ptr 0
		.amdhsa_user_sgpr_queue_ptr 0
		.amdhsa_user_sgpr_kernarg_segment_ptr 1
		.amdhsa_user_sgpr_dispatch_id 0
		.amdhsa_user_sgpr_kernarg_preload_length 0
		.amdhsa_user_sgpr_kernarg_preload_offset 0
		.amdhsa_user_sgpr_private_segment_size 0
		.amdhsa_wavefront_size32 1
		.amdhsa_uses_dynamic_stack 0
		.amdhsa_enable_private_segment 1
		.amdhsa_system_sgpr_workgroup_id_x 1
		.amdhsa_system_sgpr_workgroup_id_y 0
		.amdhsa_system_sgpr_workgroup_id_z 0
		.amdhsa_system_sgpr_workgroup_info 0
		.amdhsa_system_vgpr_workitem_id 0
		.amdhsa_next_free_vgpr 51
		.amdhsa_next_free_sgpr 34
		.amdhsa_named_barrier_count 0
		.amdhsa_reserve_vcc 1
		.amdhsa_float_round_mode_32 0
		.amdhsa_float_round_mode_16_64 0
		.amdhsa_float_denorm_mode_32 3
		.amdhsa_float_denorm_mode_16_64 3
		.amdhsa_fp16_overflow 0
		.amdhsa_memory_ordered 1
		.amdhsa_forward_progress 1
		.amdhsa_inst_pref_size 1
		.amdhsa_round_robin_scheduling 0
		.amdhsa_exception_fp_ieee_invalid_op 0
		.amdhsa_exception_fp_denorm_src 0
		.amdhsa_exception_fp_ieee_div_zero 0
		.amdhsa_exception_fp_ieee_overflow 0
		.amdhsa_exception_fp_ieee_underflow 0
		.amdhsa_exception_fp_ieee_inexact 0
		.amdhsa_exception_int_div_zero 0
	.end_amdhsa_kernel
	.section	.text._Z39paged_attention_ll4mi_QKV_mfma16_kernelIDF16_DF16_LN4vllm18Fp8KVCacheDataTypeE0EhLi16ELi64ELi256ELb0ELi1EEvPKT_PKT0_S7_ifPKiS9_S9_iPKfiiiPfSC_PS2_PT2_iSB_SB_,"axG",@progbits,_Z39paged_attention_ll4mi_QKV_mfma16_kernelIDF16_DF16_LN4vllm18Fp8KVCacheDataTypeE0EhLi16ELi64ELi256ELb0ELi1EEvPKT_PKT0_S7_ifPKiS9_S9_iPKfiiiPfSC_PS2_PT2_iSB_SB_,comdat
.Lfunc_end54:
	.size	_Z39paged_attention_ll4mi_QKV_mfma16_kernelIDF16_DF16_LN4vllm18Fp8KVCacheDataTypeE0EhLi16ELi64ELi256ELb0ELi1EEvPKT_PKT0_S7_ifPKiS9_S9_iPKfiiiPfSC_PS2_PT2_iSB_SB_, .Lfunc_end54-_Z39paged_attention_ll4mi_QKV_mfma16_kernelIDF16_DF16_LN4vllm18Fp8KVCacheDataTypeE0EhLi16ELi64ELi256ELb0ELi1EEvPKT_PKT0_S7_ifPKiS9_S9_iPKfiiiPfSC_PS2_PT2_iSB_SB_
                                        ; -- End function
	.set _Z39paged_attention_ll4mi_QKV_mfma16_kernelIDF16_DF16_LN4vllm18Fp8KVCacheDataTypeE0EhLi16ELi64ELi256ELb0ELi1EEvPKT_PKT0_S7_ifPKiS9_S9_iPKfiiiPfSC_PS2_PT2_iSB_SB_.num_vgpr, max(3, .L__assert_fail.num_vgpr)
	.set _Z39paged_attention_ll4mi_QKV_mfma16_kernelIDF16_DF16_LN4vllm18Fp8KVCacheDataTypeE0EhLi16ELi64ELi256ELb0ELi1EEvPKT_PKT0_S7_ifPKiS9_S9_iPKfiiiPfSC_PS2_PT2_iSB_SB_.num_agpr, max(0, .L__assert_fail.num_agpr)
	.set _Z39paged_attention_ll4mi_QKV_mfma16_kernelIDF16_DF16_LN4vllm18Fp8KVCacheDataTypeE0EhLi16ELi64ELi256ELb0ELi1EEvPKT_PKT0_S7_ifPKiS9_S9_iPKfiiiPfSC_PS2_PT2_iSB_SB_.numbered_sgpr, max(33, .L__assert_fail.numbered_sgpr)
	.set _Z39paged_attention_ll4mi_QKV_mfma16_kernelIDF16_DF16_LN4vllm18Fp8KVCacheDataTypeE0EhLi16ELi64ELi256ELb0ELi1EEvPKT_PKT0_S7_ifPKiS9_S9_iPKfiiiPfSC_PS2_PT2_iSB_SB_.num_named_barrier, max(0, .L__assert_fail.num_named_barrier)
	.set _Z39paged_attention_ll4mi_QKV_mfma16_kernelIDF16_DF16_LN4vllm18Fp8KVCacheDataTypeE0EhLi16ELi64ELi256ELb0ELi1EEvPKT_PKT0_S7_ifPKiS9_S9_iPKfiiiPfSC_PS2_PT2_iSB_SB_.private_seg_size, 0+max(.L__assert_fail.private_seg_size)
	.set _Z39paged_attention_ll4mi_QKV_mfma16_kernelIDF16_DF16_LN4vllm18Fp8KVCacheDataTypeE0EhLi16ELi64ELi256ELb0ELi1EEvPKT_PKT0_S7_ifPKiS9_S9_iPKfiiiPfSC_PS2_PT2_iSB_SB_.uses_vcc, or(1, .L__assert_fail.uses_vcc)
	.set _Z39paged_attention_ll4mi_QKV_mfma16_kernelIDF16_DF16_LN4vllm18Fp8KVCacheDataTypeE0EhLi16ELi64ELi256ELb0ELi1EEvPKT_PKT0_S7_ifPKiS9_S9_iPKfiiiPfSC_PS2_PT2_iSB_SB_.uses_flat_scratch, or(0, .L__assert_fail.uses_flat_scratch)
	.set _Z39paged_attention_ll4mi_QKV_mfma16_kernelIDF16_DF16_LN4vllm18Fp8KVCacheDataTypeE0EhLi16ELi64ELi256ELb0ELi1EEvPKT_PKT0_S7_ifPKiS9_S9_iPKfiiiPfSC_PS2_PT2_iSB_SB_.has_dyn_sized_stack, or(0, .L__assert_fail.has_dyn_sized_stack)
	.set _Z39paged_attention_ll4mi_QKV_mfma16_kernelIDF16_DF16_LN4vllm18Fp8KVCacheDataTypeE0EhLi16ELi64ELi256ELb0ELi1EEvPKT_PKT0_S7_ifPKiS9_S9_iPKfiiiPfSC_PS2_PT2_iSB_SB_.has_recursion, or(0, .L__assert_fail.has_recursion)
	.set _Z39paged_attention_ll4mi_QKV_mfma16_kernelIDF16_DF16_LN4vllm18Fp8KVCacheDataTypeE0EhLi16ELi64ELi256ELb0ELi1EEvPKT_PKT0_S7_ifPKiS9_S9_iPKfiiiPfSC_PS2_PT2_iSB_SB_.has_indirect_call, or(0, .L__assert_fail.has_indirect_call)
	.section	.AMDGPU.csdata,"",@progbits
; Kernel info:
; codeLenInByte = 68
; TotalNumSgprs: 36
; NumVgprs: 51
; ScratchSize: 64
; MemoryBound: 0
; FloatMode: 240
; IeeeMode: 1
; LDSByteSize: 0 bytes/workgroup (compile time only)
; SGPRBlocks: 0
; VGPRBlocks: 3
; NumSGPRsForWavesPerEU: 36
; NumVGPRsForWavesPerEU: 51
; NamedBarCnt: 0
; Occupancy: 16
; WaveLimiterHint : 1
; COMPUTE_PGM_RSRC2:SCRATCH_EN: 1
; COMPUTE_PGM_RSRC2:USER_SGPR: 2
; COMPUTE_PGM_RSRC2:TRAP_HANDLER: 0
; COMPUTE_PGM_RSRC2:TGID_X_EN: 1
; COMPUTE_PGM_RSRC2:TGID_Y_EN: 0
; COMPUTE_PGM_RSRC2:TGID_Z_EN: 0
; COMPUTE_PGM_RSRC2:TIDIG_COMP_CNT: 0
	.section	.text._Z39paged_attention_ll4mi_QKV_mfma16_kernelIDF16_DF16_LN4vllm18Fp8KVCacheDataTypeE0EhLi16ELi64ELi256ELb0ELi2EEvPKT_PKT0_S7_ifPKiS9_S9_iPKfiiiPfSC_PS2_PT2_iSB_SB_,"axG",@progbits,_Z39paged_attention_ll4mi_QKV_mfma16_kernelIDF16_DF16_LN4vllm18Fp8KVCacheDataTypeE0EhLi16ELi64ELi256ELb0ELi2EEvPKT_PKT0_S7_ifPKiS9_S9_iPKfiiiPfSC_PS2_PT2_iSB_SB_,comdat
	.protected	_Z39paged_attention_ll4mi_QKV_mfma16_kernelIDF16_DF16_LN4vllm18Fp8KVCacheDataTypeE0EhLi16ELi64ELi256ELb0ELi2EEvPKT_PKT0_S7_ifPKiS9_S9_iPKfiiiPfSC_PS2_PT2_iSB_SB_ ; -- Begin function _Z39paged_attention_ll4mi_QKV_mfma16_kernelIDF16_DF16_LN4vllm18Fp8KVCacheDataTypeE0EhLi16ELi64ELi256ELb0ELi2EEvPKT_PKT0_S7_ifPKiS9_S9_iPKfiiiPfSC_PS2_PT2_iSB_SB_
	.globl	_Z39paged_attention_ll4mi_QKV_mfma16_kernelIDF16_DF16_LN4vllm18Fp8KVCacheDataTypeE0EhLi16ELi64ELi256ELb0ELi2EEvPKT_PKT0_S7_ifPKiS9_S9_iPKfiiiPfSC_PS2_PT2_iSB_SB_
	.p2align	8
	.type	_Z39paged_attention_ll4mi_QKV_mfma16_kernelIDF16_DF16_LN4vllm18Fp8KVCacheDataTypeE0EhLi16ELi64ELi256ELb0ELi2EEvPKT_PKT0_S7_ifPKiS9_S9_iPKfiiiPfSC_PS2_PT2_iSB_SB_,@function
_Z39paged_attention_ll4mi_QKV_mfma16_kernelIDF16_DF16_LN4vllm18Fp8KVCacheDataTypeE0EhLi16ELi64ELi256ELb0ELi2EEvPKT_PKT0_S7_ifPKiS9_S9_iPKfiiiPfSC_PS2_PT2_iSB_SB_: ; @_Z39paged_attention_ll4mi_QKV_mfma16_kernelIDF16_DF16_LN4vllm18Fp8KVCacheDataTypeE0EhLi16ELi64ELi256ELb0ELi2EEvPKT_PKT0_S7_ifPKiS9_S9_iPKfiiiPfSC_PS2_PT2_iSB_SB_
; %bb.0:
	s_get_pc_i64 s[2:3]
	s_add_nc_u64 s[2:3], s[2:3], __PRETTY_FUNCTION__._Z39paged_attention_ll4mi_QKV_mfma16_kernelIDF16_DF16_LN4vllm18Fp8KVCacheDataTypeE0EhLi16ELi64ELi256ELb0ELi2EEvPKT_PKT0_S7_ifPKiS9_S9_iPKfiiiPfSC_PS2_PT2_iSB_SB_@rel64+4
	s_delay_alu instid0(SALU_CYCLE_1)
	v_dual_mov_b32 v0, 0xbb3 :: v_dual_mov_b32 v1, s2
	v_mov_b32_e32 v2, s3
	s_add_nc_u64 s[8:9], s[0:1], 0x90
	s_get_pc_i64 s[0:1]
	s_add_nc_u64 s[0:1], s[0:1], __assert_fail@rel64+4
	s_mov_b32 s32, 0
	s_swap_pc_i64 s[30:31], s[0:1]
	.section	.rodata,"a",@progbits
	.p2align	6, 0x0
	.amdhsa_kernel _Z39paged_attention_ll4mi_QKV_mfma16_kernelIDF16_DF16_LN4vllm18Fp8KVCacheDataTypeE0EhLi16ELi64ELi256ELb0ELi2EEvPKT_PKT0_S7_ifPKiS9_S9_iPKfiiiPfSC_PS2_PT2_iSB_SB_
		.amdhsa_group_segment_fixed_size 0
		.amdhsa_private_segment_fixed_size 64
		.amdhsa_kernarg_size 400
		.amdhsa_user_sgpr_count 2
		.amdhsa_user_sgpr_dispatch_ptr 0
		.amdhsa_user_sgpr_queue_ptr 0
		.amdhsa_user_sgpr_kernarg_segment_ptr 1
		.amdhsa_user_sgpr_dispatch_id 0
		.amdhsa_user_sgpr_kernarg_preload_length 0
		.amdhsa_user_sgpr_kernarg_preload_offset 0
		.amdhsa_user_sgpr_private_segment_size 0
		.amdhsa_wavefront_size32 1
		.amdhsa_uses_dynamic_stack 0
		.amdhsa_enable_private_segment 1
		.amdhsa_system_sgpr_workgroup_id_x 1
		.amdhsa_system_sgpr_workgroup_id_y 0
		.amdhsa_system_sgpr_workgroup_id_z 0
		.amdhsa_system_sgpr_workgroup_info 0
		.amdhsa_system_vgpr_workitem_id 0
		.amdhsa_next_free_vgpr 51
		.amdhsa_next_free_sgpr 34
		.amdhsa_named_barrier_count 0
		.amdhsa_reserve_vcc 1
		.amdhsa_float_round_mode_32 0
		.amdhsa_float_round_mode_16_64 0
		.amdhsa_float_denorm_mode_32 3
		.amdhsa_float_denorm_mode_16_64 3
		.amdhsa_fp16_overflow 0
		.amdhsa_memory_ordered 1
		.amdhsa_forward_progress 1
		.amdhsa_inst_pref_size 1
		.amdhsa_round_robin_scheduling 0
		.amdhsa_exception_fp_ieee_invalid_op 0
		.amdhsa_exception_fp_denorm_src 0
		.amdhsa_exception_fp_ieee_div_zero 0
		.amdhsa_exception_fp_ieee_overflow 0
		.amdhsa_exception_fp_ieee_underflow 0
		.amdhsa_exception_fp_ieee_inexact 0
		.amdhsa_exception_int_div_zero 0
	.end_amdhsa_kernel
	.section	.text._Z39paged_attention_ll4mi_QKV_mfma16_kernelIDF16_DF16_LN4vllm18Fp8KVCacheDataTypeE0EhLi16ELi64ELi256ELb0ELi2EEvPKT_PKT0_S7_ifPKiS9_S9_iPKfiiiPfSC_PS2_PT2_iSB_SB_,"axG",@progbits,_Z39paged_attention_ll4mi_QKV_mfma16_kernelIDF16_DF16_LN4vllm18Fp8KVCacheDataTypeE0EhLi16ELi64ELi256ELb0ELi2EEvPKT_PKT0_S7_ifPKiS9_S9_iPKfiiiPfSC_PS2_PT2_iSB_SB_,comdat
.Lfunc_end55:
	.size	_Z39paged_attention_ll4mi_QKV_mfma16_kernelIDF16_DF16_LN4vllm18Fp8KVCacheDataTypeE0EhLi16ELi64ELi256ELb0ELi2EEvPKT_PKT0_S7_ifPKiS9_S9_iPKfiiiPfSC_PS2_PT2_iSB_SB_, .Lfunc_end55-_Z39paged_attention_ll4mi_QKV_mfma16_kernelIDF16_DF16_LN4vllm18Fp8KVCacheDataTypeE0EhLi16ELi64ELi256ELb0ELi2EEvPKT_PKT0_S7_ifPKiS9_S9_iPKfiiiPfSC_PS2_PT2_iSB_SB_
                                        ; -- End function
	.set _Z39paged_attention_ll4mi_QKV_mfma16_kernelIDF16_DF16_LN4vllm18Fp8KVCacheDataTypeE0EhLi16ELi64ELi256ELb0ELi2EEvPKT_PKT0_S7_ifPKiS9_S9_iPKfiiiPfSC_PS2_PT2_iSB_SB_.num_vgpr, max(3, .L__assert_fail.num_vgpr)
	.set _Z39paged_attention_ll4mi_QKV_mfma16_kernelIDF16_DF16_LN4vllm18Fp8KVCacheDataTypeE0EhLi16ELi64ELi256ELb0ELi2EEvPKT_PKT0_S7_ifPKiS9_S9_iPKfiiiPfSC_PS2_PT2_iSB_SB_.num_agpr, max(0, .L__assert_fail.num_agpr)
	.set _Z39paged_attention_ll4mi_QKV_mfma16_kernelIDF16_DF16_LN4vllm18Fp8KVCacheDataTypeE0EhLi16ELi64ELi256ELb0ELi2EEvPKT_PKT0_S7_ifPKiS9_S9_iPKfiiiPfSC_PS2_PT2_iSB_SB_.numbered_sgpr, max(33, .L__assert_fail.numbered_sgpr)
	.set _Z39paged_attention_ll4mi_QKV_mfma16_kernelIDF16_DF16_LN4vllm18Fp8KVCacheDataTypeE0EhLi16ELi64ELi256ELb0ELi2EEvPKT_PKT0_S7_ifPKiS9_S9_iPKfiiiPfSC_PS2_PT2_iSB_SB_.num_named_barrier, max(0, .L__assert_fail.num_named_barrier)
	.set _Z39paged_attention_ll4mi_QKV_mfma16_kernelIDF16_DF16_LN4vllm18Fp8KVCacheDataTypeE0EhLi16ELi64ELi256ELb0ELi2EEvPKT_PKT0_S7_ifPKiS9_S9_iPKfiiiPfSC_PS2_PT2_iSB_SB_.private_seg_size, 0+max(.L__assert_fail.private_seg_size)
	.set _Z39paged_attention_ll4mi_QKV_mfma16_kernelIDF16_DF16_LN4vllm18Fp8KVCacheDataTypeE0EhLi16ELi64ELi256ELb0ELi2EEvPKT_PKT0_S7_ifPKiS9_S9_iPKfiiiPfSC_PS2_PT2_iSB_SB_.uses_vcc, or(1, .L__assert_fail.uses_vcc)
	.set _Z39paged_attention_ll4mi_QKV_mfma16_kernelIDF16_DF16_LN4vllm18Fp8KVCacheDataTypeE0EhLi16ELi64ELi256ELb0ELi2EEvPKT_PKT0_S7_ifPKiS9_S9_iPKfiiiPfSC_PS2_PT2_iSB_SB_.uses_flat_scratch, or(0, .L__assert_fail.uses_flat_scratch)
	.set _Z39paged_attention_ll4mi_QKV_mfma16_kernelIDF16_DF16_LN4vllm18Fp8KVCacheDataTypeE0EhLi16ELi64ELi256ELb0ELi2EEvPKT_PKT0_S7_ifPKiS9_S9_iPKfiiiPfSC_PS2_PT2_iSB_SB_.has_dyn_sized_stack, or(0, .L__assert_fail.has_dyn_sized_stack)
	.set _Z39paged_attention_ll4mi_QKV_mfma16_kernelIDF16_DF16_LN4vllm18Fp8KVCacheDataTypeE0EhLi16ELi64ELi256ELb0ELi2EEvPKT_PKT0_S7_ifPKiS9_S9_iPKfiiiPfSC_PS2_PT2_iSB_SB_.has_recursion, or(0, .L__assert_fail.has_recursion)
	.set _Z39paged_attention_ll4mi_QKV_mfma16_kernelIDF16_DF16_LN4vllm18Fp8KVCacheDataTypeE0EhLi16ELi64ELi256ELb0ELi2EEvPKT_PKT0_S7_ifPKiS9_S9_iPKfiiiPfSC_PS2_PT2_iSB_SB_.has_indirect_call, or(0, .L__assert_fail.has_indirect_call)
	.section	.AMDGPU.csdata,"",@progbits
; Kernel info:
; codeLenInByte = 68
; TotalNumSgprs: 36
; NumVgprs: 51
; ScratchSize: 64
; MemoryBound: 0
; FloatMode: 240
; IeeeMode: 1
; LDSByteSize: 0 bytes/workgroup (compile time only)
; SGPRBlocks: 0
; VGPRBlocks: 3
; NumSGPRsForWavesPerEU: 36
; NumVGPRsForWavesPerEU: 51
; NamedBarCnt: 0
; Occupancy: 16
; WaveLimiterHint : 1
; COMPUTE_PGM_RSRC2:SCRATCH_EN: 1
; COMPUTE_PGM_RSRC2:USER_SGPR: 2
; COMPUTE_PGM_RSRC2:TRAP_HANDLER: 0
; COMPUTE_PGM_RSRC2:TGID_X_EN: 1
; COMPUTE_PGM_RSRC2:TGID_Y_EN: 0
; COMPUTE_PGM_RSRC2:TGID_Z_EN: 0
; COMPUTE_PGM_RSRC2:TIDIG_COMP_CNT: 0
	.section	.text._Z39paged_attention_ll4mi_QKV_mfma16_kernelIDF16_DF16_LN4vllm18Fp8KVCacheDataTypeE0EhLi16ELi64ELi256ELb0ELi3EEvPKT_PKT0_S7_ifPKiS9_S9_iPKfiiiPfSC_PS2_PT2_iSB_SB_,"axG",@progbits,_Z39paged_attention_ll4mi_QKV_mfma16_kernelIDF16_DF16_LN4vllm18Fp8KVCacheDataTypeE0EhLi16ELi64ELi256ELb0ELi3EEvPKT_PKT0_S7_ifPKiS9_S9_iPKfiiiPfSC_PS2_PT2_iSB_SB_,comdat
	.protected	_Z39paged_attention_ll4mi_QKV_mfma16_kernelIDF16_DF16_LN4vllm18Fp8KVCacheDataTypeE0EhLi16ELi64ELi256ELb0ELi3EEvPKT_PKT0_S7_ifPKiS9_S9_iPKfiiiPfSC_PS2_PT2_iSB_SB_ ; -- Begin function _Z39paged_attention_ll4mi_QKV_mfma16_kernelIDF16_DF16_LN4vllm18Fp8KVCacheDataTypeE0EhLi16ELi64ELi256ELb0ELi3EEvPKT_PKT0_S7_ifPKiS9_S9_iPKfiiiPfSC_PS2_PT2_iSB_SB_
	.globl	_Z39paged_attention_ll4mi_QKV_mfma16_kernelIDF16_DF16_LN4vllm18Fp8KVCacheDataTypeE0EhLi16ELi64ELi256ELb0ELi3EEvPKT_PKT0_S7_ifPKiS9_S9_iPKfiiiPfSC_PS2_PT2_iSB_SB_
	.p2align	8
	.type	_Z39paged_attention_ll4mi_QKV_mfma16_kernelIDF16_DF16_LN4vllm18Fp8KVCacheDataTypeE0EhLi16ELi64ELi256ELb0ELi3EEvPKT_PKT0_S7_ifPKiS9_S9_iPKfiiiPfSC_PS2_PT2_iSB_SB_,@function
_Z39paged_attention_ll4mi_QKV_mfma16_kernelIDF16_DF16_LN4vllm18Fp8KVCacheDataTypeE0EhLi16ELi64ELi256ELb0ELi3EEvPKT_PKT0_S7_ifPKiS9_S9_iPKfiiiPfSC_PS2_PT2_iSB_SB_: ; @_Z39paged_attention_ll4mi_QKV_mfma16_kernelIDF16_DF16_LN4vllm18Fp8KVCacheDataTypeE0EhLi16ELi64ELi256ELb0ELi3EEvPKT_PKT0_S7_ifPKiS9_S9_iPKfiiiPfSC_PS2_PT2_iSB_SB_
; %bb.0:
	s_get_pc_i64 s[2:3]
	s_add_nc_u64 s[2:3], s[2:3], __PRETTY_FUNCTION__._Z39paged_attention_ll4mi_QKV_mfma16_kernelIDF16_DF16_LN4vllm18Fp8KVCacheDataTypeE0EhLi16ELi64ELi256ELb0ELi3EEvPKT_PKT0_S7_ifPKiS9_S9_iPKfiiiPfSC_PS2_PT2_iSB_SB_@rel64+4
	s_delay_alu instid0(SALU_CYCLE_1)
	v_dual_mov_b32 v0, 0xbb3 :: v_dual_mov_b32 v1, s2
	v_mov_b32_e32 v2, s3
	s_add_nc_u64 s[8:9], s[0:1], 0x90
	s_get_pc_i64 s[0:1]
	s_add_nc_u64 s[0:1], s[0:1], __assert_fail@rel64+4
	s_mov_b32 s32, 0
	s_swap_pc_i64 s[30:31], s[0:1]
	.section	.rodata,"a",@progbits
	.p2align	6, 0x0
	.amdhsa_kernel _Z39paged_attention_ll4mi_QKV_mfma16_kernelIDF16_DF16_LN4vllm18Fp8KVCacheDataTypeE0EhLi16ELi64ELi256ELb0ELi3EEvPKT_PKT0_S7_ifPKiS9_S9_iPKfiiiPfSC_PS2_PT2_iSB_SB_
		.amdhsa_group_segment_fixed_size 0
		.amdhsa_private_segment_fixed_size 64
		.amdhsa_kernarg_size 400
		.amdhsa_user_sgpr_count 2
		.amdhsa_user_sgpr_dispatch_ptr 0
		.amdhsa_user_sgpr_queue_ptr 0
		.amdhsa_user_sgpr_kernarg_segment_ptr 1
		.amdhsa_user_sgpr_dispatch_id 0
		.amdhsa_user_sgpr_kernarg_preload_length 0
		.amdhsa_user_sgpr_kernarg_preload_offset 0
		.amdhsa_user_sgpr_private_segment_size 0
		.amdhsa_wavefront_size32 1
		.amdhsa_uses_dynamic_stack 0
		.amdhsa_enable_private_segment 1
		.amdhsa_system_sgpr_workgroup_id_x 1
		.amdhsa_system_sgpr_workgroup_id_y 0
		.amdhsa_system_sgpr_workgroup_id_z 0
		.amdhsa_system_sgpr_workgroup_info 0
		.amdhsa_system_vgpr_workitem_id 0
		.amdhsa_next_free_vgpr 51
		.amdhsa_next_free_sgpr 34
		.amdhsa_named_barrier_count 0
		.amdhsa_reserve_vcc 1
		.amdhsa_float_round_mode_32 0
		.amdhsa_float_round_mode_16_64 0
		.amdhsa_float_denorm_mode_32 3
		.amdhsa_float_denorm_mode_16_64 3
		.amdhsa_fp16_overflow 0
		.amdhsa_memory_ordered 1
		.amdhsa_forward_progress 1
		.amdhsa_inst_pref_size 1
		.amdhsa_round_robin_scheduling 0
		.amdhsa_exception_fp_ieee_invalid_op 0
		.amdhsa_exception_fp_denorm_src 0
		.amdhsa_exception_fp_ieee_div_zero 0
		.amdhsa_exception_fp_ieee_overflow 0
		.amdhsa_exception_fp_ieee_underflow 0
		.amdhsa_exception_fp_ieee_inexact 0
		.amdhsa_exception_int_div_zero 0
	.end_amdhsa_kernel
	.section	.text._Z39paged_attention_ll4mi_QKV_mfma16_kernelIDF16_DF16_LN4vllm18Fp8KVCacheDataTypeE0EhLi16ELi64ELi256ELb0ELi3EEvPKT_PKT0_S7_ifPKiS9_S9_iPKfiiiPfSC_PS2_PT2_iSB_SB_,"axG",@progbits,_Z39paged_attention_ll4mi_QKV_mfma16_kernelIDF16_DF16_LN4vllm18Fp8KVCacheDataTypeE0EhLi16ELi64ELi256ELb0ELi3EEvPKT_PKT0_S7_ifPKiS9_S9_iPKfiiiPfSC_PS2_PT2_iSB_SB_,comdat
.Lfunc_end56:
	.size	_Z39paged_attention_ll4mi_QKV_mfma16_kernelIDF16_DF16_LN4vllm18Fp8KVCacheDataTypeE0EhLi16ELi64ELi256ELb0ELi3EEvPKT_PKT0_S7_ifPKiS9_S9_iPKfiiiPfSC_PS2_PT2_iSB_SB_, .Lfunc_end56-_Z39paged_attention_ll4mi_QKV_mfma16_kernelIDF16_DF16_LN4vllm18Fp8KVCacheDataTypeE0EhLi16ELi64ELi256ELb0ELi3EEvPKT_PKT0_S7_ifPKiS9_S9_iPKfiiiPfSC_PS2_PT2_iSB_SB_
                                        ; -- End function
	.set _Z39paged_attention_ll4mi_QKV_mfma16_kernelIDF16_DF16_LN4vllm18Fp8KVCacheDataTypeE0EhLi16ELi64ELi256ELb0ELi3EEvPKT_PKT0_S7_ifPKiS9_S9_iPKfiiiPfSC_PS2_PT2_iSB_SB_.num_vgpr, max(3, .L__assert_fail.num_vgpr)
	.set _Z39paged_attention_ll4mi_QKV_mfma16_kernelIDF16_DF16_LN4vllm18Fp8KVCacheDataTypeE0EhLi16ELi64ELi256ELb0ELi3EEvPKT_PKT0_S7_ifPKiS9_S9_iPKfiiiPfSC_PS2_PT2_iSB_SB_.num_agpr, max(0, .L__assert_fail.num_agpr)
	.set _Z39paged_attention_ll4mi_QKV_mfma16_kernelIDF16_DF16_LN4vllm18Fp8KVCacheDataTypeE0EhLi16ELi64ELi256ELb0ELi3EEvPKT_PKT0_S7_ifPKiS9_S9_iPKfiiiPfSC_PS2_PT2_iSB_SB_.numbered_sgpr, max(33, .L__assert_fail.numbered_sgpr)
	.set _Z39paged_attention_ll4mi_QKV_mfma16_kernelIDF16_DF16_LN4vllm18Fp8KVCacheDataTypeE0EhLi16ELi64ELi256ELb0ELi3EEvPKT_PKT0_S7_ifPKiS9_S9_iPKfiiiPfSC_PS2_PT2_iSB_SB_.num_named_barrier, max(0, .L__assert_fail.num_named_barrier)
	.set _Z39paged_attention_ll4mi_QKV_mfma16_kernelIDF16_DF16_LN4vllm18Fp8KVCacheDataTypeE0EhLi16ELi64ELi256ELb0ELi3EEvPKT_PKT0_S7_ifPKiS9_S9_iPKfiiiPfSC_PS2_PT2_iSB_SB_.private_seg_size, 0+max(.L__assert_fail.private_seg_size)
	.set _Z39paged_attention_ll4mi_QKV_mfma16_kernelIDF16_DF16_LN4vllm18Fp8KVCacheDataTypeE0EhLi16ELi64ELi256ELb0ELi3EEvPKT_PKT0_S7_ifPKiS9_S9_iPKfiiiPfSC_PS2_PT2_iSB_SB_.uses_vcc, or(1, .L__assert_fail.uses_vcc)
	.set _Z39paged_attention_ll4mi_QKV_mfma16_kernelIDF16_DF16_LN4vllm18Fp8KVCacheDataTypeE0EhLi16ELi64ELi256ELb0ELi3EEvPKT_PKT0_S7_ifPKiS9_S9_iPKfiiiPfSC_PS2_PT2_iSB_SB_.uses_flat_scratch, or(0, .L__assert_fail.uses_flat_scratch)
	.set _Z39paged_attention_ll4mi_QKV_mfma16_kernelIDF16_DF16_LN4vllm18Fp8KVCacheDataTypeE0EhLi16ELi64ELi256ELb0ELi3EEvPKT_PKT0_S7_ifPKiS9_S9_iPKfiiiPfSC_PS2_PT2_iSB_SB_.has_dyn_sized_stack, or(0, .L__assert_fail.has_dyn_sized_stack)
	.set _Z39paged_attention_ll4mi_QKV_mfma16_kernelIDF16_DF16_LN4vllm18Fp8KVCacheDataTypeE0EhLi16ELi64ELi256ELb0ELi3EEvPKT_PKT0_S7_ifPKiS9_S9_iPKfiiiPfSC_PS2_PT2_iSB_SB_.has_recursion, or(0, .L__assert_fail.has_recursion)
	.set _Z39paged_attention_ll4mi_QKV_mfma16_kernelIDF16_DF16_LN4vllm18Fp8KVCacheDataTypeE0EhLi16ELi64ELi256ELb0ELi3EEvPKT_PKT0_S7_ifPKiS9_S9_iPKfiiiPfSC_PS2_PT2_iSB_SB_.has_indirect_call, or(0, .L__assert_fail.has_indirect_call)
	.section	.AMDGPU.csdata,"",@progbits
; Kernel info:
; codeLenInByte = 68
; TotalNumSgprs: 36
; NumVgprs: 51
; ScratchSize: 64
; MemoryBound: 0
; FloatMode: 240
; IeeeMode: 1
; LDSByteSize: 0 bytes/workgroup (compile time only)
; SGPRBlocks: 0
; VGPRBlocks: 3
; NumSGPRsForWavesPerEU: 36
; NumVGPRsForWavesPerEU: 51
; NamedBarCnt: 0
; Occupancy: 16
; WaveLimiterHint : 1
; COMPUTE_PGM_RSRC2:SCRATCH_EN: 1
; COMPUTE_PGM_RSRC2:USER_SGPR: 2
; COMPUTE_PGM_RSRC2:TRAP_HANDLER: 0
; COMPUTE_PGM_RSRC2:TGID_X_EN: 1
; COMPUTE_PGM_RSRC2:TGID_Y_EN: 0
; COMPUTE_PGM_RSRC2:TGID_Z_EN: 0
; COMPUTE_PGM_RSRC2:TIDIG_COMP_CNT: 0
	.section	.text._Z39paged_attention_ll4mi_QKV_mfma16_kernelIDF16_DF16_LN4vllm18Fp8KVCacheDataTypeE0EhLi16ELi64ELi256ELb0ELi4EEvPKT_PKT0_S7_ifPKiS9_S9_iPKfiiiPfSC_PS2_PT2_iSB_SB_,"axG",@progbits,_Z39paged_attention_ll4mi_QKV_mfma16_kernelIDF16_DF16_LN4vllm18Fp8KVCacheDataTypeE0EhLi16ELi64ELi256ELb0ELi4EEvPKT_PKT0_S7_ifPKiS9_S9_iPKfiiiPfSC_PS2_PT2_iSB_SB_,comdat
	.protected	_Z39paged_attention_ll4mi_QKV_mfma16_kernelIDF16_DF16_LN4vllm18Fp8KVCacheDataTypeE0EhLi16ELi64ELi256ELb0ELi4EEvPKT_PKT0_S7_ifPKiS9_S9_iPKfiiiPfSC_PS2_PT2_iSB_SB_ ; -- Begin function _Z39paged_attention_ll4mi_QKV_mfma16_kernelIDF16_DF16_LN4vllm18Fp8KVCacheDataTypeE0EhLi16ELi64ELi256ELb0ELi4EEvPKT_PKT0_S7_ifPKiS9_S9_iPKfiiiPfSC_PS2_PT2_iSB_SB_
	.globl	_Z39paged_attention_ll4mi_QKV_mfma16_kernelIDF16_DF16_LN4vllm18Fp8KVCacheDataTypeE0EhLi16ELi64ELi256ELb0ELi4EEvPKT_PKT0_S7_ifPKiS9_S9_iPKfiiiPfSC_PS2_PT2_iSB_SB_
	.p2align	8
	.type	_Z39paged_attention_ll4mi_QKV_mfma16_kernelIDF16_DF16_LN4vllm18Fp8KVCacheDataTypeE0EhLi16ELi64ELi256ELb0ELi4EEvPKT_PKT0_S7_ifPKiS9_S9_iPKfiiiPfSC_PS2_PT2_iSB_SB_,@function
_Z39paged_attention_ll4mi_QKV_mfma16_kernelIDF16_DF16_LN4vllm18Fp8KVCacheDataTypeE0EhLi16ELi64ELi256ELb0ELi4EEvPKT_PKT0_S7_ifPKiS9_S9_iPKfiiiPfSC_PS2_PT2_iSB_SB_: ; @_Z39paged_attention_ll4mi_QKV_mfma16_kernelIDF16_DF16_LN4vllm18Fp8KVCacheDataTypeE0EhLi16ELi64ELi256ELb0ELi4EEvPKT_PKT0_S7_ifPKiS9_S9_iPKfiiiPfSC_PS2_PT2_iSB_SB_
; %bb.0:
	s_get_pc_i64 s[2:3]
	s_add_nc_u64 s[2:3], s[2:3], __PRETTY_FUNCTION__._Z39paged_attention_ll4mi_QKV_mfma16_kernelIDF16_DF16_LN4vllm18Fp8KVCacheDataTypeE0EhLi16ELi64ELi256ELb0ELi4EEvPKT_PKT0_S7_ifPKiS9_S9_iPKfiiiPfSC_PS2_PT2_iSB_SB_@rel64+4
	s_delay_alu instid0(SALU_CYCLE_1)
	v_dual_mov_b32 v0, 0xbb3 :: v_dual_mov_b32 v1, s2
	v_mov_b32_e32 v2, s3
	s_add_nc_u64 s[8:9], s[0:1], 0x90
	s_get_pc_i64 s[0:1]
	s_add_nc_u64 s[0:1], s[0:1], __assert_fail@rel64+4
	s_mov_b32 s32, 0
	s_swap_pc_i64 s[30:31], s[0:1]
	.section	.rodata,"a",@progbits
	.p2align	6, 0x0
	.amdhsa_kernel _Z39paged_attention_ll4mi_QKV_mfma16_kernelIDF16_DF16_LN4vllm18Fp8KVCacheDataTypeE0EhLi16ELi64ELi256ELb0ELi4EEvPKT_PKT0_S7_ifPKiS9_S9_iPKfiiiPfSC_PS2_PT2_iSB_SB_
		.amdhsa_group_segment_fixed_size 0
		.amdhsa_private_segment_fixed_size 64
		.amdhsa_kernarg_size 400
		.amdhsa_user_sgpr_count 2
		.amdhsa_user_sgpr_dispatch_ptr 0
		.amdhsa_user_sgpr_queue_ptr 0
		.amdhsa_user_sgpr_kernarg_segment_ptr 1
		.amdhsa_user_sgpr_dispatch_id 0
		.amdhsa_user_sgpr_kernarg_preload_length 0
		.amdhsa_user_sgpr_kernarg_preload_offset 0
		.amdhsa_user_sgpr_private_segment_size 0
		.amdhsa_wavefront_size32 1
		.amdhsa_uses_dynamic_stack 0
		.amdhsa_enable_private_segment 1
		.amdhsa_system_sgpr_workgroup_id_x 1
		.amdhsa_system_sgpr_workgroup_id_y 0
		.amdhsa_system_sgpr_workgroup_id_z 0
		.amdhsa_system_sgpr_workgroup_info 0
		.amdhsa_system_vgpr_workitem_id 0
		.amdhsa_next_free_vgpr 51
		.amdhsa_next_free_sgpr 34
		.amdhsa_named_barrier_count 0
		.amdhsa_reserve_vcc 1
		.amdhsa_float_round_mode_32 0
		.amdhsa_float_round_mode_16_64 0
		.amdhsa_float_denorm_mode_32 3
		.amdhsa_float_denorm_mode_16_64 3
		.amdhsa_fp16_overflow 0
		.amdhsa_memory_ordered 1
		.amdhsa_forward_progress 1
		.amdhsa_inst_pref_size 1
		.amdhsa_round_robin_scheduling 0
		.amdhsa_exception_fp_ieee_invalid_op 0
		.amdhsa_exception_fp_denorm_src 0
		.amdhsa_exception_fp_ieee_div_zero 0
		.amdhsa_exception_fp_ieee_overflow 0
		.amdhsa_exception_fp_ieee_underflow 0
		.amdhsa_exception_fp_ieee_inexact 0
		.amdhsa_exception_int_div_zero 0
	.end_amdhsa_kernel
	.section	.text._Z39paged_attention_ll4mi_QKV_mfma16_kernelIDF16_DF16_LN4vllm18Fp8KVCacheDataTypeE0EhLi16ELi64ELi256ELb0ELi4EEvPKT_PKT0_S7_ifPKiS9_S9_iPKfiiiPfSC_PS2_PT2_iSB_SB_,"axG",@progbits,_Z39paged_attention_ll4mi_QKV_mfma16_kernelIDF16_DF16_LN4vllm18Fp8KVCacheDataTypeE0EhLi16ELi64ELi256ELb0ELi4EEvPKT_PKT0_S7_ifPKiS9_S9_iPKfiiiPfSC_PS2_PT2_iSB_SB_,comdat
.Lfunc_end57:
	.size	_Z39paged_attention_ll4mi_QKV_mfma16_kernelIDF16_DF16_LN4vllm18Fp8KVCacheDataTypeE0EhLi16ELi64ELi256ELb0ELi4EEvPKT_PKT0_S7_ifPKiS9_S9_iPKfiiiPfSC_PS2_PT2_iSB_SB_, .Lfunc_end57-_Z39paged_attention_ll4mi_QKV_mfma16_kernelIDF16_DF16_LN4vllm18Fp8KVCacheDataTypeE0EhLi16ELi64ELi256ELb0ELi4EEvPKT_PKT0_S7_ifPKiS9_S9_iPKfiiiPfSC_PS2_PT2_iSB_SB_
                                        ; -- End function
	.set _Z39paged_attention_ll4mi_QKV_mfma16_kernelIDF16_DF16_LN4vllm18Fp8KVCacheDataTypeE0EhLi16ELi64ELi256ELb0ELi4EEvPKT_PKT0_S7_ifPKiS9_S9_iPKfiiiPfSC_PS2_PT2_iSB_SB_.num_vgpr, max(3, .L__assert_fail.num_vgpr)
	.set _Z39paged_attention_ll4mi_QKV_mfma16_kernelIDF16_DF16_LN4vllm18Fp8KVCacheDataTypeE0EhLi16ELi64ELi256ELb0ELi4EEvPKT_PKT0_S7_ifPKiS9_S9_iPKfiiiPfSC_PS2_PT2_iSB_SB_.num_agpr, max(0, .L__assert_fail.num_agpr)
	.set _Z39paged_attention_ll4mi_QKV_mfma16_kernelIDF16_DF16_LN4vllm18Fp8KVCacheDataTypeE0EhLi16ELi64ELi256ELb0ELi4EEvPKT_PKT0_S7_ifPKiS9_S9_iPKfiiiPfSC_PS2_PT2_iSB_SB_.numbered_sgpr, max(33, .L__assert_fail.numbered_sgpr)
	.set _Z39paged_attention_ll4mi_QKV_mfma16_kernelIDF16_DF16_LN4vllm18Fp8KVCacheDataTypeE0EhLi16ELi64ELi256ELb0ELi4EEvPKT_PKT0_S7_ifPKiS9_S9_iPKfiiiPfSC_PS2_PT2_iSB_SB_.num_named_barrier, max(0, .L__assert_fail.num_named_barrier)
	.set _Z39paged_attention_ll4mi_QKV_mfma16_kernelIDF16_DF16_LN4vllm18Fp8KVCacheDataTypeE0EhLi16ELi64ELi256ELb0ELi4EEvPKT_PKT0_S7_ifPKiS9_S9_iPKfiiiPfSC_PS2_PT2_iSB_SB_.private_seg_size, 0+max(.L__assert_fail.private_seg_size)
	.set _Z39paged_attention_ll4mi_QKV_mfma16_kernelIDF16_DF16_LN4vllm18Fp8KVCacheDataTypeE0EhLi16ELi64ELi256ELb0ELi4EEvPKT_PKT0_S7_ifPKiS9_S9_iPKfiiiPfSC_PS2_PT2_iSB_SB_.uses_vcc, or(1, .L__assert_fail.uses_vcc)
	.set _Z39paged_attention_ll4mi_QKV_mfma16_kernelIDF16_DF16_LN4vllm18Fp8KVCacheDataTypeE0EhLi16ELi64ELi256ELb0ELi4EEvPKT_PKT0_S7_ifPKiS9_S9_iPKfiiiPfSC_PS2_PT2_iSB_SB_.uses_flat_scratch, or(0, .L__assert_fail.uses_flat_scratch)
	.set _Z39paged_attention_ll4mi_QKV_mfma16_kernelIDF16_DF16_LN4vllm18Fp8KVCacheDataTypeE0EhLi16ELi64ELi256ELb0ELi4EEvPKT_PKT0_S7_ifPKiS9_S9_iPKfiiiPfSC_PS2_PT2_iSB_SB_.has_dyn_sized_stack, or(0, .L__assert_fail.has_dyn_sized_stack)
	.set _Z39paged_attention_ll4mi_QKV_mfma16_kernelIDF16_DF16_LN4vllm18Fp8KVCacheDataTypeE0EhLi16ELi64ELi256ELb0ELi4EEvPKT_PKT0_S7_ifPKiS9_S9_iPKfiiiPfSC_PS2_PT2_iSB_SB_.has_recursion, or(0, .L__assert_fail.has_recursion)
	.set _Z39paged_attention_ll4mi_QKV_mfma16_kernelIDF16_DF16_LN4vllm18Fp8KVCacheDataTypeE0EhLi16ELi64ELi256ELb0ELi4EEvPKT_PKT0_S7_ifPKiS9_S9_iPKfiiiPfSC_PS2_PT2_iSB_SB_.has_indirect_call, or(0, .L__assert_fail.has_indirect_call)
	.section	.AMDGPU.csdata,"",@progbits
; Kernel info:
; codeLenInByte = 68
; TotalNumSgprs: 36
; NumVgprs: 51
; ScratchSize: 64
; MemoryBound: 0
; FloatMode: 240
; IeeeMode: 1
; LDSByteSize: 0 bytes/workgroup (compile time only)
; SGPRBlocks: 0
; VGPRBlocks: 3
; NumSGPRsForWavesPerEU: 36
; NumVGPRsForWavesPerEU: 51
; NamedBarCnt: 0
; Occupancy: 16
; WaveLimiterHint : 1
; COMPUTE_PGM_RSRC2:SCRATCH_EN: 1
; COMPUTE_PGM_RSRC2:USER_SGPR: 2
; COMPUTE_PGM_RSRC2:TRAP_HANDLER: 0
; COMPUTE_PGM_RSRC2:TGID_X_EN: 1
; COMPUTE_PGM_RSRC2:TGID_Y_EN: 0
; COMPUTE_PGM_RSRC2:TGID_Z_EN: 0
; COMPUTE_PGM_RSRC2:TIDIG_COMP_CNT: 0
	.section	.text._Z38paged_attention_ll4mi_QKV_mfma4_kernelIDF16_DF16_LN4vllm18Fp8KVCacheDataTypeE0EDF16_Li16ELi64ELi256ELb1ELi1EEvPKT_PKT0_S7_ifPKiS9_S9_iPKfiiiPfSC_PS2_PT2_iSB_SB_,"axG",@progbits,_Z38paged_attention_ll4mi_QKV_mfma4_kernelIDF16_DF16_LN4vllm18Fp8KVCacheDataTypeE0EDF16_Li16ELi64ELi256ELb1ELi1EEvPKT_PKT0_S7_ifPKiS9_S9_iPKfiiiPfSC_PS2_PT2_iSB_SB_,comdat
	.protected	_Z38paged_attention_ll4mi_QKV_mfma4_kernelIDF16_DF16_LN4vllm18Fp8KVCacheDataTypeE0EDF16_Li16ELi64ELi256ELb1ELi1EEvPKT_PKT0_S7_ifPKiS9_S9_iPKfiiiPfSC_PS2_PT2_iSB_SB_ ; -- Begin function _Z38paged_attention_ll4mi_QKV_mfma4_kernelIDF16_DF16_LN4vllm18Fp8KVCacheDataTypeE0EDF16_Li16ELi64ELi256ELb1ELi1EEvPKT_PKT0_S7_ifPKiS9_S9_iPKfiiiPfSC_PS2_PT2_iSB_SB_
	.globl	_Z38paged_attention_ll4mi_QKV_mfma4_kernelIDF16_DF16_LN4vllm18Fp8KVCacheDataTypeE0EDF16_Li16ELi64ELi256ELb1ELi1EEvPKT_PKT0_S7_ifPKiS9_S9_iPKfiiiPfSC_PS2_PT2_iSB_SB_
	.p2align	8
	.type	_Z38paged_attention_ll4mi_QKV_mfma4_kernelIDF16_DF16_LN4vllm18Fp8KVCacheDataTypeE0EDF16_Li16ELi64ELi256ELb1ELi1EEvPKT_PKT0_S7_ifPKiS9_S9_iPKfiiiPfSC_PS2_PT2_iSB_SB_,@function
_Z38paged_attention_ll4mi_QKV_mfma4_kernelIDF16_DF16_LN4vllm18Fp8KVCacheDataTypeE0EDF16_Li16ELi64ELi256ELb1ELi1EEvPKT_PKT0_S7_ifPKiS9_S9_iPKfiiiPfSC_PS2_PT2_iSB_SB_: ; @_Z38paged_attention_ll4mi_QKV_mfma4_kernelIDF16_DF16_LN4vllm18Fp8KVCacheDataTypeE0EDF16_Li16ELi64ELi256ELb1ELi1EEvPKT_PKT0_S7_ifPKiS9_S9_iPKfiiiPfSC_PS2_PT2_iSB_SB_
; %bb.0:
	s_get_pc_i64 s[2:3]
	s_add_nc_u64 s[2:3], s[2:3], __PRETTY_FUNCTION__._Z38paged_attention_ll4mi_QKV_mfma4_kernelIDF16_DF16_LN4vllm18Fp8KVCacheDataTypeE0EDF16_Li16ELi64ELi256ELb1ELi1EEvPKT_PKT0_S7_ifPKiS9_S9_iPKfiiiPfSC_PS2_PT2_iSB_SB_@rel64+4
	s_delay_alu instid0(SALU_CYCLE_1)
	v_dual_mov_b32 v0, 0xbce :: v_dual_mov_b32 v1, s2
	v_mov_b32_e32 v2, s3
	s_add_nc_u64 s[8:9], s[0:1], 0x90
	s_get_pc_i64 s[0:1]
	s_add_nc_u64 s[0:1], s[0:1], __assert_fail@rel64+4
	s_mov_b32 s32, 0
	s_swap_pc_i64 s[30:31], s[0:1]
	.section	.rodata,"a",@progbits
	.p2align	6, 0x0
	.amdhsa_kernel _Z38paged_attention_ll4mi_QKV_mfma4_kernelIDF16_DF16_LN4vllm18Fp8KVCacheDataTypeE0EDF16_Li16ELi64ELi256ELb1ELi1EEvPKT_PKT0_S7_ifPKiS9_S9_iPKfiiiPfSC_PS2_PT2_iSB_SB_
		.amdhsa_group_segment_fixed_size 0
		.amdhsa_private_segment_fixed_size 64
		.amdhsa_kernarg_size 400
		.amdhsa_user_sgpr_count 2
		.amdhsa_user_sgpr_dispatch_ptr 0
		.amdhsa_user_sgpr_queue_ptr 0
		.amdhsa_user_sgpr_kernarg_segment_ptr 1
		.amdhsa_user_sgpr_dispatch_id 0
		.amdhsa_user_sgpr_kernarg_preload_length 0
		.amdhsa_user_sgpr_kernarg_preload_offset 0
		.amdhsa_user_sgpr_private_segment_size 0
		.amdhsa_wavefront_size32 1
		.amdhsa_uses_dynamic_stack 0
		.amdhsa_enable_private_segment 1
		.amdhsa_system_sgpr_workgroup_id_x 1
		.amdhsa_system_sgpr_workgroup_id_y 0
		.amdhsa_system_sgpr_workgroup_id_z 0
		.amdhsa_system_sgpr_workgroup_info 0
		.amdhsa_system_vgpr_workitem_id 0
		.amdhsa_next_free_vgpr 51
		.amdhsa_next_free_sgpr 34
		.amdhsa_named_barrier_count 0
		.amdhsa_reserve_vcc 1
		.amdhsa_float_round_mode_32 0
		.amdhsa_float_round_mode_16_64 0
		.amdhsa_float_denorm_mode_32 3
		.amdhsa_float_denorm_mode_16_64 3
		.amdhsa_fp16_overflow 0
		.amdhsa_memory_ordered 1
		.amdhsa_forward_progress 1
		.amdhsa_inst_pref_size 1
		.amdhsa_round_robin_scheduling 0
		.amdhsa_exception_fp_ieee_invalid_op 0
		.amdhsa_exception_fp_denorm_src 0
		.amdhsa_exception_fp_ieee_div_zero 0
		.amdhsa_exception_fp_ieee_overflow 0
		.amdhsa_exception_fp_ieee_underflow 0
		.amdhsa_exception_fp_ieee_inexact 0
		.amdhsa_exception_int_div_zero 0
	.end_amdhsa_kernel
	.section	.text._Z38paged_attention_ll4mi_QKV_mfma4_kernelIDF16_DF16_LN4vllm18Fp8KVCacheDataTypeE0EDF16_Li16ELi64ELi256ELb1ELi1EEvPKT_PKT0_S7_ifPKiS9_S9_iPKfiiiPfSC_PS2_PT2_iSB_SB_,"axG",@progbits,_Z38paged_attention_ll4mi_QKV_mfma4_kernelIDF16_DF16_LN4vllm18Fp8KVCacheDataTypeE0EDF16_Li16ELi64ELi256ELb1ELi1EEvPKT_PKT0_S7_ifPKiS9_S9_iPKfiiiPfSC_PS2_PT2_iSB_SB_,comdat
.Lfunc_end58:
	.size	_Z38paged_attention_ll4mi_QKV_mfma4_kernelIDF16_DF16_LN4vllm18Fp8KVCacheDataTypeE0EDF16_Li16ELi64ELi256ELb1ELi1EEvPKT_PKT0_S7_ifPKiS9_S9_iPKfiiiPfSC_PS2_PT2_iSB_SB_, .Lfunc_end58-_Z38paged_attention_ll4mi_QKV_mfma4_kernelIDF16_DF16_LN4vllm18Fp8KVCacheDataTypeE0EDF16_Li16ELi64ELi256ELb1ELi1EEvPKT_PKT0_S7_ifPKiS9_S9_iPKfiiiPfSC_PS2_PT2_iSB_SB_
                                        ; -- End function
	.set _Z38paged_attention_ll4mi_QKV_mfma4_kernelIDF16_DF16_LN4vllm18Fp8KVCacheDataTypeE0EDF16_Li16ELi64ELi256ELb1ELi1EEvPKT_PKT0_S7_ifPKiS9_S9_iPKfiiiPfSC_PS2_PT2_iSB_SB_.num_vgpr, max(3, .L__assert_fail.num_vgpr)
	.set _Z38paged_attention_ll4mi_QKV_mfma4_kernelIDF16_DF16_LN4vllm18Fp8KVCacheDataTypeE0EDF16_Li16ELi64ELi256ELb1ELi1EEvPKT_PKT0_S7_ifPKiS9_S9_iPKfiiiPfSC_PS2_PT2_iSB_SB_.num_agpr, max(0, .L__assert_fail.num_agpr)
	.set _Z38paged_attention_ll4mi_QKV_mfma4_kernelIDF16_DF16_LN4vllm18Fp8KVCacheDataTypeE0EDF16_Li16ELi64ELi256ELb1ELi1EEvPKT_PKT0_S7_ifPKiS9_S9_iPKfiiiPfSC_PS2_PT2_iSB_SB_.numbered_sgpr, max(33, .L__assert_fail.numbered_sgpr)
	.set _Z38paged_attention_ll4mi_QKV_mfma4_kernelIDF16_DF16_LN4vllm18Fp8KVCacheDataTypeE0EDF16_Li16ELi64ELi256ELb1ELi1EEvPKT_PKT0_S7_ifPKiS9_S9_iPKfiiiPfSC_PS2_PT2_iSB_SB_.num_named_barrier, max(0, .L__assert_fail.num_named_barrier)
	.set _Z38paged_attention_ll4mi_QKV_mfma4_kernelIDF16_DF16_LN4vllm18Fp8KVCacheDataTypeE0EDF16_Li16ELi64ELi256ELb1ELi1EEvPKT_PKT0_S7_ifPKiS9_S9_iPKfiiiPfSC_PS2_PT2_iSB_SB_.private_seg_size, 0+max(.L__assert_fail.private_seg_size)
	.set _Z38paged_attention_ll4mi_QKV_mfma4_kernelIDF16_DF16_LN4vllm18Fp8KVCacheDataTypeE0EDF16_Li16ELi64ELi256ELb1ELi1EEvPKT_PKT0_S7_ifPKiS9_S9_iPKfiiiPfSC_PS2_PT2_iSB_SB_.uses_vcc, or(1, .L__assert_fail.uses_vcc)
	.set _Z38paged_attention_ll4mi_QKV_mfma4_kernelIDF16_DF16_LN4vllm18Fp8KVCacheDataTypeE0EDF16_Li16ELi64ELi256ELb1ELi1EEvPKT_PKT0_S7_ifPKiS9_S9_iPKfiiiPfSC_PS2_PT2_iSB_SB_.uses_flat_scratch, or(0, .L__assert_fail.uses_flat_scratch)
	.set _Z38paged_attention_ll4mi_QKV_mfma4_kernelIDF16_DF16_LN4vllm18Fp8KVCacheDataTypeE0EDF16_Li16ELi64ELi256ELb1ELi1EEvPKT_PKT0_S7_ifPKiS9_S9_iPKfiiiPfSC_PS2_PT2_iSB_SB_.has_dyn_sized_stack, or(0, .L__assert_fail.has_dyn_sized_stack)
	.set _Z38paged_attention_ll4mi_QKV_mfma4_kernelIDF16_DF16_LN4vllm18Fp8KVCacheDataTypeE0EDF16_Li16ELi64ELi256ELb1ELi1EEvPKT_PKT0_S7_ifPKiS9_S9_iPKfiiiPfSC_PS2_PT2_iSB_SB_.has_recursion, or(0, .L__assert_fail.has_recursion)
	.set _Z38paged_attention_ll4mi_QKV_mfma4_kernelIDF16_DF16_LN4vllm18Fp8KVCacheDataTypeE0EDF16_Li16ELi64ELi256ELb1ELi1EEvPKT_PKT0_S7_ifPKiS9_S9_iPKfiiiPfSC_PS2_PT2_iSB_SB_.has_indirect_call, or(0, .L__assert_fail.has_indirect_call)
	.section	.AMDGPU.csdata,"",@progbits
; Kernel info:
; codeLenInByte = 68
; TotalNumSgprs: 36
; NumVgprs: 51
; ScratchSize: 64
; MemoryBound: 0
; FloatMode: 240
; IeeeMode: 1
; LDSByteSize: 0 bytes/workgroup (compile time only)
; SGPRBlocks: 0
; VGPRBlocks: 3
; NumSGPRsForWavesPerEU: 36
; NumVGPRsForWavesPerEU: 51
; NamedBarCnt: 0
; Occupancy: 16
; WaveLimiterHint : 1
; COMPUTE_PGM_RSRC2:SCRATCH_EN: 1
; COMPUTE_PGM_RSRC2:USER_SGPR: 2
; COMPUTE_PGM_RSRC2:TRAP_HANDLER: 0
; COMPUTE_PGM_RSRC2:TGID_X_EN: 1
; COMPUTE_PGM_RSRC2:TGID_Y_EN: 0
; COMPUTE_PGM_RSRC2:TGID_Z_EN: 0
; COMPUTE_PGM_RSRC2:TIDIG_COMP_CNT: 0
	.section	.text._Z38paged_attention_ll4mi_QKV_mfma4_kernelIDF16_DF16_LN4vllm18Fp8KVCacheDataTypeE0EDF16_Li16ELi64ELi256ELb1ELi2EEvPKT_PKT0_S7_ifPKiS9_S9_iPKfiiiPfSC_PS2_PT2_iSB_SB_,"axG",@progbits,_Z38paged_attention_ll4mi_QKV_mfma4_kernelIDF16_DF16_LN4vllm18Fp8KVCacheDataTypeE0EDF16_Li16ELi64ELi256ELb1ELi2EEvPKT_PKT0_S7_ifPKiS9_S9_iPKfiiiPfSC_PS2_PT2_iSB_SB_,comdat
	.protected	_Z38paged_attention_ll4mi_QKV_mfma4_kernelIDF16_DF16_LN4vllm18Fp8KVCacheDataTypeE0EDF16_Li16ELi64ELi256ELb1ELi2EEvPKT_PKT0_S7_ifPKiS9_S9_iPKfiiiPfSC_PS2_PT2_iSB_SB_ ; -- Begin function _Z38paged_attention_ll4mi_QKV_mfma4_kernelIDF16_DF16_LN4vllm18Fp8KVCacheDataTypeE0EDF16_Li16ELi64ELi256ELb1ELi2EEvPKT_PKT0_S7_ifPKiS9_S9_iPKfiiiPfSC_PS2_PT2_iSB_SB_
	.globl	_Z38paged_attention_ll4mi_QKV_mfma4_kernelIDF16_DF16_LN4vllm18Fp8KVCacheDataTypeE0EDF16_Li16ELi64ELi256ELb1ELi2EEvPKT_PKT0_S7_ifPKiS9_S9_iPKfiiiPfSC_PS2_PT2_iSB_SB_
	.p2align	8
	.type	_Z38paged_attention_ll4mi_QKV_mfma4_kernelIDF16_DF16_LN4vllm18Fp8KVCacheDataTypeE0EDF16_Li16ELi64ELi256ELb1ELi2EEvPKT_PKT0_S7_ifPKiS9_S9_iPKfiiiPfSC_PS2_PT2_iSB_SB_,@function
_Z38paged_attention_ll4mi_QKV_mfma4_kernelIDF16_DF16_LN4vllm18Fp8KVCacheDataTypeE0EDF16_Li16ELi64ELi256ELb1ELi2EEvPKT_PKT0_S7_ifPKiS9_S9_iPKfiiiPfSC_PS2_PT2_iSB_SB_: ; @_Z38paged_attention_ll4mi_QKV_mfma4_kernelIDF16_DF16_LN4vllm18Fp8KVCacheDataTypeE0EDF16_Li16ELi64ELi256ELb1ELi2EEvPKT_PKT0_S7_ifPKiS9_S9_iPKfiiiPfSC_PS2_PT2_iSB_SB_
; %bb.0:
	s_get_pc_i64 s[2:3]
	s_add_nc_u64 s[2:3], s[2:3], __PRETTY_FUNCTION__._Z38paged_attention_ll4mi_QKV_mfma4_kernelIDF16_DF16_LN4vllm18Fp8KVCacheDataTypeE0EDF16_Li16ELi64ELi256ELb1ELi2EEvPKT_PKT0_S7_ifPKiS9_S9_iPKfiiiPfSC_PS2_PT2_iSB_SB_@rel64+4
	s_delay_alu instid0(SALU_CYCLE_1)
	v_dual_mov_b32 v0, 0xbce :: v_dual_mov_b32 v1, s2
	v_mov_b32_e32 v2, s3
	s_add_nc_u64 s[8:9], s[0:1], 0x90
	s_get_pc_i64 s[0:1]
	s_add_nc_u64 s[0:1], s[0:1], __assert_fail@rel64+4
	s_mov_b32 s32, 0
	s_swap_pc_i64 s[30:31], s[0:1]
	.section	.rodata,"a",@progbits
	.p2align	6, 0x0
	.amdhsa_kernel _Z38paged_attention_ll4mi_QKV_mfma4_kernelIDF16_DF16_LN4vllm18Fp8KVCacheDataTypeE0EDF16_Li16ELi64ELi256ELb1ELi2EEvPKT_PKT0_S7_ifPKiS9_S9_iPKfiiiPfSC_PS2_PT2_iSB_SB_
		.amdhsa_group_segment_fixed_size 0
		.amdhsa_private_segment_fixed_size 64
		.amdhsa_kernarg_size 400
		.amdhsa_user_sgpr_count 2
		.amdhsa_user_sgpr_dispatch_ptr 0
		.amdhsa_user_sgpr_queue_ptr 0
		.amdhsa_user_sgpr_kernarg_segment_ptr 1
		.amdhsa_user_sgpr_dispatch_id 0
		.amdhsa_user_sgpr_kernarg_preload_length 0
		.amdhsa_user_sgpr_kernarg_preload_offset 0
		.amdhsa_user_sgpr_private_segment_size 0
		.amdhsa_wavefront_size32 1
		.amdhsa_uses_dynamic_stack 0
		.amdhsa_enable_private_segment 1
		.amdhsa_system_sgpr_workgroup_id_x 1
		.amdhsa_system_sgpr_workgroup_id_y 0
		.amdhsa_system_sgpr_workgroup_id_z 0
		.amdhsa_system_sgpr_workgroup_info 0
		.amdhsa_system_vgpr_workitem_id 0
		.amdhsa_next_free_vgpr 51
		.amdhsa_next_free_sgpr 34
		.amdhsa_named_barrier_count 0
		.amdhsa_reserve_vcc 1
		.amdhsa_float_round_mode_32 0
		.amdhsa_float_round_mode_16_64 0
		.amdhsa_float_denorm_mode_32 3
		.amdhsa_float_denorm_mode_16_64 3
		.amdhsa_fp16_overflow 0
		.amdhsa_memory_ordered 1
		.amdhsa_forward_progress 1
		.amdhsa_inst_pref_size 1
		.amdhsa_round_robin_scheduling 0
		.amdhsa_exception_fp_ieee_invalid_op 0
		.amdhsa_exception_fp_denorm_src 0
		.amdhsa_exception_fp_ieee_div_zero 0
		.amdhsa_exception_fp_ieee_overflow 0
		.amdhsa_exception_fp_ieee_underflow 0
		.amdhsa_exception_fp_ieee_inexact 0
		.amdhsa_exception_int_div_zero 0
	.end_amdhsa_kernel
	.section	.text._Z38paged_attention_ll4mi_QKV_mfma4_kernelIDF16_DF16_LN4vllm18Fp8KVCacheDataTypeE0EDF16_Li16ELi64ELi256ELb1ELi2EEvPKT_PKT0_S7_ifPKiS9_S9_iPKfiiiPfSC_PS2_PT2_iSB_SB_,"axG",@progbits,_Z38paged_attention_ll4mi_QKV_mfma4_kernelIDF16_DF16_LN4vllm18Fp8KVCacheDataTypeE0EDF16_Li16ELi64ELi256ELb1ELi2EEvPKT_PKT0_S7_ifPKiS9_S9_iPKfiiiPfSC_PS2_PT2_iSB_SB_,comdat
.Lfunc_end59:
	.size	_Z38paged_attention_ll4mi_QKV_mfma4_kernelIDF16_DF16_LN4vllm18Fp8KVCacheDataTypeE0EDF16_Li16ELi64ELi256ELb1ELi2EEvPKT_PKT0_S7_ifPKiS9_S9_iPKfiiiPfSC_PS2_PT2_iSB_SB_, .Lfunc_end59-_Z38paged_attention_ll4mi_QKV_mfma4_kernelIDF16_DF16_LN4vllm18Fp8KVCacheDataTypeE0EDF16_Li16ELi64ELi256ELb1ELi2EEvPKT_PKT0_S7_ifPKiS9_S9_iPKfiiiPfSC_PS2_PT2_iSB_SB_
                                        ; -- End function
	.set _Z38paged_attention_ll4mi_QKV_mfma4_kernelIDF16_DF16_LN4vllm18Fp8KVCacheDataTypeE0EDF16_Li16ELi64ELi256ELb1ELi2EEvPKT_PKT0_S7_ifPKiS9_S9_iPKfiiiPfSC_PS2_PT2_iSB_SB_.num_vgpr, max(3, .L__assert_fail.num_vgpr)
	.set _Z38paged_attention_ll4mi_QKV_mfma4_kernelIDF16_DF16_LN4vllm18Fp8KVCacheDataTypeE0EDF16_Li16ELi64ELi256ELb1ELi2EEvPKT_PKT0_S7_ifPKiS9_S9_iPKfiiiPfSC_PS2_PT2_iSB_SB_.num_agpr, max(0, .L__assert_fail.num_agpr)
	.set _Z38paged_attention_ll4mi_QKV_mfma4_kernelIDF16_DF16_LN4vllm18Fp8KVCacheDataTypeE0EDF16_Li16ELi64ELi256ELb1ELi2EEvPKT_PKT0_S7_ifPKiS9_S9_iPKfiiiPfSC_PS2_PT2_iSB_SB_.numbered_sgpr, max(33, .L__assert_fail.numbered_sgpr)
	.set _Z38paged_attention_ll4mi_QKV_mfma4_kernelIDF16_DF16_LN4vllm18Fp8KVCacheDataTypeE0EDF16_Li16ELi64ELi256ELb1ELi2EEvPKT_PKT0_S7_ifPKiS9_S9_iPKfiiiPfSC_PS2_PT2_iSB_SB_.num_named_barrier, max(0, .L__assert_fail.num_named_barrier)
	.set _Z38paged_attention_ll4mi_QKV_mfma4_kernelIDF16_DF16_LN4vllm18Fp8KVCacheDataTypeE0EDF16_Li16ELi64ELi256ELb1ELi2EEvPKT_PKT0_S7_ifPKiS9_S9_iPKfiiiPfSC_PS2_PT2_iSB_SB_.private_seg_size, 0+max(.L__assert_fail.private_seg_size)
	.set _Z38paged_attention_ll4mi_QKV_mfma4_kernelIDF16_DF16_LN4vllm18Fp8KVCacheDataTypeE0EDF16_Li16ELi64ELi256ELb1ELi2EEvPKT_PKT0_S7_ifPKiS9_S9_iPKfiiiPfSC_PS2_PT2_iSB_SB_.uses_vcc, or(1, .L__assert_fail.uses_vcc)
	.set _Z38paged_attention_ll4mi_QKV_mfma4_kernelIDF16_DF16_LN4vllm18Fp8KVCacheDataTypeE0EDF16_Li16ELi64ELi256ELb1ELi2EEvPKT_PKT0_S7_ifPKiS9_S9_iPKfiiiPfSC_PS2_PT2_iSB_SB_.uses_flat_scratch, or(0, .L__assert_fail.uses_flat_scratch)
	.set _Z38paged_attention_ll4mi_QKV_mfma4_kernelIDF16_DF16_LN4vllm18Fp8KVCacheDataTypeE0EDF16_Li16ELi64ELi256ELb1ELi2EEvPKT_PKT0_S7_ifPKiS9_S9_iPKfiiiPfSC_PS2_PT2_iSB_SB_.has_dyn_sized_stack, or(0, .L__assert_fail.has_dyn_sized_stack)
	.set _Z38paged_attention_ll4mi_QKV_mfma4_kernelIDF16_DF16_LN4vllm18Fp8KVCacheDataTypeE0EDF16_Li16ELi64ELi256ELb1ELi2EEvPKT_PKT0_S7_ifPKiS9_S9_iPKfiiiPfSC_PS2_PT2_iSB_SB_.has_recursion, or(0, .L__assert_fail.has_recursion)
	.set _Z38paged_attention_ll4mi_QKV_mfma4_kernelIDF16_DF16_LN4vllm18Fp8KVCacheDataTypeE0EDF16_Li16ELi64ELi256ELb1ELi2EEvPKT_PKT0_S7_ifPKiS9_S9_iPKfiiiPfSC_PS2_PT2_iSB_SB_.has_indirect_call, or(0, .L__assert_fail.has_indirect_call)
	.section	.AMDGPU.csdata,"",@progbits
; Kernel info:
; codeLenInByte = 68
; TotalNumSgprs: 36
; NumVgprs: 51
; ScratchSize: 64
; MemoryBound: 0
; FloatMode: 240
; IeeeMode: 1
; LDSByteSize: 0 bytes/workgroup (compile time only)
; SGPRBlocks: 0
; VGPRBlocks: 3
; NumSGPRsForWavesPerEU: 36
; NumVGPRsForWavesPerEU: 51
; NamedBarCnt: 0
; Occupancy: 16
; WaveLimiterHint : 1
; COMPUTE_PGM_RSRC2:SCRATCH_EN: 1
; COMPUTE_PGM_RSRC2:USER_SGPR: 2
; COMPUTE_PGM_RSRC2:TRAP_HANDLER: 0
; COMPUTE_PGM_RSRC2:TGID_X_EN: 1
; COMPUTE_PGM_RSRC2:TGID_Y_EN: 0
; COMPUTE_PGM_RSRC2:TGID_Z_EN: 0
; COMPUTE_PGM_RSRC2:TIDIG_COMP_CNT: 0
	.section	.text._Z38paged_attention_ll4mi_QKV_mfma4_kernelIDF16_DF16_LN4vllm18Fp8KVCacheDataTypeE0EDF16_Li16ELi64ELi256ELb1ELi3EEvPKT_PKT0_S7_ifPKiS9_S9_iPKfiiiPfSC_PS2_PT2_iSB_SB_,"axG",@progbits,_Z38paged_attention_ll4mi_QKV_mfma4_kernelIDF16_DF16_LN4vllm18Fp8KVCacheDataTypeE0EDF16_Li16ELi64ELi256ELb1ELi3EEvPKT_PKT0_S7_ifPKiS9_S9_iPKfiiiPfSC_PS2_PT2_iSB_SB_,comdat
	.protected	_Z38paged_attention_ll4mi_QKV_mfma4_kernelIDF16_DF16_LN4vllm18Fp8KVCacheDataTypeE0EDF16_Li16ELi64ELi256ELb1ELi3EEvPKT_PKT0_S7_ifPKiS9_S9_iPKfiiiPfSC_PS2_PT2_iSB_SB_ ; -- Begin function _Z38paged_attention_ll4mi_QKV_mfma4_kernelIDF16_DF16_LN4vllm18Fp8KVCacheDataTypeE0EDF16_Li16ELi64ELi256ELb1ELi3EEvPKT_PKT0_S7_ifPKiS9_S9_iPKfiiiPfSC_PS2_PT2_iSB_SB_
	.globl	_Z38paged_attention_ll4mi_QKV_mfma4_kernelIDF16_DF16_LN4vllm18Fp8KVCacheDataTypeE0EDF16_Li16ELi64ELi256ELb1ELi3EEvPKT_PKT0_S7_ifPKiS9_S9_iPKfiiiPfSC_PS2_PT2_iSB_SB_
	.p2align	8
	.type	_Z38paged_attention_ll4mi_QKV_mfma4_kernelIDF16_DF16_LN4vllm18Fp8KVCacheDataTypeE0EDF16_Li16ELi64ELi256ELb1ELi3EEvPKT_PKT0_S7_ifPKiS9_S9_iPKfiiiPfSC_PS2_PT2_iSB_SB_,@function
_Z38paged_attention_ll4mi_QKV_mfma4_kernelIDF16_DF16_LN4vllm18Fp8KVCacheDataTypeE0EDF16_Li16ELi64ELi256ELb1ELi3EEvPKT_PKT0_S7_ifPKiS9_S9_iPKfiiiPfSC_PS2_PT2_iSB_SB_: ; @_Z38paged_attention_ll4mi_QKV_mfma4_kernelIDF16_DF16_LN4vllm18Fp8KVCacheDataTypeE0EDF16_Li16ELi64ELi256ELb1ELi3EEvPKT_PKT0_S7_ifPKiS9_S9_iPKfiiiPfSC_PS2_PT2_iSB_SB_
; %bb.0:
	s_get_pc_i64 s[2:3]
	s_add_nc_u64 s[2:3], s[2:3], __PRETTY_FUNCTION__._Z38paged_attention_ll4mi_QKV_mfma4_kernelIDF16_DF16_LN4vllm18Fp8KVCacheDataTypeE0EDF16_Li16ELi64ELi256ELb1ELi3EEvPKT_PKT0_S7_ifPKiS9_S9_iPKfiiiPfSC_PS2_PT2_iSB_SB_@rel64+4
	s_delay_alu instid0(SALU_CYCLE_1)
	v_dual_mov_b32 v0, 0xbce :: v_dual_mov_b32 v1, s2
	v_mov_b32_e32 v2, s3
	s_add_nc_u64 s[8:9], s[0:1], 0x90
	s_get_pc_i64 s[0:1]
	s_add_nc_u64 s[0:1], s[0:1], __assert_fail@rel64+4
	s_mov_b32 s32, 0
	s_swap_pc_i64 s[30:31], s[0:1]
	.section	.rodata,"a",@progbits
	.p2align	6, 0x0
	.amdhsa_kernel _Z38paged_attention_ll4mi_QKV_mfma4_kernelIDF16_DF16_LN4vllm18Fp8KVCacheDataTypeE0EDF16_Li16ELi64ELi256ELb1ELi3EEvPKT_PKT0_S7_ifPKiS9_S9_iPKfiiiPfSC_PS2_PT2_iSB_SB_
		.amdhsa_group_segment_fixed_size 0
		.amdhsa_private_segment_fixed_size 64
		.amdhsa_kernarg_size 400
		.amdhsa_user_sgpr_count 2
		.amdhsa_user_sgpr_dispatch_ptr 0
		.amdhsa_user_sgpr_queue_ptr 0
		.amdhsa_user_sgpr_kernarg_segment_ptr 1
		.amdhsa_user_sgpr_dispatch_id 0
		.amdhsa_user_sgpr_kernarg_preload_length 0
		.amdhsa_user_sgpr_kernarg_preload_offset 0
		.amdhsa_user_sgpr_private_segment_size 0
		.amdhsa_wavefront_size32 1
		.amdhsa_uses_dynamic_stack 0
		.amdhsa_enable_private_segment 1
		.amdhsa_system_sgpr_workgroup_id_x 1
		.amdhsa_system_sgpr_workgroup_id_y 0
		.amdhsa_system_sgpr_workgroup_id_z 0
		.amdhsa_system_sgpr_workgroup_info 0
		.amdhsa_system_vgpr_workitem_id 0
		.amdhsa_next_free_vgpr 51
		.amdhsa_next_free_sgpr 34
		.amdhsa_named_barrier_count 0
		.amdhsa_reserve_vcc 1
		.amdhsa_float_round_mode_32 0
		.amdhsa_float_round_mode_16_64 0
		.amdhsa_float_denorm_mode_32 3
		.amdhsa_float_denorm_mode_16_64 3
		.amdhsa_fp16_overflow 0
		.amdhsa_memory_ordered 1
		.amdhsa_forward_progress 1
		.amdhsa_inst_pref_size 1
		.amdhsa_round_robin_scheduling 0
		.amdhsa_exception_fp_ieee_invalid_op 0
		.amdhsa_exception_fp_denorm_src 0
		.amdhsa_exception_fp_ieee_div_zero 0
		.amdhsa_exception_fp_ieee_overflow 0
		.amdhsa_exception_fp_ieee_underflow 0
		.amdhsa_exception_fp_ieee_inexact 0
		.amdhsa_exception_int_div_zero 0
	.end_amdhsa_kernel
	.section	.text._Z38paged_attention_ll4mi_QKV_mfma4_kernelIDF16_DF16_LN4vllm18Fp8KVCacheDataTypeE0EDF16_Li16ELi64ELi256ELb1ELi3EEvPKT_PKT0_S7_ifPKiS9_S9_iPKfiiiPfSC_PS2_PT2_iSB_SB_,"axG",@progbits,_Z38paged_attention_ll4mi_QKV_mfma4_kernelIDF16_DF16_LN4vllm18Fp8KVCacheDataTypeE0EDF16_Li16ELi64ELi256ELb1ELi3EEvPKT_PKT0_S7_ifPKiS9_S9_iPKfiiiPfSC_PS2_PT2_iSB_SB_,comdat
.Lfunc_end60:
	.size	_Z38paged_attention_ll4mi_QKV_mfma4_kernelIDF16_DF16_LN4vllm18Fp8KVCacheDataTypeE0EDF16_Li16ELi64ELi256ELb1ELi3EEvPKT_PKT0_S7_ifPKiS9_S9_iPKfiiiPfSC_PS2_PT2_iSB_SB_, .Lfunc_end60-_Z38paged_attention_ll4mi_QKV_mfma4_kernelIDF16_DF16_LN4vllm18Fp8KVCacheDataTypeE0EDF16_Li16ELi64ELi256ELb1ELi3EEvPKT_PKT0_S7_ifPKiS9_S9_iPKfiiiPfSC_PS2_PT2_iSB_SB_
                                        ; -- End function
	.set _Z38paged_attention_ll4mi_QKV_mfma4_kernelIDF16_DF16_LN4vllm18Fp8KVCacheDataTypeE0EDF16_Li16ELi64ELi256ELb1ELi3EEvPKT_PKT0_S7_ifPKiS9_S9_iPKfiiiPfSC_PS2_PT2_iSB_SB_.num_vgpr, max(3, .L__assert_fail.num_vgpr)
	.set _Z38paged_attention_ll4mi_QKV_mfma4_kernelIDF16_DF16_LN4vllm18Fp8KVCacheDataTypeE0EDF16_Li16ELi64ELi256ELb1ELi3EEvPKT_PKT0_S7_ifPKiS9_S9_iPKfiiiPfSC_PS2_PT2_iSB_SB_.num_agpr, max(0, .L__assert_fail.num_agpr)
	.set _Z38paged_attention_ll4mi_QKV_mfma4_kernelIDF16_DF16_LN4vllm18Fp8KVCacheDataTypeE0EDF16_Li16ELi64ELi256ELb1ELi3EEvPKT_PKT0_S7_ifPKiS9_S9_iPKfiiiPfSC_PS2_PT2_iSB_SB_.numbered_sgpr, max(33, .L__assert_fail.numbered_sgpr)
	.set _Z38paged_attention_ll4mi_QKV_mfma4_kernelIDF16_DF16_LN4vllm18Fp8KVCacheDataTypeE0EDF16_Li16ELi64ELi256ELb1ELi3EEvPKT_PKT0_S7_ifPKiS9_S9_iPKfiiiPfSC_PS2_PT2_iSB_SB_.num_named_barrier, max(0, .L__assert_fail.num_named_barrier)
	.set _Z38paged_attention_ll4mi_QKV_mfma4_kernelIDF16_DF16_LN4vllm18Fp8KVCacheDataTypeE0EDF16_Li16ELi64ELi256ELb1ELi3EEvPKT_PKT0_S7_ifPKiS9_S9_iPKfiiiPfSC_PS2_PT2_iSB_SB_.private_seg_size, 0+max(.L__assert_fail.private_seg_size)
	.set _Z38paged_attention_ll4mi_QKV_mfma4_kernelIDF16_DF16_LN4vllm18Fp8KVCacheDataTypeE0EDF16_Li16ELi64ELi256ELb1ELi3EEvPKT_PKT0_S7_ifPKiS9_S9_iPKfiiiPfSC_PS2_PT2_iSB_SB_.uses_vcc, or(1, .L__assert_fail.uses_vcc)
	.set _Z38paged_attention_ll4mi_QKV_mfma4_kernelIDF16_DF16_LN4vllm18Fp8KVCacheDataTypeE0EDF16_Li16ELi64ELi256ELb1ELi3EEvPKT_PKT0_S7_ifPKiS9_S9_iPKfiiiPfSC_PS2_PT2_iSB_SB_.uses_flat_scratch, or(0, .L__assert_fail.uses_flat_scratch)
	.set _Z38paged_attention_ll4mi_QKV_mfma4_kernelIDF16_DF16_LN4vllm18Fp8KVCacheDataTypeE0EDF16_Li16ELi64ELi256ELb1ELi3EEvPKT_PKT0_S7_ifPKiS9_S9_iPKfiiiPfSC_PS2_PT2_iSB_SB_.has_dyn_sized_stack, or(0, .L__assert_fail.has_dyn_sized_stack)
	.set _Z38paged_attention_ll4mi_QKV_mfma4_kernelIDF16_DF16_LN4vllm18Fp8KVCacheDataTypeE0EDF16_Li16ELi64ELi256ELb1ELi3EEvPKT_PKT0_S7_ifPKiS9_S9_iPKfiiiPfSC_PS2_PT2_iSB_SB_.has_recursion, or(0, .L__assert_fail.has_recursion)
	.set _Z38paged_attention_ll4mi_QKV_mfma4_kernelIDF16_DF16_LN4vllm18Fp8KVCacheDataTypeE0EDF16_Li16ELi64ELi256ELb1ELi3EEvPKT_PKT0_S7_ifPKiS9_S9_iPKfiiiPfSC_PS2_PT2_iSB_SB_.has_indirect_call, or(0, .L__assert_fail.has_indirect_call)
	.section	.AMDGPU.csdata,"",@progbits
; Kernel info:
; codeLenInByte = 68
; TotalNumSgprs: 36
; NumVgprs: 51
; ScratchSize: 64
; MemoryBound: 0
; FloatMode: 240
; IeeeMode: 1
; LDSByteSize: 0 bytes/workgroup (compile time only)
; SGPRBlocks: 0
; VGPRBlocks: 3
; NumSGPRsForWavesPerEU: 36
; NumVGPRsForWavesPerEU: 51
; NamedBarCnt: 0
; Occupancy: 16
; WaveLimiterHint : 1
; COMPUTE_PGM_RSRC2:SCRATCH_EN: 1
; COMPUTE_PGM_RSRC2:USER_SGPR: 2
; COMPUTE_PGM_RSRC2:TRAP_HANDLER: 0
; COMPUTE_PGM_RSRC2:TGID_X_EN: 1
; COMPUTE_PGM_RSRC2:TGID_Y_EN: 0
; COMPUTE_PGM_RSRC2:TGID_Z_EN: 0
; COMPUTE_PGM_RSRC2:TIDIG_COMP_CNT: 0
	.section	.text._Z38paged_attention_ll4mi_QKV_mfma4_kernelIDF16_DF16_LN4vllm18Fp8KVCacheDataTypeE0EDF16_Li16ELi64ELi256ELb1ELi4EEvPKT_PKT0_S7_ifPKiS9_S9_iPKfiiiPfSC_PS2_PT2_iSB_SB_,"axG",@progbits,_Z38paged_attention_ll4mi_QKV_mfma4_kernelIDF16_DF16_LN4vllm18Fp8KVCacheDataTypeE0EDF16_Li16ELi64ELi256ELb1ELi4EEvPKT_PKT0_S7_ifPKiS9_S9_iPKfiiiPfSC_PS2_PT2_iSB_SB_,comdat
	.protected	_Z38paged_attention_ll4mi_QKV_mfma4_kernelIDF16_DF16_LN4vllm18Fp8KVCacheDataTypeE0EDF16_Li16ELi64ELi256ELb1ELi4EEvPKT_PKT0_S7_ifPKiS9_S9_iPKfiiiPfSC_PS2_PT2_iSB_SB_ ; -- Begin function _Z38paged_attention_ll4mi_QKV_mfma4_kernelIDF16_DF16_LN4vllm18Fp8KVCacheDataTypeE0EDF16_Li16ELi64ELi256ELb1ELi4EEvPKT_PKT0_S7_ifPKiS9_S9_iPKfiiiPfSC_PS2_PT2_iSB_SB_
	.globl	_Z38paged_attention_ll4mi_QKV_mfma4_kernelIDF16_DF16_LN4vllm18Fp8KVCacheDataTypeE0EDF16_Li16ELi64ELi256ELb1ELi4EEvPKT_PKT0_S7_ifPKiS9_S9_iPKfiiiPfSC_PS2_PT2_iSB_SB_
	.p2align	8
	.type	_Z38paged_attention_ll4mi_QKV_mfma4_kernelIDF16_DF16_LN4vllm18Fp8KVCacheDataTypeE0EDF16_Li16ELi64ELi256ELb1ELi4EEvPKT_PKT0_S7_ifPKiS9_S9_iPKfiiiPfSC_PS2_PT2_iSB_SB_,@function
_Z38paged_attention_ll4mi_QKV_mfma4_kernelIDF16_DF16_LN4vllm18Fp8KVCacheDataTypeE0EDF16_Li16ELi64ELi256ELb1ELi4EEvPKT_PKT0_S7_ifPKiS9_S9_iPKfiiiPfSC_PS2_PT2_iSB_SB_: ; @_Z38paged_attention_ll4mi_QKV_mfma4_kernelIDF16_DF16_LN4vllm18Fp8KVCacheDataTypeE0EDF16_Li16ELi64ELi256ELb1ELi4EEvPKT_PKT0_S7_ifPKiS9_S9_iPKfiiiPfSC_PS2_PT2_iSB_SB_
; %bb.0:
	s_get_pc_i64 s[2:3]
	s_add_nc_u64 s[2:3], s[2:3], __PRETTY_FUNCTION__._Z38paged_attention_ll4mi_QKV_mfma4_kernelIDF16_DF16_LN4vllm18Fp8KVCacheDataTypeE0EDF16_Li16ELi64ELi256ELb1ELi4EEvPKT_PKT0_S7_ifPKiS9_S9_iPKfiiiPfSC_PS2_PT2_iSB_SB_@rel64+4
	s_delay_alu instid0(SALU_CYCLE_1)
	v_dual_mov_b32 v0, 0xbce :: v_dual_mov_b32 v1, s2
	v_mov_b32_e32 v2, s3
	s_add_nc_u64 s[8:9], s[0:1], 0x90
	s_get_pc_i64 s[0:1]
	s_add_nc_u64 s[0:1], s[0:1], __assert_fail@rel64+4
	s_mov_b32 s32, 0
	s_swap_pc_i64 s[30:31], s[0:1]
	.section	.rodata,"a",@progbits
	.p2align	6, 0x0
	.amdhsa_kernel _Z38paged_attention_ll4mi_QKV_mfma4_kernelIDF16_DF16_LN4vllm18Fp8KVCacheDataTypeE0EDF16_Li16ELi64ELi256ELb1ELi4EEvPKT_PKT0_S7_ifPKiS9_S9_iPKfiiiPfSC_PS2_PT2_iSB_SB_
		.amdhsa_group_segment_fixed_size 0
		.amdhsa_private_segment_fixed_size 64
		.amdhsa_kernarg_size 400
		.amdhsa_user_sgpr_count 2
		.amdhsa_user_sgpr_dispatch_ptr 0
		.amdhsa_user_sgpr_queue_ptr 0
		.amdhsa_user_sgpr_kernarg_segment_ptr 1
		.amdhsa_user_sgpr_dispatch_id 0
		.amdhsa_user_sgpr_kernarg_preload_length 0
		.amdhsa_user_sgpr_kernarg_preload_offset 0
		.amdhsa_user_sgpr_private_segment_size 0
		.amdhsa_wavefront_size32 1
		.amdhsa_uses_dynamic_stack 0
		.amdhsa_enable_private_segment 1
		.amdhsa_system_sgpr_workgroup_id_x 1
		.amdhsa_system_sgpr_workgroup_id_y 0
		.amdhsa_system_sgpr_workgroup_id_z 0
		.amdhsa_system_sgpr_workgroup_info 0
		.amdhsa_system_vgpr_workitem_id 0
		.amdhsa_next_free_vgpr 51
		.amdhsa_next_free_sgpr 34
		.amdhsa_named_barrier_count 0
		.amdhsa_reserve_vcc 1
		.amdhsa_float_round_mode_32 0
		.amdhsa_float_round_mode_16_64 0
		.amdhsa_float_denorm_mode_32 3
		.amdhsa_float_denorm_mode_16_64 3
		.amdhsa_fp16_overflow 0
		.amdhsa_memory_ordered 1
		.amdhsa_forward_progress 1
		.amdhsa_inst_pref_size 1
		.amdhsa_round_robin_scheduling 0
		.amdhsa_exception_fp_ieee_invalid_op 0
		.amdhsa_exception_fp_denorm_src 0
		.amdhsa_exception_fp_ieee_div_zero 0
		.amdhsa_exception_fp_ieee_overflow 0
		.amdhsa_exception_fp_ieee_underflow 0
		.amdhsa_exception_fp_ieee_inexact 0
		.amdhsa_exception_int_div_zero 0
	.end_amdhsa_kernel
	.section	.text._Z38paged_attention_ll4mi_QKV_mfma4_kernelIDF16_DF16_LN4vllm18Fp8KVCacheDataTypeE0EDF16_Li16ELi64ELi256ELb1ELi4EEvPKT_PKT0_S7_ifPKiS9_S9_iPKfiiiPfSC_PS2_PT2_iSB_SB_,"axG",@progbits,_Z38paged_attention_ll4mi_QKV_mfma4_kernelIDF16_DF16_LN4vllm18Fp8KVCacheDataTypeE0EDF16_Li16ELi64ELi256ELb1ELi4EEvPKT_PKT0_S7_ifPKiS9_S9_iPKfiiiPfSC_PS2_PT2_iSB_SB_,comdat
.Lfunc_end61:
	.size	_Z38paged_attention_ll4mi_QKV_mfma4_kernelIDF16_DF16_LN4vllm18Fp8KVCacheDataTypeE0EDF16_Li16ELi64ELi256ELb1ELi4EEvPKT_PKT0_S7_ifPKiS9_S9_iPKfiiiPfSC_PS2_PT2_iSB_SB_, .Lfunc_end61-_Z38paged_attention_ll4mi_QKV_mfma4_kernelIDF16_DF16_LN4vllm18Fp8KVCacheDataTypeE0EDF16_Li16ELi64ELi256ELb1ELi4EEvPKT_PKT0_S7_ifPKiS9_S9_iPKfiiiPfSC_PS2_PT2_iSB_SB_
                                        ; -- End function
	.set _Z38paged_attention_ll4mi_QKV_mfma4_kernelIDF16_DF16_LN4vllm18Fp8KVCacheDataTypeE0EDF16_Li16ELi64ELi256ELb1ELi4EEvPKT_PKT0_S7_ifPKiS9_S9_iPKfiiiPfSC_PS2_PT2_iSB_SB_.num_vgpr, max(3, .L__assert_fail.num_vgpr)
	.set _Z38paged_attention_ll4mi_QKV_mfma4_kernelIDF16_DF16_LN4vllm18Fp8KVCacheDataTypeE0EDF16_Li16ELi64ELi256ELb1ELi4EEvPKT_PKT0_S7_ifPKiS9_S9_iPKfiiiPfSC_PS2_PT2_iSB_SB_.num_agpr, max(0, .L__assert_fail.num_agpr)
	.set _Z38paged_attention_ll4mi_QKV_mfma4_kernelIDF16_DF16_LN4vllm18Fp8KVCacheDataTypeE0EDF16_Li16ELi64ELi256ELb1ELi4EEvPKT_PKT0_S7_ifPKiS9_S9_iPKfiiiPfSC_PS2_PT2_iSB_SB_.numbered_sgpr, max(33, .L__assert_fail.numbered_sgpr)
	.set _Z38paged_attention_ll4mi_QKV_mfma4_kernelIDF16_DF16_LN4vllm18Fp8KVCacheDataTypeE0EDF16_Li16ELi64ELi256ELb1ELi4EEvPKT_PKT0_S7_ifPKiS9_S9_iPKfiiiPfSC_PS2_PT2_iSB_SB_.num_named_barrier, max(0, .L__assert_fail.num_named_barrier)
	.set _Z38paged_attention_ll4mi_QKV_mfma4_kernelIDF16_DF16_LN4vllm18Fp8KVCacheDataTypeE0EDF16_Li16ELi64ELi256ELb1ELi4EEvPKT_PKT0_S7_ifPKiS9_S9_iPKfiiiPfSC_PS2_PT2_iSB_SB_.private_seg_size, 0+max(.L__assert_fail.private_seg_size)
	.set _Z38paged_attention_ll4mi_QKV_mfma4_kernelIDF16_DF16_LN4vllm18Fp8KVCacheDataTypeE0EDF16_Li16ELi64ELi256ELb1ELi4EEvPKT_PKT0_S7_ifPKiS9_S9_iPKfiiiPfSC_PS2_PT2_iSB_SB_.uses_vcc, or(1, .L__assert_fail.uses_vcc)
	.set _Z38paged_attention_ll4mi_QKV_mfma4_kernelIDF16_DF16_LN4vllm18Fp8KVCacheDataTypeE0EDF16_Li16ELi64ELi256ELb1ELi4EEvPKT_PKT0_S7_ifPKiS9_S9_iPKfiiiPfSC_PS2_PT2_iSB_SB_.uses_flat_scratch, or(0, .L__assert_fail.uses_flat_scratch)
	.set _Z38paged_attention_ll4mi_QKV_mfma4_kernelIDF16_DF16_LN4vllm18Fp8KVCacheDataTypeE0EDF16_Li16ELi64ELi256ELb1ELi4EEvPKT_PKT0_S7_ifPKiS9_S9_iPKfiiiPfSC_PS2_PT2_iSB_SB_.has_dyn_sized_stack, or(0, .L__assert_fail.has_dyn_sized_stack)
	.set _Z38paged_attention_ll4mi_QKV_mfma4_kernelIDF16_DF16_LN4vllm18Fp8KVCacheDataTypeE0EDF16_Li16ELi64ELi256ELb1ELi4EEvPKT_PKT0_S7_ifPKiS9_S9_iPKfiiiPfSC_PS2_PT2_iSB_SB_.has_recursion, or(0, .L__assert_fail.has_recursion)
	.set _Z38paged_attention_ll4mi_QKV_mfma4_kernelIDF16_DF16_LN4vllm18Fp8KVCacheDataTypeE0EDF16_Li16ELi64ELi256ELb1ELi4EEvPKT_PKT0_S7_ifPKiS9_S9_iPKfiiiPfSC_PS2_PT2_iSB_SB_.has_indirect_call, or(0, .L__assert_fail.has_indirect_call)
	.section	.AMDGPU.csdata,"",@progbits
; Kernel info:
; codeLenInByte = 68
; TotalNumSgprs: 36
; NumVgprs: 51
; ScratchSize: 64
; MemoryBound: 0
; FloatMode: 240
; IeeeMode: 1
; LDSByteSize: 0 bytes/workgroup (compile time only)
; SGPRBlocks: 0
; VGPRBlocks: 3
; NumSGPRsForWavesPerEU: 36
; NumVGPRsForWavesPerEU: 51
; NamedBarCnt: 0
; Occupancy: 16
; WaveLimiterHint : 1
; COMPUTE_PGM_RSRC2:SCRATCH_EN: 1
; COMPUTE_PGM_RSRC2:USER_SGPR: 2
; COMPUTE_PGM_RSRC2:TRAP_HANDLER: 0
; COMPUTE_PGM_RSRC2:TGID_X_EN: 1
; COMPUTE_PGM_RSRC2:TGID_Y_EN: 0
; COMPUTE_PGM_RSRC2:TGID_Z_EN: 0
; COMPUTE_PGM_RSRC2:TIDIG_COMP_CNT: 0
	.section	.text._Z39paged_attention_ll4mi_QKV_mfma16_kernelIDF16_DF16_LN4vllm18Fp8KVCacheDataTypeE0EDF16_Li16ELi64ELi256ELb1ELi5EEvPKT_PKT0_S7_ifPKiS9_S9_iPKfiiiPfSC_PS2_PT2_iSB_SB_,"axG",@progbits,_Z39paged_attention_ll4mi_QKV_mfma16_kernelIDF16_DF16_LN4vllm18Fp8KVCacheDataTypeE0EDF16_Li16ELi64ELi256ELb1ELi5EEvPKT_PKT0_S7_ifPKiS9_S9_iPKfiiiPfSC_PS2_PT2_iSB_SB_,comdat
	.protected	_Z39paged_attention_ll4mi_QKV_mfma16_kernelIDF16_DF16_LN4vllm18Fp8KVCacheDataTypeE0EDF16_Li16ELi64ELi256ELb1ELi5EEvPKT_PKT0_S7_ifPKiS9_S9_iPKfiiiPfSC_PS2_PT2_iSB_SB_ ; -- Begin function _Z39paged_attention_ll4mi_QKV_mfma16_kernelIDF16_DF16_LN4vllm18Fp8KVCacheDataTypeE0EDF16_Li16ELi64ELi256ELb1ELi5EEvPKT_PKT0_S7_ifPKiS9_S9_iPKfiiiPfSC_PS2_PT2_iSB_SB_
	.globl	_Z39paged_attention_ll4mi_QKV_mfma16_kernelIDF16_DF16_LN4vllm18Fp8KVCacheDataTypeE0EDF16_Li16ELi64ELi256ELb1ELi5EEvPKT_PKT0_S7_ifPKiS9_S9_iPKfiiiPfSC_PS2_PT2_iSB_SB_
	.p2align	8
	.type	_Z39paged_attention_ll4mi_QKV_mfma16_kernelIDF16_DF16_LN4vllm18Fp8KVCacheDataTypeE0EDF16_Li16ELi64ELi256ELb1ELi5EEvPKT_PKT0_S7_ifPKiS9_S9_iPKfiiiPfSC_PS2_PT2_iSB_SB_,@function
_Z39paged_attention_ll4mi_QKV_mfma16_kernelIDF16_DF16_LN4vllm18Fp8KVCacheDataTypeE0EDF16_Li16ELi64ELi256ELb1ELi5EEvPKT_PKT0_S7_ifPKiS9_S9_iPKfiiiPfSC_PS2_PT2_iSB_SB_: ; @_Z39paged_attention_ll4mi_QKV_mfma16_kernelIDF16_DF16_LN4vllm18Fp8KVCacheDataTypeE0EDF16_Li16ELi64ELi256ELb1ELi5EEvPKT_PKT0_S7_ifPKiS9_S9_iPKfiiiPfSC_PS2_PT2_iSB_SB_
; %bb.0:
	s_get_pc_i64 s[2:3]
	s_add_nc_u64 s[2:3], s[2:3], __PRETTY_FUNCTION__._Z39paged_attention_ll4mi_QKV_mfma16_kernelIDF16_DF16_LN4vllm18Fp8KVCacheDataTypeE0EDF16_Li16ELi64ELi256ELb1ELi5EEvPKT_PKT0_S7_ifPKiS9_S9_iPKfiiiPfSC_PS2_PT2_iSB_SB_@rel64+4
	s_delay_alu instid0(SALU_CYCLE_1)
	v_dual_mov_b32 v0, 0xbb3 :: v_dual_mov_b32 v1, s2
	v_mov_b32_e32 v2, s3
	s_add_nc_u64 s[8:9], s[0:1], 0x90
	s_get_pc_i64 s[0:1]
	s_add_nc_u64 s[0:1], s[0:1], __assert_fail@rel64+4
	s_mov_b32 s32, 0
	s_swap_pc_i64 s[30:31], s[0:1]
	.section	.rodata,"a",@progbits
	.p2align	6, 0x0
	.amdhsa_kernel _Z39paged_attention_ll4mi_QKV_mfma16_kernelIDF16_DF16_LN4vllm18Fp8KVCacheDataTypeE0EDF16_Li16ELi64ELi256ELb1ELi5EEvPKT_PKT0_S7_ifPKiS9_S9_iPKfiiiPfSC_PS2_PT2_iSB_SB_
		.amdhsa_group_segment_fixed_size 0
		.amdhsa_private_segment_fixed_size 64
		.amdhsa_kernarg_size 400
		.amdhsa_user_sgpr_count 2
		.amdhsa_user_sgpr_dispatch_ptr 0
		.amdhsa_user_sgpr_queue_ptr 0
		.amdhsa_user_sgpr_kernarg_segment_ptr 1
		.amdhsa_user_sgpr_dispatch_id 0
		.amdhsa_user_sgpr_kernarg_preload_length 0
		.amdhsa_user_sgpr_kernarg_preload_offset 0
		.amdhsa_user_sgpr_private_segment_size 0
		.amdhsa_wavefront_size32 1
		.amdhsa_uses_dynamic_stack 0
		.amdhsa_enable_private_segment 1
		.amdhsa_system_sgpr_workgroup_id_x 1
		.amdhsa_system_sgpr_workgroup_id_y 0
		.amdhsa_system_sgpr_workgroup_id_z 0
		.amdhsa_system_sgpr_workgroup_info 0
		.amdhsa_system_vgpr_workitem_id 0
		.amdhsa_next_free_vgpr 51
		.amdhsa_next_free_sgpr 34
		.amdhsa_named_barrier_count 0
		.amdhsa_reserve_vcc 1
		.amdhsa_float_round_mode_32 0
		.amdhsa_float_round_mode_16_64 0
		.amdhsa_float_denorm_mode_32 3
		.amdhsa_float_denorm_mode_16_64 3
		.amdhsa_fp16_overflow 0
		.amdhsa_memory_ordered 1
		.amdhsa_forward_progress 1
		.amdhsa_inst_pref_size 1
		.amdhsa_round_robin_scheduling 0
		.amdhsa_exception_fp_ieee_invalid_op 0
		.amdhsa_exception_fp_denorm_src 0
		.amdhsa_exception_fp_ieee_div_zero 0
		.amdhsa_exception_fp_ieee_overflow 0
		.amdhsa_exception_fp_ieee_underflow 0
		.amdhsa_exception_fp_ieee_inexact 0
		.amdhsa_exception_int_div_zero 0
	.end_amdhsa_kernel
	.section	.text._Z39paged_attention_ll4mi_QKV_mfma16_kernelIDF16_DF16_LN4vllm18Fp8KVCacheDataTypeE0EDF16_Li16ELi64ELi256ELb1ELi5EEvPKT_PKT0_S7_ifPKiS9_S9_iPKfiiiPfSC_PS2_PT2_iSB_SB_,"axG",@progbits,_Z39paged_attention_ll4mi_QKV_mfma16_kernelIDF16_DF16_LN4vllm18Fp8KVCacheDataTypeE0EDF16_Li16ELi64ELi256ELb1ELi5EEvPKT_PKT0_S7_ifPKiS9_S9_iPKfiiiPfSC_PS2_PT2_iSB_SB_,comdat
.Lfunc_end62:
	.size	_Z39paged_attention_ll4mi_QKV_mfma16_kernelIDF16_DF16_LN4vllm18Fp8KVCacheDataTypeE0EDF16_Li16ELi64ELi256ELb1ELi5EEvPKT_PKT0_S7_ifPKiS9_S9_iPKfiiiPfSC_PS2_PT2_iSB_SB_, .Lfunc_end62-_Z39paged_attention_ll4mi_QKV_mfma16_kernelIDF16_DF16_LN4vllm18Fp8KVCacheDataTypeE0EDF16_Li16ELi64ELi256ELb1ELi5EEvPKT_PKT0_S7_ifPKiS9_S9_iPKfiiiPfSC_PS2_PT2_iSB_SB_
                                        ; -- End function
	.set _Z39paged_attention_ll4mi_QKV_mfma16_kernelIDF16_DF16_LN4vllm18Fp8KVCacheDataTypeE0EDF16_Li16ELi64ELi256ELb1ELi5EEvPKT_PKT0_S7_ifPKiS9_S9_iPKfiiiPfSC_PS2_PT2_iSB_SB_.num_vgpr, max(3, .L__assert_fail.num_vgpr)
	.set _Z39paged_attention_ll4mi_QKV_mfma16_kernelIDF16_DF16_LN4vllm18Fp8KVCacheDataTypeE0EDF16_Li16ELi64ELi256ELb1ELi5EEvPKT_PKT0_S7_ifPKiS9_S9_iPKfiiiPfSC_PS2_PT2_iSB_SB_.num_agpr, max(0, .L__assert_fail.num_agpr)
	.set _Z39paged_attention_ll4mi_QKV_mfma16_kernelIDF16_DF16_LN4vllm18Fp8KVCacheDataTypeE0EDF16_Li16ELi64ELi256ELb1ELi5EEvPKT_PKT0_S7_ifPKiS9_S9_iPKfiiiPfSC_PS2_PT2_iSB_SB_.numbered_sgpr, max(33, .L__assert_fail.numbered_sgpr)
	.set _Z39paged_attention_ll4mi_QKV_mfma16_kernelIDF16_DF16_LN4vllm18Fp8KVCacheDataTypeE0EDF16_Li16ELi64ELi256ELb1ELi5EEvPKT_PKT0_S7_ifPKiS9_S9_iPKfiiiPfSC_PS2_PT2_iSB_SB_.num_named_barrier, max(0, .L__assert_fail.num_named_barrier)
	.set _Z39paged_attention_ll4mi_QKV_mfma16_kernelIDF16_DF16_LN4vllm18Fp8KVCacheDataTypeE0EDF16_Li16ELi64ELi256ELb1ELi5EEvPKT_PKT0_S7_ifPKiS9_S9_iPKfiiiPfSC_PS2_PT2_iSB_SB_.private_seg_size, 0+max(.L__assert_fail.private_seg_size)
	.set _Z39paged_attention_ll4mi_QKV_mfma16_kernelIDF16_DF16_LN4vllm18Fp8KVCacheDataTypeE0EDF16_Li16ELi64ELi256ELb1ELi5EEvPKT_PKT0_S7_ifPKiS9_S9_iPKfiiiPfSC_PS2_PT2_iSB_SB_.uses_vcc, or(1, .L__assert_fail.uses_vcc)
	.set _Z39paged_attention_ll4mi_QKV_mfma16_kernelIDF16_DF16_LN4vllm18Fp8KVCacheDataTypeE0EDF16_Li16ELi64ELi256ELb1ELi5EEvPKT_PKT0_S7_ifPKiS9_S9_iPKfiiiPfSC_PS2_PT2_iSB_SB_.uses_flat_scratch, or(0, .L__assert_fail.uses_flat_scratch)
	.set _Z39paged_attention_ll4mi_QKV_mfma16_kernelIDF16_DF16_LN4vllm18Fp8KVCacheDataTypeE0EDF16_Li16ELi64ELi256ELb1ELi5EEvPKT_PKT0_S7_ifPKiS9_S9_iPKfiiiPfSC_PS2_PT2_iSB_SB_.has_dyn_sized_stack, or(0, .L__assert_fail.has_dyn_sized_stack)
	.set _Z39paged_attention_ll4mi_QKV_mfma16_kernelIDF16_DF16_LN4vllm18Fp8KVCacheDataTypeE0EDF16_Li16ELi64ELi256ELb1ELi5EEvPKT_PKT0_S7_ifPKiS9_S9_iPKfiiiPfSC_PS2_PT2_iSB_SB_.has_recursion, or(0, .L__assert_fail.has_recursion)
	.set _Z39paged_attention_ll4mi_QKV_mfma16_kernelIDF16_DF16_LN4vllm18Fp8KVCacheDataTypeE0EDF16_Li16ELi64ELi256ELb1ELi5EEvPKT_PKT0_S7_ifPKiS9_S9_iPKfiiiPfSC_PS2_PT2_iSB_SB_.has_indirect_call, or(0, .L__assert_fail.has_indirect_call)
	.section	.AMDGPU.csdata,"",@progbits
; Kernel info:
; codeLenInByte = 68
; TotalNumSgprs: 36
; NumVgprs: 51
; ScratchSize: 64
; MemoryBound: 0
; FloatMode: 240
; IeeeMode: 1
; LDSByteSize: 0 bytes/workgroup (compile time only)
; SGPRBlocks: 0
; VGPRBlocks: 3
; NumSGPRsForWavesPerEU: 36
; NumVGPRsForWavesPerEU: 51
; NamedBarCnt: 0
; Occupancy: 16
; WaveLimiterHint : 1
; COMPUTE_PGM_RSRC2:SCRATCH_EN: 1
; COMPUTE_PGM_RSRC2:USER_SGPR: 2
; COMPUTE_PGM_RSRC2:TRAP_HANDLER: 0
; COMPUTE_PGM_RSRC2:TGID_X_EN: 1
; COMPUTE_PGM_RSRC2:TGID_Y_EN: 0
; COMPUTE_PGM_RSRC2:TGID_Z_EN: 0
; COMPUTE_PGM_RSRC2:TIDIG_COMP_CNT: 0
	.section	.text._Z39paged_attention_ll4mi_QKV_mfma16_kernelIDF16_DF16_LN4vllm18Fp8KVCacheDataTypeE0EDF16_Li16ELi64ELi256ELb1ELi6EEvPKT_PKT0_S7_ifPKiS9_S9_iPKfiiiPfSC_PS2_PT2_iSB_SB_,"axG",@progbits,_Z39paged_attention_ll4mi_QKV_mfma16_kernelIDF16_DF16_LN4vllm18Fp8KVCacheDataTypeE0EDF16_Li16ELi64ELi256ELb1ELi6EEvPKT_PKT0_S7_ifPKiS9_S9_iPKfiiiPfSC_PS2_PT2_iSB_SB_,comdat
	.protected	_Z39paged_attention_ll4mi_QKV_mfma16_kernelIDF16_DF16_LN4vllm18Fp8KVCacheDataTypeE0EDF16_Li16ELi64ELi256ELb1ELi6EEvPKT_PKT0_S7_ifPKiS9_S9_iPKfiiiPfSC_PS2_PT2_iSB_SB_ ; -- Begin function _Z39paged_attention_ll4mi_QKV_mfma16_kernelIDF16_DF16_LN4vllm18Fp8KVCacheDataTypeE0EDF16_Li16ELi64ELi256ELb1ELi6EEvPKT_PKT0_S7_ifPKiS9_S9_iPKfiiiPfSC_PS2_PT2_iSB_SB_
	.globl	_Z39paged_attention_ll4mi_QKV_mfma16_kernelIDF16_DF16_LN4vllm18Fp8KVCacheDataTypeE0EDF16_Li16ELi64ELi256ELb1ELi6EEvPKT_PKT0_S7_ifPKiS9_S9_iPKfiiiPfSC_PS2_PT2_iSB_SB_
	.p2align	8
	.type	_Z39paged_attention_ll4mi_QKV_mfma16_kernelIDF16_DF16_LN4vllm18Fp8KVCacheDataTypeE0EDF16_Li16ELi64ELi256ELb1ELi6EEvPKT_PKT0_S7_ifPKiS9_S9_iPKfiiiPfSC_PS2_PT2_iSB_SB_,@function
_Z39paged_attention_ll4mi_QKV_mfma16_kernelIDF16_DF16_LN4vllm18Fp8KVCacheDataTypeE0EDF16_Li16ELi64ELi256ELb1ELi6EEvPKT_PKT0_S7_ifPKiS9_S9_iPKfiiiPfSC_PS2_PT2_iSB_SB_: ; @_Z39paged_attention_ll4mi_QKV_mfma16_kernelIDF16_DF16_LN4vllm18Fp8KVCacheDataTypeE0EDF16_Li16ELi64ELi256ELb1ELi6EEvPKT_PKT0_S7_ifPKiS9_S9_iPKfiiiPfSC_PS2_PT2_iSB_SB_
; %bb.0:
	s_get_pc_i64 s[2:3]
	s_add_nc_u64 s[2:3], s[2:3], __PRETTY_FUNCTION__._Z39paged_attention_ll4mi_QKV_mfma16_kernelIDF16_DF16_LN4vllm18Fp8KVCacheDataTypeE0EDF16_Li16ELi64ELi256ELb1ELi6EEvPKT_PKT0_S7_ifPKiS9_S9_iPKfiiiPfSC_PS2_PT2_iSB_SB_@rel64+4
	s_delay_alu instid0(SALU_CYCLE_1)
	v_dual_mov_b32 v0, 0xbb3 :: v_dual_mov_b32 v1, s2
	v_mov_b32_e32 v2, s3
	s_add_nc_u64 s[8:9], s[0:1], 0x90
	s_get_pc_i64 s[0:1]
	s_add_nc_u64 s[0:1], s[0:1], __assert_fail@rel64+4
	s_mov_b32 s32, 0
	s_swap_pc_i64 s[30:31], s[0:1]
	.section	.rodata,"a",@progbits
	.p2align	6, 0x0
	.amdhsa_kernel _Z39paged_attention_ll4mi_QKV_mfma16_kernelIDF16_DF16_LN4vllm18Fp8KVCacheDataTypeE0EDF16_Li16ELi64ELi256ELb1ELi6EEvPKT_PKT0_S7_ifPKiS9_S9_iPKfiiiPfSC_PS2_PT2_iSB_SB_
		.amdhsa_group_segment_fixed_size 0
		.amdhsa_private_segment_fixed_size 64
		.amdhsa_kernarg_size 400
		.amdhsa_user_sgpr_count 2
		.amdhsa_user_sgpr_dispatch_ptr 0
		.amdhsa_user_sgpr_queue_ptr 0
		.amdhsa_user_sgpr_kernarg_segment_ptr 1
		.amdhsa_user_sgpr_dispatch_id 0
		.amdhsa_user_sgpr_kernarg_preload_length 0
		.amdhsa_user_sgpr_kernarg_preload_offset 0
		.amdhsa_user_sgpr_private_segment_size 0
		.amdhsa_wavefront_size32 1
		.amdhsa_uses_dynamic_stack 0
		.amdhsa_enable_private_segment 1
		.amdhsa_system_sgpr_workgroup_id_x 1
		.amdhsa_system_sgpr_workgroup_id_y 0
		.amdhsa_system_sgpr_workgroup_id_z 0
		.amdhsa_system_sgpr_workgroup_info 0
		.amdhsa_system_vgpr_workitem_id 0
		.amdhsa_next_free_vgpr 51
		.amdhsa_next_free_sgpr 34
		.amdhsa_named_barrier_count 0
		.amdhsa_reserve_vcc 1
		.amdhsa_float_round_mode_32 0
		.amdhsa_float_round_mode_16_64 0
		.amdhsa_float_denorm_mode_32 3
		.amdhsa_float_denorm_mode_16_64 3
		.amdhsa_fp16_overflow 0
		.amdhsa_memory_ordered 1
		.amdhsa_forward_progress 1
		.amdhsa_inst_pref_size 1
		.amdhsa_round_robin_scheduling 0
		.amdhsa_exception_fp_ieee_invalid_op 0
		.amdhsa_exception_fp_denorm_src 0
		.amdhsa_exception_fp_ieee_div_zero 0
		.amdhsa_exception_fp_ieee_overflow 0
		.amdhsa_exception_fp_ieee_underflow 0
		.amdhsa_exception_fp_ieee_inexact 0
		.amdhsa_exception_int_div_zero 0
	.end_amdhsa_kernel
	.section	.text._Z39paged_attention_ll4mi_QKV_mfma16_kernelIDF16_DF16_LN4vllm18Fp8KVCacheDataTypeE0EDF16_Li16ELi64ELi256ELb1ELi6EEvPKT_PKT0_S7_ifPKiS9_S9_iPKfiiiPfSC_PS2_PT2_iSB_SB_,"axG",@progbits,_Z39paged_attention_ll4mi_QKV_mfma16_kernelIDF16_DF16_LN4vllm18Fp8KVCacheDataTypeE0EDF16_Li16ELi64ELi256ELb1ELi6EEvPKT_PKT0_S7_ifPKiS9_S9_iPKfiiiPfSC_PS2_PT2_iSB_SB_,comdat
.Lfunc_end63:
	.size	_Z39paged_attention_ll4mi_QKV_mfma16_kernelIDF16_DF16_LN4vllm18Fp8KVCacheDataTypeE0EDF16_Li16ELi64ELi256ELb1ELi6EEvPKT_PKT0_S7_ifPKiS9_S9_iPKfiiiPfSC_PS2_PT2_iSB_SB_, .Lfunc_end63-_Z39paged_attention_ll4mi_QKV_mfma16_kernelIDF16_DF16_LN4vllm18Fp8KVCacheDataTypeE0EDF16_Li16ELi64ELi256ELb1ELi6EEvPKT_PKT0_S7_ifPKiS9_S9_iPKfiiiPfSC_PS2_PT2_iSB_SB_
                                        ; -- End function
	.set _Z39paged_attention_ll4mi_QKV_mfma16_kernelIDF16_DF16_LN4vllm18Fp8KVCacheDataTypeE0EDF16_Li16ELi64ELi256ELb1ELi6EEvPKT_PKT0_S7_ifPKiS9_S9_iPKfiiiPfSC_PS2_PT2_iSB_SB_.num_vgpr, max(3, .L__assert_fail.num_vgpr)
	.set _Z39paged_attention_ll4mi_QKV_mfma16_kernelIDF16_DF16_LN4vllm18Fp8KVCacheDataTypeE0EDF16_Li16ELi64ELi256ELb1ELi6EEvPKT_PKT0_S7_ifPKiS9_S9_iPKfiiiPfSC_PS2_PT2_iSB_SB_.num_agpr, max(0, .L__assert_fail.num_agpr)
	.set _Z39paged_attention_ll4mi_QKV_mfma16_kernelIDF16_DF16_LN4vllm18Fp8KVCacheDataTypeE0EDF16_Li16ELi64ELi256ELb1ELi6EEvPKT_PKT0_S7_ifPKiS9_S9_iPKfiiiPfSC_PS2_PT2_iSB_SB_.numbered_sgpr, max(33, .L__assert_fail.numbered_sgpr)
	.set _Z39paged_attention_ll4mi_QKV_mfma16_kernelIDF16_DF16_LN4vllm18Fp8KVCacheDataTypeE0EDF16_Li16ELi64ELi256ELb1ELi6EEvPKT_PKT0_S7_ifPKiS9_S9_iPKfiiiPfSC_PS2_PT2_iSB_SB_.num_named_barrier, max(0, .L__assert_fail.num_named_barrier)
	.set _Z39paged_attention_ll4mi_QKV_mfma16_kernelIDF16_DF16_LN4vllm18Fp8KVCacheDataTypeE0EDF16_Li16ELi64ELi256ELb1ELi6EEvPKT_PKT0_S7_ifPKiS9_S9_iPKfiiiPfSC_PS2_PT2_iSB_SB_.private_seg_size, 0+max(.L__assert_fail.private_seg_size)
	.set _Z39paged_attention_ll4mi_QKV_mfma16_kernelIDF16_DF16_LN4vllm18Fp8KVCacheDataTypeE0EDF16_Li16ELi64ELi256ELb1ELi6EEvPKT_PKT0_S7_ifPKiS9_S9_iPKfiiiPfSC_PS2_PT2_iSB_SB_.uses_vcc, or(1, .L__assert_fail.uses_vcc)
	.set _Z39paged_attention_ll4mi_QKV_mfma16_kernelIDF16_DF16_LN4vllm18Fp8KVCacheDataTypeE0EDF16_Li16ELi64ELi256ELb1ELi6EEvPKT_PKT0_S7_ifPKiS9_S9_iPKfiiiPfSC_PS2_PT2_iSB_SB_.uses_flat_scratch, or(0, .L__assert_fail.uses_flat_scratch)
	.set _Z39paged_attention_ll4mi_QKV_mfma16_kernelIDF16_DF16_LN4vllm18Fp8KVCacheDataTypeE0EDF16_Li16ELi64ELi256ELb1ELi6EEvPKT_PKT0_S7_ifPKiS9_S9_iPKfiiiPfSC_PS2_PT2_iSB_SB_.has_dyn_sized_stack, or(0, .L__assert_fail.has_dyn_sized_stack)
	.set _Z39paged_attention_ll4mi_QKV_mfma16_kernelIDF16_DF16_LN4vllm18Fp8KVCacheDataTypeE0EDF16_Li16ELi64ELi256ELb1ELi6EEvPKT_PKT0_S7_ifPKiS9_S9_iPKfiiiPfSC_PS2_PT2_iSB_SB_.has_recursion, or(0, .L__assert_fail.has_recursion)
	.set _Z39paged_attention_ll4mi_QKV_mfma16_kernelIDF16_DF16_LN4vllm18Fp8KVCacheDataTypeE0EDF16_Li16ELi64ELi256ELb1ELi6EEvPKT_PKT0_S7_ifPKiS9_S9_iPKfiiiPfSC_PS2_PT2_iSB_SB_.has_indirect_call, or(0, .L__assert_fail.has_indirect_call)
	.section	.AMDGPU.csdata,"",@progbits
; Kernel info:
; codeLenInByte = 68
; TotalNumSgprs: 36
; NumVgprs: 51
; ScratchSize: 64
; MemoryBound: 0
; FloatMode: 240
; IeeeMode: 1
; LDSByteSize: 0 bytes/workgroup (compile time only)
; SGPRBlocks: 0
; VGPRBlocks: 3
; NumSGPRsForWavesPerEU: 36
; NumVGPRsForWavesPerEU: 51
; NamedBarCnt: 0
; Occupancy: 16
; WaveLimiterHint : 1
; COMPUTE_PGM_RSRC2:SCRATCH_EN: 1
; COMPUTE_PGM_RSRC2:USER_SGPR: 2
; COMPUTE_PGM_RSRC2:TRAP_HANDLER: 0
; COMPUTE_PGM_RSRC2:TGID_X_EN: 1
; COMPUTE_PGM_RSRC2:TGID_Y_EN: 0
; COMPUTE_PGM_RSRC2:TGID_Z_EN: 0
; COMPUTE_PGM_RSRC2:TIDIG_COMP_CNT: 0
	.section	.text._Z39paged_attention_ll4mi_QKV_mfma16_kernelIDF16_DF16_LN4vllm18Fp8KVCacheDataTypeE0EDF16_Li16ELi64ELi256ELb1ELi7EEvPKT_PKT0_S7_ifPKiS9_S9_iPKfiiiPfSC_PS2_PT2_iSB_SB_,"axG",@progbits,_Z39paged_attention_ll4mi_QKV_mfma16_kernelIDF16_DF16_LN4vllm18Fp8KVCacheDataTypeE0EDF16_Li16ELi64ELi256ELb1ELi7EEvPKT_PKT0_S7_ifPKiS9_S9_iPKfiiiPfSC_PS2_PT2_iSB_SB_,comdat
	.protected	_Z39paged_attention_ll4mi_QKV_mfma16_kernelIDF16_DF16_LN4vllm18Fp8KVCacheDataTypeE0EDF16_Li16ELi64ELi256ELb1ELi7EEvPKT_PKT0_S7_ifPKiS9_S9_iPKfiiiPfSC_PS2_PT2_iSB_SB_ ; -- Begin function _Z39paged_attention_ll4mi_QKV_mfma16_kernelIDF16_DF16_LN4vllm18Fp8KVCacheDataTypeE0EDF16_Li16ELi64ELi256ELb1ELi7EEvPKT_PKT0_S7_ifPKiS9_S9_iPKfiiiPfSC_PS2_PT2_iSB_SB_
	.globl	_Z39paged_attention_ll4mi_QKV_mfma16_kernelIDF16_DF16_LN4vllm18Fp8KVCacheDataTypeE0EDF16_Li16ELi64ELi256ELb1ELi7EEvPKT_PKT0_S7_ifPKiS9_S9_iPKfiiiPfSC_PS2_PT2_iSB_SB_
	.p2align	8
	.type	_Z39paged_attention_ll4mi_QKV_mfma16_kernelIDF16_DF16_LN4vllm18Fp8KVCacheDataTypeE0EDF16_Li16ELi64ELi256ELb1ELi7EEvPKT_PKT0_S7_ifPKiS9_S9_iPKfiiiPfSC_PS2_PT2_iSB_SB_,@function
_Z39paged_attention_ll4mi_QKV_mfma16_kernelIDF16_DF16_LN4vllm18Fp8KVCacheDataTypeE0EDF16_Li16ELi64ELi256ELb1ELi7EEvPKT_PKT0_S7_ifPKiS9_S9_iPKfiiiPfSC_PS2_PT2_iSB_SB_: ; @_Z39paged_attention_ll4mi_QKV_mfma16_kernelIDF16_DF16_LN4vllm18Fp8KVCacheDataTypeE0EDF16_Li16ELi64ELi256ELb1ELi7EEvPKT_PKT0_S7_ifPKiS9_S9_iPKfiiiPfSC_PS2_PT2_iSB_SB_
; %bb.0:
	s_get_pc_i64 s[2:3]
	s_add_nc_u64 s[2:3], s[2:3], __PRETTY_FUNCTION__._Z39paged_attention_ll4mi_QKV_mfma16_kernelIDF16_DF16_LN4vllm18Fp8KVCacheDataTypeE0EDF16_Li16ELi64ELi256ELb1ELi7EEvPKT_PKT0_S7_ifPKiS9_S9_iPKfiiiPfSC_PS2_PT2_iSB_SB_@rel64+4
	s_delay_alu instid0(SALU_CYCLE_1)
	v_dual_mov_b32 v0, 0xbb3 :: v_dual_mov_b32 v1, s2
	v_mov_b32_e32 v2, s3
	s_add_nc_u64 s[8:9], s[0:1], 0x90
	s_get_pc_i64 s[0:1]
	s_add_nc_u64 s[0:1], s[0:1], __assert_fail@rel64+4
	s_mov_b32 s32, 0
	s_swap_pc_i64 s[30:31], s[0:1]
	.section	.rodata,"a",@progbits
	.p2align	6, 0x0
	.amdhsa_kernel _Z39paged_attention_ll4mi_QKV_mfma16_kernelIDF16_DF16_LN4vllm18Fp8KVCacheDataTypeE0EDF16_Li16ELi64ELi256ELb1ELi7EEvPKT_PKT0_S7_ifPKiS9_S9_iPKfiiiPfSC_PS2_PT2_iSB_SB_
		.amdhsa_group_segment_fixed_size 0
		.amdhsa_private_segment_fixed_size 64
		.amdhsa_kernarg_size 400
		.amdhsa_user_sgpr_count 2
		.amdhsa_user_sgpr_dispatch_ptr 0
		.amdhsa_user_sgpr_queue_ptr 0
		.amdhsa_user_sgpr_kernarg_segment_ptr 1
		.amdhsa_user_sgpr_dispatch_id 0
		.amdhsa_user_sgpr_kernarg_preload_length 0
		.amdhsa_user_sgpr_kernarg_preload_offset 0
		.amdhsa_user_sgpr_private_segment_size 0
		.amdhsa_wavefront_size32 1
		.amdhsa_uses_dynamic_stack 0
		.amdhsa_enable_private_segment 1
		.amdhsa_system_sgpr_workgroup_id_x 1
		.amdhsa_system_sgpr_workgroup_id_y 0
		.amdhsa_system_sgpr_workgroup_id_z 0
		.amdhsa_system_sgpr_workgroup_info 0
		.amdhsa_system_vgpr_workitem_id 0
		.amdhsa_next_free_vgpr 51
		.amdhsa_next_free_sgpr 34
		.amdhsa_named_barrier_count 0
		.amdhsa_reserve_vcc 1
		.amdhsa_float_round_mode_32 0
		.amdhsa_float_round_mode_16_64 0
		.amdhsa_float_denorm_mode_32 3
		.amdhsa_float_denorm_mode_16_64 3
		.amdhsa_fp16_overflow 0
		.amdhsa_memory_ordered 1
		.amdhsa_forward_progress 1
		.amdhsa_inst_pref_size 1
		.amdhsa_round_robin_scheduling 0
		.amdhsa_exception_fp_ieee_invalid_op 0
		.amdhsa_exception_fp_denorm_src 0
		.amdhsa_exception_fp_ieee_div_zero 0
		.amdhsa_exception_fp_ieee_overflow 0
		.amdhsa_exception_fp_ieee_underflow 0
		.amdhsa_exception_fp_ieee_inexact 0
		.amdhsa_exception_int_div_zero 0
	.end_amdhsa_kernel
	.section	.text._Z39paged_attention_ll4mi_QKV_mfma16_kernelIDF16_DF16_LN4vllm18Fp8KVCacheDataTypeE0EDF16_Li16ELi64ELi256ELb1ELi7EEvPKT_PKT0_S7_ifPKiS9_S9_iPKfiiiPfSC_PS2_PT2_iSB_SB_,"axG",@progbits,_Z39paged_attention_ll4mi_QKV_mfma16_kernelIDF16_DF16_LN4vllm18Fp8KVCacheDataTypeE0EDF16_Li16ELi64ELi256ELb1ELi7EEvPKT_PKT0_S7_ifPKiS9_S9_iPKfiiiPfSC_PS2_PT2_iSB_SB_,comdat
.Lfunc_end64:
	.size	_Z39paged_attention_ll4mi_QKV_mfma16_kernelIDF16_DF16_LN4vllm18Fp8KVCacheDataTypeE0EDF16_Li16ELi64ELi256ELb1ELi7EEvPKT_PKT0_S7_ifPKiS9_S9_iPKfiiiPfSC_PS2_PT2_iSB_SB_, .Lfunc_end64-_Z39paged_attention_ll4mi_QKV_mfma16_kernelIDF16_DF16_LN4vllm18Fp8KVCacheDataTypeE0EDF16_Li16ELi64ELi256ELb1ELi7EEvPKT_PKT0_S7_ifPKiS9_S9_iPKfiiiPfSC_PS2_PT2_iSB_SB_
                                        ; -- End function
	.set _Z39paged_attention_ll4mi_QKV_mfma16_kernelIDF16_DF16_LN4vllm18Fp8KVCacheDataTypeE0EDF16_Li16ELi64ELi256ELb1ELi7EEvPKT_PKT0_S7_ifPKiS9_S9_iPKfiiiPfSC_PS2_PT2_iSB_SB_.num_vgpr, max(3, .L__assert_fail.num_vgpr)
	.set _Z39paged_attention_ll4mi_QKV_mfma16_kernelIDF16_DF16_LN4vllm18Fp8KVCacheDataTypeE0EDF16_Li16ELi64ELi256ELb1ELi7EEvPKT_PKT0_S7_ifPKiS9_S9_iPKfiiiPfSC_PS2_PT2_iSB_SB_.num_agpr, max(0, .L__assert_fail.num_agpr)
	.set _Z39paged_attention_ll4mi_QKV_mfma16_kernelIDF16_DF16_LN4vllm18Fp8KVCacheDataTypeE0EDF16_Li16ELi64ELi256ELb1ELi7EEvPKT_PKT0_S7_ifPKiS9_S9_iPKfiiiPfSC_PS2_PT2_iSB_SB_.numbered_sgpr, max(33, .L__assert_fail.numbered_sgpr)
	.set _Z39paged_attention_ll4mi_QKV_mfma16_kernelIDF16_DF16_LN4vllm18Fp8KVCacheDataTypeE0EDF16_Li16ELi64ELi256ELb1ELi7EEvPKT_PKT0_S7_ifPKiS9_S9_iPKfiiiPfSC_PS2_PT2_iSB_SB_.num_named_barrier, max(0, .L__assert_fail.num_named_barrier)
	.set _Z39paged_attention_ll4mi_QKV_mfma16_kernelIDF16_DF16_LN4vllm18Fp8KVCacheDataTypeE0EDF16_Li16ELi64ELi256ELb1ELi7EEvPKT_PKT0_S7_ifPKiS9_S9_iPKfiiiPfSC_PS2_PT2_iSB_SB_.private_seg_size, 0+max(.L__assert_fail.private_seg_size)
	.set _Z39paged_attention_ll4mi_QKV_mfma16_kernelIDF16_DF16_LN4vllm18Fp8KVCacheDataTypeE0EDF16_Li16ELi64ELi256ELb1ELi7EEvPKT_PKT0_S7_ifPKiS9_S9_iPKfiiiPfSC_PS2_PT2_iSB_SB_.uses_vcc, or(1, .L__assert_fail.uses_vcc)
	.set _Z39paged_attention_ll4mi_QKV_mfma16_kernelIDF16_DF16_LN4vllm18Fp8KVCacheDataTypeE0EDF16_Li16ELi64ELi256ELb1ELi7EEvPKT_PKT0_S7_ifPKiS9_S9_iPKfiiiPfSC_PS2_PT2_iSB_SB_.uses_flat_scratch, or(0, .L__assert_fail.uses_flat_scratch)
	.set _Z39paged_attention_ll4mi_QKV_mfma16_kernelIDF16_DF16_LN4vllm18Fp8KVCacheDataTypeE0EDF16_Li16ELi64ELi256ELb1ELi7EEvPKT_PKT0_S7_ifPKiS9_S9_iPKfiiiPfSC_PS2_PT2_iSB_SB_.has_dyn_sized_stack, or(0, .L__assert_fail.has_dyn_sized_stack)
	.set _Z39paged_attention_ll4mi_QKV_mfma16_kernelIDF16_DF16_LN4vllm18Fp8KVCacheDataTypeE0EDF16_Li16ELi64ELi256ELb1ELi7EEvPKT_PKT0_S7_ifPKiS9_S9_iPKfiiiPfSC_PS2_PT2_iSB_SB_.has_recursion, or(0, .L__assert_fail.has_recursion)
	.set _Z39paged_attention_ll4mi_QKV_mfma16_kernelIDF16_DF16_LN4vllm18Fp8KVCacheDataTypeE0EDF16_Li16ELi64ELi256ELb1ELi7EEvPKT_PKT0_S7_ifPKiS9_S9_iPKfiiiPfSC_PS2_PT2_iSB_SB_.has_indirect_call, or(0, .L__assert_fail.has_indirect_call)
	.section	.AMDGPU.csdata,"",@progbits
; Kernel info:
; codeLenInByte = 68
; TotalNumSgprs: 36
; NumVgprs: 51
; ScratchSize: 64
; MemoryBound: 0
; FloatMode: 240
; IeeeMode: 1
; LDSByteSize: 0 bytes/workgroup (compile time only)
; SGPRBlocks: 0
; VGPRBlocks: 3
; NumSGPRsForWavesPerEU: 36
; NumVGPRsForWavesPerEU: 51
; NamedBarCnt: 0
; Occupancy: 16
; WaveLimiterHint : 1
; COMPUTE_PGM_RSRC2:SCRATCH_EN: 1
; COMPUTE_PGM_RSRC2:USER_SGPR: 2
; COMPUTE_PGM_RSRC2:TRAP_HANDLER: 0
; COMPUTE_PGM_RSRC2:TGID_X_EN: 1
; COMPUTE_PGM_RSRC2:TGID_Y_EN: 0
; COMPUTE_PGM_RSRC2:TGID_Z_EN: 0
; COMPUTE_PGM_RSRC2:TIDIG_COMP_CNT: 0
	.section	.text._Z39paged_attention_ll4mi_QKV_mfma16_kernelIDF16_DF16_LN4vllm18Fp8KVCacheDataTypeE0EDF16_Li16ELi64ELi256ELb1ELi8EEvPKT_PKT0_S7_ifPKiS9_S9_iPKfiiiPfSC_PS2_PT2_iSB_SB_,"axG",@progbits,_Z39paged_attention_ll4mi_QKV_mfma16_kernelIDF16_DF16_LN4vllm18Fp8KVCacheDataTypeE0EDF16_Li16ELi64ELi256ELb1ELi8EEvPKT_PKT0_S7_ifPKiS9_S9_iPKfiiiPfSC_PS2_PT2_iSB_SB_,comdat
	.protected	_Z39paged_attention_ll4mi_QKV_mfma16_kernelIDF16_DF16_LN4vllm18Fp8KVCacheDataTypeE0EDF16_Li16ELi64ELi256ELb1ELi8EEvPKT_PKT0_S7_ifPKiS9_S9_iPKfiiiPfSC_PS2_PT2_iSB_SB_ ; -- Begin function _Z39paged_attention_ll4mi_QKV_mfma16_kernelIDF16_DF16_LN4vllm18Fp8KVCacheDataTypeE0EDF16_Li16ELi64ELi256ELb1ELi8EEvPKT_PKT0_S7_ifPKiS9_S9_iPKfiiiPfSC_PS2_PT2_iSB_SB_
	.globl	_Z39paged_attention_ll4mi_QKV_mfma16_kernelIDF16_DF16_LN4vllm18Fp8KVCacheDataTypeE0EDF16_Li16ELi64ELi256ELb1ELi8EEvPKT_PKT0_S7_ifPKiS9_S9_iPKfiiiPfSC_PS2_PT2_iSB_SB_
	.p2align	8
	.type	_Z39paged_attention_ll4mi_QKV_mfma16_kernelIDF16_DF16_LN4vllm18Fp8KVCacheDataTypeE0EDF16_Li16ELi64ELi256ELb1ELi8EEvPKT_PKT0_S7_ifPKiS9_S9_iPKfiiiPfSC_PS2_PT2_iSB_SB_,@function
_Z39paged_attention_ll4mi_QKV_mfma16_kernelIDF16_DF16_LN4vllm18Fp8KVCacheDataTypeE0EDF16_Li16ELi64ELi256ELb1ELi8EEvPKT_PKT0_S7_ifPKiS9_S9_iPKfiiiPfSC_PS2_PT2_iSB_SB_: ; @_Z39paged_attention_ll4mi_QKV_mfma16_kernelIDF16_DF16_LN4vllm18Fp8KVCacheDataTypeE0EDF16_Li16ELi64ELi256ELb1ELi8EEvPKT_PKT0_S7_ifPKiS9_S9_iPKfiiiPfSC_PS2_PT2_iSB_SB_
; %bb.0:
	s_get_pc_i64 s[2:3]
	s_add_nc_u64 s[2:3], s[2:3], __PRETTY_FUNCTION__._Z39paged_attention_ll4mi_QKV_mfma16_kernelIDF16_DF16_LN4vllm18Fp8KVCacheDataTypeE0EDF16_Li16ELi64ELi256ELb1ELi8EEvPKT_PKT0_S7_ifPKiS9_S9_iPKfiiiPfSC_PS2_PT2_iSB_SB_@rel64+4
	s_delay_alu instid0(SALU_CYCLE_1)
	v_dual_mov_b32 v0, 0xbb3 :: v_dual_mov_b32 v1, s2
	v_mov_b32_e32 v2, s3
	s_add_nc_u64 s[8:9], s[0:1], 0x90
	s_get_pc_i64 s[0:1]
	s_add_nc_u64 s[0:1], s[0:1], __assert_fail@rel64+4
	s_mov_b32 s32, 0
	s_swap_pc_i64 s[30:31], s[0:1]
	.section	.rodata,"a",@progbits
	.p2align	6, 0x0
	.amdhsa_kernel _Z39paged_attention_ll4mi_QKV_mfma16_kernelIDF16_DF16_LN4vllm18Fp8KVCacheDataTypeE0EDF16_Li16ELi64ELi256ELb1ELi8EEvPKT_PKT0_S7_ifPKiS9_S9_iPKfiiiPfSC_PS2_PT2_iSB_SB_
		.amdhsa_group_segment_fixed_size 0
		.amdhsa_private_segment_fixed_size 64
		.amdhsa_kernarg_size 400
		.amdhsa_user_sgpr_count 2
		.amdhsa_user_sgpr_dispatch_ptr 0
		.amdhsa_user_sgpr_queue_ptr 0
		.amdhsa_user_sgpr_kernarg_segment_ptr 1
		.amdhsa_user_sgpr_dispatch_id 0
		.amdhsa_user_sgpr_kernarg_preload_length 0
		.amdhsa_user_sgpr_kernarg_preload_offset 0
		.amdhsa_user_sgpr_private_segment_size 0
		.amdhsa_wavefront_size32 1
		.amdhsa_uses_dynamic_stack 0
		.amdhsa_enable_private_segment 1
		.amdhsa_system_sgpr_workgroup_id_x 1
		.amdhsa_system_sgpr_workgroup_id_y 0
		.amdhsa_system_sgpr_workgroup_id_z 0
		.amdhsa_system_sgpr_workgroup_info 0
		.amdhsa_system_vgpr_workitem_id 0
		.amdhsa_next_free_vgpr 51
		.amdhsa_next_free_sgpr 34
		.amdhsa_named_barrier_count 0
		.amdhsa_reserve_vcc 1
		.amdhsa_float_round_mode_32 0
		.amdhsa_float_round_mode_16_64 0
		.amdhsa_float_denorm_mode_32 3
		.amdhsa_float_denorm_mode_16_64 3
		.amdhsa_fp16_overflow 0
		.amdhsa_memory_ordered 1
		.amdhsa_forward_progress 1
		.amdhsa_inst_pref_size 1
		.amdhsa_round_robin_scheduling 0
		.amdhsa_exception_fp_ieee_invalid_op 0
		.amdhsa_exception_fp_denorm_src 0
		.amdhsa_exception_fp_ieee_div_zero 0
		.amdhsa_exception_fp_ieee_overflow 0
		.amdhsa_exception_fp_ieee_underflow 0
		.amdhsa_exception_fp_ieee_inexact 0
		.amdhsa_exception_int_div_zero 0
	.end_amdhsa_kernel
	.section	.text._Z39paged_attention_ll4mi_QKV_mfma16_kernelIDF16_DF16_LN4vllm18Fp8KVCacheDataTypeE0EDF16_Li16ELi64ELi256ELb1ELi8EEvPKT_PKT0_S7_ifPKiS9_S9_iPKfiiiPfSC_PS2_PT2_iSB_SB_,"axG",@progbits,_Z39paged_attention_ll4mi_QKV_mfma16_kernelIDF16_DF16_LN4vllm18Fp8KVCacheDataTypeE0EDF16_Li16ELi64ELi256ELb1ELi8EEvPKT_PKT0_S7_ifPKiS9_S9_iPKfiiiPfSC_PS2_PT2_iSB_SB_,comdat
.Lfunc_end65:
	.size	_Z39paged_attention_ll4mi_QKV_mfma16_kernelIDF16_DF16_LN4vllm18Fp8KVCacheDataTypeE0EDF16_Li16ELi64ELi256ELb1ELi8EEvPKT_PKT0_S7_ifPKiS9_S9_iPKfiiiPfSC_PS2_PT2_iSB_SB_, .Lfunc_end65-_Z39paged_attention_ll4mi_QKV_mfma16_kernelIDF16_DF16_LN4vllm18Fp8KVCacheDataTypeE0EDF16_Li16ELi64ELi256ELb1ELi8EEvPKT_PKT0_S7_ifPKiS9_S9_iPKfiiiPfSC_PS2_PT2_iSB_SB_
                                        ; -- End function
	.set _Z39paged_attention_ll4mi_QKV_mfma16_kernelIDF16_DF16_LN4vllm18Fp8KVCacheDataTypeE0EDF16_Li16ELi64ELi256ELb1ELi8EEvPKT_PKT0_S7_ifPKiS9_S9_iPKfiiiPfSC_PS2_PT2_iSB_SB_.num_vgpr, max(3, .L__assert_fail.num_vgpr)
	.set _Z39paged_attention_ll4mi_QKV_mfma16_kernelIDF16_DF16_LN4vllm18Fp8KVCacheDataTypeE0EDF16_Li16ELi64ELi256ELb1ELi8EEvPKT_PKT0_S7_ifPKiS9_S9_iPKfiiiPfSC_PS2_PT2_iSB_SB_.num_agpr, max(0, .L__assert_fail.num_agpr)
	.set _Z39paged_attention_ll4mi_QKV_mfma16_kernelIDF16_DF16_LN4vllm18Fp8KVCacheDataTypeE0EDF16_Li16ELi64ELi256ELb1ELi8EEvPKT_PKT0_S7_ifPKiS9_S9_iPKfiiiPfSC_PS2_PT2_iSB_SB_.numbered_sgpr, max(33, .L__assert_fail.numbered_sgpr)
	.set _Z39paged_attention_ll4mi_QKV_mfma16_kernelIDF16_DF16_LN4vllm18Fp8KVCacheDataTypeE0EDF16_Li16ELi64ELi256ELb1ELi8EEvPKT_PKT0_S7_ifPKiS9_S9_iPKfiiiPfSC_PS2_PT2_iSB_SB_.num_named_barrier, max(0, .L__assert_fail.num_named_barrier)
	.set _Z39paged_attention_ll4mi_QKV_mfma16_kernelIDF16_DF16_LN4vllm18Fp8KVCacheDataTypeE0EDF16_Li16ELi64ELi256ELb1ELi8EEvPKT_PKT0_S7_ifPKiS9_S9_iPKfiiiPfSC_PS2_PT2_iSB_SB_.private_seg_size, 0+max(.L__assert_fail.private_seg_size)
	.set _Z39paged_attention_ll4mi_QKV_mfma16_kernelIDF16_DF16_LN4vllm18Fp8KVCacheDataTypeE0EDF16_Li16ELi64ELi256ELb1ELi8EEvPKT_PKT0_S7_ifPKiS9_S9_iPKfiiiPfSC_PS2_PT2_iSB_SB_.uses_vcc, or(1, .L__assert_fail.uses_vcc)
	.set _Z39paged_attention_ll4mi_QKV_mfma16_kernelIDF16_DF16_LN4vllm18Fp8KVCacheDataTypeE0EDF16_Li16ELi64ELi256ELb1ELi8EEvPKT_PKT0_S7_ifPKiS9_S9_iPKfiiiPfSC_PS2_PT2_iSB_SB_.uses_flat_scratch, or(0, .L__assert_fail.uses_flat_scratch)
	.set _Z39paged_attention_ll4mi_QKV_mfma16_kernelIDF16_DF16_LN4vllm18Fp8KVCacheDataTypeE0EDF16_Li16ELi64ELi256ELb1ELi8EEvPKT_PKT0_S7_ifPKiS9_S9_iPKfiiiPfSC_PS2_PT2_iSB_SB_.has_dyn_sized_stack, or(0, .L__assert_fail.has_dyn_sized_stack)
	.set _Z39paged_attention_ll4mi_QKV_mfma16_kernelIDF16_DF16_LN4vllm18Fp8KVCacheDataTypeE0EDF16_Li16ELi64ELi256ELb1ELi8EEvPKT_PKT0_S7_ifPKiS9_S9_iPKfiiiPfSC_PS2_PT2_iSB_SB_.has_recursion, or(0, .L__assert_fail.has_recursion)
	.set _Z39paged_attention_ll4mi_QKV_mfma16_kernelIDF16_DF16_LN4vllm18Fp8KVCacheDataTypeE0EDF16_Li16ELi64ELi256ELb1ELi8EEvPKT_PKT0_S7_ifPKiS9_S9_iPKfiiiPfSC_PS2_PT2_iSB_SB_.has_indirect_call, or(0, .L__assert_fail.has_indirect_call)
	.section	.AMDGPU.csdata,"",@progbits
; Kernel info:
; codeLenInByte = 68
; TotalNumSgprs: 36
; NumVgprs: 51
; ScratchSize: 64
; MemoryBound: 0
; FloatMode: 240
; IeeeMode: 1
; LDSByteSize: 0 bytes/workgroup (compile time only)
; SGPRBlocks: 0
; VGPRBlocks: 3
; NumSGPRsForWavesPerEU: 36
; NumVGPRsForWavesPerEU: 51
; NamedBarCnt: 0
; Occupancy: 16
; WaveLimiterHint : 1
; COMPUTE_PGM_RSRC2:SCRATCH_EN: 1
; COMPUTE_PGM_RSRC2:USER_SGPR: 2
; COMPUTE_PGM_RSRC2:TRAP_HANDLER: 0
; COMPUTE_PGM_RSRC2:TGID_X_EN: 1
; COMPUTE_PGM_RSRC2:TGID_Y_EN: 0
; COMPUTE_PGM_RSRC2:TGID_Z_EN: 0
; COMPUTE_PGM_RSRC2:TIDIG_COMP_CNT: 0
	.section	.text._Z39paged_attention_ll4mi_QKV_mfma16_kernelIDF16_DF16_LN4vllm18Fp8KVCacheDataTypeE0EDF16_Li16ELi64ELi256ELb1ELi9EEvPKT_PKT0_S7_ifPKiS9_S9_iPKfiiiPfSC_PS2_PT2_iSB_SB_,"axG",@progbits,_Z39paged_attention_ll4mi_QKV_mfma16_kernelIDF16_DF16_LN4vllm18Fp8KVCacheDataTypeE0EDF16_Li16ELi64ELi256ELb1ELi9EEvPKT_PKT0_S7_ifPKiS9_S9_iPKfiiiPfSC_PS2_PT2_iSB_SB_,comdat
	.protected	_Z39paged_attention_ll4mi_QKV_mfma16_kernelIDF16_DF16_LN4vllm18Fp8KVCacheDataTypeE0EDF16_Li16ELi64ELi256ELb1ELi9EEvPKT_PKT0_S7_ifPKiS9_S9_iPKfiiiPfSC_PS2_PT2_iSB_SB_ ; -- Begin function _Z39paged_attention_ll4mi_QKV_mfma16_kernelIDF16_DF16_LN4vllm18Fp8KVCacheDataTypeE0EDF16_Li16ELi64ELi256ELb1ELi9EEvPKT_PKT0_S7_ifPKiS9_S9_iPKfiiiPfSC_PS2_PT2_iSB_SB_
	.globl	_Z39paged_attention_ll4mi_QKV_mfma16_kernelIDF16_DF16_LN4vllm18Fp8KVCacheDataTypeE0EDF16_Li16ELi64ELi256ELb1ELi9EEvPKT_PKT0_S7_ifPKiS9_S9_iPKfiiiPfSC_PS2_PT2_iSB_SB_
	.p2align	8
	.type	_Z39paged_attention_ll4mi_QKV_mfma16_kernelIDF16_DF16_LN4vllm18Fp8KVCacheDataTypeE0EDF16_Li16ELi64ELi256ELb1ELi9EEvPKT_PKT0_S7_ifPKiS9_S9_iPKfiiiPfSC_PS2_PT2_iSB_SB_,@function
_Z39paged_attention_ll4mi_QKV_mfma16_kernelIDF16_DF16_LN4vllm18Fp8KVCacheDataTypeE0EDF16_Li16ELi64ELi256ELb1ELi9EEvPKT_PKT0_S7_ifPKiS9_S9_iPKfiiiPfSC_PS2_PT2_iSB_SB_: ; @_Z39paged_attention_ll4mi_QKV_mfma16_kernelIDF16_DF16_LN4vllm18Fp8KVCacheDataTypeE0EDF16_Li16ELi64ELi256ELb1ELi9EEvPKT_PKT0_S7_ifPKiS9_S9_iPKfiiiPfSC_PS2_PT2_iSB_SB_
; %bb.0:
	s_get_pc_i64 s[2:3]
	s_add_nc_u64 s[2:3], s[2:3], __PRETTY_FUNCTION__._Z39paged_attention_ll4mi_QKV_mfma16_kernelIDF16_DF16_LN4vllm18Fp8KVCacheDataTypeE0EDF16_Li16ELi64ELi256ELb1ELi9EEvPKT_PKT0_S7_ifPKiS9_S9_iPKfiiiPfSC_PS2_PT2_iSB_SB_@rel64+4
	s_delay_alu instid0(SALU_CYCLE_1)
	v_dual_mov_b32 v0, 0xbb3 :: v_dual_mov_b32 v1, s2
	v_mov_b32_e32 v2, s3
	s_add_nc_u64 s[8:9], s[0:1], 0x90
	s_get_pc_i64 s[0:1]
	s_add_nc_u64 s[0:1], s[0:1], __assert_fail@rel64+4
	s_mov_b32 s32, 0
	s_swap_pc_i64 s[30:31], s[0:1]
	.section	.rodata,"a",@progbits
	.p2align	6, 0x0
	.amdhsa_kernel _Z39paged_attention_ll4mi_QKV_mfma16_kernelIDF16_DF16_LN4vllm18Fp8KVCacheDataTypeE0EDF16_Li16ELi64ELi256ELb1ELi9EEvPKT_PKT0_S7_ifPKiS9_S9_iPKfiiiPfSC_PS2_PT2_iSB_SB_
		.amdhsa_group_segment_fixed_size 0
		.amdhsa_private_segment_fixed_size 64
		.amdhsa_kernarg_size 400
		.amdhsa_user_sgpr_count 2
		.amdhsa_user_sgpr_dispatch_ptr 0
		.amdhsa_user_sgpr_queue_ptr 0
		.amdhsa_user_sgpr_kernarg_segment_ptr 1
		.amdhsa_user_sgpr_dispatch_id 0
		.amdhsa_user_sgpr_kernarg_preload_length 0
		.amdhsa_user_sgpr_kernarg_preload_offset 0
		.amdhsa_user_sgpr_private_segment_size 0
		.amdhsa_wavefront_size32 1
		.amdhsa_uses_dynamic_stack 0
		.amdhsa_enable_private_segment 1
		.amdhsa_system_sgpr_workgroup_id_x 1
		.amdhsa_system_sgpr_workgroup_id_y 0
		.amdhsa_system_sgpr_workgroup_id_z 0
		.amdhsa_system_sgpr_workgroup_info 0
		.amdhsa_system_vgpr_workitem_id 0
		.amdhsa_next_free_vgpr 51
		.amdhsa_next_free_sgpr 34
		.amdhsa_named_barrier_count 0
		.amdhsa_reserve_vcc 1
		.amdhsa_float_round_mode_32 0
		.amdhsa_float_round_mode_16_64 0
		.amdhsa_float_denorm_mode_32 3
		.amdhsa_float_denorm_mode_16_64 3
		.amdhsa_fp16_overflow 0
		.amdhsa_memory_ordered 1
		.amdhsa_forward_progress 1
		.amdhsa_inst_pref_size 1
		.amdhsa_round_robin_scheduling 0
		.amdhsa_exception_fp_ieee_invalid_op 0
		.amdhsa_exception_fp_denorm_src 0
		.amdhsa_exception_fp_ieee_div_zero 0
		.amdhsa_exception_fp_ieee_overflow 0
		.amdhsa_exception_fp_ieee_underflow 0
		.amdhsa_exception_fp_ieee_inexact 0
		.amdhsa_exception_int_div_zero 0
	.end_amdhsa_kernel
	.section	.text._Z39paged_attention_ll4mi_QKV_mfma16_kernelIDF16_DF16_LN4vllm18Fp8KVCacheDataTypeE0EDF16_Li16ELi64ELi256ELb1ELi9EEvPKT_PKT0_S7_ifPKiS9_S9_iPKfiiiPfSC_PS2_PT2_iSB_SB_,"axG",@progbits,_Z39paged_attention_ll4mi_QKV_mfma16_kernelIDF16_DF16_LN4vllm18Fp8KVCacheDataTypeE0EDF16_Li16ELi64ELi256ELb1ELi9EEvPKT_PKT0_S7_ifPKiS9_S9_iPKfiiiPfSC_PS2_PT2_iSB_SB_,comdat
.Lfunc_end66:
	.size	_Z39paged_attention_ll4mi_QKV_mfma16_kernelIDF16_DF16_LN4vllm18Fp8KVCacheDataTypeE0EDF16_Li16ELi64ELi256ELb1ELi9EEvPKT_PKT0_S7_ifPKiS9_S9_iPKfiiiPfSC_PS2_PT2_iSB_SB_, .Lfunc_end66-_Z39paged_attention_ll4mi_QKV_mfma16_kernelIDF16_DF16_LN4vllm18Fp8KVCacheDataTypeE0EDF16_Li16ELi64ELi256ELb1ELi9EEvPKT_PKT0_S7_ifPKiS9_S9_iPKfiiiPfSC_PS2_PT2_iSB_SB_
                                        ; -- End function
	.set _Z39paged_attention_ll4mi_QKV_mfma16_kernelIDF16_DF16_LN4vllm18Fp8KVCacheDataTypeE0EDF16_Li16ELi64ELi256ELb1ELi9EEvPKT_PKT0_S7_ifPKiS9_S9_iPKfiiiPfSC_PS2_PT2_iSB_SB_.num_vgpr, max(3, .L__assert_fail.num_vgpr)
	.set _Z39paged_attention_ll4mi_QKV_mfma16_kernelIDF16_DF16_LN4vllm18Fp8KVCacheDataTypeE0EDF16_Li16ELi64ELi256ELb1ELi9EEvPKT_PKT0_S7_ifPKiS9_S9_iPKfiiiPfSC_PS2_PT2_iSB_SB_.num_agpr, max(0, .L__assert_fail.num_agpr)
	.set _Z39paged_attention_ll4mi_QKV_mfma16_kernelIDF16_DF16_LN4vllm18Fp8KVCacheDataTypeE0EDF16_Li16ELi64ELi256ELb1ELi9EEvPKT_PKT0_S7_ifPKiS9_S9_iPKfiiiPfSC_PS2_PT2_iSB_SB_.numbered_sgpr, max(33, .L__assert_fail.numbered_sgpr)
	.set _Z39paged_attention_ll4mi_QKV_mfma16_kernelIDF16_DF16_LN4vllm18Fp8KVCacheDataTypeE0EDF16_Li16ELi64ELi256ELb1ELi9EEvPKT_PKT0_S7_ifPKiS9_S9_iPKfiiiPfSC_PS2_PT2_iSB_SB_.num_named_barrier, max(0, .L__assert_fail.num_named_barrier)
	.set _Z39paged_attention_ll4mi_QKV_mfma16_kernelIDF16_DF16_LN4vllm18Fp8KVCacheDataTypeE0EDF16_Li16ELi64ELi256ELb1ELi9EEvPKT_PKT0_S7_ifPKiS9_S9_iPKfiiiPfSC_PS2_PT2_iSB_SB_.private_seg_size, 0+max(.L__assert_fail.private_seg_size)
	.set _Z39paged_attention_ll4mi_QKV_mfma16_kernelIDF16_DF16_LN4vllm18Fp8KVCacheDataTypeE0EDF16_Li16ELi64ELi256ELb1ELi9EEvPKT_PKT0_S7_ifPKiS9_S9_iPKfiiiPfSC_PS2_PT2_iSB_SB_.uses_vcc, or(1, .L__assert_fail.uses_vcc)
	.set _Z39paged_attention_ll4mi_QKV_mfma16_kernelIDF16_DF16_LN4vllm18Fp8KVCacheDataTypeE0EDF16_Li16ELi64ELi256ELb1ELi9EEvPKT_PKT0_S7_ifPKiS9_S9_iPKfiiiPfSC_PS2_PT2_iSB_SB_.uses_flat_scratch, or(0, .L__assert_fail.uses_flat_scratch)
	.set _Z39paged_attention_ll4mi_QKV_mfma16_kernelIDF16_DF16_LN4vllm18Fp8KVCacheDataTypeE0EDF16_Li16ELi64ELi256ELb1ELi9EEvPKT_PKT0_S7_ifPKiS9_S9_iPKfiiiPfSC_PS2_PT2_iSB_SB_.has_dyn_sized_stack, or(0, .L__assert_fail.has_dyn_sized_stack)
	.set _Z39paged_attention_ll4mi_QKV_mfma16_kernelIDF16_DF16_LN4vllm18Fp8KVCacheDataTypeE0EDF16_Li16ELi64ELi256ELb1ELi9EEvPKT_PKT0_S7_ifPKiS9_S9_iPKfiiiPfSC_PS2_PT2_iSB_SB_.has_recursion, or(0, .L__assert_fail.has_recursion)
	.set _Z39paged_attention_ll4mi_QKV_mfma16_kernelIDF16_DF16_LN4vllm18Fp8KVCacheDataTypeE0EDF16_Li16ELi64ELi256ELb1ELi9EEvPKT_PKT0_S7_ifPKiS9_S9_iPKfiiiPfSC_PS2_PT2_iSB_SB_.has_indirect_call, or(0, .L__assert_fail.has_indirect_call)
	.section	.AMDGPU.csdata,"",@progbits
; Kernel info:
; codeLenInByte = 68
; TotalNumSgprs: 36
; NumVgprs: 51
; ScratchSize: 64
; MemoryBound: 0
; FloatMode: 240
; IeeeMode: 1
; LDSByteSize: 0 bytes/workgroup (compile time only)
; SGPRBlocks: 0
; VGPRBlocks: 3
; NumSGPRsForWavesPerEU: 36
; NumVGPRsForWavesPerEU: 51
; NamedBarCnt: 0
; Occupancy: 16
; WaveLimiterHint : 1
; COMPUTE_PGM_RSRC2:SCRATCH_EN: 1
; COMPUTE_PGM_RSRC2:USER_SGPR: 2
; COMPUTE_PGM_RSRC2:TRAP_HANDLER: 0
; COMPUTE_PGM_RSRC2:TGID_X_EN: 1
; COMPUTE_PGM_RSRC2:TGID_Y_EN: 0
; COMPUTE_PGM_RSRC2:TGID_Z_EN: 0
; COMPUTE_PGM_RSRC2:TIDIG_COMP_CNT: 0
	.section	.text._Z39paged_attention_ll4mi_QKV_mfma16_kernelIDF16_DF16_LN4vllm18Fp8KVCacheDataTypeE0EDF16_Li16ELi64ELi256ELb1ELi10EEvPKT_PKT0_S7_ifPKiS9_S9_iPKfiiiPfSC_PS2_PT2_iSB_SB_,"axG",@progbits,_Z39paged_attention_ll4mi_QKV_mfma16_kernelIDF16_DF16_LN4vllm18Fp8KVCacheDataTypeE0EDF16_Li16ELi64ELi256ELb1ELi10EEvPKT_PKT0_S7_ifPKiS9_S9_iPKfiiiPfSC_PS2_PT2_iSB_SB_,comdat
	.protected	_Z39paged_attention_ll4mi_QKV_mfma16_kernelIDF16_DF16_LN4vllm18Fp8KVCacheDataTypeE0EDF16_Li16ELi64ELi256ELb1ELi10EEvPKT_PKT0_S7_ifPKiS9_S9_iPKfiiiPfSC_PS2_PT2_iSB_SB_ ; -- Begin function _Z39paged_attention_ll4mi_QKV_mfma16_kernelIDF16_DF16_LN4vllm18Fp8KVCacheDataTypeE0EDF16_Li16ELi64ELi256ELb1ELi10EEvPKT_PKT0_S7_ifPKiS9_S9_iPKfiiiPfSC_PS2_PT2_iSB_SB_
	.globl	_Z39paged_attention_ll4mi_QKV_mfma16_kernelIDF16_DF16_LN4vllm18Fp8KVCacheDataTypeE0EDF16_Li16ELi64ELi256ELb1ELi10EEvPKT_PKT0_S7_ifPKiS9_S9_iPKfiiiPfSC_PS2_PT2_iSB_SB_
	.p2align	8
	.type	_Z39paged_attention_ll4mi_QKV_mfma16_kernelIDF16_DF16_LN4vllm18Fp8KVCacheDataTypeE0EDF16_Li16ELi64ELi256ELb1ELi10EEvPKT_PKT0_S7_ifPKiS9_S9_iPKfiiiPfSC_PS2_PT2_iSB_SB_,@function
_Z39paged_attention_ll4mi_QKV_mfma16_kernelIDF16_DF16_LN4vllm18Fp8KVCacheDataTypeE0EDF16_Li16ELi64ELi256ELb1ELi10EEvPKT_PKT0_S7_ifPKiS9_S9_iPKfiiiPfSC_PS2_PT2_iSB_SB_: ; @_Z39paged_attention_ll4mi_QKV_mfma16_kernelIDF16_DF16_LN4vllm18Fp8KVCacheDataTypeE0EDF16_Li16ELi64ELi256ELb1ELi10EEvPKT_PKT0_S7_ifPKiS9_S9_iPKfiiiPfSC_PS2_PT2_iSB_SB_
; %bb.0:
	s_get_pc_i64 s[2:3]
	s_add_nc_u64 s[2:3], s[2:3], __PRETTY_FUNCTION__._Z39paged_attention_ll4mi_QKV_mfma16_kernelIDF16_DF16_LN4vllm18Fp8KVCacheDataTypeE0EDF16_Li16ELi64ELi256ELb1ELi10EEvPKT_PKT0_S7_ifPKiS9_S9_iPKfiiiPfSC_PS2_PT2_iSB_SB_@rel64+4
	s_delay_alu instid0(SALU_CYCLE_1)
	v_dual_mov_b32 v0, 0xbb3 :: v_dual_mov_b32 v1, s2
	v_mov_b32_e32 v2, s3
	s_add_nc_u64 s[8:9], s[0:1], 0x90
	s_get_pc_i64 s[0:1]
	s_add_nc_u64 s[0:1], s[0:1], __assert_fail@rel64+4
	s_mov_b32 s32, 0
	s_swap_pc_i64 s[30:31], s[0:1]
	.section	.rodata,"a",@progbits
	.p2align	6, 0x0
	.amdhsa_kernel _Z39paged_attention_ll4mi_QKV_mfma16_kernelIDF16_DF16_LN4vllm18Fp8KVCacheDataTypeE0EDF16_Li16ELi64ELi256ELb1ELi10EEvPKT_PKT0_S7_ifPKiS9_S9_iPKfiiiPfSC_PS2_PT2_iSB_SB_
		.amdhsa_group_segment_fixed_size 0
		.amdhsa_private_segment_fixed_size 64
		.amdhsa_kernarg_size 400
		.amdhsa_user_sgpr_count 2
		.amdhsa_user_sgpr_dispatch_ptr 0
		.amdhsa_user_sgpr_queue_ptr 0
		.amdhsa_user_sgpr_kernarg_segment_ptr 1
		.amdhsa_user_sgpr_dispatch_id 0
		.amdhsa_user_sgpr_kernarg_preload_length 0
		.amdhsa_user_sgpr_kernarg_preload_offset 0
		.amdhsa_user_sgpr_private_segment_size 0
		.amdhsa_wavefront_size32 1
		.amdhsa_uses_dynamic_stack 0
		.amdhsa_enable_private_segment 1
		.amdhsa_system_sgpr_workgroup_id_x 1
		.amdhsa_system_sgpr_workgroup_id_y 0
		.amdhsa_system_sgpr_workgroup_id_z 0
		.amdhsa_system_sgpr_workgroup_info 0
		.amdhsa_system_vgpr_workitem_id 0
		.amdhsa_next_free_vgpr 51
		.amdhsa_next_free_sgpr 34
		.amdhsa_named_barrier_count 0
		.amdhsa_reserve_vcc 1
		.amdhsa_float_round_mode_32 0
		.amdhsa_float_round_mode_16_64 0
		.amdhsa_float_denorm_mode_32 3
		.amdhsa_float_denorm_mode_16_64 3
		.amdhsa_fp16_overflow 0
		.amdhsa_memory_ordered 1
		.amdhsa_forward_progress 1
		.amdhsa_inst_pref_size 1
		.amdhsa_round_robin_scheduling 0
		.amdhsa_exception_fp_ieee_invalid_op 0
		.amdhsa_exception_fp_denorm_src 0
		.amdhsa_exception_fp_ieee_div_zero 0
		.amdhsa_exception_fp_ieee_overflow 0
		.amdhsa_exception_fp_ieee_underflow 0
		.amdhsa_exception_fp_ieee_inexact 0
		.amdhsa_exception_int_div_zero 0
	.end_amdhsa_kernel
	.section	.text._Z39paged_attention_ll4mi_QKV_mfma16_kernelIDF16_DF16_LN4vllm18Fp8KVCacheDataTypeE0EDF16_Li16ELi64ELi256ELb1ELi10EEvPKT_PKT0_S7_ifPKiS9_S9_iPKfiiiPfSC_PS2_PT2_iSB_SB_,"axG",@progbits,_Z39paged_attention_ll4mi_QKV_mfma16_kernelIDF16_DF16_LN4vllm18Fp8KVCacheDataTypeE0EDF16_Li16ELi64ELi256ELb1ELi10EEvPKT_PKT0_S7_ifPKiS9_S9_iPKfiiiPfSC_PS2_PT2_iSB_SB_,comdat
.Lfunc_end67:
	.size	_Z39paged_attention_ll4mi_QKV_mfma16_kernelIDF16_DF16_LN4vllm18Fp8KVCacheDataTypeE0EDF16_Li16ELi64ELi256ELb1ELi10EEvPKT_PKT0_S7_ifPKiS9_S9_iPKfiiiPfSC_PS2_PT2_iSB_SB_, .Lfunc_end67-_Z39paged_attention_ll4mi_QKV_mfma16_kernelIDF16_DF16_LN4vllm18Fp8KVCacheDataTypeE0EDF16_Li16ELi64ELi256ELb1ELi10EEvPKT_PKT0_S7_ifPKiS9_S9_iPKfiiiPfSC_PS2_PT2_iSB_SB_
                                        ; -- End function
	.set _Z39paged_attention_ll4mi_QKV_mfma16_kernelIDF16_DF16_LN4vllm18Fp8KVCacheDataTypeE0EDF16_Li16ELi64ELi256ELb1ELi10EEvPKT_PKT0_S7_ifPKiS9_S9_iPKfiiiPfSC_PS2_PT2_iSB_SB_.num_vgpr, max(3, .L__assert_fail.num_vgpr)
	.set _Z39paged_attention_ll4mi_QKV_mfma16_kernelIDF16_DF16_LN4vllm18Fp8KVCacheDataTypeE0EDF16_Li16ELi64ELi256ELb1ELi10EEvPKT_PKT0_S7_ifPKiS9_S9_iPKfiiiPfSC_PS2_PT2_iSB_SB_.num_agpr, max(0, .L__assert_fail.num_agpr)
	.set _Z39paged_attention_ll4mi_QKV_mfma16_kernelIDF16_DF16_LN4vllm18Fp8KVCacheDataTypeE0EDF16_Li16ELi64ELi256ELb1ELi10EEvPKT_PKT0_S7_ifPKiS9_S9_iPKfiiiPfSC_PS2_PT2_iSB_SB_.numbered_sgpr, max(33, .L__assert_fail.numbered_sgpr)
	.set _Z39paged_attention_ll4mi_QKV_mfma16_kernelIDF16_DF16_LN4vllm18Fp8KVCacheDataTypeE0EDF16_Li16ELi64ELi256ELb1ELi10EEvPKT_PKT0_S7_ifPKiS9_S9_iPKfiiiPfSC_PS2_PT2_iSB_SB_.num_named_barrier, max(0, .L__assert_fail.num_named_barrier)
	.set _Z39paged_attention_ll4mi_QKV_mfma16_kernelIDF16_DF16_LN4vllm18Fp8KVCacheDataTypeE0EDF16_Li16ELi64ELi256ELb1ELi10EEvPKT_PKT0_S7_ifPKiS9_S9_iPKfiiiPfSC_PS2_PT2_iSB_SB_.private_seg_size, 0+max(.L__assert_fail.private_seg_size)
	.set _Z39paged_attention_ll4mi_QKV_mfma16_kernelIDF16_DF16_LN4vllm18Fp8KVCacheDataTypeE0EDF16_Li16ELi64ELi256ELb1ELi10EEvPKT_PKT0_S7_ifPKiS9_S9_iPKfiiiPfSC_PS2_PT2_iSB_SB_.uses_vcc, or(1, .L__assert_fail.uses_vcc)
	.set _Z39paged_attention_ll4mi_QKV_mfma16_kernelIDF16_DF16_LN4vllm18Fp8KVCacheDataTypeE0EDF16_Li16ELi64ELi256ELb1ELi10EEvPKT_PKT0_S7_ifPKiS9_S9_iPKfiiiPfSC_PS2_PT2_iSB_SB_.uses_flat_scratch, or(0, .L__assert_fail.uses_flat_scratch)
	.set _Z39paged_attention_ll4mi_QKV_mfma16_kernelIDF16_DF16_LN4vllm18Fp8KVCacheDataTypeE0EDF16_Li16ELi64ELi256ELb1ELi10EEvPKT_PKT0_S7_ifPKiS9_S9_iPKfiiiPfSC_PS2_PT2_iSB_SB_.has_dyn_sized_stack, or(0, .L__assert_fail.has_dyn_sized_stack)
	.set _Z39paged_attention_ll4mi_QKV_mfma16_kernelIDF16_DF16_LN4vllm18Fp8KVCacheDataTypeE0EDF16_Li16ELi64ELi256ELb1ELi10EEvPKT_PKT0_S7_ifPKiS9_S9_iPKfiiiPfSC_PS2_PT2_iSB_SB_.has_recursion, or(0, .L__assert_fail.has_recursion)
	.set _Z39paged_attention_ll4mi_QKV_mfma16_kernelIDF16_DF16_LN4vllm18Fp8KVCacheDataTypeE0EDF16_Li16ELi64ELi256ELb1ELi10EEvPKT_PKT0_S7_ifPKiS9_S9_iPKfiiiPfSC_PS2_PT2_iSB_SB_.has_indirect_call, or(0, .L__assert_fail.has_indirect_call)
	.section	.AMDGPU.csdata,"",@progbits
; Kernel info:
; codeLenInByte = 68
; TotalNumSgprs: 36
; NumVgprs: 51
; ScratchSize: 64
; MemoryBound: 0
; FloatMode: 240
; IeeeMode: 1
; LDSByteSize: 0 bytes/workgroup (compile time only)
; SGPRBlocks: 0
; VGPRBlocks: 3
; NumSGPRsForWavesPerEU: 36
; NumVGPRsForWavesPerEU: 51
; NamedBarCnt: 0
; Occupancy: 16
; WaveLimiterHint : 1
; COMPUTE_PGM_RSRC2:SCRATCH_EN: 1
; COMPUTE_PGM_RSRC2:USER_SGPR: 2
; COMPUTE_PGM_RSRC2:TRAP_HANDLER: 0
; COMPUTE_PGM_RSRC2:TGID_X_EN: 1
; COMPUTE_PGM_RSRC2:TGID_Y_EN: 0
; COMPUTE_PGM_RSRC2:TGID_Z_EN: 0
; COMPUTE_PGM_RSRC2:TIDIG_COMP_CNT: 0
	.section	.text._Z39paged_attention_ll4mi_QKV_mfma16_kernelIDF16_DF16_LN4vllm18Fp8KVCacheDataTypeE0EDF16_Li16ELi64ELi256ELb1ELi11EEvPKT_PKT0_S7_ifPKiS9_S9_iPKfiiiPfSC_PS2_PT2_iSB_SB_,"axG",@progbits,_Z39paged_attention_ll4mi_QKV_mfma16_kernelIDF16_DF16_LN4vllm18Fp8KVCacheDataTypeE0EDF16_Li16ELi64ELi256ELb1ELi11EEvPKT_PKT0_S7_ifPKiS9_S9_iPKfiiiPfSC_PS2_PT2_iSB_SB_,comdat
	.protected	_Z39paged_attention_ll4mi_QKV_mfma16_kernelIDF16_DF16_LN4vllm18Fp8KVCacheDataTypeE0EDF16_Li16ELi64ELi256ELb1ELi11EEvPKT_PKT0_S7_ifPKiS9_S9_iPKfiiiPfSC_PS2_PT2_iSB_SB_ ; -- Begin function _Z39paged_attention_ll4mi_QKV_mfma16_kernelIDF16_DF16_LN4vllm18Fp8KVCacheDataTypeE0EDF16_Li16ELi64ELi256ELb1ELi11EEvPKT_PKT0_S7_ifPKiS9_S9_iPKfiiiPfSC_PS2_PT2_iSB_SB_
	.globl	_Z39paged_attention_ll4mi_QKV_mfma16_kernelIDF16_DF16_LN4vllm18Fp8KVCacheDataTypeE0EDF16_Li16ELi64ELi256ELb1ELi11EEvPKT_PKT0_S7_ifPKiS9_S9_iPKfiiiPfSC_PS2_PT2_iSB_SB_
	.p2align	8
	.type	_Z39paged_attention_ll4mi_QKV_mfma16_kernelIDF16_DF16_LN4vllm18Fp8KVCacheDataTypeE0EDF16_Li16ELi64ELi256ELb1ELi11EEvPKT_PKT0_S7_ifPKiS9_S9_iPKfiiiPfSC_PS2_PT2_iSB_SB_,@function
_Z39paged_attention_ll4mi_QKV_mfma16_kernelIDF16_DF16_LN4vllm18Fp8KVCacheDataTypeE0EDF16_Li16ELi64ELi256ELb1ELi11EEvPKT_PKT0_S7_ifPKiS9_S9_iPKfiiiPfSC_PS2_PT2_iSB_SB_: ; @_Z39paged_attention_ll4mi_QKV_mfma16_kernelIDF16_DF16_LN4vllm18Fp8KVCacheDataTypeE0EDF16_Li16ELi64ELi256ELb1ELi11EEvPKT_PKT0_S7_ifPKiS9_S9_iPKfiiiPfSC_PS2_PT2_iSB_SB_
; %bb.0:
	s_get_pc_i64 s[2:3]
	s_add_nc_u64 s[2:3], s[2:3], __PRETTY_FUNCTION__._Z39paged_attention_ll4mi_QKV_mfma16_kernelIDF16_DF16_LN4vllm18Fp8KVCacheDataTypeE0EDF16_Li16ELi64ELi256ELb1ELi11EEvPKT_PKT0_S7_ifPKiS9_S9_iPKfiiiPfSC_PS2_PT2_iSB_SB_@rel64+4
	s_delay_alu instid0(SALU_CYCLE_1)
	v_dual_mov_b32 v0, 0xbb3 :: v_dual_mov_b32 v1, s2
	v_mov_b32_e32 v2, s3
	s_add_nc_u64 s[8:9], s[0:1], 0x90
	s_get_pc_i64 s[0:1]
	s_add_nc_u64 s[0:1], s[0:1], __assert_fail@rel64+4
	s_mov_b32 s32, 0
	s_swap_pc_i64 s[30:31], s[0:1]
	.section	.rodata,"a",@progbits
	.p2align	6, 0x0
	.amdhsa_kernel _Z39paged_attention_ll4mi_QKV_mfma16_kernelIDF16_DF16_LN4vllm18Fp8KVCacheDataTypeE0EDF16_Li16ELi64ELi256ELb1ELi11EEvPKT_PKT0_S7_ifPKiS9_S9_iPKfiiiPfSC_PS2_PT2_iSB_SB_
		.amdhsa_group_segment_fixed_size 0
		.amdhsa_private_segment_fixed_size 64
		.amdhsa_kernarg_size 400
		.amdhsa_user_sgpr_count 2
		.amdhsa_user_sgpr_dispatch_ptr 0
		.amdhsa_user_sgpr_queue_ptr 0
		.amdhsa_user_sgpr_kernarg_segment_ptr 1
		.amdhsa_user_sgpr_dispatch_id 0
		.amdhsa_user_sgpr_kernarg_preload_length 0
		.amdhsa_user_sgpr_kernarg_preload_offset 0
		.amdhsa_user_sgpr_private_segment_size 0
		.amdhsa_wavefront_size32 1
		.amdhsa_uses_dynamic_stack 0
		.amdhsa_enable_private_segment 1
		.amdhsa_system_sgpr_workgroup_id_x 1
		.amdhsa_system_sgpr_workgroup_id_y 0
		.amdhsa_system_sgpr_workgroup_id_z 0
		.amdhsa_system_sgpr_workgroup_info 0
		.amdhsa_system_vgpr_workitem_id 0
		.amdhsa_next_free_vgpr 51
		.amdhsa_next_free_sgpr 34
		.amdhsa_named_barrier_count 0
		.amdhsa_reserve_vcc 1
		.amdhsa_float_round_mode_32 0
		.amdhsa_float_round_mode_16_64 0
		.amdhsa_float_denorm_mode_32 3
		.amdhsa_float_denorm_mode_16_64 3
		.amdhsa_fp16_overflow 0
		.amdhsa_memory_ordered 1
		.amdhsa_forward_progress 1
		.amdhsa_inst_pref_size 1
		.amdhsa_round_robin_scheduling 0
		.amdhsa_exception_fp_ieee_invalid_op 0
		.amdhsa_exception_fp_denorm_src 0
		.amdhsa_exception_fp_ieee_div_zero 0
		.amdhsa_exception_fp_ieee_overflow 0
		.amdhsa_exception_fp_ieee_underflow 0
		.amdhsa_exception_fp_ieee_inexact 0
		.amdhsa_exception_int_div_zero 0
	.end_amdhsa_kernel
	.section	.text._Z39paged_attention_ll4mi_QKV_mfma16_kernelIDF16_DF16_LN4vllm18Fp8KVCacheDataTypeE0EDF16_Li16ELi64ELi256ELb1ELi11EEvPKT_PKT0_S7_ifPKiS9_S9_iPKfiiiPfSC_PS2_PT2_iSB_SB_,"axG",@progbits,_Z39paged_attention_ll4mi_QKV_mfma16_kernelIDF16_DF16_LN4vllm18Fp8KVCacheDataTypeE0EDF16_Li16ELi64ELi256ELb1ELi11EEvPKT_PKT0_S7_ifPKiS9_S9_iPKfiiiPfSC_PS2_PT2_iSB_SB_,comdat
.Lfunc_end68:
	.size	_Z39paged_attention_ll4mi_QKV_mfma16_kernelIDF16_DF16_LN4vllm18Fp8KVCacheDataTypeE0EDF16_Li16ELi64ELi256ELb1ELi11EEvPKT_PKT0_S7_ifPKiS9_S9_iPKfiiiPfSC_PS2_PT2_iSB_SB_, .Lfunc_end68-_Z39paged_attention_ll4mi_QKV_mfma16_kernelIDF16_DF16_LN4vllm18Fp8KVCacheDataTypeE0EDF16_Li16ELi64ELi256ELb1ELi11EEvPKT_PKT0_S7_ifPKiS9_S9_iPKfiiiPfSC_PS2_PT2_iSB_SB_
                                        ; -- End function
	.set _Z39paged_attention_ll4mi_QKV_mfma16_kernelIDF16_DF16_LN4vllm18Fp8KVCacheDataTypeE0EDF16_Li16ELi64ELi256ELb1ELi11EEvPKT_PKT0_S7_ifPKiS9_S9_iPKfiiiPfSC_PS2_PT2_iSB_SB_.num_vgpr, max(3, .L__assert_fail.num_vgpr)
	.set _Z39paged_attention_ll4mi_QKV_mfma16_kernelIDF16_DF16_LN4vllm18Fp8KVCacheDataTypeE0EDF16_Li16ELi64ELi256ELb1ELi11EEvPKT_PKT0_S7_ifPKiS9_S9_iPKfiiiPfSC_PS2_PT2_iSB_SB_.num_agpr, max(0, .L__assert_fail.num_agpr)
	.set _Z39paged_attention_ll4mi_QKV_mfma16_kernelIDF16_DF16_LN4vllm18Fp8KVCacheDataTypeE0EDF16_Li16ELi64ELi256ELb1ELi11EEvPKT_PKT0_S7_ifPKiS9_S9_iPKfiiiPfSC_PS2_PT2_iSB_SB_.numbered_sgpr, max(33, .L__assert_fail.numbered_sgpr)
	.set _Z39paged_attention_ll4mi_QKV_mfma16_kernelIDF16_DF16_LN4vllm18Fp8KVCacheDataTypeE0EDF16_Li16ELi64ELi256ELb1ELi11EEvPKT_PKT0_S7_ifPKiS9_S9_iPKfiiiPfSC_PS2_PT2_iSB_SB_.num_named_barrier, max(0, .L__assert_fail.num_named_barrier)
	.set _Z39paged_attention_ll4mi_QKV_mfma16_kernelIDF16_DF16_LN4vllm18Fp8KVCacheDataTypeE0EDF16_Li16ELi64ELi256ELb1ELi11EEvPKT_PKT0_S7_ifPKiS9_S9_iPKfiiiPfSC_PS2_PT2_iSB_SB_.private_seg_size, 0+max(.L__assert_fail.private_seg_size)
	.set _Z39paged_attention_ll4mi_QKV_mfma16_kernelIDF16_DF16_LN4vllm18Fp8KVCacheDataTypeE0EDF16_Li16ELi64ELi256ELb1ELi11EEvPKT_PKT0_S7_ifPKiS9_S9_iPKfiiiPfSC_PS2_PT2_iSB_SB_.uses_vcc, or(1, .L__assert_fail.uses_vcc)
	.set _Z39paged_attention_ll4mi_QKV_mfma16_kernelIDF16_DF16_LN4vllm18Fp8KVCacheDataTypeE0EDF16_Li16ELi64ELi256ELb1ELi11EEvPKT_PKT0_S7_ifPKiS9_S9_iPKfiiiPfSC_PS2_PT2_iSB_SB_.uses_flat_scratch, or(0, .L__assert_fail.uses_flat_scratch)
	.set _Z39paged_attention_ll4mi_QKV_mfma16_kernelIDF16_DF16_LN4vllm18Fp8KVCacheDataTypeE0EDF16_Li16ELi64ELi256ELb1ELi11EEvPKT_PKT0_S7_ifPKiS9_S9_iPKfiiiPfSC_PS2_PT2_iSB_SB_.has_dyn_sized_stack, or(0, .L__assert_fail.has_dyn_sized_stack)
	.set _Z39paged_attention_ll4mi_QKV_mfma16_kernelIDF16_DF16_LN4vllm18Fp8KVCacheDataTypeE0EDF16_Li16ELi64ELi256ELb1ELi11EEvPKT_PKT0_S7_ifPKiS9_S9_iPKfiiiPfSC_PS2_PT2_iSB_SB_.has_recursion, or(0, .L__assert_fail.has_recursion)
	.set _Z39paged_attention_ll4mi_QKV_mfma16_kernelIDF16_DF16_LN4vllm18Fp8KVCacheDataTypeE0EDF16_Li16ELi64ELi256ELb1ELi11EEvPKT_PKT0_S7_ifPKiS9_S9_iPKfiiiPfSC_PS2_PT2_iSB_SB_.has_indirect_call, or(0, .L__assert_fail.has_indirect_call)
	.section	.AMDGPU.csdata,"",@progbits
; Kernel info:
; codeLenInByte = 68
; TotalNumSgprs: 36
; NumVgprs: 51
; ScratchSize: 64
; MemoryBound: 0
; FloatMode: 240
; IeeeMode: 1
; LDSByteSize: 0 bytes/workgroup (compile time only)
; SGPRBlocks: 0
; VGPRBlocks: 3
; NumSGPRsForWavesPerEU: 36
; NumVGPRsForWavesPerEU: 51
; NamedBarCnt: 0
; Occupancy: 16
; WaveLimiterHint : 1
; COMPUTE_PGM_RSRC2:SCRATCH_EN: 1
; COMPUTE_PGM_RSRC2:USER_SGPR: 2
; COMPUTE_PGM_RSRC2:TRAP_HANDLER: 0
; COMPUTE_PGM_RSRC2:TGID_X_EN: 1
; COMPUTE_PGM_RSRC2:TGID_Y_EN: 0
; COMPUTE_PGM_RSRC2:TGID_Z_EN: 0
; COMPUTE_PGM_RSRC2:TIDIG_COMP_CNT: 0
	.section	.text._Z39paged_attention_ll4mi_QKV_mfma16_kernelIDF16_DF16_LN4vllm18Fp8KVCacheDataTypeE0EDF16_Li16ELi64ELi256ELb1ELi12EEvPKT_PKT0_S7_ifPKiS9_S9_iPKfiiiPfSC_PS2_PT2_iSB_SB_,"axG",@progbits,_Z39paged_attention_ll4mi_QKV_mfma16_kernelIDF16_DF16_LN4vllm18Fp8KVCacheDataTypeE0EDF16_Li16ELi64ELi256ELb1ELi12EEvPKT_PKT0_S7_ifPKiS9_S9_iPKfiiiPfSC_PS2_PT2_iSB_SB_,comdat
	.protected	_Z39paged_attention_ll4mi_QKV_mfma16_kernelIDF16_DF16_LN4vllm18Fp8KVCacheDataTypeE0EDF16_Li16ELi64ELi256ELb1ELi12EEvPKT_PKT0_S7_ifPKiS9_S9_iPKfiiiPfSC_PS2_PT2_iSB_SB_ ; -- Begin function _Z39paged_attention_ll4mi_QKV_mfma16_kernelIDF16_DF16_LN4vllm18Fp8KVCacheDataTypeE0EDF16_Li16ELi64ELi256ELb1ELi12EEvPKT_PKT0_S7_ifPKiS9_S9_iPKfiiiPfSC_PS2_PT2_iSB_SB_
	.globl	_Z39paged_attention_ll4mi_QKV_mfma16_kernelIDF16_DF16_LN4vllm18Fp8KVCacheDataTypeE0EDF16_Li16ELi64ELi256ELb1ELi12EEvPKT_PKT0_S7_ifPKiS9_S9_iPKfiiiPfSC_PS2_PT2_iSB_SB_
	.p2align	8
	.type	_Z39paged_attention_ll4mi_QKV_mfma16_kernelIDF16_DF16_LN4vllm18Fp8KVCacheDataTypeE0EDF16_Li16ELi64ELi256ELb1ELi12EEvPKT_PKT0_S7_ifPKiS9_S9_iPKfiiiPfSC_PS2_PT2_iSB_SB_,@function
_Z39paged_attention_ll4mi_QKV_mfma16_kernelIDF16_DF16_LN4vllm18Fp8KVCacheDataTypeE0EDF16_Li16ELi64ELi256ELb1ELi12EEvPKT_PKT0_S7_ifPKiS9_S9_iPKfiiiPfSC_PS2_PT2_iSB_SB_: ; @_Z39paged_attention_ll4mi_QKV_mfma16_kernelIDF16_DF16_LN4vllm18Fp8KVCacheDataTypeE0EDF16_Li16ELi64ELi256ELb1ELi12EEvPKT_PKT0_S7_ifPKiS9_S9_iPKfiiiPfSC_PS2_PT2_iSB_SB_
; %bb.0:
	s_get_pc_i64 s[2:3]
	s_add_nc_u64 s[2:3], s[2:3], __PRETTY_FUNCTION__._Z39paged_attention_ll4mi_QKV_mfma16_kernelIDF16_DF16_LN4vllm18Fp8KVCacheDataTypeE0EDF16_Li16ELi64ELi256ELb1ELi12EEvPKT_PKT0_S7_ifPKiS9_S9_iPKfiiiPfSC_PS2_PT2_iSB_SB_@rel64+4
	s_delay_alu instid0(SALU_CYCLE_1)
	v_dual_mov_b32 v0, 0xbb3 :: v_dual_mov_b32 v1, s2
	v_mov_b32_e32 v2, s3
	s_add_nc_u64 s[8:9], s[0:1], 0x90
	s_get_pc_i64 s[0:1]
	s_add_nc_u64 s[0:1], s[0:1], __assert_fail@rel64+4
	s_mov_b32 s32, 0
	s_swap_pc_i64 s[30:31], s[0:1]
	.section	.rodata,"a",@progbits
	.p2align	6, 0x0
	.amdhsa_kernel _Z39paged_attention_ll4mi_QKV_mfma16_kernelIDF16_DF16_LN4vllm18Fp8KVCacheDataTypeE0EDF16_Li16ELi64ELi256ELb1ELi12EEvPKT_PKT0_S7_ifPKiS9_S9_iPKfiiiPfSC_PS2_PT2_iSB_SB_
		.amdhsa_group_segment_fixed_size 0
		.amdhsa_private_segment_fixed_size 64
		.amdhsa_kernarg_size 400
		.amdhsa_user_sgpr_count 2
		.amdhsa_user_sgpr_dispatch_ptr 0
		.amdhsa_user_sgpr_queue_ptr 0
		.amdhsa_user_sgpr_kernarg_segment_ptr 1
		.amdhsa_user_sgpr_dispatch_id 0
		.amdhsa_user_sgpr_kernarg_preload_length 0
		.amdhsa_user_sgpr_kernarg_preload_offset 0
		.amdhsa_user_sgpr_private_segment_size 0
		.amdhsa_wavefront_size32 1
		.amdhsa_uses_dynamic_stack 0
		.amdhsa_enable_private_segment 1
		.amdhsa_system_sgpr_workgroup_id_x 1
		.amdhsa_system_sgpr_workgroup_id_y 0
		.amdhsa_system_sgpr_workgroup_id_z 0
		.amdhsa_system_sgpr_workgroup_info 0
		.amdhsa_system_vgpr_workitem_id 0
		.amdhsa_next_free_vgpr 51
		.amdhsa_next_free_sgpr 34
		.amdhsa_named_barrier_count 0
		.amdhsa_reserve_vcc 1
		.amdhsa_float_round_mode_32 0
		.amdhsa_float_round_mode_16_64 0
		.amdhsa_float_denorm_mode_32 3
		.amdhsa_float_denorm_mode_16_64 3
		.amdhsa_fp16_overflow 0
		.amdhsa_memory_ordered 1
		.amdhsa_forward_progress 1
		.amdhsa_inst_pref_size 1
		.amdhsa_round_robin_scheduling 0
		.amdhsa_exception_fp_ieee_invalid_op 0
		.amdhsa_exception_fp_denorm_src 0
		.amdhsa_exception_fp_ieee_div_zero 0
		.amdhsa_exception_fp_ieee_overflow 0
		.amdhsa_exception_fp_ieee_underflow 0
		.amdhsa_exception_fp_ieee_inexact 0
		.amdhsa_exception_int_div_zero 0
	.end_amdhsa_kernel
	.section	.text._Z39paged_attention_ll4mi_QKV_mfma16_kernelIDF16_DF16_LN4vllm18Fp8KVCacheDataTypeE0EDF16_Li16ELi64ELi256ELb1ELi12EEvPKT_PKT0_S7_ifPKiS9_S9_iPKfiiiPfSC_PS2_PT2_iSB_SB_,"axG",@progbits,_Z39paged_attention_ll4mi_QKV_mfma16_kernelIDF16_DF16_LN4vllm18Fp8KVCacheDataTypeE0EDF16_Li16ELi64ELi256ELb1ELi12EEvPKT_PKT0_S7_ifPKiS9_S9_iPKfiiiPfSC_PS2_PT2_iSB_SB_,comdat
.Lfunc_end69:
	.size	_Z39paged_attention_ll4mi_QKV_mfma16_kernelIDF16_DF16_LN4vllm18Fp8KVCacheDataTypeE0EDF16_Li16ELi64ELi256ELb1ELi12EEvPKT_PKT0_S7_ifPKiS9_S9_iPKfiiiPfSC_PS2_PT2_iSB_SB_, .Lfunc_end69-_Z39paged_attention_ll4mi_QKV_mfma16_kernelIDF16_DF16_LN4vllm18Fp8KVCacheDataTypeE0EDF16_Li16ELi64ELi256ELb1ELi12EEvPKT_PKT0_S7_ifPKiS9_S9_iPKfiiiPfSC_PS2_PT2_iSB_SB_
                                        ; -- End function
	.set _Z39paged_attention_ll4mi_QKV_mfma16_kernelIDF16_DF16_LN4vllm18Fp8KVCacheDataTypeE0EDF16_Li16ELi64ELi256ELb1ELi12EEvPKT_PKT0_S7_ifPKiS9_S9_iPKfiiiPfSC_PS2_PT2_iSB_SB_.num_vgpr, max(3, .L__assert_fail.num_vgpr)
	.set _Z39paged_attention_ll4mi_QKV_mfma16_kernelIDF16_DF16_LN4vllm18Fp8KVCacheDataTypeE0EDF16_Li16ELi64ELi256ELb1ELi12EEvPKT_PKT0_S7_ifPKiS9_S9_iPKfiiiPfSC_PS2_PT2_iSB_SB_.num_agpr, max(0, .L__assert_fail.num_agpr)
	.set _Z39paged_attention_ll4mi_QKV_mfma16_kernelIDF16_DF16_LN4vllm18Fp8KVCacheDataTypeE0EDF16_Li16ELi64ELi256ELb1ELi12EEvPKT_PKT0_S7_ifPKiS9_S9_iPKfiiiPfSC_PS2_PT2_iSB_SB_.numbered_sgpr, max(33, .L__assert_fail.numbered_sgpr)
	.set _Z39paged_attention_ll4mi_QKV_mfma16_kernelIDF16_DF16_LN4vllm18Fp8KVCacheDataTypeE0EDF16_Li16ELi64ELi256ELb1ELi12EEvPKT_PKT0_S7_ifPKiS9_S9_iPKfiiiPfSC_PS2_PT2_iSB_SB_.num_named_barrier, max(0, .L__assert_fail.num_named_barrier)
	.set _Z39paged_attention_ll4mi_QKV_mfma16_kernelIDF16_DF16_LN4vllm18Fp8KVCacheDataTypeE0EDF16_Li16ELi64ELi256ELb1ELi12EEvPKT_PKT0_S7_ifPKiS9_S9_iPKfiiiPfSC_PS2_PT2_iSB_SB_.private_seg_size, 0+max(.L__assert_fail.private_seg_size)
	.set _Z39paged_attention_ll4mi_QKV_mfma16_kernelIDF16_DF16_LN4vllm18Fp8KVCacheDataTypeE0EDF16_Li16ELi64ELi256ELb1ELi12EEvPKT_PKT0_S7_ifPKiS9_S9_iPKfiiiPfSC_PS2_PT2_iSB_SB_.uses_vcc, or(1, .L__assert_fail.uses_vcc)
	.set _Z39paged_attention_ll4mi_QKV_mfma16_kernelIDF16_DF16_LN4vllm18Fp8KVCacheDataTypeE0EDF16_Li16ELi64ELi256ELb1ELi12EEvPKT_PKT0_S7_ifPKiS9_S9_iPKfiiiPfSC_PS2_PT2_iSB_SB_.uses_flat_scratch, or(0, .L__assert_fail.uses_flat_scratch)
	.set _Z39paged_attention_ll4mi_QKV_mfma16_kernelIDF16_DF16_LN4vllm18Fp8KVCacheDataTypeE0EDF16_Li16ELi64ELi256ELb1ELi12EEvPKT_PKT0_S7_ifPKiS9_S9_iPKfiiiPfSC_PS2_PT2_iSB_SB_.has_dyn_sized_stack, or(0, .L__assert_fail.has_dyn_sized_stack)
	.set _Z39paged_attention_ll4mi_QKV_mfma16_kernelIDF16_DF16_LN4vllm18Fp8KVCacheDataTypeE0EDF16_Li16ELi64ELi256ELb1ELi12EEvPKT_PKT0_S7_ifPKiS9_S9_iPKfiiiPfSC_PS2_PT2_iSB_SB_.has_recursion, or(0, .L__assert_fail.has_recursion)
	.set _Z39paged_attention_ll4mi_QKV_mfma16_kernelIDF16_DF16_LN4vllm18Fp8KVCacheDataTypeE0EDF16_Li16ELi64ELi256ELb1ELi12EEvPKT_PKT0_S7_ifPKiS9_S9_iPKfiiiPfSC_PS2_PT2_iSB_SB_.has_indirect_call, or(0, .L__assert_fail.has_indirect_call)
	.section	.AMDGPU.csdata,"",@progbits
; Kernel info:
; codeLenInByte = 68
; TotalNumSgprs: 36
; NumVgprs: 51
; ScratchSize: 64
; MemoryBound: 0
; FloatMode: 240
; IeeeMode: 1
; LDSByteSize: 0 bytes/workgroup (compile time only)
; SGPRBlocks: 0
; VGPRBlocks: 3
; NumSGPRsForWavesPerEU: 36
; NumVGPRsForWavesPerEU: 51
; NamedBarCnt: 0
; Occupancy: 16
; WaveLimiterHint : 1
; COMPUTE_PGM_RSRC2:SCRATCH_EN: 1
; COMPUTE_PGM_RSRC2:USER_SGPR: 2
; COMPUTE_PGM_RSRC2:TRAP_HANDLER: 0
; COMPUTE_PGM_RSRC2:TGID_X_EN: 1
; COMPUTE_PGM_RSRC2:TGID_Y_EN: 0
; COMPUTE_PGM_RSRC2:TGID_Z_EN: 0
; COMPUTE_PGM_RSRC2:TIDIG_COMP_CNT: 0
	.section	.text._Z39paged_attention_ll4mi_QKV_mfma16_kernelIDF16_DF16_LN4vllm18Fp8KVCacheDataTypeE0EDF16_Li16ELi64ELi256ELb1ELi13EEvPKT_PKT0_S7_ifPKiS9_S9_iPKfiiiPfSC_PS2_PT2_iSB_SB_,"axG",@progbits,_Z39paged_attention_ll4mi_QKV_mfma16_kernelIDF16_DF16_LN4vllm18Fp8KVCacheDataTypeE0EDF16_Li16ELi64ELi256ELb1ELi13EEvPKT_PKT0_S7_ifPKiS9_S9_iPKfiiiPfSC_PS2_PT2_iSB_SB_,comdat
	.protected	_Z39paged_attention_ll4mi_QKV_mfma16_kernelIDF16_DF16_LN4vllm18Fp8KVCacheDataTypeE0EDF16_Li16ELi64ELi256ELb1ELi13EEvPKT_PKT0_S7_ifPKiS9_S9_iPKfiiiPfSC_PS2_PT2_iSB_SB_ ; -- Begin function _Z39paged_attention_ll4mi_QKV_mfma16_kernelIDF16_DF16_LN4vllm18Fp8KVCacheDataTypeE0EDF16_Li16ELi64ELi256ELb1ELi13EEvPKT_PKT0_S7_ifPKiS9_S9_iPKfiiiPfSC_PS2_PT2_iSB_SB_
	.globl	_Z39paged_attention_ll4mi_QKV_mfma16_kernelIDF16_DF16_LN4vllm18Fp8KVCacheDataTypeE0EDF16_Li16ELi64ELi256ELb1ELi13EEvPKT_PKT0_S7_ifPKiS9_S9_iPKfiiiPfSC_PS2_PT2_iSB_SB_
	.p2align	8
	.type	_Z39paged_attention_ll4mi_QKV_mfma16_kernelIDF16_DF16_LN4vllm18Fp8KVCacheDataTypeE0EDF16_Li16ELi64ELi256ELb1ELi13EEvPKT_PKT0_S7_ifPKiS9_S9_iPKfiiiPfSC_PS2_PT2_iSB_SB_,@function
_Z39paged_attention_ll4mi_QKV_mfma16_kernelIDF16_DF16_LN4vllm18Fp8KVCacheDataTypeE0EDF16_Li16ELi64ELi256ELb1ELi13EEvPKT_PKT0_S7_ifPKiS9_S9_iPKfiiiPfSC_PS2_PT2_iSB_SB_: ; @_Z39paged_attention_ll4mi_QKV_mfma16_kernelIDF16_DF16_LN4vllm18Fp8KVCacheDataTypeE0EDF16_Li16ELi64ELi256ELb1ELi13EEvPKT_PKT0_S7_ifPKiS9_S9_iPKfiiiPfSC_PS2_PT2_iSB_SB_
; %bb.0:
	s_get_pc_i64 s[2:3]
	s_add_nc_u64 s[2:3], s[2:3], __PRETTY_FUNCTION__._Z39paged_attention_ll4mi_QKV_mfma16_kernelIDF16_DF16_LN4vllm18Fp8KVCacheDataTypeE0EDF16_Li16ELi64ELi256ELb1ELi13EEvPKT_PKT0_S7_ifPKiS9_S9_iPKfiiiPfSC_PS2_PT2_iSB_SB_@rel64+4
	s_delay_alu instid0(SALU_CYCLE_1)
	v_dual_mov_b32 v0, 0xbb3 :: v_dual_mov_b32 v1, s2
	v_mov_b32_e32 v2, s3
	s_add_nc_u64 s[8:9], s[0:1], 0x90
	s_get_pc_i64 s[0:1]
	s_add_nc_u64 s[0:1], s[0:1], __assert_fail@rel64+4
	s_mov_b32 s32, 0
	s_swap_pc_i64 s[30:31], s[0:1]
	.section	.rodata,"a",@progbits
	.p2align	6, 0x0
	.amdhsa_kernel _Z39paged_attention_ll4mi_QKV_mfma16_kernelIDF16_DF16_LN4vllm18Fp8KVCacheDataTypeE0EDF16_Li16ELi64ELi256ELb1ELi13EEvPKT_PKT0_S7_ifPKiS9_S9_iPKfiiiPfSC_PS2_PT2_iSB_SB_
		.amdhsa_group_segment_fixed_size 0
		.amdhsa_private_segment_fixed_size 64
		.amdhsa_kernarg_size 400
		.amdhsa_user_sgpr_count 2
		.amdhsa_user_sgpr_dispatch_ptr 0
		.amdhsa_user_sgpr_queue_ptr 0
		.amdhsa_user_sgpr_kernarg_segment_ptr 1
		.amdhsa_user_sgpr_dispatch_id 0
		.amdhsa_user_sgpr_kernarg_preload_length 0
		.amdhsa_user_sgpr_kernarg_preload_offset 0
		.amdhsa_user_sgpr_private_segment_size 0
		.amdhsa_wavefront_size32 1
		.amdhsa_uses_dynamic_stack 0
		.amdhsa_enable_private_segment 1
		.amdhsa_system_sgpr_workgroup_id_x 1
		.amdhsa_system_sgpr_workgroup_id_y 0
		.amdhsa_system_sgpr_workgroup_id_z 0
		.amdhsa_system_sgpr_workgroup_info 0
		.amdhsa_system_vgpr_workitem_id 0
		.amdhsa_next_free_vgpr 51
		.amdhsa_next_free_sgpr 34
		.amdhsa_named_barrier_count 0
		.amdhsa_reserve_vcc 1
		.amdhsa_float_round_mode_32 0
		.amdhsa_float_round_mode_16_64 0
		.amdhsa_float_denorm_mode_32 3
		.amdhsa_float_denorm_mode_16_64 3
		.amdhsa_fp16_overflow 0
		.amdhsa_memory_ordered 1
		.amdhsa_forward_progress 1
		.amdhsa_inst_pref_size 1
		.amdhsa_round_robin_scheduling 0
		.amdhsa_exception_fp_ieee_invalid_op 0
		.amdhsa_exception_fp_denorm_src 0
		.amdhsa_exception_fp_ieee_div_zero 0
		.amdhsa_exception_fp_ieee_overflow 0
		.amdhsa_exception_fp_ieee_underflow 0
		.amdhsa_exception_fp_ieee_inexact 0
		.amdhsa_exception_int_div_zero 0
	.end_amdhsa_kernel
	.section	.text._Z39paged_attention_ll4mi_QKV_mfma16_kernelIDF16_DF16_LN4vllm18Fp8KVCacheDataTypeE0EDF16_Li16ELi64ELi256ELb1ELi13EEvPKT_PKT0_S7_ifPKiS9_S9_iPKfiiiPfSC_PS2_PT2_iSB_SB_,"axG",@progbits,_Z39paged_attention_ll4mi_QKV_mfma16_kernelIDF16_DF16_LN4vllm18Fp8KVCacheDataTypeE0EDF16_Li16ELi64ELi256ELb1ELi13EEvPKT_PKT0_S7_ifPKiS9_S9_iPKfiiiPfSC_PS2_PT2_iSB_SB_,comdat
.Lfunc_end70:
	.size	_Z39paged_attention_ll4mi_QKV_mfma16_kernelIDF16_DF16_LN4vllm18Fp8KVCacheDataTypeE0EDF16_Li16ELi64ELi256ELb1ELi13EEvPKT_PKT0_S7_ifPKiS9_S9_iPKfiiiPfSC_PS2_PT2_iSB_SB_, .Lfunc_end70-_Z39paged_attention_ll4mi_QKV_mfma16_kernelIDF16_DF16_LN4vllm18Fp8KVCacheDataTypeE0EDF16_Li16ELi64ELi256ELb1ELi13EEvPKT_PKT0_S7_ifPKiS9_S9_iPKfiiiPfSC_PS2_PT2_iSB_SB_
                                        ; -- End function
	.set _Z39paged_attention_ll4mi_QKV_mfma16_kernelIDF16_DF16_LN4vllm18Fp8KVCacheDataTypeE0EDF16_Li16ELi64ELi256ELb1ELi13EEvPKT_PKT0_S7_ifPKiS9_S9_iPKfiiiPfSC_PS2_PT2_iSB_SB_.num_vgpr, max(3, .L__assert_fail.num_vgpr)
	.set _Z39paged_attention_ll4mi_QKV_mfma16_kernelIDF16_DF16_LN4vllm18Fp8KVCacheDataTypeE0EDF16_Li16ELi64ELi256ELb1ELi13EEvPKT_PKT0_S7_ifPKiS9_S9_iPKfiiiPfSC_PS2_PT2_iSB_SB_.num_agpr, max(0, .L__assert_fail.num_agpr)
	.set _Z39paged_attention_ll4mi_QKV_mfma16_kernelIDF16_DF16_LN4vllm18Fp8KVCacheDataTypeE0EDF16_Li16ELi64ELi256ELb1ELi13EEvPKT_PKT0_S7_ifPKiS9_S9_iPKfiiiPfSC_PS2_PT2_iSB_SB_.numbered_sgpr, max(33, .L__assert_fail.numbered_sgpr)
	.set _Z39paged_attention_ll4mi_QKV_mfma16_kernelIDF16_DF16_LN4vllm18Fp8KVCacheDataTypeE0EDF16_Li16ELi64ELi256ELb1ELi13EEvPKT_PKT0_S7_ifPKiS9_S9_iPKfiiiPfSC_PS2_PT2_iSB_SB_.num_named_barrier, max(0, .L__assert_fail.num_named_barrier)
	.set _Z39paged_attention_ll4mi_QKV_mfma16_kernelIDF16_DF16_LN4vllm18Fp8KVCacheDataTypeE0EDF16_Li16ELi64ELi256ELb1ELi13EEvPKT_PKT0_S7_ifPKiS9_S9_iPKfiiiPfSC_PS2_PT2_iSB_SB_.private_seg_size, 0+max(.L__assert_fail.private_seg_size)
	.set _Z39paged_attention_ll4mi_QKV_mfma16_kernelIDF16_DF16_LN4vllm18Fp8KVCacheDataTypeE0EDF16_Li16ELi64ELi256ELb1ELi13EEvPKT_PKT0_S7_ifPKiS9_S9_iPKfiiiPfSC_PS2_PT2_iSB_SB_.uses_vcc, or(1, .L__assert_fail.uses_vcc)
	.set _Z39paged_attention_ll4mi_QKV_mfma16_kernelIDF16_DF16_LN4vllm18Fp8KVCacheDataTypeE0EDF16_Li16ELi64ELi256ELb1ELi13EEvPKT_PKT0_S7_ifPKiS9_S9_iPKfiiiPfSC_PS2_PT2_iSB_SB_.uses_flat_scratch, or(0, .L__assert_fail.uses_flat_scratch)
	.set _Z39paged_attention_ll4mi_QKV_mfma16_kernelIDF16_DF16_LN4vllm18Fp8KVCacheDataTypeE0EDF16_Li16ELi64ELi256ELb1ELi13EEvPKT_PKT0_S7_ifPKiS9_S9_iPKfiiiPfSC_PS2_PT2_iSB_SB_.has_dyn_sized_stack, or(0, .L__assert_fail.has_dyn_sized_stack)
	.set _Z39paged_attention_ll4mi_QKV_mfma16_kernelIDF16_DF16_LN4vllm18Fp8KVCacheDataTypeE0EDF16_Li16ELi64ELi256ELb1ELi13EEvPKT_PKT0_S7_ifPKiS9_S9_iPKfiiiPfSC_PS2_PT2_iSB_SB_.has_recursion, or(0, .L__assert_fail.has_recursion)
	.set _Z39paged_attention_ll4mi_QKV_mfma16_kernelIDF16_DF16_LN4vllm18Fp8KVCacheDataTypeE0EDF16_Li16ELi64ELi256ELb1ELi13EEvPKT_PKT0_S7_ifPKiS9_S9_iPKfiiiPfSC_PS2_PT2_iSB_SB_.has_indirect_call, or(0, .L__assert_fail.has_indirect_call)
	.section	.AMDGPU.csdata,"",@progbits
; Kernel info:
; codeLenInByte = 68
; TotalNumSgprs: 36
; NumVgprs: 51
; ScratchSize: 64
; MemoryBound: 0
; FloatMode: 240
; IeeeMode: 1
; LDSByteSize: 0 bytes/workgroup (compile time only)
; SGPRBlocks: 0
; VGPRBlocks: 3
; NumSGPRsForWavesPerEU: 36
; NumVGPRsForWavesPerEU: 51
; NamedBarCnt: 0
; Occupancy: 16
; WaveLimiterHint : 1
; COMPUTE_PGM_RSRC2:SCRATCH_EN: 1
; COMPUTE_PGM_RSRC2:USER_SGPR: 2
; COMPUTE_PGM_RSRC2:TRAP_HANDLER: 0
; COMPUTE_PGM_RSRC2:TGID_X_EN: 1
; COMPUTE_PGM_RSRC2:TGID_Y_EN: 0
; COMPUTE_PGM_RSRC2:TGID_Z_EN: 0
; COMPUTE_PGM_RSRC2:TIDIG_COMP_CNT: 0
	.section	.text._Z39paged_attention_ll4mi_QKV_mfma16_kernelIDF16_DF16_LN4vllm18Fp8KVCacheDataTypeE0EDF16_Li16ELi64ELi256ELb1ELi14EEvPKT_PKT0_S7_ifPKiS9_S9_iPKfiiiPfSC_PS2_PT2_iSB_SB_,"axG",@progbits,_Z39paged_attention_ll4mi_QKV_mfma16_kernelIDF16_DF16_LN4vllm18Fp8KVCacheDataTypeE0EDF16_Li16ELi64ELi256ELb1ELi14EEvPKT_PKT0_S7_ifPKiS9_S9_iPKfiiiPfSC_PS2_PT2_iSB_SB_,comdat
	.protected	_Z39paged_attention_ll4mi_QKV_mfma16_kernelIDF16_DF16_LN4vllm18Fp8KVCacheDataTypeE0EDF16_Li16ELi64ELi256ELb1ELi14EEvPKT_PKT0_S7_ifPKiS9_S9_iPKfiiiPfSC_PS2_PT2_iSB_SB_ ; -- Begin function _Z39paged_attention_ll4mi_QKV_mfma16_kernelIDF16_DF16_LN4vllm18Fp8KVCacheDataTypeE0EDF16_Li16ELi64ELi256ELb1ELi14EEvPKT_PKT0_S7_ifPKiS9_S9_iPKfiiiPfSC_PS2_PT2_iSB_SB_
	.globl	_Z39paged_attention_ll4mi_QKV_mfma16_kernelIDF16_DF16_LN4vllm18Fp8KVCacheDataTypeE0EDF16_Li16ELi64ELi256ELb1ELi14EEvPKT_PKT0_S7_ifPKiS9_S9_iPKfiiiPfSC_PS2_PT2_iSB_SB_
	.p2align	8
	.type	_Z39paged_attention_ll4mi_QKV_mfma16_kernelIDF16_DF16_LN4vllm18Fp8KVCacheDataTypeE0EDF16_Li16ELi64ELi256ELb1ELi14EEvPKT_PKT0_S7_ifPKiS9_S9_iPKfiiiPfSC_PS2_PT2_iSB_SB_,@function
_Z39paged_attention_ll4mi_QKV_mfma16_kernelIDF16_DF16_LN4vllm18Fp8KVCacheDataTypeE0EDF16_Li16ELi64ELi256ELb1ELi14EEvPKT_PKT0_S7_ifPKiS9_S9_iPKfiiiPfSC_PS2_PT2_iSB_SB_: ; @_Z39paged_attention_ll4mi_QKV_mfma16_kernelIDF16_DF16_LN4vllm18Fp8KVCacheDataTypeE0EDF16_Li16ELi64ELi256ELb1ELi14EEvPKT_PKT0_S7_ifPKiS9_S9_iPKfiiiPfSC_PS2_PT2_iSB_SB_
; %bb.0:
	s_get_pc_i64 s[2:3]
	s_add_nc_u64 s[2:3], s[2:3], __PRETTY_FUNCTION__._Z39paged_attention_ll4mi_QKV_mfma16_kernelIDF16_DF16_LN4vllm18Fp8KVCacheDataTypeE0EDF16_Li16ELi64ELi256ELb1ELi14EEvPKT_PKT0_S7_ifPKiS9_S9_iPKfiiiPfSC_PS2_PT2_iSB_SB_@rel64+4
	s_delay_alu instid0(SALU_CYCLE_1)
	v_dual_mov_b32 v0, 0xbb3 :: v_dual_mov_b32 v1, s2
	v_mov_b32_e32 v2, s3
	s_add_nc_u64 s[8:9], s[0:1], 0x90
	s_get_pc_i64 s[0:1]
	s_add_nc_u64 s[0:1], s[0:1], __assert_fail@rel64+4
	s_mov_b32 s32, 0
	s_swap_pc_i64 s[30:31], s[0:1]
	.section	.rodata,"a",@progbits
	.p2align	6, 0x0
	.amdhsa_kernel _Z39paged_attention_ll4mi_QKV_mfma16_kernelIDF16_DF16_LN4vllm18Fp8KVCacheDataTypeE0EDF16_Li16ELi64ELi256ELb1ELi14EEvPKT_PKT0_S7_ifPKiS9_S9_iPKfiiiPfSC_PS2_PT2_iSB_SB_
		.amdhsa_group_segment_fixed_size 0
		.amdhsa_private_segment_fixed_size 64
		.amdhsa_kernarg_size 400
		.amdhsa_user_sgpr_count 2
		.amdhsa_user_sgpr_dispatch_ptr 0
		.amdhsa_user_sgpr_queue_ptr 0
		.amdhsa_user_sgpr_kernarg_segment_ptr 1
		.amdhsa_user_sgpr_dispatch_id 0
		.amdhsa_user_sgpr_kernarg_preload_length 0
		.amdhsa_user_sgpr_kernarg_preload_offset 0
		.amdhsa_user_sgpr_private_segment_size 0
		.amdhsa_wavefront_size32 1
		.amdhsa_uses_dynamic_stack 0
		.amdhsa_enable_private_segment 1
		.amdhsa_system_sgpr_workgroup_id_x 1
		.amdhsa_system_sgpr_workgroup_id_y 0
		.amdhsa_system_sgpr_workgroup_id_z 0
		.amdhsa_system_sgpr_workgroup_info 0
		.amdhsa_system_vgpr_workitem_id 0
		.amdhsa_next_free_vgpr 51
		.amdhsa_next_free_sgpr 34
		.amdhsa_named_barrier_count 0
		.amdhsa_reserve_vcc 1
		.amdhsa_float_round_mode_32 0
		.amdhsa_float_round_mode_16_64 0
		.amdhsa_float_denorm_mode_32 3
		.amdhsa_float_denorm_mode_16_64 3
		.amdhsa_fp16_overflow 0
		.amdhsa_memory_ordered 1
		.amdhsa_forward_progress 1
		.amdhsa_inst_pref_size 1
		.amdhsa_round_robin_scheduling 0
		.amdhsa_exception_fp_ieee_invalid_op 0
		.amdhsa_exception_fp_denorm_src 0
		.amdhsa_exception_fp_ieee_div_zero 0
		.amdhsa_exception_fp_ieee_overflow 0
		.amdhsa_exception_fp_ieee_underflow 0
		.amdhsa_exception_fp_ieee_inexact 0
		.amdhsa_exception_int_div_zero 0
	.end_amdhsa_kernel
	.section	.text._Z39paged_attention_ll4mi_QKV_mfma16_kernelIDF16_DF16_LN4vllm18Fp8KVCacheDataTypeE0EDF16_Li16ELi64ELi256ELb1ELi14EEvPKT_PKT0_S7_ifPKiS9_S9_iPKfiiiPfSC_PS2_PT2_iSB_SB_,"axG",@progbits,_Z39paged_attention_ll4mi_QKV_mfma16_kernelIDF16_DF16_LN4vllm18Fp8KVCacheDataTypeE0EDF16_Li16ELi64ELi256ELb1ELi14EEvPKT_PKT0_S7_ifPKiS9_S9_iPKfiiiPfSC_PS2_PT2_iSB_SB_,comdat
.Lfunc_end71:
	.size	_Z39paged_attention_ll4mi_QKV_mfma16_kernelIDF16_DF16_LN4vllm18Fp8KVCacheDataTypeE0EDF16_Li16ELi64ELi256ELb1ELi14EEvPKT_PKT0_S7_ifPKiS9_S9_iPKfiiiPfSC_PS2_PT2_iSB_SB_, .Lfunc_end71-_Z39paged_attention_ll4mi_QKV_mfma16_kernelIDF16_DF16_LN4vllm18Fp8KVCacheDataTypeE0EDF16_Li16ELi64ELi256ELb1ELi14EEvPKT_PKT0_S7_ifPKiS9_S9_iPKfiiiPfSC_PS2_PT2_iSB_SB_
                                        ; -- End function
	.set _Z39paged_attention_ll4mi_QKV_mfma16_kernelIDF16_DF16_LN4vllm18Fp8KVCacheDataTypeE0EDF16_Li16ELi64ELi256ELb1ELi14EEvPKT_PKT0_S7_ifPKiS9_S9_iPKfiiiPfSC_PS2_PT2_iSB_SB_.num_vgpr, max(3, .L__assert_fail.num_vgpr)
	.set _Z39paged_attention_ll4mi_QKV_mfma16_kernelIDF16_DF16_LN4vllm18Fp8KVCacheDataTypeE0EDF16_Li16ELi64ELi256ELb1ELi14EEvPKT_PKT0_S7_ifPKiS9_S9_iPKfiiiPfSC_PS2_PT2_iSB_SB_.num_agpr, max(0, .L__assert_fail.num_agpr)
	.set _Z39paged_attention_ll4mi_QKV_mfma16_kernelIDF16_DF16_LN4vllm18Fp8KVCacheDataTypeE0EDF16_Li16ELi64ELi256ELb1ELi14EEvPKT_PKT0_S7_ifPKiS9_S9_iPKfiiiPfSC_PS2_PT2_iSB_SB_.numbered_sgpr, max(33, .L__assert_fail.numbered_sgpr)
	.set _Z39paged_attention_ll4mi_QKV_mfma16_kernelIDF16_DF16_LN4vllm18Fp8KVCacheDataTypeE0EDF16_Li16ELi64ELi256ELb1ELi14EEvPKT_PKT0_S7_ifPKiS9_S9_iPKfiiiPfSC_PS2_PT2_iSB_SB_.num_named_barrier, max(0, .L__assert_fail.num_named_barrier)
	.set _Z39paged_attention_ll4mi_QKV_mfma16_kernelIDF16_DF16_LN4vllm18Fp8KVCacheDataTypeE0EDF16_Li16ELi64ELi256ELb1ELi14EEvPKT_PKT0_S7_ifPKiS9_S9_iPKfiiiPfSC_PS2_PT2_iSB_SB_.private_seg_size, 0+max(.L__assert_fail.private_seg_size)
	.set _Z39paged_attention_ll4mi_QKV_mfma16_kernelIDF16_DF16_LN4vllm18Fp8KVCacheDataTypeE0EDF16_Li16ELi64ELi256ELb1ELi14EEvPKT_PKT0_S7_ifPKiS9_S9_iPKfiiiPfSC_PS2_PT2_iSB_SB_.uses_vcc, or(1, .L__assert_fail.uses_vcc)
	.set _Z39paged_attention_ll4mi_QKV_mfma16_kernelIDF16_DF16_LN4vllm18Fp8KVCacheDataTypeE0EDF16_Li16ELi64ELi256ELb1ELi14EEvPKT_PKT0_S7_ifPKiS9_S9_iPKfiiiPfSC_PS2_PT2_iSB_SB_.uses_flat_scratch, or(0, .L__assert_fail.uses_flat_scratch)
	.set _Z39paged_attention_ll4mi_QKV_mfma16_kernelIDF16_DF16_LN4vllm18Fp8KVCacheDataTypeE0EDF16_Li16ELi64ELi256ELb1ELi14EEvPKT_PKT0_S7_ifPKiS9_S9_iPKfiiiPfSC_PS2_PT2_iSB_SB_.has_dyn_sized_stack, or(0, .L__assert_fail.has_dyn_sized_stack)
	.set _Z39paged_attention_ll4mi_QKV_mfma16_kernelIDF16_DF16_LN4vllm18Fp8KVCacheDataTypeE0EDF16_Li16ELi64ELi256ELb1ELi14EEvPKT_PKT0_S7_ifPKiS9_S9_iPKfiiiPfSC_PS2_PT2_iSB_SB_.has_recursion, or(0, .L__assert_fail.has_recursion)
	.set _Z39paged_attention_ll4mi_QKV_mfma16_kernelIDF16_DF16_LN4vllm18Fp8KVCacheDataTypeE0EDF16_Li16ELi64ELi256ELb1ELi14EEvPKT_PKT0_S7_ifPKiS9_S9_iPKfiiiPfSC_PS2_PT2_iSB_SB_.has_indirect_call, or(0, .L__assert_fail.has_indirect_call)
	.section	.AMDGPU.csdata,"",@progbits
; Kernel info:
; codeLenInByte = 68
; TotalNumSgprs: 36
; NumVgprs: 51
; ScratchSize: 64
; MemoryBound: 0
; FloatMode: 240
; IeeeMode: 1
; LDSByteSize: 0 bytes/workgroup (compile time only)
; SGPRBlocks: 0
; VGPRBlocks: 3
; NumSGPRsForWavesPerEU: 36
; NumVGPRsForWavesPerEU: 51
; NamedBarCnt: 0
; Occupancy: 16
; WaveLimiterHint : 1
; COMPUTE_PGM_RSRC2:SCRATCH_EN: 1
; COMPUTE_PGM_RSRC2:USER_SGPR: 2
; COMPUTE_PGM_RSRC2:TRAP_HANDLER: 0
; COMPUTE_PGM_RSRC2:TGID_X_EN: 1
; COMPUTE_PGM_RSRC2:TGID_Y_EN: 0
; COMPUTE_PGM_RSRC2:TGID_Z_EN: 0
; COMPUTE_PGM_RSRC2:TIDIG_COMP_CNT: 0
	.section	.text._Z39paged_attention_ll4mi_QKV_mfma16_kernelIDF16_DF16_LN4vllm18Fp8KVCacheDataTypeE0EDF16_Li16ELi64ELi256ELb1ELi15EEvPKT_PKT0_S7_ifPKiS9_S9_iPKfiiiPfSC_PS2_PT2_iSB_SB_,"axG",@progbits,_Z39paged_attention_ll4mi_QKV_mfma16_kernelIDF16_DF16_LN4vllm18Fp8KVCacheDataTypeE0EDF16_Li16ELi64ELi256ELb1ELi15EEvPKT_PKT0_S7_ifPKiS9_S9_iPKfiiiPfSC_PS2_PT2_iSB_SB_,comdat
	.protected	_Z39paged_attention_ll4mi_QKV_mfma16_kernelIDF16_DF16_LN4vllm18Fp8KVCacheDataTypeE0EDF16_Li16ELi64ELi256ELb1ELi15EEvPKT_PKT0_S7_ifPKiS9_S9_iPKfiiiPfSC_PS2_PT2_iSB_SB_ ; -- Begin function _Z39paged_attention_ll4mi_QKV_mfma16_kernelIDF16_DF16_LN4vllm18Fp8KVCacheDataTypeE0EDF16_Li16ELi64ELi256ELb1ELi15EEvPKT_PKT0_S7_ifPKiS9_S9_iPKfiiiPfSC_PS2_PT2_iSB_SB_
	.globl	_Z39paged_attention_ll4mi_QKV_mfma16_kernelIDF16_DF16_LN4vllm18Fp8KVCacheDataTypeE0EDF16_Li16ELi64ELi256ELb1ELi15EEvPKT_PKT0_S7_ifPKiS9_S9_iPKfiiiPfSC_PS2_PT2_iSB_SB_
	.p2align	8
	.type	_Z39paged_attention_ll4mi_QKV_mfma16_kernelIDF16_DF16_LN4vllm18Fp8KVCacheDataTypeE0EDF16_Li16ELi64ELi256ELb1ELi15EEvPKT_PKT0_S7_ifPKiS9_S9_iPKfiiiPfSC_PS2_PT2_iSB_SB_,@function
_Z39paged_attention_ll4mi_QKV_mfma16_kernelIDF16_DF16_LN4vllm18Fp8KVCacheDataTypeE0EDF16_Li16ELi64ELi256ELb1ELi15EEvPKT_PKT0_S7_ifPKiS9_S9_iPKfiiiPfSC_PS2_PT2_iSB_SB_: ; @_Z39paged_attention_ll4mi_QKV_mfma16_kernelIDF16_DF16_LN4vllm18Fp8KVCacheDataTypeE0EDF16_Li16ELi64ELi256ELb1ELi15EEvPKT_PKT0_S7_ifPKiS9_S9_iPKfiiiPfSC_PS2_PT2_iSB_SB_
; %bb.0:
	s_get_pc_i64 s[2:3]
	s_add_nc_u64 s[2:3], s[2:3], __PRETTY_FUNCTION__._Z39paged_attention_ll4mi_QKV_mfma16_kernelIDF16_DF16_LN4vllm18Fp8KVCacheDataTypeE0EDF16_Li16ELi64ELi256ELb1ELi15EEvPKT_PKT0_S7_ifPKiS9_S9_iPKfiiiPfSC_PS2_PT2_iSB_SB_@rel64+4
	s_delay_alu instid0(SALU_CYCLE_1)
	v_dual_mov_b32 v0, 0xbb3 :: v_dual_mov_b32 v1, s2
	v_mov_b32_e32 v2, s3
	s_add_nc_u64 s[8:9], s[0:1], 0x90
	s_get_pc_i64 s[0:1]
	s_add_nc_u64 s[0:1], s[0:1], __assert_fail@rel64+4
	s_mov_b32 s32, 0
	s_swap_pc_i64 s[30:31], s[0:1]
	.section	.rodata,"a",@progbits
	.p2align	6, 0x0
	.amdhsa_kernel _Z39paged_attention_ll4mi_QKV_mfma16_kernelIDF16_DF16_LN4vllm18Fp8KVCacheDataTypeE0EDF16_Li16ELi64ELi256ELb1ELi15EEvPKT_PKT0_S7_ifPKiS9_S9_iPKfiiiPfSC_PS2_PT2_iSB_SB_
		.amdhsa_group_segment_fixed_size 0
		.amdhsa_private_segment_fixed_size 64
		.amdhsa_kernarg_size 400
		.amdhsa_user_sgpr_count 2
		.amdhsa_user_sgpr_dispatch_ptr 0
		.amdhsa_user_sgpr_queue_ptr 0
		.amdhsa_user_sgpr_kernarg_segment_ptr 1
		.amdhsa_user_sgpr_dispatch_id 0
		.amdhsa_user_sgpr_kernarg_preload_length 0
		.amdhsa_user_sgpr_kernarg_preload_offset 0
		.amdhsa_user_sgpr_private_segment_size 0
		.amdhsa_wavefront_size32 1
		.amdhsa_uses_dynamic_stack 0
		.amdhsa_enable_private_segment 1
		.amdhsa_system_sgpr_workgroup_id_x 1
		.amdhsa_system_sgpr_workgroup_id_y 0
		.amdhsa_system_sgpr_workgroup_id_z 0
		.amdhsa_system_sgpr_workgroup_info 0
		.amdhsa_system_vgpr_workitem_id 0
		.amdhsa_next_free_vgpr 51
		.amdhsa_next_free_sgpr 34
		.amdhsa_named_barrier_count 0
		.amdhsa_reserve_vcc 1
		.amdhsa_float_round_mode_32 0
		.amdhsa_float_round_mode_16_64 0
		.amdhsa_float_denorm_mode_32 3
		.amdhsa_float_denorm_mode_16_64 3
		.amdhsa_fp16_overflow 0
		.amdhsa_memory_ordered 1
		.amdhsa_forward_progress 1
		.amdhsa_inst_pref_size 1
		.amdhsa_round_robin_scheduling 0
		.amdhsa_exception_fp_ieee_invalid_op 0
		.amdhsa_exception_fp_denorm_src 0
		.amdhsa_exception_fp_ieee_div_zero 0
		.amdhsa_exception_fp_ieee_overflow 0
		.amdhsa_exception_fp_ieee_underflow 0
		.amdhsa_exception_fp_ieee_inexact 0
		.amdhsa_exception_int_div_zero 0
	.end_amdhsa_kernel
	.section	.text._Z39paged_attention_ll4mi_QKV_mfma16_kernelIDF16_DF16_LN4vllm18Fp8KVCacheDataTypeE0EDF16_Li16ELi64ELi256ELb1ELi15EEvPKT_PKT0_S7_ifPKiS9_S9_iPKfiiiPfSC_PS2_PT2_iSB_SB_,"axG",@progbits,_Z39paged_attention_ll4mi_QKV_mfma16_kernelIDF16_DF16_LN4vllm18Fp8KVCacheDataTypeE0EDF16_Li16ELi64ELi256ELb1ELi15EEvPKT_PKT0_S7_ifPKiS9_S9_iPKfiiiPfSC_PS2_PT2_iSB_SB_,comdat
.Lfunc_end72:
	.size	_Z39paged_attention_ll4mi_QKV_mfma16_kernelIDF16_DF16_LN4vllm18Fp8KVCacheDataTypeE0EDF16_Li16ELi64ELi256ELb1ELi15EEvPKT_PKT0_S7_ifPKiS9_S9_iPKfiiiPfSC_PS2_PT2_iSB_SB_, .Lfunc_end72-_Z39paged_attention_ll4mi_QKV_mfma16_kernelIDF16_DF16_LN4vllm18Fp8KVCacheDataTypeE0EDF16_Li16ELi64ELi256ELb1ELi15EEvPKT_PKT0_S7_ifPKiS9_S9_iPKfiiiPfSC_PS2_PT2_iSB_SB_
                                        ; -- End function
	.set _Z39paged_attention_ll4mi_QKV_mfma16_kernelIDF16_DF16_LN4vllm18Fp8KVCacheDataTypeE0EDF16_Li16ELi64ELi256ELb1ELi15EEvPKT_PKT0_S7_ifPKiS9_S9_iPKfiiiPfSC_PS2_PT2_iSB_SB_.num_vgpr, max(3, .L__assert_fail.num_vgpr)
	.set _Z39paged_attention_ll4mi_QKV_mfma16_kernelIDF16_DF16_LN4vllm18Fp8KVCacheDataTypeE0EDF16_Li16ELi64ELi256ELb1ELi15EEvPKT_PKT0_S7_ifPKiS9_S9_iPKfiiiPfSC_PS2_PT2_iSB_SB_.num_agpr, max(0, .L__assert_fail.num_agpr)
	.set _Z39paged_attention_ll4mi_QKV_mfma16_kernelIDF16_DF16_LN4vllm18Fp8KVCacheDataTypeE0EDF16_Li16ELi64ELi256ELb1ELi15EEvPKT_PKT0_S7_ifPKiS9_S9_iPKfiiiPfSC_PS2_PT2_iSB_SB_.numbered_sgpr, max(33, .L__assert_fail.numbered_sgpr)
	.set _Z39paged_attention_ll4mi_QKV_mfma16_kernelIDF16_DF16_LN4vllm18Fp8KVCacheDataTypeE0EDF16_Li16ELi64ELi256ELb1ELi15EEvPKT_PKT0_S7_ifPKiS9_S9_iPKfiiiPfSC_PS2_PT2_iSB_SB_.num_named_barrier, max(0, .L__assert_fail.num_named_barrier)
	.set _Z39paged_attention_ll4mi_QKV_mfma16_kernelIDF16_DF16_LN4vllm18Fp8KVCacheDataTypeE0EDF16_Li16ELi64ELi256ELb1ELi15EEvPKT_PKT0_S7_ifPKiS9_S9_iPKfiiiPfSC_PS2_PT2_iSB_SB_.private_seg_size, 0+max(.L__assert_fail.private_seg_size)
	.set _Z39paged_attention_ll4mi_QKV_mfma16_kernelIDF16_DF16_LN4vllm18Fp8KVCacheDataTypeE0EDF16_Li16ELi64ELi256ELb1ELi15EEvPKT_PKT0_S7_ifPKiS9_S9_iPKfiiiPfSC_PS2_PT2_iSB_SB_.uses_vcc, or(1, .L__assert_fail.uses_vcc)
	.set _Z39paged_attention_ll4mi_QKV_mfma16_kernelIDF16_DF16_LN4vllm18Fp8KVCacheDataTypeE0EDF16_Li16ELi64ELi256ELb1ELi15EEvPKT_PKT0_S7_ifPKiS9_S9_iPKfiiiPfSC_PS2_PT2_iSB_SB_.uses_flat_scratch, or(0, .L__assert_fail.uses_flat_scratch)
	.set _Z39paged_attention_ll4mi_QKV_mfma16_kernelIDF16_DF16_LN4vllm18Fp8KVCacheDataTypeE0EDF16_Li16ELi64ELi256ELb1ELi15EEvPKT_PKT0_S7_ifPKiS9_S9_iPKfiiiPfSC_PS2_PT2_iSB_SB_.has_dyn_sized_stack, or(0, .L__assert_fail.has_dyn_sized_stack)
	.set _Z39paged_attention_ll4mi_QKV_mfma16_kernelIDF16_DF16_LN4vllm18Fp8KVCacheDataTypeE0EDF16_Li16ELi64ELi256ELb1ELi15EEvPKT_PKT0_S7_ifPKiS9_S9_iPKfiiiPfSC_PS2_PT2_iSB_SB_.has_recursion, or(0, .L__assert_fail.has_recursion)
	.set _Z39paged_attention_ll4mi_QKV_mfma16_kernelIDF16_DF16_LN4vllm18Fp8KVCacheDataTypeE0EDF16_Li16ELi64ELi256ELb1ELi15EEvPKT_PKT0_S7_ifPKiS9_S9_iPKfiiiPfSC_PS2_PT2_iSB_SB_.has_indirect_call, or(0, .L__assert_fail.has_indirect_call)
	.section	.AMDGPU.csdata,"",@progbits
; Kernel info:
; codeLenInByte = 68
; TotalNumSgprs: 36
; NumVgprs: 51
; ScratchSize: 64
; MemoryBound: 0
; FloatMode: 240
; IeeeMode: 1
; LDSByteSize: 0 bytes/workgroup (compile time only)
; SGPRBlocks: 0
; VGPRBlocks: 3
; NumSGPRsForWavesPerEU: 36
; NumVGPRsForWavesPerEU: 51
; NamedBarCnt: 0
; Occupancy: 16
; WaveLimiterHint : 1
; COMPUTE_PGM_RSRC2:SCRATCH_EN: 1
; COMPUTE_PGM_RSRC2:USER_SGPR: 2
; COMPUTE_PGM_RSRC2:TRAP_HANDLER: 0
; COMPUTE_PGM_RSRC2:TGID_X_EN: 1
; COMPUTE_PGM_RSRC2:TGID_Y_EN: 0
; COMPUTE_PGM_RSRC2:TGID_Z_EN: 0
; COMPUTE_PGM_RSRC2:TIDIG_COMP_CNT: 0
	.section	.text._Z39paged_attention_ll4mi_QKV_mfma16_kernelIDF16_DF16_LN4vllm18Fp8KVCacheDataTypeE0EDF16_Li16ELi64ELi256ELb1ELi16EEvPKT_PKT0_S7_ifPKiS9_S9_iPKfiiiPfSC_PS2_PT2_iSB_SB_,"axG",@progbits,_Z39paged_attention_ll4mi_QKV_mfma16_kernelIDF16_DF16_LN4vllm18Fp8KVCacheDataTypeE0EDF16_Li16ELi64ELi256ELb1ELi16EEvPKT_PKT0_S7_ifPKiS9_S9_iPKfiiiPfSC_PS2_PT2_iSB_SB_,comdat
	.protected	_Z39paged_attention_ll4mi_QKV_mfma16_kernelIDF16_DF16_LN4vllm18Fp8KVCacheDataTypeE0EDF16_Li16ELi64ELi256ELb1ELi16EEvPKT_PKT0_S7_ifPKiS9_S9_iPKfiiiPfSC_PS2_PT2_iSB_SB_ ; -- Begin function _Z39paged_attention_ll4mi_QKV_mfma16_kernelIDF16_DF16_LN4vllm18Fp8KVCacheDataTypeE0EDF16_Li16ELi64ELi256ELb1ELi16EEvPKT_PKT0_S7_ifPKiS9_S9_iPKfiiiPfSC_PS2_PT2_iSB_SB_
	.globl	_Z39paged_attention_ll4mi_QKV_mfma16_kernelIDF16_DF16_LN4vllm18Fp8KVCacheDataTypeE0EDF16_Li16ELi64ELi256ELb1ELi16EEvPKT_PKT0_S7_ifPKiS9_S9_iPKfiiiPfSC_PS2_PT2_iSB_SB_
	.p2align	8
	.type	_Z39paged_attention_ll4mi_QKV_mfma16_kernelIDF16_DF16_LN4vllm18Fp8KVCacheDataTypeE0EDF16_Li16ELi64ELi256ELb1ELi16EEvPKT_PKT0_S7_ifPKiS9_S9_iPKfiiiPfSC_PS2_PT2_iSB_SB_,@function
_Z39paged_attention_ll4mi_QKV_mfma16_kernelIDF16_DF16_LN4vllm18Fp8KVCacheDataTypeE0EDF16_Li16ELi64ELi256ELb1ELi16EEvPKT_PKT0_S7_ifPKiS9_S9_iPKfiiiPfSC_PS2_PT2_iSB_SB_: ; @_Z39paged_attention_ll4mi_QKV_mfma16_kernelIDF16_DF16_LN4vllm18Fp8KVCacheDataTypeE0EDF16_Li16ELi64ELi256ELb1ELi16EEvPKT_PKT0_S7_ifPKiS9_S9_iPKfiiiPfSC_PS2_PT2_iSB_SB_
; %bb.0:
	s_get_pc_i64 s[2:3]
	s_add_nc_u64 s[2:3], s[2:3], __PRETTY_FUNCTION__._Z39paged_attention_ll4mi_QKV_mfma16_kernelIDF16_DF16_LN4vllm18Fp8KVCacheDataTypeE0EDF16_Li16ELi64ELi256ELb1ELi16EEvPKT_PKT0_S7_ifPKiS9_S9_iPKfiiiPfSC_PS2_PT2_iSB_SB_@rel64+4
	s_delay_alu instid0(SALU_CYCLE_1)
	v_dual_mov_b32 v0, 0xbb3 :: v_dual_mov_b32 v1, s2
	v_mov_b32_e32 v2, s3
	s_add_nc_u64 s[8:9], s[0:1], 0x90
	s_get_pc_i64 s[0:1]
	s_add_nc_u64 s[0:1], s[0:1], __assert_fail@rel64+4
	s_mov_b32 s32, 0
	s_swap_pc_i64 s[30:31], s[0:1]
	.section	.rodata,"a",@progbits
	.p2align	6, 0x0
	.amdhsa_kernel _Z39paged_attention_ll4mi_QKV_mfma16_kernelIDF16_DF16_LN4vllm18Fp8KVCacheDataTypeE0EDF16_Li16ELi64ELi256ELb1ELi16EEvPKT_PKT0_S7_ifPKiS9_S9_iPKfiiiPfSC_PS2_PT2_iSB_SB_
		.amdhsa_group_segment_fixed_size 0
		.amdhsa_private_segment_fixed_size 64
		.amdhsa_kernarg_size 400
		.amdhsa_user_sgpr_count 2
		.amdhsa_user_sgpr_dispatch_ptr 0
		.amdhsa_user_sgpr_queue_ptr 0
		.amdhsa_user_sgpr_kernarg_segment_ptr 1
		.amdhsa_user_sgpr_dispatch_id 0
		.amdhsa_user_sgpr_kernarg_preload_length 0
		.amdhsa_user_sgpr_kernarg_preload_offset 0
		.amdhsa_user_sgpr_private_segment_size 0
		.amdhsa_wavefront_size32 1
		.amdhsa_uses_dynamic_stack 0
		.amdhsa_enable_private_segment 1
		.amdhsa_system_sgpr_workgroup_id_x 1
		.amdhsa_system_sgpr_workgroup_id_y 0
		.amdhsa_system_sgpr_workgroup_id_z 0
		.amdhsa_system_sgpr_workgroup_info 0
		.amdhsa_system_vgpr_workitem_id 0
		.amdhsa_next_free_vgpr 51
		.amdhsa_next_free_sgpr 34
		.amdhsa_named_barrier_count 0
		.amdhsa_reserve_vcc 1
		.amdhsa_float_round_mode_32 0
		.amdhsa_float_round_mode_16_64 0
		.amdhsa_float_denorm_mode_32 3
		.amdhsa_float_denorm_mode_16_64 3
		.amdhsa_fp16_overflow 0
		.amdhsa_memory_ordered 1
		.amdhsa_forward_progress 1
		.amdhsa_inst_pref_size 1
		.amdhsa_round_robin_scheduling 0
		.amdhsa_exception_fp_ieee_invalid_op 0
		.amdhsa_exception_fp_denorm_src 0
		.amdhsa_exception_fp_ieee_div_zero 0
		.amdhsa_exception_fp_ieee_overflow 0
		.amdhsa_exception_fp_ieee_underflow 0
		.amdhsa_exception_fp_ieee_inexact 0
		.amdhsa_exception_int_div_zero 0
	.end_amdhsa_kernel
	.section	.text._Z39paged_attention_ll4mi_QKV_mfma16_kernelIDF16_DF16_LN4vllm18Fp8KVCacheDataTypeE0EDF16_Li16ELi64ELi256ELb1ELi16EEvPKT_PKT0_S7_ifPKiS9_S9_iPKfiiiPfSC_PS2_PT2_iSB_SB_,"axG",@progbits,_Z39paged_attention_ll4mi_QKV_mfma16_kernelIDF16_DF16_LN4vllm18Fp8KVCacheDataTypeE0EDF16_Li16ELi64ELi256ELb1ELi16EEvPKT_PKT0_S7_ifPKiS9_S9_iPKfiiiPfSC_PS2_PT2_iSB_SB_,comdat
.Lfunc_end73:
	.size	_Z39paged_attention_ll4mi_QKV_mfma16_kernelIDF16_DF16_LN4vllm18Fp8KVCacheDataTypeE0EDF16_Li16ELi64ELi256ELb1ELi16EEvPKT_PKT0_S7_ifPKiS9_S9_iPKfiiiPfSC_PS2_PT2_iSB_SB_, .Lfunc_end73-_Z39paged_attention_ll4mi_QKV_mfma16_kernelIDF16_DF16_LN4vllm18Fp8KVCacheDataTypeE0EDF16_Li16ELi64ELi256ELb1ELi16EEvPKT_PKT0_S7_ifPKiS9_S9_iPKfiiiPfSC_PS2_PT2_iSB_SB_
                                        ; -- End function
	.set _Z39paged_attention_ll4mi_QKV_mfma16_kernelIDF16_DF16_LN4vllm18Fp8KVCacheDataTypeE0EDF16_Li16ELi64ELi256ELb1ELi16EEvPKT_PKT0_S7_ifPKiS9_S9_iPKfiiiPfSC_PS2_PT2_iSB_SB_.num_vgpr, max(3, .L__assert_fail.num_vgpr)
	.set _Z39paged_attention_ll4mi_QKV_mfma16_kernelIDF16_DF16_LN4vllm18Fp8KVCacheDataTypeE0EDF16_Li16ELi64ELi256ELb1ELi16EEvPKT_PKT0_S7_ifPKiS9_S9_iPKfiiiPfSC_PS2_PT2_iSB_SB_.num_agpr, max(0, .L__assert_fail.num_agpr)
	.set _Z39paged_attention_ll4mi_QKV_mfma16_kernelIDF16_DF16_LN4vllm18Fp8KVCacheDataTypeE0EDF16_Li16ELi64ELi256ELb1ELi16EEvPKT_PKT0_S7_ifPKiS9_S9_iPKfiiiPfSC_PS2_PT2_iSB_SB_.numbered_sgpr, max(33, .L__assert_fail.numbered_sgpr)
	.set _Z39paged_attention_ll4mi_QKV_mfma16_kernelIDF16_DF16_LN4vllm18Fp8KVCacheDataTypeE0EDF16_Li16ELi64ELi256ELb1ELi16EEvPKT_PKT0_S7_ifPKiS9_S9_iPKfiiiPfSC_PS2_PT2_iSB_SB_.num_named_barrier, max(0, .L__assert_fail.num_named_barrier)
	.set _Z39paged_attention_ll4mi_QKV_mfma16_kernelIDF16_DF16_LN4vllm18Fp8KVCacheDataTypeE0EDF16_Li16ELi64ELi256ELb1ELi16EEvPKT_PKT0_S7_ifPKiS9_S9_iPKfiiiPfSC_PS2_PT2_iSB_SB_.private_seg_size, 0+max(.L__assert_fail.private_seg_size)
	.set _Z39paged_attention_ll4mi_QKV_mfma16_kernelIDF16_DF16_LN4vllm18Fp8KVCacheDataTypeE0EDF16_Li16ELi64ELi256ELb1ELi16EEvPKT_PKT0_S7_ifPKiS9_S9_iPKfiiiPfSC_PS2_PT2_iSB_SB_.uses_vcc, or(1, .L__assert_fail.uses_vcc)
	.set _Z39paged_attention_ll4mi_QKV_mfma16_kernelIDF16_DF16_LN4vllm18Fp8KVCacheDataTypeE0EDF16_Li16ELi64ELi256ELb1ELi16EEvPKT_PKT0_S7_ifPKiS9_S9_iPKfiiiPfSC_PS2_PT2_iSB_SB_.uses_flat_scratch, or(0, .L__assert_fail.uses_flat_scratch)
	.set _Z39paged_attention_ll4mi_QKV_mfma16_kernelIDF16_DF16_LN4vllm18Fp8KVCacheDataTypeE0EDF16_Li16ELi64ELi256ELb1ELi16EEvPKT_PKT0_S7_ifPKiS9_S9_iPKfiiiPfSC_PS2_PT2_iSB_SB_.has_dyn_sized_stack, or(0, .L__assert_fail.has_dyn_sized_stack)
	.set _Z39paged_attention_ll4mi_QKV_mfma16_kernelIDF16_DF16_LN4vllm18Fp8KVCacheDataTypeE0EDF16_Li16ELi64ELi256ELb1ELi16EEvPKT_PKT0_S7_ifPKiS9_S9_iPKfiiiPfSC_PS2_PT2_iSB_SB_.has_recursion, or(0, .L__assert_fail.has_recursion)
	.set _Z39paged_attention_ll4mi_QKV_mfma16_kernelIDF16_DF16_LN4vllm18Fp8KVCacheDataTypeE0EDF16_Li16ELi64ELi256ELb1ELi16EEvPKT_PKT0_S7_ifPKiS9_S9_iPKfiiiPfSC_PS2_PT2_iSB_SB_.has_indirect_call, or(0, .L__assert_fail.has_indirect_call)
	.section	.AMDGPU.csdata,"",@progbits
; Kernel info:
; codeLenInByte = 68
; TotalNumSgprs: 36
; NumVgprs: 51
; ScratchSize: 64
; MemoryBound: 0
; FloatMode: 240
; IeeeMode: 1
; LDSByteSize: 0 bytes/workgroup (compile time only)
; SGPRBlocks: 0
; VGPRBlocks: 3
; NumSGPRsForWavesPerEU: 36
; NumVGPRsForWavesPerEU: 51
; NamedBarCnt: 0
; Occupancy: 16
; WaveLimiterHint : 1
; COMPUTE_PGM_RSRC2:SCRATCH_EN: 1
; COMPUTE_PGM_RSRC2:USER_SGPR: 2
; COMPUTE_PGM_RSRC2:TRAP_HANDLER: 0
; COMPUTE_PGM_RSRC2:TGID_X_EN: 1
; COMPUTE_PGM_RSRC2:TGID_Y_EN: 0
; COMPUTE_PGM_RSRC2:TGID_Z_EN: 0
; COMPUTE_PGM_RSRC2:TIDIG_COMP_CNT: 0
	.section	.text._Z35paged_attention_ll4mi_reduce_kernelIDF16_DF16_Li64ELi64ELi256ELi1EEvPT0_PKfS3_PKT_PKiS8_iS3_,"axG",@progbits,_Z35paged_attention_ll4mi_reduce_kernelIDF16_DF16_Li64ELi64ELi256ELi1EEvPT0_PKfS3_PKT_PKiS8_iS3_,comdat
	.protected	_Z35paged_attention_ll4mi_reduce_kernelIDF16_DF16_Li64ELi64ELi256ELi1EEvPT0_PKfS3_PKT_PKiS8_iS3_ ; -- Begin function _Z35paged_attention_ll4mi_reduce_kernelIDF16_DF16_Li64ELi64ELi256ELi1EEvPT0_PKfS3_PKT_PKiS8_iS3_
	.globl	_Z35paged_attention_ll4mi_reduce_kernelIDF16_DF16_Li64ELi64ELi256ELi1EEvPT0_PKfS3_PKT_PKiS8_iS3_
	.p2align	8
	.type	_Z35paged_attention_ll4mi_reduce_kernelIDF16_DF16_Li64ELi64ELi256ELi1EEvPT0_PKfS3_PKT_PKiS8_iS3_,@function
_Z35paged_attention_ll4mi_reduce_kernelIDF16_DF16_Li64ELi64ELi256ELi1EEvPT0_PKfS3_PKT_PKiS8_iS3_: ; @_Z35paged_attention_ll4mi_reduce_kernelIDF16_DF16_Li64ELi64ELi256ELi1EEvPT0_PKfS3_PKT_PKiS8_iS3_
; %bb.0:
	s_get_pc_i64 s[2:3]
	s_add_nc_u64 s[2:3], s[2:3], __PRETTY_FUNCTION__._Z35paged_attention_ll4mi_reduce_kernelIDF16_DF16_Li64ELi64ELi256ELi1EEvPT0_PKfS3_PKT_PKiS8_iS3_@rel64+4
	s_delay_alu instid0(SALU_CYCLE_1)
	v_dual_mov_b32 v0, 0xbdd :: v_dual_mov_b32 v1, s2
	v_mov_b32_e32 v2, s3
	s_add_nc_u64 s[8:9], s[0:1], 64
	s_get_pc_i64 s[0:1]
	s_add_nc_u64 s[0:1], s[0:1], __assert_fail@rel64+4
	s_mov_b32 s32, 0
	s_swap_pc_i64 s[30:31], s[0:1]
	.section	.rodata,"a",@progbits
	.p2align	6, 0x0
	.amdhsa_kernel _Z35paged_attention_ll4mi_reduce_kernelIDF16_DF16_Li64ELi64ELi256ELi1EEvPT0_PKfS3_PKT_PKiS8_iS3_
		.amdhsa_group_segment_fixed_size 0
		.amdhsa_private_segment_fixed_size 64
		.amdhsa_kernarg_size 320
		.amdhsa_user_sgpr_count 2
		.amdhsa_user_sgpr_dispatch_ptr 0
		.amdhsa_user_sgpr_queue_ptr 0
		.amdhsa_user_sgpr_kernarg_segment_ptr 1
		.amdhsa_user_sgpr_dispatch_id 0
		.amdhsa_user_sgpr_kernarg_preload_length 0
		.amdhsa_user_sgpr_kernarg_preload_offset 0
		.amdhsa_user_sgpr_private_segment_size 0
		.amdhsa_wavefront_size32 1
		.amdhsa_uses_dynamic_stack 0
		.amdhsa_enable_private_segment 1
		.amdhsa_system_sgpr_workgroup_id_x 1
		.amdhsa_system_sgpr_workgroup_id_y 0
		.amdhsa_system_sgpr_workgroup_id_z 0
		.amdhsa_system_sgpr_workgroup_info 0
		.amdhsa_system_vgpr_workitem_id 0
		.amdhsa_next_free_vgpr 51
		.amdhsa_next_free_sgpr 34
		.amdhsa_named_barrier_count 0
		.amdhsa_reserve_vcc 1
		.amdhsa_float_round_mode_32 0
		.amdhsa_float_round_mode_16_64 0
		.amdhsa_float_denorm_mode_32 3
		.amdhsa_float_denorm_mode_16_64 3
		.amdhsa_fp16_overflow 0
		.amdhsa_memory_ordered 1
		.amdhsa_forward_progress 1
		.amdhsa_inst_pref_size 1
		.amdhsa_round_robin_scheduling 0
		.amdhsa_exception_fp_ieee_invalid_op 0
		.amdhsa_exception_fp_denorm_src 0
		.amdhsa_exception_fp_ieee_div_zero 0
		.amdhsa_exception_fp_ieee_overflow 0
		.amdhsa_exception_fp_ieee_underflow 0
		.amdhsa_exception_fp_ieee_inexact 0
		.amdhsa_exception_int_div_zero 0
	.end_amdhsa_kernel
	.section	.text._Z35paged_attention_ll4mi_reduce_kernelIDF16_DF16_Li64ELi64ELi256ELi1EEvPT0_PKfS3_PKT_PKiS8_iS3_,"axG",@progbits,_Z35paged_attention_ll4mi_reduce_kernelIDF16_DF16_Li64ELi64ELi256ELi1EEvPT0_PKfS3_PKT_PKiS8_iS3_,comdat
.Lfunc_end74:
	.size	_Z35paged_attention_ll4mi_reduce_kernelIDF16_DF16_Li64ELi64ELi256ELi1EEvPT0_PKfS3_PKT_PKiS8_iS3_, .Lfunc_end74-_Z35paged_attention_ll4mi_reduce_kernelIDF16_DF16_Li64ELi64ELi256ELi1EEvPT0_PKfS3_PKT_PKiS8_iS3_
                                        ; -- End function
	.set _Z35paged_attention_ll4mi_reduce_kernelIDF16_DF16_Li64ELi64ELi256ELi1EEvPT0_PKfS3_PKT_PKiS8_iS3_.num_vgpr, max(3, .L__assert_fail.num_vgpr)
	.set _Z35paged_attention_ll4mi_reduce_kernelIDF16_DF16_Li64ELi64ELi256ELi1EEvPT0_PKfS3_PKT_PKiS8_iS3_.num_agpr, max(0, .L__assert_fail.num_agpr)
	.set _Z35paged_attention_ll4mi_reduce_kernelIDF16_DF16_Li64ELi64ELi256ELi1EEvPT0_PKfS3_PKT_PKiS8_iS3_.numbered_sgpr, max(33, .L__assert_fail.numbered_sgpr)
	.set _Z35paged_attention_ll4mi_reduce_kernelIDF16_DF16_Li64ELi64ELi256ELi1EEvPT0_PKfS3_PKT_PKiS8_iS3_.num_named_barrier, max(0, .L__assert_fail.num_named_barrier)
	.set _Z35paged_attention_ll4mi_reduce_kernelIDF16_DF16_Li64ELi64ELi256ELi1EEvPT0_PKfS3_PKT_PKiS8_iS3_.private_seg_size, 0+max(.L__assert_fail.private_seg_size)
	.set _Z35paged_attention_ll4mi_reduce_kernelIDF16_DF16_Li64ELi64ELi256ELi1EEvPT0_PKfS3_PKT_PKiS8_iS3_.uses_vcc, or(1, .L__assert_fail.uses_vcc)
	.set _Z35paged_attention_ll4mi_reduce_kernelIDF16_DF16_Li64ELi64ELi256ELi1EEvPT0_PKfS3_PKT_PKiS8_iS3_.uses_flat_scratch, or(0, .L__assert_fail.uses_flat_scratch)
	.set _Z35paged_attention_ll4mi_reduce_kernelIDF16_DF16_Li64ELi64ELi256ELi1EEvPT0_PKfS3_PKT_PKiS8_iS3_.has_dyn_sized_stack, or(0, .L__assert_fail.has_dyn_sized_stack)
	.set _Z35paged_attention_ll4mi_reduce_kernelIDF16_DF16_Li64ELi64ELi256ELi1EEvPT0_PKfS3_PKT_PKiS8_iS3_.has_recursion, or(0, .L__assert_fail.has_recursion)
	.set _Z35paged_attention_ll4mi_reduce_kernelIDF16_DF16_Li64ELi64ELi256ELi1EEvPT0_PKfS3_PKT_PKiS8_iS3_.has_indirect_call, or(0, .L__assert_fail.has_indirect_call)
	.section	.AMDGPU.csdata,"",@progbits
; Kernel info:
; codeLenInByte = 64
; TotalNumSgprs: 36
; NumVgprs: 51
; ScratchSize: 64
; MemoryBound: 0
; FloatMode: 240
; IeeeMode: 1
; LDSByteSize: 0 bytes/workgroup (compile time only)
; SGPRBlocks: 0
; VGPRBlocks: 3
; NumSGPRsForWavesPerEU: 36
; NumVGPRsForWavesPerEU: 51
; NamedBarCnt: 0
; Occupancy: 16
; WaveLimiterHint : 1
; COMPUTE_PGM_RSRC2:SCRATCH_EN: 1
; COMPUTE_PGM_RSRC2:USER_SGPR: 2
; COMPUTE_PGM_RSRC2:TRAP_HANDLER: 0
; COMPUTE_PGM_RSRC2:TGID_X_EN: 1
; COMPUTE_PGM_RSRC2:TGID_Y_EN: 0
; COMPUTE_PGM_RSRC2:TGID_Z_EN: 0
; COMPUTE_PGM_RSRC2:TIDIG_COMP_CNT: 0
	.section	.text._Z35paged_attention_ll4mi_reduce_kernelIDF16_DF16_Li64ELi64ELi256ELi2EEvPT0_PKfS3_PKT_PKiS8_iS3_,"axG",@progbits,_Z35paged_attention_ll4mi_reduce_kernelIDF16_DF16_Li64ELi64ELi256ELi2EEvPT0_PKfS3_PKT_PKiS8_iS3_,comdat
	.protected	_Z35paged_attention_ll4mi_reduce_kernelIDF16_DF16_Li64ELi64ELi256ELi2EEvPT0_PKfS3_PKT_PKiS8_iS3_ ; -- Begin function _Z35paged_attention_ll4mi_reduce_kernelIDF16_DF16_Li64ELi64ELi256ELi2EEvPT0_PKfS3_PKT_PKiS8_iS3_
	.globl	_Z35paged_attention_ll4mi_reduce_kernelIDF16_DF16_Li64ELi64ELi256ELi2EEvPT0_PKfS3_PKT_PKiS8_iS3_
	.p2align	8
	.type	_Z35paged_attention_ll4mi_reduce_kernelIDF16_DF16_Li64ELi64ELi256ELi2EEvPT0_PKfS3_PKT_PKiS8_iS3_,@function
_Z35paged_attention_ll4mi_reduce_kernelIDF16_DF16_Li64ELi64ELi256ELi2EEvPT0_PKfS3_PKT_PKiS8_iS3_: ; @_Z35paged_attention_ll4mi_reduce_kernelIDF16_DF16_Li64ELi64ELi256ELi2EEvPT0_PKfS3_PKT_PKiS8_iS3_
; %bb.0:
	s_get_pc_i64 s[2:3]
	s_add_nc_u64 s[2:3], s[2:3], __PRETTY_FUNCTION__._Z35paged_attention_ll4mi_reduce_kernelIDF16_DF16_Li64ELi64ELi256ELi2EEvPT0_PKfS3_PKT_PKiS8_iS3_@rel64+4
	s_delay_alu instid0(SALU_CYCLE_1)
	v_dual_mov_b32 v0, 0xbdd :: v_dual_mov_b32 v1, s2
	v_mov_b32_e32 v2, s3
	s_add_nc_u64 s[8:9], s[0:1], 64
	s_get_pc_i64 s[0:1]
	s_add_nc_u64 s[0:1], s[0:1], __assert_fail@rel64+4
	s_mov_b32 s32, 0
	s_swap_pc_i64 s[30:31], s[0:1]
	.section	.rodata,"a",@progbits
	.p2align	6, 0x0
	.amdhsa_kernel _Z35paged_attention_ll4mi_reduce_kernelIDF16_DF16_Li64ELi64ELi256ELi2EEvPT0_PKfS3_PKT_PKiS8_iS3_
		.amdhsa_group_segment_fixed_size 0
		.amdhsa_private_segment_fixed_size 64
		.amdhsa_kernarg_size 320
		.amdhsa_user_sgpr_count 2
		.amdhsa_user_sgpr_dispatch_ptr 0
		.amdhsa_user_sgpr_queue_ptr 0
		.amdhsa_user_sgpr_kernarg_segment_ptr 1
		.amdhsa_user_sgpr_dispatch_id 0
		.amdhsa_user_sgpr_kernarg_preload_length 0
		.amdhsa_user_sgpr_kernarg_preload_offset 0
		.amdhsa_user_sgpr_private_segment_size 0
		.amdhsa_wavefront_size32 1
		.amdhsa_uses_dynamic_stack 0
		.amdhsa_enable_private_segment 1
		.amdhsa_system_sgpr_workgroup_id_x 1
		.amdhsa_system_sgpr_workgroup_id_y 0
		.amdhsa_system_sgpr_workgroup_id_z 0
		.amdhsa_system_sgpr_workgroup_info 0
		.amdhsa_system_vgpr_workitem_id 0
		.amdhsa_next_free_vgpr 51
		.amdhsa_next_free_sgpr 34
		.amdhsa_named_barrier_count 0
		.amdhsa_reserve_vcc 1
		.amdhsa_float_round_mode_32 0
		.amdhsa_float_round_mode_16_64 0
		.amdhsa_float_denorm_mode_32 3
		.amdhsa_float_denorm_mode_16_64 3
		.amdhsa_fp16_overflow 0
		.amdhsa_memory_ordered 1
		.amdhsa_forward_progress 1
		.amdhsa_inst_pref_size 1
		.amdhsa_round_robin_scheduling 0
		.amdhsa_exception_fp_ieee_invalid_op 0
		.amdhsa_exception_fp_denorm_src 0
		.amdhsa_exception_fp_ieee_div_zero 0
		.amdhsa_exception_fp_ieee_overflow 0
		.amdhsa_exception_fp_ieee_underflow 0
		.amdhsa_exception_fp_ieee_inexact 0
		.amdhsa_exception_int_div_zero 0
	.end_amdhsa_kernel
	.section	.text._Z35paged_attention_ll4mi_reduce_kernelIDF16_DF16_Li64ELi64ELi256ELi2EEvPT0_PKfS3_PKT_PKiS8_iS3_,"axG",@progbits,_Z35paged_attention_ll4mi_reduce_kernelIDF16_DF16_Li64ELi64ELi256ELi2EEvPT0_PKfS3_PKT_PKiS8_iS3_,comdat
.Lfunc_end75:
	.size	_Z35paged_attention_ll4mi_reduce_kernelIDF16_DF16_Li64ELi64ELi256ELi2EEvPT0_PKfS3_PKT_PKiS8_iS3_, .Lfunc_end75-_Z35paged_attention_ll4mi_reduce_kernelIDF16_DF16_Li64ELi64ELi256ELi2EEvPT0_PKfS3_PKT_PKiS8_iS3_
                                        ; -- End function
	.set _Z35paged_attention_ll4mi_reduce_kernelIDF16_DF16_Li64ELi64ELi256ELi2EEvPT0_PKfS3_PKT_PKiS8_iS3_.num_vgpr, max(3, .L__assert_fail.num_vgpr)
	.set _Z35paged_attention_ll4mi_reduce_kernelIDF16_DF16_Li64ELi64ELi256ELi2EEvPT0_PKfS3_PKT_PKiS8_iS3_.num_agpr, max(0, .L__assert_fail.num_agpr)
	.set _Z35paged_attention_ll4mi_reduce_kernelIDF16_DF16_Li64ELi64ELi256ELi2EEvPT0_PKfS3_PKT_PKiS8_iS3_.numbered_sgpr, max(33, .L__assert_fail.numbered_sgpr)
	.set _Z35paged_attention_ll4mi_reduce_kernelIDF16_DF16_Li64ELi64ELi256ELi2EEvPT0_PKfS3_PKT_PKiS8_iS3_.num_named_barrier, max(0, .L__assert_fail.num_named_barrier)
	.set _Z35paged_attention_ll4mi_reduce_kernelIDF16_DF16_Li64ELi64ELi256ELi2EEvPT0_PKfS3_PKT_PKiS8_iS3_.private_seg_size, 0+max(.L__assert_fail.private_seg_size)
	.set _Z35paged_attention_ll4mi_reduce_kernelIDF16_DF16_Li64ELi64ELi256ELi2EEvPT0_PKfS3_PKT_PKiS8_iS3_.uses_vcc, or(1, .L__assert_fail.uses_vcc)
	.set _Z35paged_attention_ll4mi_reduce_kernelIDF16_DF16_Li64ELi64ELi256ELi2EEvPT0_PKfS3_PKT_PKiS8_iS3_.uses_flat_scratch, or(0, .L__assert_fail.uses_flat_scratch)
	.set _Z35paged_attention_ll4mi_reduce_kernelIDF16_DF16_Li64ELi64ELi256ELi2EEvPT0_PKfS3_PKT_PKiS8_iS3_.has_dyn_sized_stack, or(0, .L__assert_fail.has_dyn_sized_stack)
	.set _Z35paged_attention_ll4mi_reduce_kernelIDF16_DF16_Li64ELi64ELi256ELi2EEvPT0_PKfS3_PKT_PKiS8_iS3_.has_recursion, or(0, .L__assert_fail.has_recursion)
	.set _Z35paged_attention_ll4mi_reduce_kernelIDF16_DF16_Li64ELi64ELi256ELi2EEvPT0_PKfS3_PKT_PKiS8_iS3_.has_indirect_call, or(0, .L__assert_fail.has_indirect_call)
	.section	.AMDGPU.csdata,"",@progbits
; Kernel info:
; codeLenInByte = 64
; TotalNumSgprs: 36
; NumVgprs: 51
; ScratchSize: 64
; MemoryBound: 0
; FloatMode: 240
; IeeeMode: 1
; LDSByteSize: 0 bytes/workgroup (compile time only)
; SGPRBlocks: 0
; VGPRBlocks: 3
; NumSGPRsForWavesPerEU: 36
; NumVGPRsForWavesPerEU: 51
; NamedBarCnt: 0
; Occupancy: 16
; WaveLimiterHint : 1
; COMPUTE_PGM_RSRC2:SCRATCH_EN: 1
; COMPUTE_PGM_RSRC2:USER_SGPR: 2
; COMPUTE_PGM_RSRC2:TRAP_HANDLER: 0
; COMPUTE_PGM_RSRC2:TGID_X_EN: 1
; COMPUTE_PGM_RSRC2:TGID_Y_EN: 0
; COMPUTE_PGM_RSRC2:TGID_Z_EN: 0
; COMPUTE_PGM_RSRC2:TIDIG_COMP_CNT: 0
	.section	.text._Z35paged_attention_ll4mi_reduce_kernelIDF16_DF16_Li64ELi64ELi256ELi3EEvPT0_PKfS3_PKT_PKiS8_iS3_,"axG",@progbits,_Z35paged_attention_ll4mi_reduce_kernelIDF16_DF16_Li64ELi64ELi256ELi3EEvPT0_PKfS3_PKT_PKiS8_iS3_,comdat
	.protected	_Z35paged_attention_ll4mi_reduce_kernelIDF16_DF16_Li64ELi64ELi256ELi3EEvPT0_PKfS3_PKT_PKiS8_iS3_ ; -- Begin function _Z35paged_attention_ll4mi_reduce_kernelIDF16_DF16_Li64ELi64ELi256ELi3EEvPT0_PKfS3_PKT_PKiS8_iS3_
	.globl	_Z35paged_attention_ll4mi_reduce_kernelIDF16_DF16_Li64ELi64ELi256ELi3EEvPT0_PKfS3_PKT_PKiS8_iS3_
	.p2align	8
	.type	_Z35paged_attention_ll4mi_reduce_kernelIDF16_DF16_Li64ELi64ELi256ELi3EEvPT0_PKfS3_PKT_PKiS8_iS3_,@function
_Z35paged_attention_ll4mi_reduce_kernelIDF16_DF16_Li64ELi64ELi256ELi3EEvPT0_PKfS3_PKT_PKiS8_iS3_: ; @_Z35paged_attention_ll4mi_reduce_kernelIDF16_DF16_Li64ELi64ELi256ELi3EEvPT0_PKfS3_PKT_PKiS8_iS3_
; %bb.0:
	s_get_pc_i64 s[2:3]
	s_add_nc_u64 s[2:3], s[2:3], __PRETTY_FUNCTION__._Z35paged_attention_ll4mi_reduce_kernelIDF16_DF16_Li64ELi64ELi256ELi3EEvPT0_PKfS3_PKT_PKiS8_iS3_@rel64+4
	s_delay_alu instid0(SALU_CYCLE_1)
	v_dual_mov_b32 v0, 0xbdd :: v_dual_mov_b32 v1, s2
	v_mov_b32_e32 v2, s3
	s_add_nc_u64 s[8:9], s[0:1], 64
	s_get_pc_i64 s[0:1]
	s_add_nc_u64 s[0:1], s[0:1], __assert_fail@rel64+4
	s_mov_b32 s32, 0
	s_swap_pc_i64 s[30:31], s[0:1]
	.section	.rodata,"a",@progbits
	.p2align	6, 0x0
	.amdhsa_kernel _Z35paged_attention_ll4mi_reduce_kernelIDF16_DF16_Li64ELi64ELi256ELi3EEvPT0_PKfS3_PKT_PKiS8_iS3_
		.amdhsa_group_segment_fixed_size 0
		.amdhsa_private_segment_fixed_size 64
		.amdhsa_kernarg_size 320
		.amdhsa_user_sgpr_count 2
		.amdhsa_user_sgpr_dispatch_ptr 0
		.amdhsa_user_sgpr_queue_ptr 0
		.amdhsa_user_sgpr_kernarg_segment_ptr 1
		.amdhsa_user_sgpr_dispatch_id 0
		.amdhsa_user_sgpr_kernarg_preload_length 0
		.amdhsa_user_sgpr_kernarg_preload_offset 0
		.amdhsa_user_sgpr_private_segment_size 0
		.amdhsa_wavefront_size32 1
		.amdhsa_uses_dynamic_stack 0
		.amdhsa_enable_private_segment 1
		.amdhsa_system_sgpr_workgroup_id_x 1
		.amdhsa_system_sgpr_workgroup_id_y 0
		.amdhsa_system_sgpr_workgroup_id_z 0
		.amdhsa_system_sgpr_workgroup_info 0
		.amdhsa_system_vgpr_workitem_id 0
		.amdhsa_next_free_vgpr 51
		.amdhsa_next_free_sgpr 34
		.amdhsa_named_barrier_count 0
		.amdhsa_reserve_vcc 1
		.amdhsa_float_round_mode_32 0
		.amdhsa_float_round_mode_16_64 0
		.amdhsa_float_denorm_mode_32 3
		.amdhsa_float_denorm_mode_16_64 3
		.amdhsa_fp16_overflow 0
		.amdhsa_memory_ordered 1
		.amdhsa_forward_progress 1
		.amdhsa_inst_pref_size 1
		.amdhsa_round_robin_scheduling 0
		.amdhsa_exception_fp_ieee_invalid_op 0
		.amdhsa_exception_fp_denorm_src 0
		.amdhsa_exception_fp_ieee_div_zero 0
		.amdhsa_exception_fp_ieee_overflow 0
		.amdhsa_exception_fp_ieee_underflow 0
		.amdhsa_exception_fp_ieee_inexact 0
		.amdhsa_exception_int_div_zero 0
	.end_amdhsa_kernel
	.section	.text._Z35paged_attention_ll4mi_reduce_kernelIDF16_DF16_Li64ELi64ELi256ELi3EEvPT0_PKfS3_PKT_PKiS8_iS3_,"axG",@progbits,_Z35paged_attention_ll4mi_reduce_kernelIDF16_DF16_Li64ELi64ELi256ELi3EEvPT0_PKfS3_PKT_PKiS8_iS3_,comdat
.Lfunc_end76:
	.size	_Z35paged_attention_ll4mi_reduce_kernelIDF16_DF16_Li64ELi64ELi256ELi3EEvPT0_PKfS3_PKT_PKiS8_iS3_, .Lfunc_end76-_Z35paged_attention_ll4mi_reduce_kernelIDF16_DF16_Li64ELi64ELi256ELi3EEvPT0_PKfS3_PKT_PKiS8_iS3_
                                        ; -- End function
	.set _Z35paged_attention_ll4mi_reduce_kernelIDF16_DF16_Li64ELi64ELi256ELi3EEvPT0_PKfS3_PKT_PKiS8_iS3_.num_vgpr, max(3, .L__assert_fail.num_vgpr)
	.set _Z35paged_attention_ll4mi_reduce_kernelIDF16_DF16_Li64ELi64ELi256ELi3EEvPT0_PKfS3_PKT_PKiS8_iS3_.num_agpr, max(0, .L__assert_fail.num_agpr)
	.set _Z35paged_attention_ll4mi_reduce_kernelIDF16_DF16_Li64ELi64ELi256ELi3EEvPT0_PKfS3_PKT_PKiS8_iS3_.numbered_sgpr, max(33, .L__assert_fail.numbered_sgpr)
	.set _Z35paged_attention_ll4mi_reduce_kernelIDF16_DF16_Li64ELi64ELi256ELi3EEvPT0_PKfS3_PKT_PKiS8_iS3_.num_named_barrier, max(0, .L__assert_fail.num_named_barrier)
	.set _Z35paged_attention_ll4mi_reduce_kernelIDF16_DF16_Li64ELi64ELi256ELi3EEvPT0_PKfS3_PKT_PKiS8_iS3_.private_seg_size, 0+max(.L__assert_fail.private_seg_size)
	.set _Z35paged_attention_ll4mi_reduce_kernelIDF16_DF16_Li64ELi64ELi256ELi3EEvPT0_PKfS3_PKT_PKiS8_iS3_.uses_vcc, or(1, .L__assert_fail.uses_vcc)
	.set _Z35paged_attention_ll4mi_reduce_kernelIDF16_DF16_Li64ELi64ELi256ELi3EEvPT0_PKfS3_PKT_PKiS8_iS3_.uses_flat_scratch, or(0, .L__assert_fail.uses_flat_scratch)
	.set _Z35paged_attention_ll4mi_reduce_kernelIDF16_DF16_Li64ELi64ELi256ELi3EEvPT0_PKfS3_PKT_PKiS8_iS3_.has_dyn_sized_stack, or(0, .L__assert_fail.has_dyn_sized_stack)
	.set _Z35paged_attention_ll4mi_reduce_kernelIDF16_DF16_Li64ELi64ELi256ELi3EEvPT0_PKfS3_PKT_PKiS8_iS3_.has_recursion, or(0, .L__assert_fail.has_recursion)
	.set _Z35paged_attention_ll4mi_reduce_kernelIDF16_DF16_Li64ELi64ELi256ELi3EEvPT0_PKfS3_PKT_PKiS8_iS3_.has_indirect_call, or(0, .L__assert_fail.has_indirect_call)
	.section	.AMDGPU.csdata,"",@progbits
; Kernel info:
; codeLenInByte = 64
; TotalNumSgprs: 36
; NumVgprs: 51
; ScratchSize: 64
; MemoryBound: 0
; FloatMode: 240
; IeeeMode: 1
; LDSByteSize: 0 bytes/workgroup (compile time only)
; SGPRBlocks: 0
; VGPRBlocks: 3
; NumSGPRsForWavesPerEU: 36
; NumVGPRsForWavesPerEU: 51
; NamedBarCnt: 0
; Occupancy: 16
; WaveLimiterHint : 1
; COMPUTE_PGM_RSRC2:SCRATCH_EN: 1
; COMPUTE_PGM_RSRC2:USER_SGPR: 2
; COMPUTE_PGM_RSRC2:TRAP_HANDLER: 0
; COMPUTE_PGM_RSRC2:TGID_X_EN: 1
; COMPUTE_PGM_RSRC2:TGID_Y_EN: 0
; COMPUTE_PGM_RSRC2:TGID_Z_EN: 0
; COMPUTE_PGM_RSRC2:TIDIG_COMP_CNT: 0
	.section	.text._Z35paged_attention_ll4mi_reduce_kernelIDF16_DF16_Li64ELi64ELi256ELi4EEvPT0_PKfS3_PKT_PKiS8_iS3_,"axG",@progbits,_Z35paged_attention_ll4mi_reduce_kernelIDF16_DF16_Li64ELi64ELi256ELi4EEvPT0_PKfS3_PKT_PKiS8_iS3_,comdat
	.protected	_Z35paged_attention_ll4mi_reduce_kernelIDF16_DF16_Li64ELi64ELi256ELi4EEvPT0_PKfS3_PKT_PKiS8_iS3_ ; -- Begin function _Z35paged_attention_ll4mi_reduce_kernelIDF16_DF16_Li64ELi64ELi256ELi4EEvPT0_PKfS3_PKT_PKiS8_iS3_
	.globl	_Z35paged_attention_ll4mi_reduce_kernelIDF16_DF16_Li64ELi64ELi256ELi4EEvPT0_PKfS3_PKT_PKiS8_iS3_
	.p2align	8
	.type	_Z35paged_attention_ll4mi_reduce_kernelIDF16_DF16_Li64ELi64ELi256ELi4EEvPT0_PKfS3_PKT_PKiS8_iS3_,@function
_Z35paged_attention_ll4mi_reduce_kernelIDF16_DF16_Li64ELi64ELi256ELi4EEvPT0_PKfS3_PKT_PKiS8_iS3_: ; @_Z35paged_attention_ll4mi_reduce_kernelIDF16_DF16_Li64ELi64ELi256ELi4EEvPT0_PKfS3_PKT_PKiS8_iS3_
; %bb.0:
	s_get_pc_i64 s[2:3]
	s_add_nc_u64 s[2:3], s[2:3], __PRETTY_FUNCTION__._Z35paged_attention_ll4mi_reduce_kernelIDF16_DF16_Li64ELi64ELi256ELi4EEvPT0_PKfS3_PKT_PKiS8_iS3_@rel64+4
	s_delay_alu instid0(SALU_CYCLE_1)
	v_dual_mov_b32 v0, 0xbdd :: v_dual_mov_b32 v1, s2
	v_mov_b32_e32 v2, s3
	s_add_nc_u64 s[8:9], s[0:1], 64
	s_get_pc_i64 s[0:1]
	s_add_nc_u64 s[0:1], s[0:1], __assert_fail@rel64+4
	s_mov_b32 s32, 0
	s_swap_pc_i64 s[30:31], s[0:1]
	.section	.rodata,"a",@progbits
	.p2align	6, 0x0
	.amdhsa_kernel _Z35paged_attention_ll4mi_reduce_kernelIDF16_DF16_Li64ELi64ELi256ELi4EEvPT0_PKfS3_PKT_PKiS8_iS3_
		.amdhsa_group_segment_fixed_size 0
		.amdhsa_private_segment_fixed_size 64
		.amdhsa_kernarg_size 320
		.amdhsa_user_sgpr_count 2
		.amdhsa_user_sgpr_dispatch_ptr 0
		.amdhsa_user_sgpr_queue_ptr 0
		.amdhsa_user_sgpr_kernarg_segment_ptr 1
		.amdhsa_user_sgpr_dispatch_id 0
		.amdhsa_user_sgpr_kernarg_preload_length 0
		.amdhsa_user_sgpr_kernarg_preload_offset 0
		.amdhsa_user_sgpr_private_segment_size 0
		.amdhsa_wavefront_size32 1
		.amdhsa_uses_dynamic_stack 0
		.amdhsa_enable_private_segment 1
		.amdhsa_system_sgpr_workgroup_id_x 1
		.amdhsa_system_sgpr_workgroup_id_y 0
		.amdhsa_system_sgpr_workgroup_id_z 0
		.amdhsa_system_sgpr_workgroup_info 0
		.amdhsa_system_vgpr_workitem_id 0
		.amdhsa_next_free_vgpr 51
		.amdhsa_next_free_sgpr 34
		.amdhsa_named_barrier_count 0
		.amdhsa_reserve_vcc 1
		.amdhsa_float_round_mode_32 0
		.amdhsa_float_round_mode_16_64 0
		.amdhsa_float_denorm_mode_32 3
		.amdhsa_float_denorm_mode_16_64 3
		.amdhsa_fp16_overflow 0
		.amdhsa_memory_ordered 1
		.amdhsa_forward_progress 1
		.amdhsa_inst_pref_size 1
		.amdhsa_round_robin_scheduling 0
		.amdhsa_exception_fp_ieee_invalid_op 0
		.amdhsa_exception_fp_denorm_src 0
		.amdhsa_exception_fp_ieee_div_zero 0
		.amdhsa_exception_fp_ieee_overflow 0
		.amdhsa_exception_fp_ieee_underflow 0
		.amdhsa_exception_fp_ieee_inexact 0
		.amdhsa_exception_int_div_zero 0
	.end_amdhsa_kernel
	.section	.text._Z35paged_attention_ll4mi_reduce_kernelIDF16_DF16_Li64ELi64ELi256ELi4EEvPT0_PKfS3_PKT_PKiS8_iS3_,"axG",@progbits,_Z35paged_attention_ll4mi_reduce_kernelIDF16_DF16_Li64ELi64ELi256ELi4EEvPT0_PKfS3_PKT_PKiS8_iS3_,comdat
.Lfunc_end77:
	.size	_Z35paged_attention_ll4mi_reduce_kernelIDF16_DF16_Li64ELi64ELi256ELi4EEvPT0_PKfS3_PKT_PKiS8_iS3_, .Lfunc_end77-_Z35paged_attention_ll4mi_reduce_kernelIDF16_DF16_Li64ELi64ELi256ELi4EEvPT0_PKfS3_PKT_PKiS8_iS3_
                                        ; -- End function
	.set _Z35paged_attention_ll4mi_reduce_kernelIDF16_DF16_Li64ELi64ELi256ELi4EEvPT0_PKfS3_PKT_PKiS8_iS3_.num_vgpr, max(3, .L__assert_fail.num_vgpr)
	.set _Z35paged_attention_ll4mi_reduce_kernelIDF16_DF16_Li64ELi64ELi256ELi4EEvPT0_PKfS3_PKT_PKiS8_iS3_.num_agpr, max(0, .L__assert_fail.num_agpr)
	.set _Z35paged_attention_ll4mi_reduce_kernelIDF16_DF16_Li64ELi64ELi256ELi4EEvPT0_PKfS3_PKT_PKiS8_iS3_.numbered_sgpr, max(33, .L__assert_fail.numbered_sgpr)
	.set _Z35paged_attention_ll4mi_reduce_kernelIDF16_DF16_Li64ELi64ELi256ELi4EEvPT0_PKfS3_PKT_PKiS8_iS3_.num_named_barrier, max(0, .L__assert_fail.num_named_barrier)
	.set _Z35paged_attention_ll4mi_reduce_kernelIDF16_DF16_Li64ELi64ELi256ELi4EEvPT0_PKfS3_PKT_PKiS8_iS3_.private_seg_size, 0+max(.L__assert_fail.private_seg_size)
	.set _Z35paged_attention_ll4mi_reduce_kernelIDF16_DF16_Li64ELi64ELi256ELi4EEvPT0_PKfS3_PKT_PKiS8_iS3_.uses_vcc, or(1, .L__assert_fail.uses_vcc)
	.set _Z35paged_attention_ll4mi_reduce_kernelIDF16_DF16_Li64ELi64ELi256ELi4EEvPT0_PKfS3_PKT_PKiS8_iS3_.uses_flat_scratch, or(0, .L__assert_fail.uses_flat_scratch)
	.set _Z35paged_attention_ll4mi_reduce_kernelIDF16_DF16_Li64ELi64ELi256ELi4EEvPT0_PKfS3_PKT_PKiS8_iS3_.has_dyn_sized_stack, or(0, .L__assert_fail.has_dyn_sized_stack)
	.set _Z35paged_attention_ll4mi_reduce_kernelIDF16_DF16_Li64ELi64ELi256ELi4EEvPT0_PKfS3_PKT_PKiS8_iS3_.has_recursion, or(0, .L__assert_fail.has_recursion)
	.set _Z35paged_attention_ll4mi_reduce_kernelIDF16_DF16_Li64ELi64ELi256ELi4EEvPT0_PKfS3_PKT_PKiS8_iS3_.has_indirect_call, or(0, .L__assert_fail.has_indirect_call)
	.section	.AMDGPU.csdata,"",@progbits
; Kernel info:
; codeLenInByte = 64
; TotalNumSgprs: 36
; NumVgprs: 51
; ScratchSize: 64
; MemoryBound: 0
; FloatMode: 240
; IeeeMode: 1
; LDSByteSize: 0 bytes/workgroup (compile time only)
; SGPRBlocks: 0
; VGPRBlocks: 3
; NumSGPRsForWavesPerEU: 36
; NumVGPRsForWavesPerEU: 51
; NamedBarCnt: 0
; Occupancy: 16
; WaveLimiterHint : 1
; COMPUTE_PGM_RSRC2:SCRATCH_EN: 1
; COMPUTE_PGM_RSRC2:USER_SGPR: 2
; COMPUTE_PGM_RSRC2:TRAP_HANDLER: 0
; COMPUTE_PGM_RSRC2:TGID_X_EN: 1
; COMPUTE_PGM_RSRC2:TGID_Y_EN: 0
; COMPUTE_PGM_RSRC2:TGID_Z_EN: 0
; COMPUTE_PGM_RSRC2:TIDIG_COMP_CNT: 0
	.section	.text._Z35paged_attention_ll4mi_reduce_kernelIDF16_DF16_Li64ELi64ELi256ELi5EEvPT0_PKfS3_PKT_PKiS8_iS3_,"axG",@progbits,_Z35paged_attention_ll4mi_reduce_kernelIDF16_DF16_Li64ELi64ELi256ELi5EEvPT0_PKfS3_PKT_PKiS8_iS3_,comdat
	.protected	_Z35paged_attention_ll4mi_reduce_kernelIDF16_DF16_Li64ELi64ELi256ELi5EEvPT0_PKfS3_PKT_PKiS8_iS3_ ; -- Begin function _Z35paged_attention_ll4mi_reduce_kernelIDF16_DF16_Li64ELi64ELi256ELi5EEvPT0_PKfS3_PKT_PKiS8_iS3_
	.globl	_Z35paged_attention_ll4mi_reduce_kernelIDF16_DF16_Li64ELi64ELi256ELi5EEvPT0_PKfS3_PKT_PKiS8_iS3_
	.p2align	8
	.type	_Z35paged_attention_ll4mi_reduce_kernelIDF16_DF16_Li64ELi64ELi256ELi5EEvPT0_PKfS3_PKT_PKiS8_iS3_,@function
_Z35paged_attention_ll4mi_reduce_kernelIDF16_DF16_Li64ELi64ELi256ELi5EEvPT0_PKfS3_PKT_PKiS8_iS3_: ; @_Z35paged_attention_ll4mi_reduce_kernelIDF16_DF16_Li64ELi64ELi256ELi5EEvPT0_PKfS3_PKT_PKiS8_iS3_
; %bb.0:
	s_get_pc_i64 s[2:3]
	s_add_nc_u64 s[2:3], s[2:3], __PRETTY_FUNCTION__._Z35paged_attention_ll4mi_reduce_kernelIDF16_DF16_Li64ELi64ELi256ELi5EEvPT0_PKfS3_PKT_PKiS8_iS3_@rel64+4
	s_delay_alu instid0(SALU_CYCLE_1)
	v_dual_mov_b32 v0, 0xbdd :: v_dual_mov_b32 v1, s2
	v_mov_b32_e32 v2, s3
	s_add_nc_u64 s[8:9], s[0:1], 64
	s_get_pc_i64 s[0:1]
	s_add_nc_u64 s[0:1], s[0:1], __assert_fail@rel64+4
	s_mov_b32 s32, 0
	s_swap_pc_i64 s[30:31], s[0:1]
	.section	.rodata,"a",@progbits
	.p2align	6, 0x0
	.amdhsa_kernel _Z35paged_attention_ll4mi_reduce_kernelIDF16_DF16_Li64ELi64ELi256ELi5EEvPT0_PKfS3_PKT_PKiS8_iS3_
		.amdhsa_group_segment_fixed_size 0
		.amdhsa_private_segment_fixed_size 64
		.amdhsa_kernarg_size 320
		.amdhsa_user_sgpr_count 2
		.amdhsa_user_sgpr_dispatch_ptr 0
		.amdhsa_user_sgpr_queue_ptr 0
		.amdhsa_user_sgpr_kernarg_segment_ptr 1
		.amdhsa_user_sgpr_dispatch_id 0
		.amdhsa_user_sgpr_kernarg_preload_length 0
		.amdhsa_user_sgpr_kernarg_preload_offset 0
		.amdhsa_user_sgpr_private_segment_size 0
		.amdhsa_wavefront_size32 1
		.amdhsa_uses_dynamic_stack 0
		.amdhsa_enable_private_segment 1
		.amdhsa_system_sgpr_workgroup_id_x 1
		.amdhsa_system_sgpr_workgroup_id_y 0
		.amdhsa_system_sgpr_workgroup_id_z 0
		.amdhsa_system_sgpr_workgroup_info 0
		.amdhsa_system_vgpr_workitem_id 0
		.amdhsa_next_free_vgpr 51
		.amdhsa_next_free_sgpr 34
		.amdhsa_named_barrier_count 0
		.amdhsa_reserve_vcc 1
		.amdhsa_float_round_mode_32 0
		.amdhsa_float_round_mode_16_64 0
		.amdhsa_float_denorm_mode_32 3
		.amdhsa_float_denorm_mode_16_64 3
		.amdhsa_fp16_overflow 0
		.amdhsa_memory_ordered 1
		.amdhsa_forward_progress 1
		.amdhsa_inst_pref_size 1
		.amdhsa_round_robin_scheduling 0
		.amdhsa_exception_fp_ieee_invalid_op 0
		.amdhsa_exception_fp_denorm_src 0
		.amdhsa_exception_fp_ieee_div_zero 0
		.amdhsa_exception_fp_ieee_overflow 0
		.amdhsa_exception_fp_ieee_underflow 0
		.amdhsa_exception_fp_ieee_inexact 0
		.amdhsa_exception_int_div_zero 0
	.end_amdhsa_kernel
	.section	.text._Z35paged_attention_ll4mi_reduce_kernelIDF16_DF16_Li64ELi64ELi256ELi5EEvPT0_PKfS3_PKT_PKiS8_iS3_,"axG",@progbits,_Z35paged_attention_ll4mi_reduce_kernelIDF16_DF16_Li64ELi64ELi256ELi5EEvPT0_PKfS3_PKT_PKiS8_iS3_,comdat
.Lfunc_end78:
	.size	_Z35paged_attention_ll4mi_reduce_kernelIDF16_DF16_Li64ELi64ELi256ELi5EEvPT0_PKfS3_PKT_PKiS8_iS3_, .Lfunc_end78-_Z35paged_attention_ll4mi_reduce_kernelIDF16_DF16_Li64ELi64ELi256ELi5EEvPT0_PKfS3_PKT_PKiS8_iS3_
                                        ; -- End function
	.set _Z35paged_attention_ll4mi_reduce_kernelIDF16_DF16_Li64ELi64ELi256ELi5EEvPT0_PKfS3_PKT_PKiS8_iS3_.num_vgpr, max(3, .L__assert_fail.num_vgpr)
	.set _Z35paged_attention_ll4mi_reduce_kernelIDF16_DF16_Li64ELi64ELi256ELi5EEvPT0_PKfS3_PKT_PKiS8_iS3_.num_agpr, max(0, .L__assert_fail.num_agpr)
	.set _Z35paged_attention_ll4mi_reduce_kernelIDF16_DF16_Li64ELi64ELi256ELi5EEvPT0_PKfS3_PKT_PKiS8_iS3_.numbered_sgpr, max(33, .L__assert_fail.numbered_sgpr)
	.set _Z35paged_attention_ll4mi_reduce_kernelIDF16_DF16_Li64ELi64ELi256ELi5EEvPT0_PKfS3_PKT_PKiS8_iS3_.num_named_barrier, max(0, .L__assert_fail.num_named_barrier)
	.set _Z35paged_attention_ll4mi_reduce_kernelIDF16_DF16_Li64ELi64ELi256ELi5EEvPT0_PKfS3_PKT_PKiS8_iS3_.private_seg_size, 0+max(.L__assert_fail.private_seg_size)
	.set _Z35paged_attention_ll4mi_reduce_kernelIDF16_DF16_Li64ELi64ELi256ELi5EEvPT0_PKfS3_PKT_PKiS8_iS3_.uses_vcc, or(1, .L__assert_fail.uses_vcc)
	.set _Z35paged_attention_ll4mi_reduce_kernelIDF16_DF16_Li64ELi64ELi256ELi5EEvPT0_PKfS3_PKT_PKiS8_iS3_.uses_flat_scratch, or(0, .L__assert_fail.uses_flat_scratch)
	.set _Z35paged_attention_ll4mi_reduce_kernelIDF16_DF16_Li64ELi64ELi256ELi5EEvPT0_PKfS3_PKT_PKiS8_iS3_.has_dyn_sized_stack, or(0, .L__assert_fail.has_dyn_sized_stack)
	.set _Z35paged_attention_ll4mi_reduce_kernelIDF16_DF16_Li64ELi64ELi256ELi5EEvPT0_PKfS3_PKT_PKiS8_iS3_.has_recursion, or(0, .L__assert_fail.has_recursion)
	.set _Z35paged_attention_ll4mi_reduce_kernelIDF16_DF16_Li64ELi64ELi256ELi5EEvPT0_PKfS3_PKT_PKiS8_iS3_.has_indirect_call, or(0, .L__assert_fail.has_indirect_call)
	.section	.AMDGPU.csdata,"",@progbits
; Kernel info:
; codeLenInByte = 64
; TotalNumSgprs: 36
; NumVgprs: 51
; ScratchSize: 64
; MemoryBound: 0
; FloatMode: 240
; IeeeMode: 1
; LDSByteSize: 0 bytes/workgroup (compile time only)
; SGPRBlocks: 0
; VGPRBlocks: 3
; NumSGPRsForWavesPerEU: 36
; NumVGPRsForWavesPerEU: 51
; NamedBarCnt: 0
; Occupancy: 16
; WaveLimiterHint : 1
; COMPUTE_PGM_RSRC2:SCRATCH_EN: 1
; COMPUTE_PGM_RSRC2:USER_SGPR: 2
; COMPUTE_PGM_RSRC2:TRAP_HANDLER: 0
; COMPUTE_PGM_RSRC2:TGID_X_EN: 1
; COMPUTE_PGM_RSRC2:TGID_Y_EN: 0
; COMPUTE_PGM_RSRC2:TGID_Z_EN: 0
; COMPUTE_PGM_RSRC2:TIDIG_COMP_CNT: 0
	.section	.text._Z35paged_attention_ll4mi_reduce_kernelIDF16_DF16_Li64ELi64ELi256ELi6EEvPT0_PKfS3_PKT_PKiS8_iS3_,"axG",@progbits,_Z35paged_attention_ll4mi_reduce_kernelIDF16_DF16_Li64ELi64ELi256ELi6EEvPT0_PKfS3_PKT_PKiS8_iS3_,comdat
	.protected	_Z35paged_attention_ll4mi_reduce_kernelIDF16_DF16_Li64ELi64ELi256ELi6EEvPT0_PKfS3_PKT_PKiS8_iS3_ ; -- Begin function _Z35paged_attention_ll4mi_reduce_kernelIDF16_DF16_Li64ELi64ELi256ELi6EEvPT0_PKfS3_PKT_PKiS8_iS3_
	.globl	_Z35paged_attention_ll4mi_reduce_kernelIDF16_DF16_Li64ELi64ELi256ELi6EEvPT0_PKfS3_PKT_PKiS8_iS3_
	.p2align	8
	.type	_Z35paged_attention_ll4mi_reduce_kernelIDF16_DF16_Li64ELi64ELi256ELi6EEvPT0_PKfS3_PKT_PKiS8_iS3_,@function
_Z35paged_attention_ll4mi_reduce_kernelIDF16_DF16_Li64ELi64ELi256ELi6EEvPT0_PKfS3_PKT_PKiS8_iS3_: ; @_Z35paged_attention_ll4mi_reduce_kernelIDF16_DF16_Li64ELi64ELi256ELi6EEvPT0_PKfS3_PKT_PKiS8_iS3_
; %bb.0:
	s_get_pc_i64 s[2:3]
	s_add_nc_u64 s[2:3], s[2:3], __PRETTY_FUNCTION__._Z35paged_attention_ll4mi_reduce_kernelIDF16_DF16_Li64ELi64ELi256ELi6EEvPT0_PKfS3_PKT_PKiS8_iS3_@rel64+4
	s_delay_alu instid0(SALU_CYCLE_1)
	v_dual_mov_b32 v0, 0xbdd :: v_dual_mov_b32 v1, s2
	v_mov_b32_e32 v2, s3
	s_add_nc_u64 s[8:9], s[0:1], 64
	s_get_pc_i64 s[0:1]
	s_add_nc_u64 s[0:1], s[0:1], __assert_fail@rel64+4
	s_mov_b32 s32, 0
	s_swap_pc_i64 s[30:31], s[0:1]
	.section	.rodata,"a",@progbits
	.p2align	6, 0x0
	.amdhsa_kernel _Z35paged_attention_ll4mi_reduce_kernelIDF16_DF16_Li64ELi64ELi256ELi6EEvPT0_PKfS3_PKT_PKiS8_iS3_
		.amdhsa_group_segment_fixed_size 0
		.amdhsa_private_segment_fixed_size 64
		.amdhsa_kernarg_size 320
		.amdhsa_user_sgpr_count 2
		.amdhsa_user_sgpr_dispatch_ptr 0
		.amdhsa_user_sgpr_queue_ptr 0
		.amdhsa_user_sgpr_kernarg_segment_ptr 1
		.amdhsa_user_sgpr_dispatch_id 0
		.amdhsa_user_sgpr_kernarg_preload_length 0
		.amdhsa_user_sgpr_kernarg_preload_offset 0
		.amdhsa_user_sgpr_private_segment_size 0
		.amdhsa_wavefront_size32 1
		.amdhsa_uses_dynamic_stack 0
		.amdhsa_enable_private_segment 1
		.amdhsa_system_sgpr_workgroup_id_x 1
		.amdhsa_system_sgpr_workgroup_id_y 0
		.amdhsa_system_sgpr_workgroup_id_z 0
		.amdhsa_system_sgpr_workgroup_info 0
		.amdhsa_system_vgpr_workitem_id 0
		.amdhsa_next_free_vgpr 51
		.amdhsa_next_free_sgpr 34
		.amdhsa_named_barrier_count 0
		.amdhsa_reserve_vcc 1
		.amdhsa_float_round_mode_32 0
		.amdhsa_float_round_mode_16_64 0
		.amdhsa_float_denorm_mode_32 3
		.amdhsa_float_denorm_mode_16_64 3
		.amdhsa_fp16_overflow 0
		.amdhsa_memory_ordered 1
		.amdhsa_forward_progress 1
		.amdhsa_inst_pref_size 1
		.amdhsa_round_robin_scheduling 0
		.amdhsa_exception_fp_ieee_invalid_op 0
		.amdhsa_exception_fp_denorm_src 0
		.amdhsa_exception_fp_ieee_div_zero 0
		.amdhsa_exception_fp_ieee_overflow 0
		.amdhsa_exception_fp_ieee_underflow 0
		.amdhsa_exception_fp_ieee_inexact 0
		.amdhsa_exception_int_div_zero 0
	.end_amdhsa_kernel
	.section	.text._Z35paged_attention_ll4mi_reduce_kernelIDF16_DF16_Li64ELi64ELi256ELi6EEvPT0_PKfS3_PKT_PKiS8_iS3_,"axG",@progbits,_Z35paged_attention_ll4mi_reduce_kernelIDF16_DF16_Li64ELi64ELi256ELi6EEvPT0_PKfS3_PKT_PKiS8_iS3_,comdat
.Lfunc_end79:
	.size	_Z35paged_attention_ll4mi_reduce_kernelIDF16_DF16_Li64ELi64ELi256ELi6EEvPT0_PKfS3_PKT_PKiS8_iS3_, .Lfunc_end79-_Z35paged_attention_ll4mi_reduce_kernelIDF16_DF16_Li64ELi64ELi256ELi6EEvPT0_PKfS3_PKT_PKiS8_iS3_
                                        ; -- End function
	.set _Z35paged_attention_ll4mi_reduce_kernelIDF16_DF16_Li64ELi64ELi256ELi6EEvPT0_PKfS3_PKT_PKiS8_iS3_.num_vgpr, max(3, .L__assert_fail.num_vgpr)
	.set _Z35paged_attention_ll4mi_reduce_kernelIDF16_DF16_Li64ELi64ELi256ELi6EEvPT0_PKfS3_PKT_PKiS8_iS3_.num_agpr, max(0, .L__assert_fail.num_agpr)
	.set _Z35paged_attention_ll4mi_reduce_kernelIDF16_DF16_Li64ELi64ELi256ELi6EEvPT0_PKfS3_PKT_PKiS8_iS3_.numbered_sgpr, max(33, .L__assert_fail.numbered_sgpr)
	.set _Z35paged_attention_ll4mi_reduce_kernelIDF16_DF16_Li64ELi64ELi256ELi6EEvPT0_PKfS3_PKT_PKiS8_iS3_.num_named_barrier, max(0, .L__assert_fail.num_named_barrier)
	.set _Z35paged_attention_ll4mi_reduce_kernelIDF16_DF16_Li64ELi64ELi256ELi6EEvPT0_PKfS3_PKT_PKiS8_iS3_.private_seg_size, 0+max(.L__assert_fail.private_seg_size)
	.set _Z35paged_attention_ll4mi_reduce_kernelIDF16_DF16_Li64ELi64ELi256ELi6EEvPT0_PKfS3_PKT_PKiS8_iS3_.uses_vcc, or(1, .L__assert_fail.uses_vcc)
	.set _Z35paged_attention_ll4mi_reduce_kernelIDF16_DF16_Li64ELi64ELi256ELi6EEvPT0_PKfS3_PKT_PKiS8_iS3_.uses_flat_scratch, or(0, .L__assert_fail.uses_flat_scratch)
	.set _Z35paged_attention_ll4mi_reduce_kernelIDF16_DF16_Li64ELi64ELi256ELi6EEvPT0_PKfS3_PKT_PKiS8_iS3_.has_dyn_sized_stack, or(0, .L__assert_fail.has_dyn_sized_stack)
	.set _Z35paged_attention_ll4mi_reduce_kernelIDF16_DF16_Li64ELi64ELi256ELi6EEvPT0_PKfS3_PKT_PKiS8_iS3_.has_recursion, or(0, .L__assert_fail.has_recursion)
	.set _Z35paged_attention_ll4mi_reduce_kernelIDF16_DF16_Li64ELi64ELi256ELi6EEvPT0_PKfS3_PKT_PKiS8_iS3_.has_indirect_call, or(0, .L__assert_fail.has_indirect_call)
	.section	.AMDGPU.csdata,"",@progbits
; Kernel info:
; codeLenInByte = 64
; TotalNumSgprs: 36
; NumVgprs: 51
; ScratchSize: 64
; MemoryBound: 0
; FloatMode: 240
; IeeeMode: 1
; LDSByteSize: 0 bytes/workgroup (compile time only)
; SGPRBlocks: 0
; VGPRBlocks: 3
; NumSGPRsForWavesPerEU: 36
; NumVGPRsForWavesPerEU: 51
; NamedBarCnt: 0
; Occupancy: 16
; WaveLimiterHint : 1
; COMPUTE_PGM_RSRC2:SCRATCH_EN: 1
; COMPUTE_PGM_RSRC2:USER_SGPR: 2
; COMPUTE_PGM_RSRC2:TRAP_HANDLER: 0
; COMPUTE_PGM_RSRC2:TGID_X_EN: 1
; COMPUTE_PGM_RSRC2:TGID_Y_EN: 0
; COMPUTE_PGM_RSRC2:TGID_Z_EN: 0
; COMPUTE_PGM_RSRC2:TIDIG_COMP_CNT: 0
	.section	.text._Z35paged_attention_ll4mi_reduce_kernelIDF16_DF16_Li64ELi64ELi256ELi7EEvPT0_PKfS3_PKT_PKiS8_iS3_,"axG",@progbits,_Z35paged_attention_ll4mi_reduce_kernelIDF16_DF16_Li64ELi64ELi256ELi7EEvPT0_PKfS3_PKT_PKiS8_iS3_,comdat
	.protected	_Z35paged_attention_ll4mi_reduce_kernelIDF16_DF16_Li64ELi64ELi256ELi7EEvPT0_PKfS3_PKT_PKiS8_iS3_ ; -- Begin function _Z35paged_attention_ll4mi_reduce_kernelIDF16_DF16_Li64ELi64ELi256ELi7EEvPT0_PKfS3_PKT_PKiS8_iS3_
	.globl	_Z35paged_attention_ll4mi_reduce_kernelIDF16_DF16_Li64ELi64ELi256ELi7EEvPT0_PKfS3_PKT_PKiS8_iS3_
	.p2align	8
	.type	_Z35paged_attention_ll4mi_reduce_kernelIDF16_DF16_Li64ELi64ELi256ELi7EEvPT0_PKfS3_PKT_PKiS8_iS3_,@function
_Z35paged_attention_ll4mi_reduce_kernelIDF16_DF16_Li64ELi64ELi256ELi7EEvPT0_PKfS3_PKT_PKiS8_iS3_: ; @_Z35paged_attention_ll4mi_reduce_kernelIDF16_DF16_Li64ELi64ELi256ELi7EEvPT0_PKfS3_PKT_PKiS8_iS3_
; %bb.0:
	s_get_pc_i64 s[2:3]
	s_add_nc_u64 s[2:3], s[2:3], __PRETTY_FUNCTION__._Z35paged_attention_ll4mi_reduce_kernelIDF16_DF16_Li64ELi64ELi256ELi7EEvPT0_PKfS3_PKT_PKiS8_iS3_@rel64+4
	s_delay_alu instid0(SALU_CYCLE_1)
	v_dual_mov_b32 v0, 0xbdd :: v_dual_mov_b32 v1, s2
	v_mov_b32_e32 v2, s3
	s_add_nc_u64 s[8:9], s[0:1], 64
	s_get_pc_i64 s[0:1]
	s_add_nc_u64 s[0:1], s[0:1], __assert_fail@rel64+4
	s_mov_b32 s32, 0
	s_swap_pc_i64 s[30:31], s[0:1]
	.section	.rodata,"a",@progbits
	.p2align	6, 0x0
	.amdhsa_kernel _Z35paged_attention_ll4mi_reduce_kernelIDF16_DF16_Li64ELi64ELi256ELi7EEvPT0_PKfS3_PKT_PKiS8_iS3_
		.amdhsa_group_segment_fixed_size 0
		.amdhsa_private_segment_fixed_size 64
		.amdhsa_kernarg_size 320
		.amdhsa_user_sgpr_count 2
		.amdhsa_user_sgpr_dispatch_ptr 0
		.amdhsa_user_sgpr_queue_ptr 0
		.amdhsa_user_sgpr_kernarg_segment_ptr 1
		.amdhsa_user_sgpr_dispatch_id 0
		.amdhsa_user_sgpr_kernarg_preload_length 0
		.amdhsa_user_sgpr_kernarg_preload_offset 0
		.amdhsa_user_sgpr_private_segment_size 0
		.amdhsa_wavefront_size32 1
		.amdhsa_uses_dynamic_stack 0
		.amdhsa_enable_private_segment 1
		.amdhsa_system_sgpr_workgroup_id_x 1
		.amdhsa_system_sgpr_workgroup_id_y 0
		.amdhsa_system_sgpr_workgroup_id_z 0
		.amdhsa_system_sgpr_workgroup_info 0
		.amdhsa_system_vgpr_workitem_id 0
		.amdhsa_next_free_vgpr 51
		.amdhsa_next_free_sgpr 34
		.amdhsa_named_barrier_count 0
		.amdhsa_reserve_vcc 1
		.amdhsa_float_round_mode_32 0
		.amdhsa_float_round_mode_16_64 0
		.amdhsa_float_denorm_mode_32 3
		.amdhsa_float_denorm_mode_16_64 3
		.amdhsa_fp16_overflow 0
		.amdhsa_memory_ordered 1
		.amdhsa_forward_progress 1
		.amdhsa_inst_pref_size 1
		.amdhsa_round_robin_scheduling 0
		.amdhsa_exception_fp_ieee_invalid_op 0
		.amdhsa_exception_fp_denorm_src 0
		.amdhsa_exception_fp_ieee_div_zero 0
		.amdhsa_exception_fp_ieee_overflow 0
		.amdhsa_exception_fp_ieee_underflow 0
		.amdhsa_exception_fp_ieee_inexact 0
		.amdhsa_exception_int_div_zero 0
	.end_amdhsa_kernel
	.section	.text._Z35paged_attention_ll4mi_reduce_kernelIDF16_DF16_Li64ELi64ELi256ELi7EEvPT0_PKfS3_PKT_PKiS8_iS3_,"axG",@progbits,_Z35paged_attention_ll4mi_reduce_kernelIDF16_DF16_Li64ELi64ELi256ELi7EEvPT0_PKfS3_PKT_PKiS8_iS3_,comdat
.Lfunc_end80:
	.size	_Z35paged_attention_ll4mi_reduce_kernelIDF16_DF16_Li64ELi64ELi256ELi7EEvPT0_PKfS3_PKT_PKiS8_iS3_, .Lfunc_end80-_Z35paged_attention_ll4mi_reduce_kernelIDF16_DF16_Li64ELi64ELi256ELi7EEvPT0_PKfS3_PKT_PKiS8_iS3_
                                        ; -- End function
	.set _Z35paged_attention_ll4mi_reduce_kernelIDF16_DF16_Li64ELi64ELi256ELi7EEvPT0_PKfS3_PKT_PKiS8_iS3_.num_vgpr, max(3, .L__assert_fail.num_vgpr)
	.set _Z35paged_attention_ll4mi_reduce_kernelIDF16_DF16_Li64ELi64ELi256ELi7EEvPT0_PKfS3_PKT_PKiS8_iS3_.num_agpr, max(0, .L__assert_fail.num_agpr)
	.set _Z35paged_attention_ll4mi_reduce_kernelIDF16_DF16_Li64ELi64ELi256ELi7EEvPT0_PKfS3_PKT_PKiS8_iS3_.numbered_sgpr, max(33, .L__assert_fail.numbered_sgpr)
	.set _Z35paged_attention_ll4mi_reduce_kernelIDF16_DF16_Li64ELi64ELi256ELi7EEvPT0_PKfS3_PKT_PKiS8_iS3_.num_named_barrier, max(0, .L__assert_fail.num_named_barrier)
	.set _Z35paged_attention_ll4mi_reduce_kernelIDF16_DF16_Li64ELi64ELi256ELi7EEvPT0_PKfS3_PKT_PKiS8_iS3_.private_seg_size, 0+max(.L__assert_fail.private_seg_size)
	.set _Z35paged_attention_ll4mi_reduce_kernelIDF16_DF16_Li64ELi64ELi256ELi7EEvPT0_PKfS3_PKT_PKiS8_iS3_.uses_vcc, or(1, .L__assert_fail.uses_vcc)
	.set _Z35paged_attention_ll4mi_reduce_kernelIDF16_DF16_Li64ELi64ELi256ELi7EEvPT0_PKfS3_PKT_PKiS8_iS3_.uses_flat_scratch, or(0, .L__assert_fail.uses_flat_scratch)
	.set _Z35paged_attention_ll4mi_reduce_kernelIDF16_DF16_Li64ELi64ELi256ELi7EEvPT0_PKfS3_PKT_PKiS8_iS3_.has_dyn_sized_stack, or(0, .L__assert_fail.has_dyn_sized_stack)
	.set _Z35paged_attention_ll4mi_reduce_kernelIDF16_DF16_Li64ELi64ELi256ELi7EEvPT0_PKfS3_PKT_PKiS8_iS3_.has_recursion, or(0, .L__assert_fail.has_recursion)
	.set _Z35paged_attention_ll4mi_reduce_kernelIDF16_DF16_Li64ELi64ELi256ELi7EEvPT0_PKfS3_PKT_PKiS8_iS3_.has_indirect_call, or(0, .L__assert_fail.has_indirect_call)
	.section	.AMDGPU.csdata,"",@progbits
; Kernel info:
; codeLenInByte = 64
; TotalNumSgprs: 36
; NumVgprs: 51
; ScratchSize: 64
; MemoryBound: 0
; FloatMode: 240
; IeeeMode: 1
; LDSByteSize: 0 bytes/workgroup (compile time only)
; SGPRBlocks: 0
; VGPRBlocks: 3
; NumSGPRsForWavesPerEU: 36
; NumVGPRsForWavesPerEU: 51
; NamedBarCnt: 0
; Occupancy: 16
; WaveLimiterHint : 1
; COMPUTE_PGM_RSRC2:SCRATCH_EN: 1
; COMPUTE_PGM_RSRC2:USER_SGPR: 2
; COMPUTE_PGM_RSRC2:TRAP_HANDLER: 0
; COMPUTE_PGM_RSRC2:TGID_X_EN: 1
; COMPUTE_PGM_RSRC2:TGID_Y_EN: 0
; COMPUTE_PGM_RSRC2:TGID_Z_EN: 0
; COMPUTE_PGM_RSRC2:TIDIG_COMP_CNT: 0
	.section	.text._Z35paged_attention_ll4mi_reduce_kernelIDF16_DF16_Li64ELi64ELi256ELi8EEvPT0_PKfS3_PKT_PKiS8_iS3_,"axG",@progbits,_Z35paged_attention_ll4mi_reduce_kernelIDF16_DF16_Li64ELi64ELi256ELi8EEvPT0_PKfS3_PKT_PKiS8_iS3_,comdat
	.protected	_Z35paged_attention_ll4mi_reduce_kernelIDF16_DF16_Li64ELi64ELi256ELi8EEvPT0_PKfS3_PKT_PKiS8_iS3_ ; -- Begin function _Z35paged_attention_ll4mi_reduce_kernelIDF16_DF16_Li64ELi64ELi256ELi8EEvPT0_PKfS3_PKT_PKiS8_iS3_
	.globl	_Z35paged_attention_ll4mi_reduce_kernelIDF16_DF16_Li64ELi64ELi256ELi8EEvPT0_PKfS3_PKT_PKiS8_iS3_
	.p2align	8
	.type	_Z35paged_attention_ll4mi_reduce_kernelIDF16_DF16_Li64ELi64ELi256ELi8EEvPT0_PKfS3_PKT_PKiS8_iS3_,@function
_Z35paged_attention_ll4mi_reduce_kernelIDF16_DF16_Li64ELi64ELi256ELi8EEvPT0_PKfS3_PKT_PKiS8_iS3_: ; @_Z35paged_attention_ll4mi_reduce_kernelIDF16_DF16_Li64ELi64ELi256ELi8EEvPT0_PKfS3_PKT_PKiS8_iS3_
; %bb.0:
	s_get_pc_i64 s[2:3]
	s_add_nc_u64 s[2:3], s[2:3], __PRETTY_FUNCTION__._Z35paged_attention_ll4mi_reduce_kernelIDF16_DF16_Li64ELi64ELi256ELi8EEvPT0_PKfS3_PKT_PKiS8_iS3_@rel64+4
	s_delay_alu instid0(SALU_CYCLE_1)
	v_dual_mov_b32 v0, 0xbdd :: v_dual_mov_b32 v1, s2
	v_mov_b32_e32 v2, s3
	s_add_nc_u64 s[8:9], s[0:1], 64
	s_get_pc_i64 s[0:1]
	s_add_nc_u64 s[0:1], s[0:1], __assert_fail@rel64+4
	s_mov_b32 s32, 0
	s_swap_pc_i64 s[30:31], s[0:1]
	.section	.rodata,"a",@progbits
	.p2align	6, 0x0
	.amdhsa_kernel _Z35paged_attention_ll4mi_reduce_kernelIDF16_DF16_Li64ELi64ELi256ELi8EEvPT0_PKfS3_PKT_PKiS8_iS3_
		.amdhsa_group_segment_fixed_size 0
		.amdhsa_private_segment_fixed_size 64
		.amdhsa_kernarg_size 320
		.amdhsa_user_sgpr_count 2
		.amdhsa_user_sgpr_dispatch_ptr 0
		.amdhsa_user_sgpr_queue_ptr 0
		.amdhsa_user_sgpr_kernarg_segment_ptr 1
		.amdhsa_user_sgpr_dispatch_id 0
		.amdhsa_user_sgpr_kernarg_preload_length 0
		.amdhsa_user_sgpr_kernarg_preload_offset 0
		.amdhsa_user_sgpr_private_segment_size 0
		.amdhsa_wavefront_size32 1
		.amdhsa_uses_dynamic_stack 0
		.amdhsa_enable_private_segment 1
		.amdhsa_system_sgpr_workgroup_id_x 1
		.amdhsa_system_sgpr_workgroup_id_y 0
		.amdhsa_system_sgpr_workgroup_id_z 0
		.amdhsa_system_sgpr_workgroup_info 0
		.amdhsa_system_vgpr_workitem_id 0
		.amdhsa_next_free_vgpr 51
		.amdhsa_next_free_sgpr 34
		.amdhsa_named_barrier_count 0
		.amdhsa_reserve_vcc 1
		.amdhsa_float_round_mode_32 0
		.amdhsa_float_round_mode_16_64 0
		.amdhsa_float_denorm_mode_32 3
		.amdhsa_float_denorm_mode_16_64 3
		.amdhsa_fp16_overflow 0
		.amdhsa_memory_ordered 1
		.amdhsa_forward_progress 1
		.amdhsa_inst_pref_size 1
		.amdhsa_round_robin_scheduling 0
		.amdhsa_exception_fp_ieee_invalid_op 0
		.amdhsa_exception_fp_denorm_src 0
		.amdhsa_exception_fp_ieee_div_zero 0
		.amdhsa_exception_fp_ieee_overflow 0
		.amdhsa_exception_fp_ieee_underflow 0
		.amdhsa_exception_fp_ieee_inexact 0
		.amdhsa_exception_int_div_zero 0
	.end_amdhsa_kernel
	.section	.text._Z35paged_attention_ll4mi_reduce_kernelIDF16_DF16_Li64ELi64ELi256ELi8EEvPT0_PKfS3_PKT_PKiS8_iS3_,"axG",@progbits,_Z35paged_attention_ll4mi_reduce_kernelIDF16_DF16_Li64ELi64ELi256ELi8EEvPT0_PKfS3_PKT_PKiS8_iS3_,comdat
.Lfunc_end81:
	.size	_Z35paged_attention_ll4mi_reduce_kernelIDF16_DF16_Li64ELi64ELi256ELi8EEvPT0_PKfS3_PKT_PKiS8_iS3_, .Lfunc_end81-_Z35paged_attention_ll4mi_reduce_kernelIDF16_DF16_Li64ELi64ELi256ELi8EEvPT0_PKfS3_PKT_PKiS8_iS3_
                                        ; -- End function
	.set _Z35paged_attention_ll4mi_reduce_kernelIDF16_DF16_Li64ELi64ELi256ELi8EEvPT0_PKfS3_PKT_PKiS8_iS3_.num_vgpr, max(3, .L__assert_fail.num_vgpr)
	.set _Z35paged_attention_ll4mi_reduce_kernelIDF16_DF16_Li64ELi64ELi256ELi8EEvPT0_PKfS3_PKT_PKiS8_iS3_.num_agpr, max(0, .L__assert_fail.num_agpr)
	.set _Z35paged_attention_ll4mi_reduce_kernelIDF16_DF16_Li64ELi64ELi256ELi8EEvPT0_PKfS3_PKT_PKiS8_iS3_.numbered_sgpr, max(33, .L__assert_fail.numbered_sgpr)
	.set _Z35paged_attention_ll4mi_reduce_kernelIDF16_DF16_Li64ELi64ELi256ELi8EEvPT0_PKfS3_PKT_PKiS8_iS3_.num_named_barrier, max(0, .L__assert_fail.num_named_barrier)
	.set _Z35paged_attention_ll4mi_reduce_kernelIDF16_DF16_Li64ELi64ELi256ELi8EEvPT0_PKfS3_PKT_PKiS8_iS3_.private_seg_size, 0+max(.L__assert_fail.private_seg_size)
	.set _Z35paged_attention_ll4mi_reduce_kernelIDF16_DF16_Li64ELi64ELi256ELi8EEvPT0_PKfS3_PKT_PKiS8_iS3_.uses_vcc, or(1, .L__assert_fail.uses_vcc)
	.set _Z35paged_attention_ll4mi_reduce_kernelIDF16_DF16_Li64ELi64ELi256ELi8EEvPT0_PKfS3_PKT_PKiS8_iS3_.uses_flat_scratch, or(0, .L__assert_fail.uses_flat_scratch)
	.set _Z35paged_attention_ll4mi_reduce_kernelIDF16_DF16_Li64ELi64ELi256ELi8EEvPT0_PKfS3_PKT_PKiS8_iS3_.has_dyn_sized_stack, or(0, .L__assert_fail.has_dyn_sized_stack)
	.set _Z35paged_attention_ll4mi_reduce_kernelIDF16_DF16_Li64ELi64ELi256ELi8EEvPT0_PKfS3_PKT_PKiS8_iS3_.has_recursion, or(0, .L__assert_fail.has_recursion)
	.set _Z35paged_attention_ll4mi_reduce_kernelIDF16_DF16_Li64ELi64ELi256ELi8EEvPT0_PKfS3_PKT_PKiS8_iS3_.has_indirect_call, or(0, .L__assert_fail.has_indirect_call)
	.section	.AMDGPU.csdata,"",@progbits
; Kernel info:
; codeLenInByte = 64
; TotalNumSgprs: 36
; NumVgprs: 51
; ScratchSize: 64
; MemoryBound: 0
; FloatMode: 240
; IeeeMode: 1
; LDSByteSize: 0 bytes/workgroup (compile time only)
; SGPRBlocks: 0
; VGPRBlocks: 3
; NumSGPRsForWavesPerEU: 36
; NumVGPRsForWavesPerEU: 51
; NamedBarCnt: 0
; Occupancy: 16
; WaveLimiterHint : 1
; COMPUTE_PGM_RSRC2:SCRATCH_EN: 1
; COMPUTE_PGM_RSRC2:USER_SGPR: 2
; COMPUTE_PGM_RSRC2:TRAP_HANDLER: 0
; COMPUTE_PGM_RSRC2:TGID_X_EN: 1
; COMPUTE_PGM_RSRC2:TGID_Y_EN: 0
; COMPUTE_PGM_RSRC2:TGID_Z_EN: 0
; COMPUTE_PGM_RSRC2:TIDIG_COMP_CNT: 0
	.section	.text._Z39paged_attention_ll4mi_QKV_mfma16_kernelIDF16_DF16_LN4vllm18Fp8KVCacheDataTypeE0EDF16_Li16ELi64ELi256ELb1ELi1EEvPKT_PKT0_S7_ifPKiS9_S9_iPKfiiiPfSC_PS2_PT2_iSB_SB_,"axG",@progbits,_Z39paged_attention_ll4mi_QKV_mfma16_kernelIDF16_DF16_LN4vllm18Fp8KVCacheDataTypeE0EDF16_Li16ELi64ELi256ELb1ELi1EEvPKT_PKT0_S7_ifPKiS9_S9_iPKfiiiPfSC_PS2_PT2_iSB_SB_,comdat
	.protected	_Z39paged_attention_ll4mi_QKV_mfma16_kernelIDF16_DF16_LN4vllm18Fp8KVCacheDataTypeE0EDF16_Li16ELi64ELi256ELb1ELi1EEvPKT_PKT0_S7_ifPKiS9_S9_iPKfiiiPfSC_PS2_PT2_iSB_SB_ ; -- Begin function _Z39paged_attention_ll4mi_QKV_mfma16_kernelIDF16_DF16_LN4vllm18Fp8KVCacheDataTypeE0EDF16_Li16ELi64ELi256ELb1ELi1EEvPKT_PKT0_S7_ifPKiS9_S9_iPKfiiiPfSC_PS2_PT2_iSB_SB_
	.globl	_Z39paged_attention_ll4mi_QKV_mfma16_kernelIDF16_DF16_LN4vllm18Fp8KVCacheDataTypeE0EDF16_Li16ELi64ELi256ELb1ELi1EEvPKT_PKT0_S7_ifPKiS9_S9_iPKfiiiPfSC_PS2_PT2_iSB_SB_
	.p2align	8
	.type	_Z39paged_attention_ll4mi_QKV_mfma16_kernelIDF16_DF16_LN4vllm18Fp8KVCacheDataTypeE0EDF16_Li16ELi64ELi256ELb1ELi1EEvPKT_PKT0_S7_ifPKiS9_S9_iPKfiiiPfSC_PS2_PT2_iSB_SB_,@function
_Z39paged_attention_ll4mi_QKV_mfma16_kernelIDF16_DF16_LN4vllm18Fp8KVCacheDataTypeE0EDF16_Li16ELi64ELi256ELb1ELi1EEvPKT_PKT0_S7_ifPKiS9_S9_iPKfiiiPfSC_PS2_PT2_iSB_SB_: ; @_Z39paged_attention_ll4mi_QKV_mfma16_kernelIDF16_DF16_LN4vllm18Fp8KVCacheDataTypeE0EDF16_Li16ELi64ELi256ELb1ELi1EEvPKT_PKT0_S7_ifPKiS9_S9_iPKfiiiPfSC_PS2_PT2_iSB_SB_
; %bb.0:
	s_get_pc_i64 s[2:3]
	s_add_nc_u64 s[2:3], s[2:3], __PRETTY_FUNCTION__._Z39paged_attention_ll4mi_QKV_mfma16_kernelIDF16_DF16_LN4vllm18Fp8KVCacheDataTypeE0EDF16_Li16ELi64ELi256ELb1ELi1EEvPKT_PKT0_S7_ifPKiS9_S9_iPKfiiiPfSC_PS2_PT2_iSB_SB_@rel64+4
	s_delay_alu instid0(SALU_CYCLE_1)
	v_dual_mov_b32 v0, 0xbb3 :: v_dual_mov_b32 v1, s2
	v_mov_b32_e32 v2, s3
	s_add_nc_u64 s[8:9], s[0:1], 0x90
	s_get_pc_i64 s[0:1]
	s_add_nc_u64 s[0:1], s[0:1], __assert_fail@rel64+4
	s_mov_b32 s32, 0
	s_swap_pc_i64 s[30:31], s[0:1]
	.section	.rodata,"a",@progbits
	.p2align	6, 0x0
	.amdhsa_kernel _Z39paged_attention_ll4mi_QKV_mfma16_kernelIDF16_DF16_LN4vllm18Fp8KVCacheDataTypeE0EDF16_Li16ELi64ELi256ELb1ELi1EEvPKT_PKT0_S7_ifPKiS9_S9_iPKfiiiPfSC_PS2_PT2_iSB_SB_
		.amdhsa_group_segment_fixed_size 0
		.amdhsa_private_segment_fixed_size 64
		.amdhsa_kernarg_size 400
		.amdhsa_user_sgpr_count 2
		.amdhsa_user_sgpr_dispatch_ptr 0
		.amdhsa_user_sgpr_queue_ptr 0
		.amdhsa_user_sgpr_kernarg_segment_ptr 1
		.amdhsa_user_sgpr_dispatch_id 0
		.amdhsa_user_sgpr_kernarg_preload_length 0
		.amdhsa_user_sgpr_kernarg_preload_offset 0
		.amdhsa_user_sgpr_private_segment_size 0
		.amdhsa_wavefront_size32 1
		.amdhsa_uses_dynamic_stack 0
		.amdhsa_enable_private_segment 1
		.amdhsa_system_sgpr_workgroup_id_x 1
		.amdhsa_system_sgpr_workgroup_id_y 0
		.amdhsa_system_sgpr_workgroup_id_z 0
		.amdhsa_system_sgpr_workgroup_info 0
		.amdhsa_system_vgpr_workitem_id 0
		.amdhsa_next_free_vgpr 51
		.amdhsa_next_free_sgpr 34
		.amdhsa_named_barrier_count 0
		.amdhsa_reserve_vcc 1
		.amdhsa_float_round_mode_32 0
		.amdhsa_float_round_mode_16_64 0
		.amdhsa_float_denorm_mode_32 3
		.amdhsa_float_denorm_mode_16_64 3
		.amdhsa_fp16_overflow 0
		.amdhsa_memory_ordered 1
		.amdhsa_forward_progress 1
		.amdhsa_inst_pref_size 1
		.amdhsa_round_robin_scheduling 0
		.amdhsa_exception_fp_ieee_invalid_op 0
		.amdhsa_exception_fp_denorm_src 0
		.amdhsa_exception_fp_ieee_div_zero 0
		.amdhsa_exception_fp_ieee_overflow 0
		.amdhsa_exception_fp_ieee_underflow 0
		.amdhsa_exception_fp_ieee_inexact 0
		.amdhsa_exception_int_div_zero 0
	.end_amdhsa_kernel
	.section	.text._Z39paged_attention_ll4mi_QKV_mfma16_kernelIDF16_DF16_LN4vllm18Fp8KVCacheDataTypeE0EDF16_Li16ELi64ELi256ELb1ELi1EEvPKT_PKT0_S7_ifPKiS9_S9_iPKfiiiPfSC_PS2_PT2_iSB_SB_,"axG",@progbits,_Z39paged_attention_ll4mi_QKV_mfma16_kernelIDF16_DF16_LN4vllm18Fp8KVCacheDataTypeE0EDF16_Li16ELi64ELi256ELb1ELi1EEvPKT_PKT0_S7_ifPKiS9_S9_iPKfiiiPfSC_PS2_PT2_iSB_SB_,comdat
.Lfunc_end82:
	.size	_Z39paged_attention_ll4mi_QKV_mfma16_kernelIDF16_DF16_LN4vllm18Fp8KVCacheDataTypeE0EDF16_Li16ELi64ELi256ELb1ELi1EEvPKT_PKT0_S7_ifPKiS9_S9_iPKfiiiPfSC_PS2_PT2_iSB_SB_, .Lfunc_end82-_Z39paged_attention_ll4mi_QKV_mfma16_kernelIDF16_DF16_LN4vllm18Fp8KVCacheDataTypeE0EDF16_Li16ELi64ELi256ELb1ELi1EEvPKT_PKT0_S7_ifPKiS9_S9_iPKfiiiPfSC_PS2_PT2_iSB_SB_
                                        ; -- End function
	.set _Z39paged_attention_ll4mi_QKV_mfma16_kernelIDF16_DF16_LN4vllm18Fp8KVCacheDataTypeE0EDF16_Li16ELi64ELi256ELb1ELi1EEvPKT_PKT0_S7_ifPKiS9_S9_iPKfiiiPfSC_PS2_PT2_iSB_SB_.num_vgpr, max(3, .L__assert_fail.num_vgpr)
	.set _Z39paged_attention_ll4mi_QKV_mfma16_kernelIDF16_DF16_LN4vllm18Fp8KVCacheDataTypeE0EDF16_Li16ELi64ELi256ELb1ELi1EEvPKT_PKT0_S7_ifPKiS9_S9_iPKfiiiPfSC_PS2_PT2_iSB_SB_.num_agpr, max(0, .L__assert_fail.num_agpr)
	.set _Z39paged_attention_ll4mi_QKV_mfma16_kernelIDF16_DF16_LN4vllm18Fp8KVCacheDataTypeE0EDF16_Li16ELi64ELi256ELb1ELi1EEvPKT_PKT0_S7_ifPKiS9_S9_iPKfiiiPfSC_PS2_PT2_iSB_SB_.numbered_sgpr, max(33, .L__assert_fail.numbered_sgpr)
	.set _Z39paged_attention_ll4mi_QKV_mfma16_kernelIDF16_DF16_LN4vllm18Fp8KVCacheDataTypeE0EDF16_Li16ELi64ELi256ELb1ELi1EEvPKT_PKT0_S7_ifPKiS9_S9_iPKfiiiPfSC_PS2_PT2_iSB_SB_.num_named_barrier, max(0, .L__assert_fail.num_named_barrier)
	.set _Z39paged_attention_ll4mi_QKV_mfma16_kernelIDF16_DF16_LN4vllm18Fp8KVCacheDataTypeE0EDF16_Li16ELi64ELi256ELb1ELi1EEvPKT_PKT0_S7_ifPKiS9_S9_iPKfiiiPfSC_PS2_PT2_iSB_SB_.private_seg_size, 0+max(.L__assert_fail.private_seg_size)
	.set _Z39paged_attention_ll4mi_QKV_mfma16_kernelIDF16_DF16_LN4vllm18Fp8KVCacheDataTypeE0EDF16_Li16ELi64ELi256ELb1ELi1EEvPKT_PKT0_S7_ifPKiS9_S9_iPKfiiiPfSC_PS2_PT2_iSB_SB_.uses_vcc, or(1, .L__assert_fail.uses_vcc)
	.set _Z39paged_attention_ll4mi_QKV_mfma16_kernelIDF16_DF16_LN4vllm18Fp8KVCacheDataTypeE0EDF16_Li16ELi64ELi256ELb1ELi1EEvPKT_PKT0_S7_ifPKiS9_S9_iPKfiiiPfSC_PS2_PT2_iSB_SB_.uses_flat_scratch, or(0, .L__assert_fail.uses_flat_scratch)
	.set _Z39paged_attention_ll4mi_QKV_mfma16_kernelIDF16_DF16_LN4vllm18Fp8KVCacheDataTypeE0EDF16_Li16ELi64ELi256ELb1ELi1EEvPKT_PKT0_S7_ifPKiS9_S9_iPKfiiiPfSC_PS2_PT2_iSB_SB_.has_dyn_sized_stack, or(0, .L__assert_fail.has_dyn_sized_stack)
	.set _Z39paged_attention_ll4mi_QKV_mfma16_kernelIDF16_DF16_LN4vllm18Fp8KVCacheDataTypeE0EDF16_Li16ELi64ELi256ELb1ELi1EEvPKT_PKT0_S7_ifPKiS9_S9_iPKfiiiPfSC_PS2_PT2_iSB_SB_.has_recursion, or(0, .L__assert_fail.has_recursion)
	.set _Z39paged_attention_ll4mi_QKV_mfma16_kernelIDF16_DF16_LN4vllm18Fp8KVCacheDataTypeE0EDF16_Li16ELi64ELi256ELb1ELi1EEvPKT_PKT0_S7_ifPKiS9_S9_iPKfiiiPfSC_PS2_PT2_iSB_SB_.has_indirect_call, or(0, .L__assert_fail.has_indirect_call)
	.section	.AMDGPU.csdata,"",@progbits
; Kernel info:
; codeLenInByte = 68
; TotalNumSgprs: 36
; NumVgprs: 51
; ScratchSize: 64
; MemoryBound: 0
; FloatMode: 240
; IeeeMode: 1
; LDSByteSize: 0 bytes/workgroup (compile time only)
; SGPRBlocks: 0
; VGPRBlocks: 3
; NumSGPRsForWavesPerEU: 36
; NumVGPRsForWavesPerEU: 51
; NamedBarCnt: 0
; Occupancy: 16
; WaveLimiterHint : 1
; COMPUTE_PGM_RSRC2:SCRATCH_EN: 1
; COMPUTE_PGM_RSRC2:USER_SGPR: 2
; COMPUTE_PGM_RSRC2:TRAP_HANDLER: 0
; COMPUTE_PGM_RSRC2:TGID_X_EN: 1
; COMPUTE_PGM_RSRC2:TGID_Y_EN: 0
; COMPUTE_PGM_RSRC2:TGID_Z_EN: 0
; COMPUTE_PGM_RSRC2:TIDIG_COMP_CNT: 0
	.section	.text._Z39paged_attention_ll4mi_QKV_mfma16_kernelIDF16_DF16_LN4vllm18Fp8KVCacheDataTypeE0EDF16_Li16ELi64ELi256ELb1ELi2EEvPKT_PKT0_S7_ifPKiS9_S9_iPKfiiiPfSC_PS2_PT2_iSB_SB_,"axG",@progbits,_Z39paged_attention_ll4mi_QKV_mfma16_kernelIDF16_DF16_LN4vllm18Fp8KVCacheDataTypeE0EDF16_Li16ELi64ELi256ELb1ELi2EEvPKT_PKT0_S7_ifPKiS9_S9_iPKfiiiPfSC_PS2_PT2_iSB_SB_,comdat
	.protected	_Z39paged_attention_ll4mi_QKV_mfma16_kernelIDF16_DF16_LN4vllm18Fp8KVCacheDataTypeE0EDF16_Li16ELi64ELi256ELb1ELi2EEvPKT_PKT0_S7_ifPKiS9_S9_iPKfiiiPfSC_PS2_PT2_iSB_SB_ ; -- Begin function _Z39paged_attention_ll4mi_QKV_mfma16_kernelIDF16_DF16_LN4vllm18Fp8KVCacheDataTypeE0EDF16_Li16ELi64ELi256ELb1ELi2EEvPKT_PKT0_S7_ifPKiS9_S9_iPKfiiiPfSC_PS2_PT2_iSB_SB_
	.globl	_Z39paged_attention_ll4mi_QKV_mfma16_kernelIDF16_DF16_LN4vllm18Fp8KVCacheDataTypeE0EDF16_Li16ELi64ELi256ELb1ELi2EEvPKT_PKT0_S7_ifPKiS9_S9_iPKfiiiPfSC_PS2_PT2_iSB_SB_
	.p2align	8
	.type	_Z39paged_attention_ll4mi_QKV_mfma16_kernelIDF16_DF16_LN4vllm18Fp8KVCacheDataTypeE0EDF16_Li16ELi64ELi256ELb1ELi2EEvPKT_PKT0_S7_ifPKiS9_S9_iPKfiiiPfSC_PS2_PT2_iSB_SB_,@function
_Z39paged_attention_ll4mi_QKV_mfma16_kernelIDF16_DF16_LN4vllm18Fp8KVCacheDataTypeE0EDF16_Li16ELi64ELi256ELb1ELi2EEvPKT_PKT0_S7_ifPKiS9_S9_iPKfiiiPfSC_PS2_PT2_iSB_SB_: ; @_Z39paged_attention_ll4mi_QKV_mfma16_kernelIDF16_DF16_LN4vllm18Fp8KVCacheDataTypeE0EDF16_Li16ELi64ELi256ELb1ELi2EEvPKT_PKT0_S7_ifPKiS9_S9_iPKfiiiPfSC_PS2_PT2_iSB_SB_
; %bb.0:
	s_get_pc_i64 s[2:3]
	s_add_nc_u64 s[2:3], s[2:3], __PRETTY_FUNCTION__._Z39paged_attention_ll4mi_QKV_mfma16_kernelIDF16_DF16_LN4vllm18Fp8KVCacheDataTypeE0EDF16_Li16ELi64ELi256ELb1ELi2EEvPKT_PKT0_S7_ifPKiS9_S9_iPKfiiiPfSC_PS2_PT2_iSB_SB_@rel64+4
	s_delay_alu instid0(SALU_CYCLE_1)
	v_dual_mov_b32 v0, 0xbb3 :: v_dual_mov_b32 v1, s2
	v_mov_b32_e32 v2, s3
	s_add_nc_u64 s[8:9], s[0:1], 0x90
	s_get_pc_i64 s[0:1]
	s_add_nc_u64 s[0:1], s[0:1], __assert_fail@rel64+4
	s_mov_b32 s32, 0
	s_swap_pc_i64 s[30:31], s[0:1]
	.section	.rodata,"a",@progbits
	.p2align	6, 0x0
	.amdhsa_kernel _Z39paged_attention_ll4mi_QKV_mfma16_kernelIDF16_DF16_LN4vllm18Fp8KVCacheDataTypeE0EDF16_Li16ELi64ELi256ELb1ELi2EEvPKT_PKT0_S7_ifPKiS9_S9_iPKfiiiPfSC_PS2_PT2_iSB_SB_
		.amdhsa_group_segment_fixed_size 0
		.amdhsa_private_segment_fixed_size 64
		.amdhsa_kernarg_size 400
		.amdhsa_user_sgpr_count 2
		.amdhsa_user_sgpr_dispatch_ptr 0
		.amdhsa_user_sgpr_queue_ptr 0
		.amdhsa_user_sgpr_kernarg_segment_ptr 1
		.amdhsa_user_sgpr_dispatch_id 0
		.amdhsa_user_sgpr_kernarg_preload_length 0
		.amdhsa_user_sgpr_kernarg_preload_offset 0
		.amdhsa_user_sgpr_private_segment_size 0
		.amdhsa_wavefront_size32 1
		.amdhsa_uses_dynamic_stack 0
		.amdhsa_enable_private_segment 1
		.amdhsa_system_sgpr_workgroup_id_x 1
		.amdhsa_system_sgpr_workgroup_id_y 0
		.amdhsa_system_sgpr_workgroup_id_z 0
		.amdhsa_system_sgpr_workgroup_info 0
		.amdhsa_system_vgpr_workitem_id 0
		.amdhsa_next_free_vgpr 51
		.amdhsa_next_free_sgpr 34
		.amdhsa_named_barrier_count 0
		.amdhsa_reserve_vcc 1
		.amdhsa_float_round_mode_32 0
		.amdhsa_float_round_mode_16_64 0
		.amdhsa_float_denorm_mode_32 3
		.amdhsa_float_denorm_mode_16_64 3
		.amdhsa_fp16_overflow 0
		.amdhsa_memory_ordered 1
		.amdhsa_forward_progress 1
		.amdhsa_inst_pref_size 1
		.amdhsa_round_robin_scheduling 0
		.amdhsa_exception_fp_ieee_invalid_op 0
		.amdhsa_exception_fp_denorm_src 0
		.amdhsa_exception_fp_ieee_div_zero 0
		.amdhsa_exception_fp_ieee_overflow 0
		.amdhsa_exception_fp_ieee_underflow 0
		.amdhsa_exception_fp_ieee_inexact 0
		.amdhsa_exception_int_div_zero 0
	.end_amdhsa_kernel
	.section	.text._Z39paged_attention_ll4mi_QKV_mfma16_kernelIDF16_DF16_LN4vllm18Fp8KVCacheDataTypeE0EDF16_Li16ELi64ELi256ELb1ELi2EEvPKT_PKT0_S7_ifPKiS9_S9_iPKfiiiPfSC_PS2_PT2_iSB_SB_,"axG",@progbits,_Z39paged_attention_ll4mi_QKV_mfma16_kernelIDF16_DF16_LN4vllm18Fp8KVCacheDataTypeE0EDF16_Li16ELi64ELi256ELb1ELi2EEvPKT_PKT0_S7_ifPKiS9_S9_iPKfiiiPfSC_PS2_PT2_iSB_SB_,comdat
.Lfunc_end83:
	.size	_Z39paged_attention_ll4mi_QKV_mfma16_kernelIDF16_DF16_LN4vllm18Fp8KVCacheDataTypeE0EDF16_Li16ELi64ELi256ELb1ELi2EEvPKT_PKT0_S7_ifPKiS9_S9_iPKfiiiPfSC_PS2_PT2_iSB_SB_, .Lfunc_end83-_Z39paged_attention_ll4mi_QKV_mfma16_kernelIDF16_DF16_LN4vllm18Fp8KVCacheDataTypeE0EDF16_Li16ELi64ELi256ELb1ELi2EEvPKT_PKT0_S7_ifPKiS9_S9_iPKfiiiPfSC_PS2_PT2_iSB_SB_
                                        ; -- End function
	.set _Z39paged_attention_ll4mi_QKV_mfma16_kernelIDF16_DF16_LN4vllm18Fp8KVCacheDataTypeE0EDF16_Li16ELi64ELi256ELb1ELi2EEvPKT_PKT0_S7_ifPKiS9_S9_iPKfiiiPfSC_PS2_PT2_iSB_SB_.num_vgpr, max(3, .L__assert_fail.num_vgpr)
	.set _Z39paged_attention_ll4mi_QKV_mfma16_kernelIDF16_DF16_LN4vllm18Fp8KVCacheDataTypeE0EDF16_Li16ELi64ELi256ELb1ELi2EEvPKT_PKT0_S7_ifPKiS9_S9_iPKfiiiPfSC_PS2_PT2_iSB_SB_.num_agpr, max(0, .L__assert_fail.num_agpr)
	.set _Z39paged_attention_ll4mi_QKV_mfma16_kernelIDF16_DF16_LN4vllm18Fp8KVCacheDataTypeE0EDF16_Li16ELi64ELi256ELb1ELi2EEvPKT_PKT0_S7_ifPKiS9_S9_iPKfiiiPfSC_PS2_PT2_iSB_SB_.numbered_sgpr, max(33, .L__assert_fail.numbered_sgpr)
	.set _Z39paged_attention_ll4mi_QKV_mfma16_kernelIDF16_DF16_LN4vllm18Fp8KVCacheDataTypeE0EDF16_Li16ELi64ELi256ELb1ELi2EEvPKT_PKT0_S7_ifPKiS9_S9_iPKfiiiPfSC_PS2_PT2_iSB_SB_.num_named_barrier, max(0, .L__assert_fail.num_named_barrier)
	.set _Z39paged_attention_ll4mi_QKV_mfma16_kernelIDF16_DF16_LN4vllm18Fp8KVCacheDataTypeE0EDF16_Li16ELi64ELi256ELb1ELi2EEvPKT_PKT0_S7_ifPKiS9_S9_iPKfiiiPfSC_PS2_PT2_iSB_SB_.private_seg_size, 0+max(.L__assert_fail.private_seg_size)
	.set _Z39paged_attention_ll4mi_QKV_mfma16_kernelIDF16_DF16_LN4vllm18Fp8KVCacheDataTypeE0EDF16_Li16ELi64ELi256ELb1ELi2EEvPKT_PKT0_S7_ifPKiS9_S9_iPKfiiiPfSC_PS2_PT2_iSB_SB_.uses_vcc, or(1, .L__assert_fail.uses_vcc)
	.set _Z39paged_attention_ll4mi_QKV_mfma16_kernelIDF16_DF16_LN4vllm18Fp8KVCacheDataTypeE0EDF16_Li16ELi64ELi256ELb1ELi2EEvPKT_PKT0_S7_ifPKiS9_S9_iPKfiiiPfSC_PS2_PT2_iSB_SB_.uses_flat_scratch, or(0, .L__assert_fail.uses_flat_scratch)
	.set _Z39paged_attention_ll4mi_QKV_mfma16_kernelIDF16_DF16_LN4vllm18Fp8KVCacheDataTypeE0EDF16_Li16ELi64ELi256ELb1ELi2EEvPKT_PKT0_S7_ifPKiS9_S9_iPKfiiiPfSC_PS2_PT2_iSB_SB_.has_dyn_sized_stack, or(0, .L__assert_fail.has_dyn_sized_stack)
	.set _Z39paged_attention_ll4mi_QKV_mfma16_kernelIDF16_DF16_LN4vllm18Fp8KVCacheDataTypeE0EDF16_Li16ELi64ELi256ELb1ELi2EEvPKT_PKT0_S7_ifPKiS9_S9_iPKfiiiPfSC_PS2_PT2_iSB_SB_.has_recursion, or(0, .L__assert_fail.has_recursion)
	.set _Z39paged_attention_ll4mi_QKV_mfma16_kernelIDF16_DF16_LN4vllm18Fp8KVCacheDataTypeE0EDF16_Li16ELi64ELi256ELb1ELi2EEvPKT_PKT0_S7_ifPKiS9_S9_iPKfiiiPfSC_PS2_PT2_iSB_SB_.has_indirect_call, or(0, .L__assert_fail.has_indirect_call)
	.section	.AMDGPU.csdata,"",@progbits
; Kernel info:
; codeLenInByte = 68
; TotalNumSgprs: 36
; NumVgprs: 51
; ScratchSize: 64
; MemoryBound: 0
; FloatMode: 240
; IeeeMode: 1
; LDSByteSize: 0 bytes/workgroup (compile time only)
; SGPRBlocks: 0
; VGPRBlocks: 3
; NumSGPRsForWavesPerEU: 36
; NumVGPRsForWavesPerEU: 51
; NamedBarCnt: 0
; Occupancy: 16
; WaveLimiterHint : 1
; COMPUTE_PGM_RSRC2:SCRATCH_EN: 1
; COMPUTE_PGM_RSRC2:USER_SGPR: 2
; COMPUTE_PGM_RSRC2:TRAP_HANDLER: 0
; COMPUTE_PGM_RSRC2:TGID_X_EN: 1
; COMPUTE_PGM_RSRC2:TGID_Y_EN: 0
; COMPUTE_PGM_RSRC2:TGID_Z_EN: 0
; COMPUTE_PGM_RSRC2:TIDIG_COMP_CNT: 0
	.section	.text._Z39paged_attention_ll4mi_QKV_mfma16_kernelIDF16_DF16_LN4vllm18Fp8KVCacheDataTypeE0EDF16_Li16ELi64ELi256ELb1ELi3EEvPKT_PKT0_S7_ifPKiS9_S9_iPKfiiiPfSC_PS2_PT2_iSB_SB_,"axG",@progbits,_Z39paged_attention_ll4mi_QKV_mfma16_kernelIDF16_DF16_LN4vllm18Fp8KVCacheDataTypeE0EDF16_Li16ELi64ELi256ELb1ELi3EEvPKT_PKT0_S7_ifPKiS9_S9_iPKfiiiPfSC_PS2_PT2_iSB_SB_,comdat
	.protected	_Z39paged_attention_ll4mi_QKV_mfma16_kernelIDF16_DF16_LN4vllm18Fp8KVCacheDataTypeE0EDF16_Li16ELi64ELi256ELb1ELi3EEvPKT_PKT0_S7_ifPKiS9_S9_iPKfiiiPfSC_PS2_PT2_iSB_SB_ ; -- Begin function _Z39paged_attention_ll4mi_QKV_mfma16_kernelIDF16_DF16_LN4vllm18Fp8KVCacheDataTypeE0EDF16_Li16ELi64ELi256ELb1ELi3EEvPKT_PKT0_S7_ifPKiS9_S9_iPKfiiiPfSC_PS2_PT2_iSB_SB_
	.globl	_Z39paged_attention_ll4mi_QKV_mfma16_kernelIDF16_DF16_LN4vllm18Fp8KVCacheDataTypeE0EDF16_Li16ELi64ELi256ELb1ELi3EEvPKT_PKT0_S7_ifPKiS9_S9_iPKfiiiPfSC_PS2_PT2_iSB_SB_
	.p2align	8
	.type	_Z39paged_attention_ll4mi_QKV_mfma16_kernelIDF16_DF16_LN4vllm18Fp8KVCacheDataTypeE0EDF16_Li16ELi64ELi256ELb1ELi3EEvPKT_PKT0_S7_ifPKiS9_S9_iPKfiiiPfSC_PS2_PT2_iSB_SB_,@function
_Z39paged_attention_ll4mi_QKV_mfma16_kernelIDF16_DF16_LN4vllm18Fp8KVCacheDataTypeE0EDF16_Li16ELi64ELi256ELb1ELi3EEvPKT_PKT0_S7_ifPKiS9_S9_iPKfiiiPfSC_PS2_PT2_iSB_SB_: ; @_Z39paged_attention_ll4mi_QKV_mfma16_kernelIDF16_DF16_LN4vllm18Fp8KVCacheDataTypeE0EDF16_Li16ELi64ELi256ELb1ELi3EEvPKT_PKT0_S7_ifPKiS9_S9_iPKfiiiPfSC_PS2_PT2_iSB_SB_
; %bb.0:
	s_get_pc_i64 s[2:3]
	s_add_nc_u64 s[2:3], s[2:3], __PRETTY_FUNCTION__._Z39paged_attention_ll4mi_QKV_mfma16_kernelIDF16_DF16_LN4vllm18Fp8KVCacheDataTypeE0EDF16_Li16ELi64ELi256ELb1ELi3EEvPKT_PKT0_S7_ifPKiS9_S9_iPKfiiiPfSC_PS2_PT2_iSB_SB_@rel64+4
	s_delay_alu instid0(SALU_CYCLE_1)
	v_dual_mov_b32 v0, 0xbb3 :: v_dual_mov_b32 v1, s2
	v_mov_b32_e32 v2, s3
	s_add_nc_u64 s[8:9], s[0:1], 0x90
	s_get_pc_i64 s[0:1]
	s_add_nc_u64 s[0:1], s[0:1], __assert_fail@rel64+4
	s_mov_b32 s32, 0
	s_swap_pc_i64 s[30:31], s[0:1]
	.section	.rodata,"a",@progbits
	.p2align	6, 0x0
	.amdhsa_kernel _Z39paged_attention_ll4mi_QKV_mfma16_kernelIDF16_DF16_LN4vllm18Fp8KVCacheDataTypeE0EDF16_Li16ELi64ELi256ELb1ELi3EEvPKT_PKT0_S7_ifPKiS9_S9_iPKfiiiPfSC_PS2_PT2_iSB_SB_
		.amdhsa_group_segment_fixed_size 0
		.amdhsa_private_segment_fixed_size 64
		.amdhsa_kernarg_size 400
		.amdhsa_user_sgpr_count 2
		.amdhsa_user_sgpr_dispatch_ptr 0
		.amdhsa_user_sgpr_queue_ptr 0
		.amdhsa_user_sgpr_kernarg_segment_ptr 1
		.amdhsa_user_sgpr_dispatch_id 0
		.amdhsa_user_sgpr_kernarg_preload_length 0
		.amdhsa_user_sgpr_kernarg_preload_offset 0
		.amdhsa_user_sgpr_private_segment_size 0
		.amdhsa_wavefront_size32 1
		.amdhsa_uses_dynamic_stack 0
		.amdhsa_enable_private_segment 1
		.amdhsa_system_sgpr_workgroup_id_x 1
		.amdhsa_system_sgpr_workgroup_id_y 0
		.amdhsa_system_sgpr_workgroup_id_z 0
		.amdhsa_system_sgpr_workgroup_info 0
		.amdhsa_system_vgpr_workitem_id 0
		.amdhsa_next_free_vgpr 51
		.amdhsa_next_free_sgpr 34
		.amdhsa_named_barrier_count 0
		.amdhsa_reserve_vcc 1
		.amdhsa_float_round_mode_32 0
		.amdhsa_float_round_mode_16_64 0
		.amdhsa_float_denorm_mode_32 3
		.amdhsa_float_denorm_mode_16_64 3
		.amdhsa_fp16_overflow 0
		.amdhsa_memory_ordered 1
		.amdhsa_forward_progress 1
		.amdhsa_inst_pref_size 1
		.amdhsa_round_robin_scheduling 0
		.amdhsa_exception_fp_ieee_invalid_op 0
		.amdhsa_exception_fp_denorm_src 0
		.amdhsa_exception_fp_ieee_div_zero 0
		.amdhsa_exception_fp_ieee_overflow 0
		.amdhsa_exception_fp_ieee_underflow 0
		.amdhsa_exception_fp_ieee_inexact 0
		.amdhsa_exception_int_div_zero 0
	.end_amdhsa_kernel
	.section	.text._Z39paged_attention_ll4mi_QKV_mfma16_kernelIDF16_DF16_LN4vllm18Fp8KVCacheDataTypeE0EDF16_Li16ELi64ELi256ELb1ELi3EEvPKT_PKT0_S7_ifPKiS9_S9_iPKfiiiPfSC_PS2_PT2_iSB_SB_,"axG",@progbits,_Z39paged_attention_ll4mi_QKV_mfma16_kernelIDF16_DF16_LN4vllm18Fp8KVCacheDataTypeE0EDF16_Li16ELi64ELi256ELb1ELi3EEvPKT_PKT0_S7_ifPKiS9_S9_iPKfiiiPfSC_PS2_PT2_iSB_SB_,comdat
.Lfunc_end84:
	.size	_Z39paged_attention_ll4mi_QKV_mfma16_kernelIDF16_DF16_LN4vllm18Fp8KVCacheDataTypeE0EDF16_Li16ELi64ELi256ELb1ELi3EEvPKT_PKT0_S7_ifPKiS9_S9_iPKfiiiPfSC_PS2_PT2_iSB_SB_, .Lfunc_end84-_Z39paged_attention_ll4mi_QKV_mfma16_kernelIDF16_DF16_LN4vllm18Fp8KVCacheDataTypeE0EDF16_Li16ELi64ELi256ELb1ELi3EEvPKT_PKT0_S7_ifPKiS9_S9_iPKfiiiPfSC_PS2_PT2_iSB_SB_
                                        ; -- End function
	.set _Z39paged_attention_ll4mi_QKV_mfma16_kernelIDF16_DF16_LN4vllm18Fp8KVCacheDataTypeE0EDF16_Li16ELi64ELi256ELb1ELi3EEvPKT_PKT0_S7_ifPKiS9_S9_iPKfiiiPfSC_PS2_PT2_iSB_SB_.num_vgpr, max(3, .L__assert_fail.num_vgpr)
	.set _Z39paged_attention_ll4mi_QKV_mfma16_kernelIDF16_DF16_LN4vllm18Fp8KVCacheDataTypeE0EDF16_Li16ELi64ELi256ELb1ELi3EEvPKT_PKT0_S7_ifPKiS9_S9_iPKfiiiPfSC_PS2_PT2_iSB_SB_.num_agpr, max(0, .L__assert_fail.num_agpr)
	.set _Z39paged_attention_ll4mi_QKV_mfma16_kernelIDF16_DF16_LN4vllm18Fp8KVCacheDataTypeE0EDF16_Li16ELi64ELi256ELb1ELi3EEvPKT_PKT0_S7_ifPKiS9_S9_iPKfiiiPfSC_PS2_PT2_iSB_SB_.numbered_sgpr, max(33, .L__assert_fail.numbered_sgpr)
	.set _Z39paged_attention_ll4mi_QKV_mfma16_kernelIDF16_DF16_LN4vllm18Fp8KVCacheDataTypeE0EDF16_Li16ELi64ELi256ELb1ELi3EEvPKT_PKT0_S7_ifPKiS9_S9_iPKfiiiPfSC_PS2_PT2_iSB_SB_.num_named_barrier, max(0, .L__assert_fail.num_named_barrier)
	.set _Z39paged_attention_ll4mi_QKV_mfma16_kernelIDF16_DF16_LN4vllm18Fp8KVCacheDataTypeE0EDF16_Li16ELi64ELi256ELb1ELi3EEvPKT_PKT0_S7_ifPKiS9_S9_iPKfiiiPfSC_PS2_PT2_iSB_SB_.private_seg_size, 0+max(.L__assert_fail.private_seg_size)
	.set _Z39paged_attention_ll4mi_QKV_mfma16_kernelIDF16_DF16_LN4vllm18Fp8KVCacheDataTypeE0EDF16_Li16ELi64ELi256ELb1ELi3EEvPKT_PKT0_S7_ifPKiS9_S9_iPKfiiiPfSC_PS2_PT2_iSB_SB_.uses_vcc, or(1, .L__assert_fail.uses_vcc)
	.set _Z39paged_attention_ll4mi_QKV_mfma16_kernelIDF16_DF16_LN4vllm18Fp8KVCacheDataTypeE0EDF16_Li16ELi64ELi256ELb1ELi3EEvPKT_PKT0_S7_ifPKiS9_S9_iPKfiiiPfSC_PS2_PT2_iSB_SB_.uses_flat_scratch, or(0, .L__assert_fail.uses_flat_scratch)
	.set _Z39paged_attention_ll4mi_QKV_mfma16_kernelIDF16_DF16_LN4vllm18Fp8KVCacheDataTypeE0EDF16_Li16ELi64ELi256ELb1ELi3EEvPKT_PKT0_S7_ifPKiS9_S9_iPKfiiiPfSC_PS2_PT2_iSB_SB_.has_dyn_sized_stack, or(0, .L__assert_fail.has_dyn_sized_stack)
	.set _Z39paged_attention_ll4mi_QKV_mfma16_kernelIDF16_DF16_LN4vllm18Fp8KVCacheDataTypeE0EDF16_Li16ELi64ELi256ELb1ELi3EEvPKT_PKT0_S7_ifPKiS9_S9_iPKfiiiPfSC_PS2_PT2_iSB_SB_.has_recursion, or(0, .L__assert_fail.has_recursion)
	.set _Z39paged_attention_ll4mi_QKV_mfma16_kernelIDF16_DF16_LN4vllm18Fp8KVCacheDataTypeE0EDF16_Li16ELi64ELi256ELb1ELi3EEvPKT_PKT0_S7_ifPKiS9_S9_iPKfiiiPfSC_PS2_PT2_iSB_SB_.has_indirect_call, or(0, .L__assert_fail.has_indirect_call)
	.section	.AMDGPU.csdata,"",@progbits
; Kernel info:
; codeLenInByte = 68
; TotalNumSgprs: 36
; NumVgprs: 51
; ScratchSize: 64
; MemoryBound: 0
; FloatMode: 240
; IeeeMode: 1
; LDSByteSize: 0 bytes/workgroup (compile time only)
; SGPRBlocks: 0
; VGPRBlocks: 3
; NumSGPRsForWavesPerEU: 36
; NumVGPRsForWavesPerEU: 51
; NamedBarCnt: 0
; Occupancy: 16
; WaveLimiterHint : 1
; COMPUTE_PGM_RSRC2:SCRATCH_EN: 1
; COMPUTE_PGM_RSRC2:USER_SGPR: 2
; COMPUTE_PGM_RSRC2:TRAP_HANDLER: 0
; COMPUTE_PGM_RSRC2:TGID_X_EN: 1
; COMPUTE_PGM_RSRC2:TGID_Y_EN: 0
; COMPUTE_PGM_RSRC2:TGID_Z_EN: 0
; COMPUTE_PGM_RSRC2:TIDIG_COMP_CNT: 0
	.section	.text._Z39paged_attention_ll4mi_QKV_mfma16_kernelIDF16_DF16_LN4vllm18Fp8KVCacheDataTypeE0EDF16_Li16ELi64ELi256ELb1ELi4EEvPKT_PKT0_S7_ifPKiS9_S9_iPKfiiiPfSC_PS2_PT2_iSB_SB_,"axG",@progbits,_Z39paged_attention_ll4mi_QKV_mfma16_kernelIDF16_DF16_LN4vllm18Fp8KVCacheDataTypeE0EDF16_Li16ELi64ELi256ELb1ELi4EEvPKT_PKT0_S7_ifPKiS9_S9_iPKfiiiPfSC_PS2_PT2_iSB_SB_,comdat
	.protected	_Z39paged_attention_ll4mi_QKV_mfma16_kernelIDF16_DF16_LN4vllm18Fp8KVCacheDataTypeE0EDF16_Li16ELi64ELi256ELb1ELi4EEvPKT_PKT0_S7_ifPKiS9_S9_iPKfiiiPfSC_PS2_PT2_iSB_SB_ ; -- Begin function _Z39paged_attention_ll4mi_QKV_mfma16_kernelIDF16_DF16_LN4vllm18Fp8KVCacheDataTypeE0EDF16_Li16ELi64ELi256ELb1ELi4EEvPKT_PKT0_S7_ifPKiS9_S9_iPKfiiiPfSC_PS2_PT2_iSB_SB_
	.globl	_Z39paged_attention_ll4mi_QKV_mfma16_kernelIDF16_DF16_LN4vllm18Fp8KVCacheDataTypeE0EDF16_Li16ELi64ELi256ELb1ELi4EEvPKT_PKT0_S7_ifPKiS9_S9_iPKfiiiPfSC_PS2_PT2_iSB_SB_
	.p2align	8
	.type	_Z39paged_attention_ll4mi_QKV_mfma16_kernelIDF16_DF16_LN4vllm18Fp8KVCacheDataTypeE0EDF16_Li16ELi64ELi256ELb1ELi4EEvPKT_PKT0_S7_ifPKiS9_S9_iPKfiiiPfSC_PS2_PT2_iSB_SB_,@function
_Z39paged_attention_ll4mi_QKV_mfma16_kernelIDF16_DF16_LN4vllm18Fp8KVCacheDataTypeE0EDF16_Li16ELi64ELi256ELb1ELi4EEvPKT_PKT0_S7_ifPKiS9_S9_iPKfiiiPfSC_PS2_PT2_iSB_SB_: ; @_Z39paged_attention_ll4mi_QKV_mfma16_kernelIDF16_DF16_LN4vllm18Fp8KVCacheDataTypeE0EDF16_Li16ELi64ELi256ELb1ELi4EEvPKT_PKT0_S7_ifPKiS9_S9_iPKfiiiPfSC_PS2_PT2_iSB_SB_
; %bb.0:
	s_get_pc_i64 s[2:3]
	s_add_nc_u64 s[2:3], s[2:3], __PRETTY_FUNCTION__._Z39paged_attention_ll4mi_QKV_mfma16_kernelIDF16_DF16_LN4vllm18Fp8KVCacheDataTypeE0EDF16_Li16ELi64ELi256ELb1ELi4EEvPKT_PKT0_S7_ifPKiS9_S9_iPKfiiiPfSC_PS2_PT2_iSB_SB_@rel64+4
	s_delay_alu instid0(SALU_CYCLE_1)
	v_dual_mov_b32 v0, 0xbb3 :: v_dual_mov_b32 v1, s2
	v_mov_b32_e32 v2, s3
	s_add_nc_u64 s[8:9], s[0:1], 0x90
	s_get_pc_i64 s[0:1]
	s_add_nc_u64 s[0:1], s[0:1], __assert_fail@rel64+4
	s_mov_b32 s32, 0
	s_swap_pc_i64 s[30:31], s[0:1]
	.section	.rodata,"a",@progbits
	.p2align	6, 0x0
	.amdhsa_kernel _Z39paged_attention_ll4mi_QKV_mfma16_kernelIDF16_DF16_LN4vllm18Fp8KVCacheDataTypeE0EDF16_Li16ELi64ELi256ELb1ELi4EEvPKT_PKT0_S7_ifPKiS9_S9_iPKfiiiPfSC_PS2_PT2_iSB_SB_
		.amdhsa_group_segment_fixed_size 0
		.amdhsa_private_segment_fixed_size 64
		.amdhsa_kernarg_size 400
		.amdhsa_user_sgpr_count 2
		.amdhsa_user_sgpr_dispatch_ptr 0
		.amdhsa_user_sgpr_queue_ptr 0
		.amdhsa_user_sgpr_kernarg_segment_ptr 1
		.amdhsa_user_sgpr_dispatch_id 0
		.amdhsa_user_sgpr_kernarg_preload_length 0
		.amdhsa_user_sgpr_kernarg_preload_offset 0
		.amdhsa_user_sgpr_private_segment_size 0
		.amdhsa_wavefront_size32 1
		.amdhsa_uses_dynamic_stack 0
		.amdhsa_enable_private_segment 1
		.amdhsa_system_sgpr_workgroup_id_x 1
		.amdhsa_system_sgpr_workgroup_id_y 0
		.amdhsa_system_sgpr_workgroup_id_z 0
		.amdhsa_system_sgpr_workgroup_info 0
		.amdhsa_system_vgpr_workitem_id 0
		.amdhsa_next_free_vgpr 51
		.amdhsa_next_free_sgpr 34
		.amdhsa_named_barrier_count 0
		.amdhsa_reserve_vcc 1
		.amdhsa_float_round_mode_32 0
		.amdhsa_float_round_mode_16_64 0
		.amdhsa_float_denorm_mode_32 3
		.amdhsa_float_denorm_mode_16_64 3
		.amdhsa_fp16_overflow 0
		.amdhsa_memory_ordered 1
		.amdhsa_forward_progress 1
		.amdhsa_inst_pref_size 1
		.amdhsa_round_robin_scheduling 0
		.amdhsa_exception_fp_ieee_invalid_op 0
		.amdhsa_exception_fp_denorm_src 0
		.amdhsa_exception_fp_ieee_div_zero 0
		.amdhsa_exception_fp_ieee_overflow 0
		.amdhsa_exception_fp_ieee_underflow 0
		.amdhsa_exception_fp_ieee_inexact 0
		.amdhsa_exception_int_div_zero 0
	.end_amdhsa_kernel
	.section	.text._Z39paged_attention_ll4mi_QKV_mfma16_kernelIDF16_DF16_LN4vllm18Fp8KVCacheDataTypeE0EDF16_Li16ELi64ELi256ELb1ELi4EEvPKT_PKT0_S7_ifPKiS9_S9_iPKfiiiPfSC_PS2_PT2_iSB_SB_,"axG",@progbits,_Z39paged_attention_ll4mi_QKV_mfma16_kernelIDF16_DF16_LN4vllm18Fp8KVCacheDataTypeE0EDF16_Li16ELi64ELi256ELb1ELi4EEvPKT_PKT0_S7_ifPKiS9_S9_iPKfiiiPfSC_PS2_PT2_iSB_SB_,comdat
.Lfunc_end85:
	.size	_Z39paged_attention_ll4mi_QKV_mfma16_kernelIDF16_DF16_LN4vllm18Fp8KVCacheDataTypeE0EDF16_Li16ELi64ELi256ELb1ELi4EEvPKT_PKT0_S7_ifPKiS9_S9_iPKfiiiPfSC_PS2_PT2_iSB_SB_, .Lfunc_end85-_Z39paged_attention_ll4mi_QKV_mfma16_kernelIDF16_DF16_LN4vllm18Fp8KVCacheDataTypeE0EDF16_Li16ELi64ELi256ELb1ELi4EEvPKT_PKT0_S7_ifPKiS9_S9_iPKfiiiPfSC_PS2_PT2_iSB_SB_
                                        ; -- End function
	.set _Z39paged_attention_ll4mi_QKV_mfma16_kernelIDF16_DF16_LN4vllm18Fp8KVCacheDataTypeE0EDF16_Li16ELi64ELi256ELb1ELi4EEvPKT_PKT0_S7_ifPKiS9_S9_iPKfiiiPfSC_PS2_PT2_iSB_SB_.num_vgpr, max(3, .L__assert_fail.num_vgpr)
	.set _Z39paged_attention_ll4mi_QKV_mfma16_kernelIDF16_DF16_LN4vllm18Fp8KVCacheDataTypeE0EDF16_Li16ELi64ELi256ELb1ELi4EEvPKT_PKT0_S7_ifPKiS9_S9_iPKfiiiPfSC_PS2_PT2_iSB_SB_.num_agpr, max(0, .L__assert_fail.num_agpr)
	.set _Z39paged_attention_ll4mi_QKV_mfma16_kernelIDF16_DF16_LN4vllm18Fp8KVCacheDataTypeE0EDF16_Li16ELi64ELi256ELb1ELi4EEvPKT_PKT0_S7_ifPKiS9_S9_iPKfiiiPfSC_PS2_PT2_iSB_SB_.numbered_sgpr, max(33, .L__assert_fail.numbered_sgpr)
	.set _Z39paged_attention_ll4mi_QKV_mfma16_kernelIDF16_DF16_LN4vllm18Fp8KVCacheDataTypeE0EDF16_Li16ELi64ELi256ELb1ELi4EEvPKT_PKT0_S7_ifPKiS9_S9_iPKfiiiPfSC_PS2_PT2_iSB_SB_.num_named_barrier, max(0, .L__assert_fail.num_named_barrier)
	.set _Z39paged_attention_ll4mi_QKV_mfma16_kernelIDF16_DF16_LN4vllm18Fp8KVCacheDataTypeE0EDF16_Li16ELi64ELi256ELb1ELi4EEvPKT_PKT0_S7_ifPKiS9_S9_iPKfiiiPfSC_PS2_PT2_iSB_SB_.private_seg_size, 0+max(.L__assert_fail.private_seg_size)
	.set _Z39paged_attention_ll4mi_QKV_mfma16_kernelIDF16_DF16_LN4vllm18Fp8KVCacheDataTypeE0EDF16_Li16ELi64ELi256ELb1ELi4EEvPKT_PKT0_S7_ifPKiS9_S9_iPKfiiiPfSC_PS2_PT2_iSB_SB_.uses_vcc, or(1, .L__assert_fail.uses_vcc)
	.set _Z39paged_attention_ll4mi_QKV_mfma16_kernelIDF16_DF16_LN4vllm18Fp8KVCacheDataTypeE0EDF16_Li16ELi64ELi256ELb1ELi4EEvPKT_PKT0_S7_ifPKiS9_S9_iPKfiiiPfSC_PS2_PT2_iSB_SB_.uses_flat_scratch, or(0, .L__assert_fail.uses_flat_scratch)
	.set _Z39paged_attention_ll4mi_QKV_mfma16_kernelIDF16_DF16_LN4vllm18Fp8KVCacheDataTypeE0EDF16_Li16ELi64ELi256ELb1ELi4EEvPKT_PKT0_S7_ifPKiS9_S9_iPKfiiiPfSC_PS2_PT2_iSB_SB_.has_dyn_sized_stack, or(0, .L__assert_fail.has_dyn_sized_stack)
	.set _Z39paged_attention_ll4mi_QKV_mfma16_kernelIDF16_DF16_LN4vllm18Fp8KVCacheDataTypeE0EDF16_Li16ELi64ELi256ELb1ELi4EEvPKT_PKT0_S7_ifPKiS9_S9_iPKfiiiPfSC_PS2_PT2_iSB_SB_.has_recursion, or(0, .L__assert_fail.has_recursion)
	.set _Z39paged_attention_ll4mi_QKV_mfma16_kernelIDF16_DF16_LN4vllm18Fp8KVCacheDataTypeE0EDF16_Li16ELi64ELi256ELb1ELi4EEvPKT_PKT0_S7_ifPKiS9_S9_iPKfiiiPfSC_PS2_PT2_iSB_SB_.has_indirect_call, or(0, .L__assert_fail.has_indirect_call)
	.section	.AMDGPU.csdata,"",@progbits
; Kernel info:
; codeLenInByte = 68
; TotalNumSgprs: 36
; NumVgprs: 51
; ScratchSize: 64
; MemoryBound: 0
; FloatMode: 240
; IeeeMode: 1
; LDSByteSize: 0 bytes/workgroup (compile time only)
; SGPRBlocks: 0
; VGPRBlocks: 3
; NumSGPRsForWavesPerEU: 36
; NumVGPRsForWavesPerEU: 51
; NamedBarCnt: 0
; Occupancy: 16
; WaveLimiterHint : 1
; COMPUTE_PGM_RSRC2:SCRATCH_EN: 1
; COMPUTE_PGM_RSRC2:USER_SGPR: 2
; COMPUTE_PGM_RSRC2:TRAP_HANDLER: 0
; COMPUTE_PGM_RSRC2:TGID_X_EN: 1
; COMPUTE_PGM_RSRC2:TGID_Y_EN: 0
; COMPUTE_PGM_RSRC2:TGID_Z_EN: 0
; COMPUTE_PGM_RSRC2:TIDIG_COMP_CNT: 0
	.section	.text._Z35paged_attention_ll4mi_reduce_kernelIDF16_DF16_Li64ELi64ELi256ELi9EEvPT0_PKfS3_PKT_PKiS8_iS3_,"axG",@progbits,_Z35paged_attention_ll4mi_reduce_kernelIDF16_DF16_Li64ELi64ELi256ELi9EEvPT0_PKfS3_PKT_PKiS8_iS3_,comdat
	.protected	_Z35paged_attention_ll4mi_reduce_kernelIDF16_DF16_Li64ELi64ELi256ELi9EEvPT0_PKfS3_PKT_PKiS8_iS3_ ; -- Begin function _Z35paged_attention_ll4mi_reduce_kernelIDF16_DF16_Li64ELi64ELi256ELi9EEvPT0_PKfS3_PKT_PKiS8_iS3_
	.globl	_Z35paged_attention_ll4mi_reduce_kernelIDF16_DF16_Li64ELi64ELi256ELi9EEvPT0_PKfS3_PKT_PKiS8_iS3_
	.p2align	8
	.type	_Z35paged_attention_ll4mi_reduce_kernelIDF16_DF16_Li64ELi64ELi256ELi9EEvPT0_PKfS3_PKT_PKiS8_iS3_,@function
_Z35paged_attention_ll4mi_reduce_kernelIDF16_DF16_Li64ELi64ELi256ELi9EEvPT0_PKfS3_PKT_PKiS8_iS3_: ; @_Z35paged_attention_ll4mi_reduce_kernelIDF16_DF16_Li64ELi64ELi256ELi9EEvPT0_PKfS3_PKT_PKiS8_iS3_
; %bb.0:
	s_get_pc_i64 s[2:3]
	s_add_nc_u64 s[2:3], s[2:3], __PRETTY_FUNCTION__._Z35paged_attention_ll4mi_reduce_kernelIDF16_DF16_Li64ELi64ELi256ELi9EEvPT0_PKfS3_PKT_PKiS8_iS3_@rel64+4
	s_delay_alu instid0(SALU_CYCLE_1)
	v_dual_mov_b32 v0, 0xbdd :: v_dual_mov_b32 v1, s2
	v_mov_b32_e32 v2, s3
	s_add_nc_u64 s[8:9], s[0:1], 64
	s_get_pc_i64 s[0:1]
	s_add_nc_u64 s[0:1], s[0:1], __assert_fail@rel64+4
	s_mov_b32 s32, 0
	s_swap_pc_i64 s[30:31], s[0:1]
	.section	.rodata,"a",@progbits
	.p2align	6, 0x0
	.amdhsa_kernel _Z35paged_attention_ll4mi_reduce_kernelIDF16_DF16_Li64ELi64ELi256ELi9EEvPT0_PKfS3_PKT_PKiS8_iS3_
		.amdhsa_group_segment_fixed_size 0
		.amdhsa_private_segment_fixed_size 64
		.amdhsa_kernarg_size 320
		.amdhsa_user_sgpr_count 2
		.amdhsa_user_sgpr_dispatch_ptr 0
		.amdhsa_user_sgpr_queue_ptr 0
		.amdhsa_user_sgpr_kernarg_segment_ptr 1
		.amdhsa_user_sgpr_dispatch_id 0
		.amdhsa_user_sgpr_kernarg_preload_length 0
		.amdhsa_user_sgpr_kernarg_preload_offset 0
		.amdhsa_user_sgpr_private_segment_size 0
		.amdhsa_wavefront_size32 1
		.amdhsa_uses_dynamic_stack 0
		.amdhsa_enable_private_segment 1
		.amdhsa_system_sgpr_workgroup_id_x 1
		.amdhsa_system_sgpr_workgroup_id_y 0
		.amdhsa_system_sgpr_workgroup_id_z 0
		.amdhsa_system_sgpr_workgroup_info 0
		.amdhsa_system_vgpr_workitem_id 0
		.amdhsa_next_free_vgpr 51
		.amdhsa_next_free_sgpr 34
		.amdhsa_named_barrier_count 0
		.amdhsa_reserve_vcc 1
		.amdhsa_float_round_mode_32 0
		.amdhsa_float_round_mode_16_64 0
		.amdhsa_float_denorm_mode_32 3
		.amdhsa_float_denorm_mode_16_64 3
		.amdhsa_fp16_overflow 0
		.amdhsa_memory_ordered 1
		.amdhsa_forward_progress 1
		.amdhsa_inst_pref_size 1
		.amdhsa_round_robin_scheduling 0
		.amdhsa_exception_fp_ieee_invalid_op 0
		.amdhsa_exception_fp_denorm_src 0
		.amdhsa_exception_fp_ieee_div_zero 0
		.amdhsa_exception_fp_ieee_overflow 0
		.amdhsa_exception_fp_ieee_underflow 0
		.amdhsa_exception_fp_ieee_inexact 0
		.amdhsa_exception_int_div_zero 0
	.end_amdhsa_kernel
	.section	.text._Z35paged_attention_ll4mi_reduce_kernelIDF16_DF16_Li64ELi64ELi256ELi9EEvPT0_PKfS3_PKT_PKiS8_iS3_,"axG",@progbits,_Z35paged_attention_ll4mi_reduce_kernelIDF16_DF16_Li64ELi64ELi256ELi9EEvPT0_PKfS3_PKT_PKiS8_iS3_,comdat
.Lfunc_end86:
	.size	_Z35paged_attention_ll4mi_reduce_kernelIDF16_DF16_Li64ELi64ELi256ELi9EEvPT0_PKfS3_PKT_PKiS8_iS3_, .Lfunc_end86-_Z35paged_attention_ll4mi_reduce_kernelIDF16_DF16_Li64ELi64ELi256ELi9EEvPT0_PKfS3_PKT_PKiS8_iS3_
                                        ; -- End function
	.set _Z35paged_attention_ll4mi_reduce_kernelIDF16_DF16_Li64ELi64ELi256ELi9EEvPT0_PKfS3_PKT_PKiS8_iS3_.num_vgpr, max(3, .L__assert_fail.num_vgpr)
	.set _Z35paged_attention_ll4mi_reduce_kernelIDF16_DF16_Li64ELi64ELi256ELi9EEvPT0_PKfS3_PKT_PKiS8_iS3_.num_agpr, max(0, .L__assert_fail.num_agpr)
	.set _Z35paged_attention_ll4mi_reduce_kernelIDF16_DF16_Li64ELi64ELi256ELi9EEvPT0_PKfS3_PKT_PKiS8_iS3_.numbered_sgpr, max(33, .L__assert_fail.numbered_sgpr)
	.set _Z35paged_attention_ll4mi_reduce_kernelIDF16_DF16_Li64ELi64ELi256ELi9EEvPT0_PKfS3_PKT_PKiS8_iS3_.num_named_barrier, max(0, .L__assert_fail.num_named_barrier)
	.set _Z35paged_attention_ll4mi_reduce_kernelIDF16_DF16_Li64ELi64ELi256ELi9EEvPT0_PKfS3_PKT_PKiS8_iS3_.private_seg_size, 0+max(.L__assert_fail.private_seg_size)
	.set _Z35paged_attention_ll4mi_reduce_kernelIDF16_DF16_Li64ELi64ELi256ELi9EEvPT0_PKfS3_PKT_PKiS8_iS3_.uses_vcc, or(1, .L__assert_fail.uses_vcc)
	.set _Z35paged_attention_ll4mi_reduce_kernelIDF16_DF16_Li64ELi64ELi256ELi9EEvPT0_PKfS3_PKT_PKiS8_iS3_.uses_flat_scratch, or(0, .L__assert_fail.uses_flat_scratch)
	.set _Z35paged_attention_ll4mi_reduce_kernelIDF16_DF16_Li64ELi64ELi256ELi9EEvPT0_PKfS3_PKT_PKiS8_iS3_.has_dyn_sized_stack, or(0, .L__assert_fail.has_dyn_sized_stack)
	.set _Z35paged_attention_ll4mi_reduce_kernelIDF16_DF16_Li64ELi64ELi256ELi9EEvPT0_PKfS3_PKT_PKiS8_iS3_.has_recursion, or(0, .L__assert_fail.has_recursion)
	.set _Z35paged_attention_ll4mi_reduce_kernelIDF16_DF16_Li64ELi64ELi256ELi9EEvPT0_PKfS3_PKT_PKiS8_iS3_.has_indirect_call, or(0, .L__assert_fail.has_indirect_call)
	.section	.AMDGPU.csdata,"",@progbits
; Kernel info:
; codeLenInByte = 64
; TotalNumSgprs: 36
; NumVgprs: 51
; ScratchSize: 64
; MemoryBound: 0
; FloatMode: 240
; IeeeMode: 1
; LDSByteSize: 0 bytes/workgroup (compile time only)
; SGPRBlocks: 0
; VGPRBlocks: 3
; NumSGPRsForWavesPerEU: 36
; NumVGPRsForWavesPerEU: 51
; NamedBarCnt: 0
; Occupancy: 16
; WaveLimiterHint : 1
; COMPUTE_PGM_RSRC2:SCRATCH_EN: 1
; COMPUTE_PGM_RSRC2:USER_SGPR: 2
; COMPUTE_PGM_RSRC2:TRAP_HANDLER: 0
; COMPUTE_PGM_RSRC2:TGID_X_EN: 1
; COMPUTE_PGM_RSRC2:TGID_Y_EN: 0
; COMPUTE_PGM_RSRC2:TGID_Z_EN: 0
; COMPUTE_PGM_RSRC2:TIDIG_COMP_CNT: 0
	.section	.text._Z35paged_attention_ll4mi_reduce_kernelIDF16_DF16_Li64ELi64ELi256ELi10EEvPT0_PKfS3_PKT_PKiS8_iS3_,"axG",@progbits,_Z35paged_attention_ll4mi_reduce_kernelIDF16_DF16_Li64ELi64ELi256ELi10EEvPT0_PKfS3_PKT_PKiS8_iS3_,comdat
	.protected	_Z35paged_attention_ll4mi_reduce_kernelIDF16_DF16_Li64ELi64ELi256ELi10EEvPT0_PKfS3_PKT_PKiS8_iS3_ ; -- Begin function _Z35paged_attention_ll4mi_reduce_kernelIDF16_DF16_Li64ELi64ELi256ELi10EEvPT0_PKfS3_PKT_PKiS8_iS3_
	.globl	_Z35paged_attention_ll4mi_reduce_kernelIDF16_DF16_Li64ELi64ELi256ELi10EEvPT0_PKfS3_PKT_PKiS8_iS3_
	.p2align	8
	.type	_Z35paged_attention_ll4mi_reduce_kernelIDF16_DF16_Li64ELi64ELi256ELi10EEvPT0_PKfS3_PKT_PKiS8_iS3_,@function
_Z35paged_attention_ll4mi_reduce_kernelIDF16_DF16_Li64ELi64ELi256ELi10EEvPT0_PKfS3_PKT_PKiS8_iS3_: ; @_Z35paged_attention_ll4mi_reduce_kernelIDF16_DF16_Li64ELi64ELi256ELi10EEvPT0_PKfS3_PKT_PKiS8_iS3_
; %bb.0:
	s_get_pc_i64 s[2:3]
	s_add_nc_u64 s[2:3], s[2:3], __PRETTY_FUNCTION__._Z35paged_attention_ll4mi_reduce_kernelIDF16_DF16_Li64ELi64ELi256ELi10EEvPT0_PKfS3_PKT_PKiS8_iS3_@rel64+4
	s_delay_alu instid0(SALU_CYCLE_1)
	v_dual_mov_b32 v0, 0xbdd :: v_dual_mov_b32 v1, s2
	v_mov_b32_e32 v2, s3
	s_add_nc_u64 s[8:9], s[0:1], 64
	s_get_pc_i64 s[0:1]
	s_add_nc_u64 s[0:1], s[0:1], __assert_fail@rel64+4
	s_mov_b32 s32, 0
	s_swap_pc_i64 s[30:31], s[0:1]
	.section	.rodata,"a",@progbits
	.p2align	6, 0x0
	.amdhsa_kernel _Z35paged_attention_ll4mi_reduce_kernelIDF16_DF16_Li64ELi64ELi256ELi10EEvPT0_PKfS3_PKT_PKiS8_iS3_
		.amdhsa_group_segment_fixed_size 0
		.amdhsa_private_segment_fixed_size 64
		.amdhsa_kernarg_size 320
		.amdhsa_user_sgpr_count 2
		.amdhsa_user_sgpr_dispatch_ptr 0
		.amdhsa_user_sgpr_queue_ptr 0
		.amdhsa_user_sgpr_kernarg_segment_ptr 1
		.amdhsa_user_sgpr_dispatch_id 0
		.amdhsa_user_sgpr_kernarg_preload_length 0
		.amdhsa_user_sgpr_kernarg_preload_offset 0
		.amdhsa_user_sgpr_private_segment_size 0
		.amdhsa_wavefront_size32 1
		.amdhsa_uses_dynamic_stack 0
		.amdhsa_enable_private_segment 1
		.amdhsa_system_sgpr_workgroup_id_x 1
		.amdhsa_system_sgpr_workgroup_id_y 0
		.amdhsa_system_sgpr_workgroup_id_z 0
		.amdhsa_system_sgpr_workgroup_info 0
		.amdhsa_system_vgpr_workitem_id 0
		.amdhsa_next_free_vgpr 51
		.amdhsa_next_free_sgpr 34
		.amdhsa_named_barrier_count 0
		.amdhsa_reserve_vcc 1
		.amdhsa_float_round_mode_32 0
		.amdhsa_float_round_mode_16_64 0
		.amdhsa_float_denorm_mode_32 3
		.amdhsa_float_denorm_mode_16_64 3
		.amdhsa_fp16_overflow 0
		.amdhsa_memory_ordered 1
		.amdhsa_forward_progress 1
		.amdhsa_inst_pref_size 1
		.amdhsa_round_robin_scheduling 0
		.amdhsa_exception_fp_ieee_invalid_op 0
		.amdhsa_exception_fp_denorm_src 0
		.amdhsa_exception_fp_ieee_div_zero 0
		.amdhsa_exception_fp_ieee_overflow 0
		.amdhsa_exception_fp_ieee_underflow 0
		.amdhsa_exception_fp_ieee_inexact 0
		.amdhsa_exception_int_div_zero 0
	.end_amdhsa_kernel
	.section	.text._Z35paged_attention_ll4mi_reduce_kernelIDF16_DF16_Li64ELi64ELi256ELi10EEvPT0_PKfS3_PKT_PKiS8_iS3_,"axG",@progbits,_Z35paged_attention_ll4mi_reduce_kernelIDF16_DF16_Li64ELi64ELi256ELi10EEvPT0_PKfS3_PKT_PKiS8_iS3_,comdat
.Lfunc_end87:
	.size	_Z35paged_attention_ll4mi_reduce_kernelIDF16_DF16_Li64ELi64ELi256ELi10EEvPT0_PKfS3_PKT_PKiS8_iS3_, .Lfunc_end87-_Z35paged_attention_ll4mi_reduce_kernelIDF16_DF16_Li64ELi64ELi256ELi10EEvPT0_PKfS3_PKT_PKiS8_iS3_
                                        ; -- End function
	.set _Z35paged_attention_ll4mi_reduce_kernelIDF16_DF16_Li64ELi64ELi256ELi10EEvPT0_PKfS3_PKT_PKiS8_iS3_.num_vgpr, max(3, .L__assert_fail.num_vgpr)
	.set _Z35paged_attention_ll4mi_reduce_kernelIDF16_DF16_Li64ELi64ELi256ELi10EEvPT0_PKfS3_PKT_PKiS8_iS3_.num_agpr, max(0, .L__assert_fail.num_agpr)
	.set _Z35paged_attention_ll4mi_reduce_kernelIDF16_DF16_Li64ELi64ELi256ELi10EEvPT0_PKfS3_PKT_PKiS8_iS3_.numbered_sgpr, max(33, .L__assert_fail.numbered_sgpr)
	.set _Z35paged_attention_ll4mi_reduce_kernelIDF16_DF16_Li64ELi64ELi256ELi10EEvPT0_PKfS3_PKT_PKiS8_iS3_.num_named_barrier, max(0, .L__assert_fail.num_named_barrier)
	.set _Z35paged_attention_ll4mi_reduce_kernelIDF16_DF16_Li64ELi64ELi256ELi10EEvPT0_PKfS3_PKT_PKiS8_iS3_.private_seg_size, 0+max(.L__assert_fail.private_seg_size)
	.set _Z35paged_attention_ll4mi_reduce_kernelIDF16_DF16_Li64ELi64ELi256ELi10EEvPT0_PKfS3_PKT_PKiS8_iS3_.uses_vcc, or(1, .L__assert_fail.uses_vcc)
	.set _Z35paged_attention_ll4mi_reduce_kernelIDF16_DF16_Li64ELi64ELi256ELi10EEvPT0_PKfS3_PKT_PKiS8_iS3_.uses_flat_scratch, or(0, .L__assert_fail.uses_flat_scratch)
	.set _Z35paged_attention_ll4mi_reduce_kernelIDF16_DF16_Li64ELi64ELi256ELi10EEvPT0_PKfS3_PKT_PKiS8_iS3_.has_dyn_sized_stack, or(0, .L__assert_fail.has_dyn_sized_stack)
	.set _Z35paged_attention_ll4mi_reduce_kernelIDF16_DF16_Li64ELi64ELi256ELi10EEvPT0_PKfS3_PKT_PKiS8_iS3_.has_recursion, or(0, .L__assert_fail.has_recursion)
	.set _Z35paged_attention_ll4mi_reduce_kernelIDF16_DF16_Li64ELi64ELi256ELi10EEvPT0_PKfS3_PKT_PKiS8_iS3_.has_indirect_call, or(0, .L__assert_fail.has_indirect_call)
	.section	.AMDGPU.csdata,"",@progbits
; Kernel info:
; codeLenInByte = 64
; TotalNumSgprs: 36
; NumVgprs: 51
; ScratchSize: 64
; MemoryBound: 0
; FloatMode: 240
; IeeeMode: 1
; LDSByteSize: 0 bytes/workgroup (compile time only)
; SGPRBlocks: 0
; VGPRBlocks: 3
; NumSGPRsForWavesPerEU: 36
; NumVGPRsForWavesPerEU: 51
; NamedBarCnt: 0
; Occupancy: 16
; WaveLimiterHint : 1
; COMPUTE_PGM_RSRC2:SCRATCH_EN: 1
; COMPUTE_PGM_RSRC2:USER_SGPR: 2
; COMPUTE_PGM_RSRC2:TRAP_HANDLER: 0
; COMPUTE_PGM_RSRC2:TGID_X_EN: 1
; COMPUTE_PGM_RSRC2:TGID_Y_EN: 0
; COMPUTE_PGM_RSRC2:TGID_Z_EN: 0
; COMPUTE_PGM_RSRC2:TIDIG_COMP_CNT: 0
	.section	.text._Z35paged_attention_ll4mi_reduce_kernelIDF16_DF16_Li64ELi64ELi256ELi11EEvPT0_PKfS3_PKT_PKiS8_iS3_,"axG",@progbits,_Z35paged_attention_ll4mi_reduce_kernelIDF16_DF16_Li64ELi64ELi256ELi11EEvPT0_PKfS3_PKT_PKiS8_iS3_,comdat
	.protected	_Z35paged_attention_ll4mi_reduce_kernelIDF16_DF16_Li64ELi64ELi256ELi11EEvPT0_PKfS3_PKT_PKiS8_iS3_ ; -- Begin function _Z35paged_attention_ll4mi_reduce_kernelIDF16_DF16_Li64ELi64ELi256ELi11EEvPT0_PKfS3_PKT_PKiS8_iS3_
	.globl	_Z35paged_attention_ll4mi_reduce_kernelIDF16_DF16_Li64ELi64ELi256ELi11EEvPT0_PKfS3_PKT_PKiS8_iS3_
	.p2align	8
	.type	_Z35paged_attention_ll4mi_reduce_kernelIDF16_DF16_Li64ELi64ELi256ELi11EEvPT0_PKfS3_PKT_PKiS8_iS3_,@function
_Z35paged_attention_ll4mi_reduce_kernelIDF16_DF16_Li64ELi64ELi256ELi11EEvPT0_PKfS3_PKT_PKiS8_iS3_: ; @_Z35paged_attention_ll4mi_reduce_kernelIDF16_DF16_Li64ELi64ELi256ELi11EEvPT0_PKfS3_PKT_PKiS8_iS3_
; %bb.0:
	s_get_pc_i64 s[2:3]
	s_add_nc_u64 s[2:3], s[2:3], __PRETTY_FUNCTION__._Z35paged_attention_ll4mi_reduce_kernelIDF16_DF16_Li64ELi64ELi256ELi11EEvPT0_PKfS3_PKT_PKiS8_iS3_@rel64+4
	s_delay_alu instid0(SALU_CYCLE_1)
	v_dual_mov_b32 v0, 0xbdd :: v_dual_mov_b32 v1, s2
	v_mov_b32_e32 v2, s3
	s_add_nc_u64 s[8:9], s[0:1], 64
	s_get_pc_i64 s[0:1]
	s_add_nc_u64 s[0:1], s[0:1], __assert_fail@rel64+4
	s_mov_b32 s32, 0
	s_swap_pc_i64 s[30:31], s[0:1]
	.section	.rodata,"a",@progbits
	.p2align	6, 0x0
	.amdhsa_kernel _Z35paged_attention_ll4mi_reduce_kernelIDF16_DF16_Li64ELi64ELi256ELi11EEvPT0_PKfS3_PKT_PKiS8_iS3_
		.amdhsa_group_segment_fixed_size 0
		.amdhsa_private_segment_fixed_size 64
		.amdhsa_kernarg_size 320
		.amdhsa_user_sgpr_count 2
		.amdhsa_user_sgpr_dispatch_ptr 0
		.amdhsa_user_sgpr_queue_ptr 0
		.amdhsa_user_sgpr_kernarg_segment_ptr 1
		.amdhsa_user_sgpr_dispatch_id 0
		.amdhsa_user_sgpr_kernarg_preload_length 0
		.amdhsa_user_sgpr_kernarg_preload_offset 0
		.amdhsa_user_sgpr_private_segment_size 0
		.amdhsa_wavefront_size32 1
		.amdhsa_uses_dynamic_stack 0
		.amdhsa_enable_private_segment 1
		.amdhsa_system_sgpr_workgroup_id_x 1
		.amdhsa_system_sgpr_workgroup_id_y 0
		.amdhsa_system_sgpr_workgroup_id_z 0
		.amdhsa_system_sgpr_workgroup_info 0
		.amdhsa_system_vgpr_workitem_id 0
		.amdhsa_next_free_vgpr 51
		.amdhsa_next_free_sgpr 34
		.amdhsa_named_barrier_count 0
		.amdhsa_reserve_vcc 1
		.amdhsa_float_round_mode_32 0
		.amdhsa_float_round_mode_16_64 0
		.amdhsa_float_denorm_mode_32 3
		.amdhsa_float_denorm_mode_16_64 3
		.amdhsa_fp16_overflow 0
		.amdhsa_memory_ordered 1
		.amdhsa_forward_progress 1
		.amdhsa_inst_pref_size 1
		.amdhsa_round_robin_scheduling 0
		.amdhsa_exception_fp_ieee_invalid_op 0
		.amdhsa_exception_fp_denorm_src 0
		.amdhsa_exception_fp_ieee_div_zero 0
		.amdhsa_exception_fp_ieee_overflow 0
		.amdhsa_exception_fp_ieee_underflow 0
		.amdhsa_exception_fp_ieee_inexact 0
		.amdhsa_exception_int_div_zero 0
	.end_amdhsa_kernel
	.section	.text._Z35paged_attention_ll4mi_reduce_kernelIDF16_DF16_Li64ELi64ELi256ELi11EEvPT0_PKfS3_PKT_PKiS8_iS3_,"axG",@progbits,_Z35paged_attention_ll4mi_reduce_kernelIDF16_DF16_Li64ELi64ELi256ELi11EEvPT0_PKfS3_PKT_PKiS8_iS3_,comdat
.Lfunc_end88:
	.size	_Z35paged_attention_ll4mi_reduce_kernelIDF16_DF16_Li64ELi64ELi256ELi11EEvPT0_PKfS3_PKT_PKiS8_iS3_, .Lfunc_end88-_Z35paged_attention_ll4mi_reduce_kernelIDF16_DF16_Li64ELi64ELi256ELi11EEvPT0_PKfS3_PKT_PKiS8_iS3_
                                        ; -- End function
	.set _Z35paged_attention_ll4mi_reduce_kernelIDF16_DF16_Li64ELi64ELi256ELi11EEvPT0_PKfS3_PKT_PKiS8_iS3_.num_vgpr, max(3, .L__assert_fail.num_vgpr)
	.set _Z35paged_attention_ll4mi_reduce_kernelIDF16_DF16_Li64ELi64ELi256ELi11EEvPT0_PKfS3_PKT_PKiS8_iS3_.num_agpr, max(0, .L__assert_fail.num_agpr)
	.set _Z35paged_attention_ll4mi_reduce_kernelIDF16_DF16_Li64ELi64ELi256ELi11EEvPT0_PKfS3_PKT_PKiS8_iS3_.numbered_sgpr, max(33, .L__assert_fail.numbered_sgpr)
	.set _Z35paged_attention_ll4mi_reduce_kernelIDF16_DF16_Li64ELi64ELi256ELi11EEvPT0_PKfS3_PKT_PKiS8_iS3_.num_named_barrier, max(0, .L__assert_fail.num_named_barrier)
	.set _Z35paged_attention_ll4mi_reduce_kernelIDF16_DF16_Li64ELi64ELi256ELi11EEvPT0_PKfS3_PKT_PKiS8_iS3_.private_seg_size, 0+max(.L__assert_fail.private_seg_size)
	.set _Z35paged_attention_ll4mi_reduce_kernelIDF16_DF16_Li64ELi64ELi256ELi11EEvPT0_PKfS3_PKT_PKiS8_iS3_.uses_vcc, or(1, .L__assert_fail.uses_vcc)
	.set _Z35paged_attention_ll4mi_reduce_kernelIDF16_DF16_Li64ELi64ELi256ELi11EEvPT0_PKfS3_PKT_PKiS8_iS3_.uses_flat_scratch, or(0, .L__assert_fail.uses_flat_scratch)
	.set _Z35paged_attention_ll4mi_reduce_kernelIDF16_DF16_Li64ELi64ELi256ELi11EEvPT0_PKfS3_PKT_PKiS8_iS3_.has_dyn_sized_stack, or(0, .L__assert_fail.has_dyn_sized_stack)
	.set _Z35paged_attention_ll4mi_reduce_kernelIDF16_DF16_Li64ELi64ELi256ELi11EEvPT0_PKfS3_PKT_PKiS8_iS3_.has_recursion, or(0, .L__assert_fail.has_recursion)
	.set _Z35paged_attention_ll4mi_reduce_kernelIDF16_DF16_Li64ELi64ELi256ELi11EEvPT0_PKfS3_PKT_PKiS8_iS3_.has_indirect_call, or(0, .L__assert_fail.has_indirect_call)
	.section	.AMDGPU.csdata,"",@progbits
; Kernel info:
; codeLenInByte = 64
; TotalNumSgprs: 36
; NumVgprs: 51
; ScratchSize: 64
; MemoryBound: 0
; FloatMode: 240
; IeeeMode: 1
; LDSByteSize: 0 bytes/workgroup (compile time only)
; SGPRBlocks: 0
; VGPRBlocks: 3
; NumSGPRsForWavesPerEU: 36
; NumVGPRsForWavesPerEU: 51
; NamedBarCnt: 0
; Occupancy: 16
; WaveLimiterHint : 1
; COMPUTE_PGM_RSRC2:SCRATCH_EN: 1
; COMPUTE_PGM_RSRC2:USER_SGPR: 2
; COMPUTE_PGM_RSRC2:TRAP_HANDLER: 0
; COMPUTE_PGM_RSRC2:TGID_X_EN: 1
; COMPUTE_PGM_RSRC2:TGID_Y_EN: 0
; COMPUTE_PGM_RSRC2:TGID_Z_EN: 0
; COMPUTE_PGM_RSRC2:TIDIG_COMP_CNT: 0
	.section	.text._Z35paged_attention_ll4mi_reduce_kernelIDF16_DF16_Li64ELi64ELi256ELi12EEvPT0_PKfS3_PKT_PKiS8_iS3_,"axG",@progbits,_Z35paged_attention_ll4mi_reduce_kernelIDF16_DF16_Li64ELi64ELi256ELi12EEvPT0_PKfS3_PKT_PKiS8_iS3_,comdat
	.protected	_Z35paged_attention_ll4mi_reduce_kernelIDF16_DF16_Li64ELi64ELi256ELi12EEvPT0_PKfS3_PKT_PKiS8_iS3_ ; -- Begin function _Z35paged_attention_ll4mi_reduce_kernelIDF16_DF16_Li64ELi64ELi256ELi12EEvPT0_PKfS3_PKT_PKiS8_iS3_
	.globl	_Z35paged_attention_ll4mi_reduce_kernelIDF16_DF16_Li64ELi64ELi256ELi12EEvPT0_PKfS3_PKT_PKiS8_iS3_
	.p2align	8
	.type	_Z35paged_attention_ll4mi_reduce_kernelIDF16_DF16_Li64ELi64ELi256ELi12EEvPT0_PKfS3_PKT_PKiS8_iS3_,@function
_Z35paged_attention_ll4mi_reduce_kernelIDF16_DF16_Li64ELi64ELi256ELi12EEvPT0_PKfS3_PKT_PKiS8_iS3_: ; @_Z35paged_attention_ll4mi_reduce_kernelIDF16_DF16_Li64ELi64ELi256ELi12EEvPT0_PKfS3_PKT_PKiS8_iS3_
; %bb.0:
	s_get_pc_i64 s[2:3]
	s_add_nc_u64 s[2:3], s[2:3], __PRETTY_FUNCTION__._Z35paged_attention_ll4mi_reduce_kernelIDF16_DF16_Li64ELi64ELi256ELi12EEvPT0_PKfS3_PKT_PKiS8_iS3_@rel64+4
	s_delay_alu instid0(SALU_CYCLE_1)
	v_dual_mov_b32 v0, 0xbdd :: v_dual_mov_b32 v1, s2
	v_mov_b32_e32 v2, s3
	s_add_nc_u64 s[8:9], s[0:1], 64
	s_get_pc_i64 s[0:1]
	s_add_nc_u64 s[0:1], s[0:1], __assert_fail@rel64+4
	s_mov_b32 s32, 0
	s_swap_pc_i64 s[30:31], s[0:1]
	.section	.rodata,"a",@progbits
	.p2align	6, 0x0
	.amdhsa_kernel _Z35paged_attention_ll4mi_reduce_kernelIDF16_DF16_Li64ELi64ELi256ELi12EEvPT0_PKfS3_PKT_PKiS8_iS3_
		.amdhsa_group_segment_fixed_size 0
		.amdhsa_private_segment_fixed_size 64
		.amdhsa_kernarg_size 320
		.amdhsa_user_sgpr_count 2
		.amdhsa_user_sgpr_dispatch_ptr 0
		.amdhsa_user_sgpr_queue_ptr 0
		.amdhsa_user_sgpr_kernarg_segment_ptr 1
		.amdhsa_user_sgpr_dispatch_id 0
		.amdhsa_user_sgpr_kernarg_preload_length 0
		.amdhsa_user_sgpr_kernarg_preload_offset 0
		.amdhsa_user_sgpr_private_segment_size 0
		.amdhsa_wavefront_size32 1
		.amdhsa_uses_dynamic_stack 0
		.amdhsa_enable_private_segment 1
		.amdhsa_system_sgpr_workgroup_id_x 1
		.amdhsa_system_sgpr_workgroup_id_y 0
		.amdhsa_system_sgpr_workgroup_id_z 0
		.amdhsa_system_sgpr_workgroup_info 0
		.amdhsa_system_vgpr_workitem_id 0
		.amdhsa_next_free_vgpr 51
		.amdhsa_next_free_sgpr 34
		.amdhsa_named_barrier_count 0
		.amdhsa_reserve_vcc 1
		.amdhsa_float_round_mode_32 0
		.amdhsa_float_round_mode_16_64 0
		.amdhsa_float_denorm_mode_32 3
		.amdhsa_float_denorm_mode_16_64 3
		.amdhsa_fp16_overflow 0
		.amdhsa_memory_ordered 1
		.amdhsa_forward_progress 1
		.amdhsa_inst_pref_size 1
		.amdhsa_round_robin_scheduling 0
		.amdhsa_exception_fp_ieee_invalid_op 0
		.amdhsa_exception_fp_denorm_src 0
		.amdhsa_exception_fp_ieee_div_zero 0
		.amdhsa_exception_fp_ieee_overflow 0
		.amdhsa_exception_fp_ieee_underflow 0
		.amdhsa_exception_fp_ieee_inexact 0
		.amdhsa_exception_int_div_zero 0
	.end_amdhsa_kernel
	.section	.text._Z35paged_attention_ll4mi_reduce_kernelIDF16_DF16_Li64ELi64ELi256ELi12EEvPT0_PKfS3_PKT_PKiS8_iS3_,"axG",@progbits,_Z35paged_attention_ll4mi_reduce_kernelIDF16_DF16_Li64ELi64ELi256ELi12EEvPT0_PKfS3_PKT_PKiS8_iS3_,comdat
.Lfunc_end89:
	.size	_Z35paged_attention_ll4mi_reduce_kernelIDF16_DF16_Li64ELi64ELi256ELi12EEvPT0_PKfS3_PKT_PKiS8_iS3_, .Lfunc_end89-_Z35paged_attention_ll4mi_reduce_kernelIDF16_DF16_Li64ELi64ELi256ELi12EEvPT0_PKfS3_PKT_PKiS8_iS3_
                                        ; -- End function
	.set _Z35paged_attention_ll4mi_reduce_kernelIDF16_DF16_Li64ELi64ELi256ELi12EEvPT0_PKfS3_PKT_PKiS8_iS3_.num_vgpr, max(3, .L__assert_fail.num_vgpr)
	.set _Z35paged_attention_ll4mi_reduce_kernelIDF16_DF16_Li64ELi64ELi256ELi12EEvPT0_PKfS3_PKT_PKiS8_iS3_.num_agpr, max(0, .L__assert_fail.num_agpr)
	.set _Z35paged_attention_ll4mi_reduce_kernelIDF16_DF16_Li64ELi64ELi256ELi12EEvPT0_PKfS3_PKT_PKiS8_iS3_.numbered_sgpr, max(33, .L__assert_fail.numbered_sgpr)
	.set _Z35paged_attention_ll4mi_reduce_kernelIDF16_DF16_Li64ELi64ELi256ELi12EEvPT0_PKfS3_PKT_PKiS8_iS3_.num_named_barrier, max(0, .L__assert_fail.num_named_barrier)
	.set _Z35paged_attention_ll4mi_reduce_kernelIDF16_DF16_Li64ELi64ELi256ELi12EEvPT0_PKfS3_PKT_PKiS8_iS3_.private_seg_size, 0+max(.L__assert_fail.private_seg_size)
	.set _Z35paged_attention_ll4mi_reduce_kernelIDF16_DF16_Li64ELi64ELi256ELi12EEvPT0_PKfS3_PKT_PKiS8_iS3_.uses_vcc, or(1, .L__assert_fail.uses_vcc)
	.set _Z35paged_attention_ll4mi_reduce_kernelIDF16_DF16_Li64ELi64ELi256ELi12EEvPT0_PKfS3_PKT_PKiS8_iS3_.uses_flat_scratch, or(0, .L__assert_fail.uses_flat_scratch)
	.set _Z35paged_attention_ll4mi_reduce_kernelIDF16_DF16_Li64ELi64ELi256ELi12EEvPT0_PKfS3_PKT_PKiS8_iS3_.has_dyn_sized_stack, or(0, .L__assert_fail.has_dyn_sized_stack)
	.set _Z35paged_attention_ll4mi_reduce_kernelIDF16_DF16_Li64ELi64ELi256ELi12EEvPT0_PKfS3_PKT_PKiS8_iS3_.has_recursion, or(0, .L__assert_fail.has_recursion)
	.set _Z35paged_attention_ll4mi_reduce_kernelIDF16_DF16_Li64ELi64ELi256ELi12EEvPT0_PKfS3_PKT_PKiS8_iS3_.has_indirect_call, or(0, .L__assert_fail.has_indirect_call)
	.section	.AMDGPU.csdata,"",@progbits
; Kernel info:
; codeLenInByte = 64
; TotalNumSgprs: 36
; NumVgprs: 51
; ScratchSize: 64
; MemoryBound: 0
; FloatMode: 240
; IeeeMode: 1
; LDSByteSize: 0 bytes/workgroup (compile time only)
; SGPRBlocks: 0
; VGPRBlocks: 3
; NumSGPRsForWavesPerEU: 36
; NumVGPRsForWavesPerEU: 51
; NamedBarCnt: 0
; Occupancy: 16
; WaveLimiterHint : 1
; COMPUTE_PGM_RSRC2:SCRATCH_EN: 1
; COMPUTE_PGM_RSRC2:USER_SGPR: 2
; COMPUTE_PGM_RSRC2:TRAP_HANDLER: 0
; COMPUTE_PGM_RSRC2:TGID_X_EN: 1
; COMPUTE_PGM_RSRC2:TGID_Y_EN: 0
; COMPUTE_PGM_RSRC2:TGID_Z_EN: 0
; COMPUTE_PGM_RSRC2:TIDIG_COMP_CNT: 0
	.section	.text._Z35paged_attention_ll4mi_reduce_kernelIDF16_DF16_Li64ELi64ELi256ELi13EEvPT0_PKfS3_PKT_PKiS8_iS3_,"axG",@progbits,_Z35paged_attention_ll4mi_reduce_kernelIDF16_DF16_Li64ELi64ELi256ELi13EEvPT0_PKfS3_PKT_PKiS8_iS3_,comdat
	.protected	_Z35paged_attention_ll4mi_reduce_kernelIDF16_DF16_Li64ELi64ELi256ELi13EEvPT0_PKfS3_PKT_PKiS8_iS3_ ; -- Begin function _Z35paged_attention_ll4mi_reduce_kernelIDF16_DF16_Li64ELi64ELi256ELi13EEvPT0_PKfS3_PKT_PKiS8_iS3_
	.globl	_Z35paged_attention_ll4mi_reduce_kernelIDF16_DF16_Li64ELi64ELi256ELi13EEvPT0_PKfS3_PKT_PKiS8_iS3_
	.p2align	8
	.type	_Z35paged_attention_ll4mi_reduce_kernelIDF16_DF16_Li64ELi64ELi256ELi13EEvPT0_PKfS3_PKT_PKiS8_iS3_,@function
_Z35paged_attention_ll4mi_reduce_kernelIDF16_DF16_Li64ELi64ELi256ELi13EEvPT0_PKfS3_PKT_PKiS8_iS3_: ; @_Z35paged_attention_ll4mi_reduce_kernelIDF16_DF16_Li64ELi64ELi256ELi13EEvPT0_PKfS3_PKT_PKiS8_iS3_
; %bb.0:
	s_get_pc_i64 s[2:3]
	s_add_nc_u64 s[2:3], s[2:3], __PRETTY_FUNCTION__._Z35paged_attention_ll4mi_reduce_kernelIDF16_DF16_Li64ELi64ELi256ELi13EEvPT0_PKfS3_PKT_PKiS8_iS3_@rel64+4
	s_delay_alu instid0(SALU_CYCLE_1)
	v_dual_mov_b32 v0, 0xbdd :: v_dual_mov_b32 v1, s2
	v_mov_b32_e32 v2, s3
	s_add_nc_u64 s[8:9], s[0:1], 64
	s_get_pc_i64 s[0:1]
	s_add_nc_u64 s[0:1], s[0:1], __assert_fail@rel64+4
	s_mov_b32 s32, 0
	s_swap_pc_i64 s[30:31], s[0:1]
	.section	.rodata,"a",@progbits
	.p2align	6, 0x0
	.amdhsa_kernel _Z35paged_attention_ll4mi_reduce_kernelIDF16_DF16_Li64ELi64ELi256ELi13EEvPT0_PKfS3_PKT_PKiS8_iS3_
		.amdhsa_group_segment_fixed_size 0
		.amdhsa_private_segment_fixed_size 64
		.amdhsa_kernarg_size 320
		.amdhsa_user_sgpr_count 2
		.amdhsa_user_sgpr_dispatch_ptr 0
		.amdhsa_user_sgpr_queue_ptr 0
		.amdhsa_user_sgpr_kernarg_segment_ptr 1
		.amdhsa_user_sgpr_dispatch_id 0
		.amdhsa_user_sgpr_kernarg_preload_length 0
		.amdhsa_user_sgpr_kernarg_preload_offset 0
		.amdhsa_user_sgpr_private_segment_size 0
		.amdhsa_wavefront_size32 1
		.amdhsa_uses_dynamic_stack 0
		.amdhsa_enable_private_segment 1
		.amdhsa_system_sgpr_workgroup_id_x 1
		.amdhsa_system_sgpr_workgroup_id_y 0
		.amdhsa_system_sgpr_workgroup_id_z 0
		.amdhsa_system_sgpr_workgroup_info 0
		.amdhsa_system_vgpr_workitem_id 0
		.amdhsa_next_free_vgpr 51
		.amdhsa_next_free_sgpr 34
		.amdhsa_named_barrier_count 0
		.amdhsa_reserve_vcc 1
		.amdhsa_float_round_mode_32 0
		.amdhsa_float_round_mode_16_64 0
		.amdhsa_float_denorm_mode_32 3
		.amdhsa_float_denorm_mode_16_64 3
		.amdhsa_fp16_overflow 0
		.amdhsa_memory_ordered 1
		.amdhsa_forward_progress 1
		.amdhsa_inst_pref_size 1
		.amdhsa_round_robin_scheduling 0
		.amdhsa_exception_fp_ieee_invalid_op 0
		.amdhsa_exception_fp_denorm_src 0
		.amdhsa_exception_fp_ieee_div_zero 0
		.amdhsa_exception_fp_ieee_overflow 0
		.amdhsa_exception_fp_ieee_underflow 0
		.amdhsa_exception_fp_ieee_inexact 0
		.amdhsa_exception_int_div_zero 0
	.end_amdhsa_kernel
	.section	.text._Z35paged_attention_ll4mi_reduce_kernelIDF16_DF16_Li64ELi64ELi256ELi13EEvPT0_PKfS3_PKT_PKiS8_iS3_,"axG",@progbits,_Z35paged_attention_ll4mi_reduce_kernelIDF16_DF16_Li64ELi64ELi256ELi13EEvPT0_PKfS3_PKT_PKiS8_iS3_,comdat
.Lfunc_end90:
	.size	_Z35paged_attention_ll4mi_reduce_kernelIDF16_DF16_Li64ELi64ELi256ELi13EEvPT0_PKfS3_PKT_PKiS8_iS3_, .Lfunc_end90-_Z35paged_attention_ll4mi_reduce_kernelIDF16_DF16_Li64ELi64ELi256ELi13EEvPT0_PKfS3_PKT_PKiS8_iS3_
                                        ; -- End function
	.set _Z35paged_attention_ll4mi_reduce_kernelIDF16_DF16_Li64ELi64ELi256ELi13EEvPT0_PKfS3_PKT_PKiS8_iS3_.num_vgpr, max(3, .L__assert_fail.num_vgpr)
	.set _Z35paged_attention_ll4mi_reduce_kernelIDF16_DF16_Li64ELi64ELi256ELi13EEvPT0_PKfS3_PKT_PKiS8_iS3_.num_agpr, max(0, .L__assert_fail.num_agpr)
	.set _Z35paged_attention_ll4mi_reduce_kernelIDF16_DF16_Li64ELi64ELi256ELi13EEvPT0_PKfS3_PKT_PKiS8_iS3_.numbered_sgpr, max(33, .L__assert_fail.numbered_sgpr)
	.set _Z35paged_attention_ll4mi_reduce_kernelIDF16_DF16_Li64ELi64ELi256ELi13EEvPT0_PKfS3_PKT_PKiS8_iS3_.num_named_barrier, max(0, .L__assert_fail.num_named_barrier)
	.set _Z35paged_attention_ll4mi_reduce_kernelIDF16_DF16_Li64ELi64ELi256ELi13EEvPT0_PKfS3_PKT_PKiS8_iS3_.private_seg_size, 0+max(.L__assert_fail.private_seg_size)
	.set _Z35paged_attention_ll4mi_reduce_kernelIDF16_DF16_Li64ELi64ELi256ELi13EEvPT0_PKfS3_PKT_PKiS8_iS3_.uses_vcc, or(1, .L__assert_fail.uses_vcc)
	.set _Z35paged_attention_ll4mi_reduce_kernelIDF16_DF16_Li64ELi64ELi256ELi13EEvPT0_PKfS3_PKT_PKiS8_iS3_.uses_flat_scratch, or(0, .L__assert_fail.uses_flat_scratch)
	.set _Z35paged_attention_ll4mi_reduce_kernelIDF16_DF16_Li64ELi64ELi256ELi13EEvPT0_PKfS3_PKT_PKiS8_iS3_.has_dyn_sized_stack, or(0, .L__assert_fail.has_dyn_sized_stack)
	.set _Z35paged_attention_ll4mi_reduce_kernelIDF16_DF16_Li64ELi64ELi256ELi13EEvPT0_PKfS3_PKT_PKiS8_iS3_.has_recursion, or(0, .L__assert_fail.has_recursion)
	.set _Z35paged_attention_ll4mi_reduce_kernelIDF16_DF16_Li64ELi64ELi256ELi13EEvPT0_PKfS3_PKT_PKiS8_iS3_.has_indirect_call, or(0, .L__assert_fail.has_indirect_call)
	.section	.AMDGPU.csdata,"",@progbits
; Kernel info:
; codeLenInByte = 64
; TotalNumSgprs: 36
; NumVgprs: 51
; ScratchSize: 64
; MemoryBound: 0
; FloatMode: 240
; IeeeMode: 1
; LDSByteSize: 0 bytes/workgroup (compile time only)
; SGPRBlocks: 0
; VGPRBlocks: 3
; NumSGPRsForWavesPerEU: 36
; NumVGPRsForWavesPerEU: 51
; NamedBarCnt: 0
; Occupancy: 16
; WaveLimiterHint : 1
; COMPUTE_PGM_RSRC2:SCRATCH_EN: 1
; COMPUTE_PGM_RSRC2:USER_SGPR: 2
; COMPUTE_PGM_RSRC2:TRAP_HANDLER: 0
; COMPUTE_PGM_RSRC2:TGID_X_EN: 1
; COMPUTE_PGM_RSRC2:TGID_Y_EN: 0
; COMPUTE_PGM_RSRC2:TGID_Z_EN: 0
; COMPUTE_PGM_RSRC2:TIDIG_COMP_CNT: 0
	.section	.text._Z35paged_attention_ll4mi_reduce_kernelIDF16_DF16_Li64ELi64ELi256ELi14EEvPT0_PKfS3_PKT_PKiS8_iS3_,"axG",@progbits,_Z35paged_attention_ll4mi_reduce_kernelIDF16_DF16_Li64ELi64ELi256ELi14EEvPT0_PKfS3_PKT_PKiS8_iS3_,comdat
	.protected	_Z35paged_attention_ll4mi_reduce_kernelIDF16_DF16_Li64ELi64ELi256ELi14EEvPT0_PKfS3_PKT_PKiS8_iS3_ ; -- Begin function _Z35paged_attention_ll4mi_reduce_kernelIDF16_DF16_Li64ELi64ELi256ELi14EEvPT0_PKfS3_PKT_PKiS8_iS3_
	.globl	_Z35paged_attention_ll4mi_reduce_kernelIDF16_DF16_Li64ELi64ELi256ELi14EEvPT0_PKfS3_PKT_PKiS8_iS3_
	.p2align	8
	.type	_Z35paged_attention_ll4mi_reduce_kernelIDF16_DF16_Li64ELi64ELi256ELi14EEvPT0_PKfS3_PKT_PKiS8_iS3_,@function
_Z35paged_attention_ll4mi_reduce_kernelIDF16_DF16_Li64ELi64ELi256ELi14EEvPT0_PKfS3_PKT_PKiS8_iS3_: ; @_Z35paged_attention_ll4mi_reduce_kernelIDF16_DF16_Li64ELi64ELi256ELi14EEvPT0_PKfS3_PKT_PKiS8_iS3_
; %bb.0:
	s_get_pc_i64 s[2:3]
	s_add_nc_u64 s[2:3], s[2:3], __PRETTY_FUNCTION__._Z35paged_attention_ll4mi_reduce_kernelIDF16_DF16_Li64ELi64ELi256ELi14EEvPT0_PKfS3_PKT_PKiS8_iS3_@rel64+4
	s_delay_alu instid0(SALU_CYCLE_1)
	v_dual_mov_b32 v0, 0xbdd :: v_dual_mov_b32 v1, s2
	v_mov_b32_e32 v2, s3
	s_add_nc_u64 s[8:9], s[0:1], 64
	s_get_pc_i64 s[0:1]
	s_add_nc_u64 s[0:1], s[0:1], __assert_fail@rel64+4
	s_mov_b32 s32, 0
	s_swap_pc_i64 s[30:31], s[0:1]
	.section	.rodata,"a",@progbits
	.p2align	6, 0x0
	.amdhsa_kernel _Z35paged_attention_ll4mi_reduce_kernelIDF16_DF16_Li64ELi64ELi256ELi14EEvPT0_PKfS3_PKT_PKiS8_iS3_
		.amdhsa_group_segment_fixed_size 0
		.amdhsa_private_segment_fixed_size 64
		.amdhsa_kernarg_size 320
		.amdhsa_user_sgpr_count 2
		.amdhsa_user_sgpr_dispatch_ptr 0
		.amdhsa_user_sgpr_queue_ptr 0
		.amdhsa_user_sgpr_kernarg_segment_ptr 1
		.amdhsa_user_sgpr_dispatch_id 0
		.amdhsa_user_sgpr_kernarg_preload_length 0
		.amdhsa_user_sgpr_kernarg_preload_offset 0
		.amdhsa_user_sgpr_private_segment_size 0
		.amdhsa_wavefront_size32 1
		.amdhsa_uses_dynamic_stack 0
		.amdhsa_enable_private_segment 1
		.amdhsa_system_sgpr_workgroup_id_x 1
		.amdhsa_system_sgpr_workgroup_id_y 0
		.amdhsa_system_sgpr_workgroup_id_z 0
		.amdhsa_system_sgpr_workgroup_info 0
		.amdhsa_system_vgpr_workitem_id 0
		.amdhsa_next_free_vgpr 51
		.amdhsa_next_free_sgpr 34
		.amdhsa_named_barrier_count 0
		.amdhsa_reserve_vcc 1
		.amdhsa_float_round_mode_32 0
		.amdhsa_float_round_mode_16_64 0
		.amdhsa_float_denorm_mode_32 3
		.amdhsa_float_denorm_mode_16_64 3
		.amdhsa_fp16_overflow 0
		.amdhsa_memory_ordered 1
		.amdhsa_forward_progress 1
		.amdhsa_inst_pref_size 1
		.amdhsa_round_robin_scheduling 0
		.amdhsa_exception_fp_ieee_invalid_op 0
		.amdhsa_exception_fp_denorm_src 0
		.amdhsa_exception_fp_ieee_div_zero 0
		.amdhsa_exception_fp_ieee_overflow 0
		.amdhsa_exception_fp_ieee_underflow 0
		.amdhsa_exception_fp_ieee_inexact 0
		.amdhsa_exception_int_div_zero 0
	.end_amdhsa_kernel
	.section	.text._Z35paged_attention_ll4mi_reduce_kernelIDF16_DF16_Li64ELi64ELi256ELi14EEvPT0_PKfS3_PKT_PKiS8_iS3_,"axG",@progbits,_Z35paged_attention_ll4mi_reduce_kernelIDF16_DF16_Li64ELi64ELi256ELi14EEvPT0_PKfS3_PKT_PKiS8_iS3_,comdat
.Lfunc_end91:
	.size	_Z35paged_attention_ll4mi_reduce_kernelIDF16_DF16_Li64ELi64ELi256ELi14EEvPT0_PKfS3_PKT_PKiS8_iS3_, .Lfunc_end91-_Z35paged_attention_ll4mi_reduce_kernelIDF16_DF16_Li64ELi64ELi256ELi14EEvPT0_PKfS3_PKT_PKiS8_iS3_
                                        ; -- End function
	.set _Z35paged_attention_ll4mi_reduce_kernelIDF16_DF16_Li64ELi64ELi256ELi14EEvPT0_PKfS3_PKT_PKiS8_iS3_.num_vgpr, max(3, .L__assert_fail.num_vgpr)
	.set _Z35paged_attention_ll4mi_reduce_kernelIDF16_DF16_Li64ELi64ELi256ELi14EEvPT0_PKfS3_PKT_PKiS8_iS3_.num_agpr, max(0, .L__assert_fail.num_agpr)
	.set _Z35paged_attention_ll4mi_reduce_kernelIDF16_DF16_Li64ELi64ELi256ELi14EEvPT0_PKfS3_PKT_PKiS8_iS3_.numbered_sgpr, max(33, .L__assert_fail.numbered_sgpr)
	.set _Z35paged_attention_ll4mi_reduce_kernelIDF16_DF16_Li64ELi64ELi256ELi14EEvPT0_PKfS3_PKT_PKiS8_iS3_.num_named_barrier, max(0, .L__assert_fail.num_named_barrier)
	.set _Z35paged_attention_ll4mi_reduce_kernelIDF16_DF16_Li64ELi64ELi256ELi14EEvPT0_PKfS3_PKT_PKiS8_iS3_.private_seg_size, 0+max(.L__assert_fail.private_seg_size)
	.set _Z35paged_attention_ll4mi_reduce_kernelIDF16_DF16_Li64ELi64ELi256ELi14EEvPT0_PKfS3_PKT_PKiS8_iS3_.uses_vcc, or(1, .L__assert_fail.uses_vcc)
	.set _Z35paged_attention_ll4mi_reduce_kernelIDF16_DF16_Li64ELi64ELi256ELi14EEvPT0_PKfS3_PKT_PKiS8_iS3_.uses_flat_scratch, or(0, .L__assert_fail.uses_flat_scratch)
	.set _Z35paged_attention_ll4mi_reduce_kernelIDF16_DF16_Li64ELi64ELi256ELi14EEvPT0_PKfS3_PKT_PKiS8_iS3_.has_dyn_sized_stack, or(0, .L__assert_fail.has_dyn_sized_stack)
	.set _Z35paged_attention_ll4mi_reduce_kernelIDF16_DF16_Li64ELi64ELi256ELi14EEvPT0_PKfS3_PKT_PKiS8_iS3_.has_recursion, or(0, .L__assert_fail.has_recursion)
	.set _Z35paged_attention_ll4mi_reduce_kernelIDF16_DF16_Li64ELi64ELi256ELi14EEvPT0_PKfS3_PKT_PKiS8_iS3_.has_indirect_call, or(0, .L__assert_fail.has_indirect_call)
	.section	.AMDGPU.csdata,"",@progbits
; Kernel info:
; codeLenInByte = 64
; TotalNumSgprs: 36
; NumVgprs: 51
; ScratchSize: 64
; MemoryBound: 0
; FloatMode: 240
; IeeeMode: 1
; LDSByteSize: 0 bytes/workgroup (compile time only)
; SGPRBlocks: 0
; VGPRBlocks: 3
; NumSGPRsForWavesPerEU: 36
; NumVGPRsForWavesPerEU: 51
; NamedBarCnt: 0
; Occupancy: 16
; WaveLimiterHint : 1
; COMPUTE_PGM_RSRC2:SCRATCH_EN: 1
; COMPUTE_PGM_RSRC2:USER_SGPR: 2
; COMPUTE_PGM_RSRC2:TRAP_HANDLER: 0
; COMPUTE_PGM_RSRC2:TGID_X_EN: 1
; COMPUTE_PGM_RSRC2:TGID_Y_EN: 0
; COMPUTE_PGM_RSRC2:TGID_Z_EN: 0
; COMPUTE_PGM_RSRC2:TIDIG_COMP_CNT: 0
	.section	.text._Z35paged_attention_ll4mi_reduce_kernelIDF16_DF16_Li64ELi64ELi256ELi15EEvPT0_PKfS3_PKT_PKiS8_iS3_,"axG",@progbits,_Z35paged_attention_ll4mi_reduce_kernelIDF16_DF16_Li64ELi64ELi256ELi15EEvPT0_PKfS3_PKT_PKiS8_iS3_,comdat
	.protected	_Z35paged_attention_ll4mi_reduce_kernelIDF16_DF16_Li64ELi64ELi256ELi15EEvPT0_PKfS3_PKT_PKiS8_iS3_ ; -- Begin function _Z35paged_attention_ll4mi_reduce_kernelIDF16_DF16_Li64ELi64ELi256ELi15EEvPT0_PKfS3_PKT_PKiS8_iS3_
	.globl	_Z35paged_attention_ll4mi_reduce_kernelIDF16_DF16_Li64ELi64ELi256ELi15EEvPT0_PKfS3_PKT_PKiS8_iS3_
	.p2align	8
	.type	_Z35paged_attention_ll4mi_reduce_kernelIDF16_DF16_Li64ELi64ELi256ELi15EEvPT0_PKfS3_PKT_PKiS8_iS3_,@function
_Z35paged_attention_ll4mi_reduce_kernelIDF16_DF16_Li64ELi64ELi256ELi15EEvPT0_PKfS3_PKT_PKiS8_iS3_: ; @_Z35paged_attention_ll4mi_reduce_kernelIDF16_DF16_Li64ELi64ELi256ELi15EEvPT0_PKfS3_PKT_PKiS8_iS3_
; %bb.0:
	s_get_pc_i64 s[2:3]
	s_add_nc_u64 s[2:3], s[2:3], __PRETTY_FUNCTION__._Z35paged_attention_ll4mi_reduce_kernelIDF16_DF16_Li64ELi64ELi256ELi15EEvPT0_PKfS3_PKT_PKiS8_iS3_@rel64+4
	s_delay_alu instid0(SALU_CYCLE_1)
	v_dual_mov_b32 v0, 0xbdd :: v_dual_mov_b32 v1, s2
	v_mov_b32_e32 v2, s3
	s_add_nc_u64 s[8:9], s[0:1], 64
	s_get_pc_i64 s[0:1]
	s_add_nc_u64 s[0:1], s[0:1], __assert_fail@rel64+4
	s_mov_b32 s32, 0
	s_swap_pc_i64 s[30:31], s[0:1]
	.section	.rodata,"a",@progbits
	.p2align	6, 0x0
	.amdhsa_kernel _Z35paged_attention_ll4mi_reduce_kernelIDF16_DF16_Li64ELi64ELi256ELi15EEvPT0_PKfS3_PKT_PKiS8_iS3_
		.amdhsa_group_segment_fixed_size 0
		.amdhsa_private_segment_fixed_size 64
		.amdhsa_kernarg_size 320
		.amdhsa_user_sgpr_count 2
		.amdhsa_user_sgpr_dispatch_ptr 0
		.amdhsa_user_sgpr_queue_ptr 0
		.amdhsa_user_sgpr_kernarg_segment_ptr 1
		.amdhsa_user_sgpr_dispatch_id 0
		.amdhsa_user_sgpr_kernarg_preload_length 0
		.amdhsa_user_sgpr_kernarg_preload_offset 0
		.amdhsa_user_sgpr_private_segment_size 0
		.amdhsa_wavefront_size32 1
		.amdhsa_uses_dynamic_stack 0
		.amdhsa_enable_private_segment 1
		.amdhsa_system_sgpr_workgroup_id_x 1
		.amdhsa_system_sgpr_workgroup_id_y 0
		.amdhsa_system_sgpr_workgroup_id_z 0
		.amdhsa_system_sgpr_workgroup_info 0
		.amdhsa_system_vgpr_workitem_id 0
		.amdhsa_next_free_vgpr 51
		.amdhsa_next_free_sgpr 34
		.amdhsa_named_barrier_count 0
		.amdhsa_reserve_vcc 1
		.amdhsa_float_round_mode_32 0
		.amdhsa_float_round_mode_16_64 0
		.amdhsa_float_denorm_mode_32 3
		.amdhsa_float_denorm_mode_16_64 3
		.amdhsa_fp16_overflow 0
		.amdhsa_memory_ordered 1
		.amdhsa_forward_progress 1
		.amdhsa_inst_pref_size 1
		.amdhsa_round_robin_scheduling 0
		.amdhsa_exception_fp_ieee_invalid_op 0
		.amdhsa_exception_fp_denorm_src 0
		.amdhsa_exception_fp_ieee_div_zero 0
		.amdhsa_exception_fp_ieee_overflow 0
		.amdhsa_exception_fp_ieee_underflow 0
		.amdhsa_exception_fp_ieee_inexact 0
		.amdhsa_exception_int_div_zero 0
	.end_amdhsa_kernel
	.section	.text._Z35paged_attention_ll4mi_reduce_kernelIDF16_DF16_Li64ELi64ELi256ELi15EEvPT0_PKfS3_PKT_PKiS8_iS3_,"axG",@progbits,_Z35paged_attention_ll4mi_reduce_kernelIDF16_DF16_Li64ELi64ELi256ELi15EEvPT0_PKfS3_PKT_PKiS8_iS3_,comdat
.Lfunc_end92:
	.size	_Z35paged_attention_ll4mi_reduce_kernelIDF16_DF16_Li64ELi64ELi256ELi15EEvPT0_PKfS3_PKT_PKiS8_iS3_, .Lfunc_end92-_Z35paged_attention_ll4mi_reduce_kernelIDF16_DF16_Li64ELi64ELi256ELi15EEvPT0_PKfS3_PKT_PKiS8_iS3_
                                        ; -- End function
	.set _Z35paged_attention_ll4mi_reduce_kernelIDF16_DF16_Li64ELi64ELi256ELi15EEvPT0_PKfS3_PKT_PKiS8_iS3_.num_vgpr, max(3, .L__assert_fail.num_vgpr)
	.set _Z35paged_attention_ll4mi_reduce_kernelIDF16_DF16_Li64ELi64ELi256ELi15EEvPT0_PKfS3_PKT_PKiS8_iS3_.num_agpr, max(0, .L__assert_fail.num_agpr)
	.set _Z35paged_attention_ll4mi_reduce_kernelIDF16_DF16_Li64ELi64ELi256ELi15EEvPT0_PKfS3_PKT_PKiS8_iS3_.numbered_sgpr, max(33, .L__assert_fail.numbered_sgpr)
	.set _Z35paged_attention_ll4mi_reduce_kernelIDF16_DF16_Li64ELi64ELi256ELi15EEvPT0_PKfS3_PKT_PKiS8_iS3_.num_named_barrier, max(0, .L__assert_fail.num_named_barrier)
	.set _Z35paged_attention_ll4mi_reduce_kernelIDF16_DF16_Li64ELi64ELi256ELi15EEvPT0_PKfS3_PKT_PKiS8_iS3_.private_seg_size, 0+max(.L__assert_fail.private_seg_size)
	.set _Z35paged_attention_ll4mi_reduce_kernelIDF16_DF16_Li64ELi64ELi256ELi15EEvPT0_PKfS3_PKT_PKiS8_iS3_.uses_vcc, or(1, .L__assert_fail.uses_vcc)
	.set _Z35paged_attention_ll4mi_reduce_kernelIDF16_DF16_Li64ELi64ELi256ELi15EEvPT0_PKfS3_PKT_PKiS8_iS3_.uses_flat_scratch, or(0, .L__assert_fail.uses_flat_scratch)
	.set _Z35paged_attention_ll4mi_reduce_kernelIDF16_DF16_Li64ELi64ELi256ELi15EEvPT0_PKfS3_PKT_PKiS8_iS3_.has_dyn_sized_stack, or(0, .L__assert_fail.has_dyn_sized_stack)
	.set _Z35paged_attention_ll4mi_reduce_kernelIDF16_DF16_Li64ELi64ELi256ELi15EEvPT0_PKfS3_PKT_PKiS8_iS3_.has_recursion, or(0, .L__assert_fail.has_recursion)
	.set _Z35paged_attention_ll4mi_reduce_kernelIDF16_DF16_Li64ELi64ELi256ELi15EEvPT0_PKfS3_PKT_PKiS8_iS3_.has_indirect_call, or(0, .L__assert_fail.has_indirect_call)
	.section	.AMDGPU.csdata,"",@progbits
; Kernel info:
; codeLenInByte = 64
; TotalNumSgprs: 36
; NumVgprs: 51
; ScratchSize: 64
; MemoryBound: 0
; FloatMode: 240
; IeeeMode: 1
; LDSByteSize: 0 bytes/workgroup (compile time only)
; SGPRBlocks: 0
; VGPRBlocks: 3
; NumSGPRsForWavesPerEU: 36
; NumVGPRsForWavesPerEU: 51
; NamedBarCnt: 0
; Occupancy: 16
; WaveLimiterHint : 1
; COMPUTE_PGM_RSRC2:SCRATCH_EN: 1
; COMPUTE_PGM_RSRC2:USER_SGPR: 2
; COMPUTE_PGM_RSRC2:TRAP_HANDLER: 0
; COMPUTE_PGM_RSRC2:TGID_X_EN: 1
; COMPUTE_PGM_RSRC2:TGID_Y_EN: 0
; COMPUTE_PGM_RSRC2:TGID_Z_EN: 0
; COMPUTE_PGM_RSRC2:TIDIG_COMP_CNT: 0
	.section	.text._Z35paged_attention_ll4mi_reduce_kernelIDF16_DF16_Li64ELi64ELi256ELi16EEvPT0_PKfS3_PKT_PKiS8_iS3_,"axG",@progbits,_Z35paged_attention_ll4mi_reduce_kernelIDF16_DF16_Li64ELi64ELi256ELi16EEvPT0_PKfS3_PKT_PKiS8_iS3_,comdat
	.protected	_Z35paged_attention_ll4mi_reduce_kernelIDF16_DF16_Li64ELi64ELi256ELi16EEvPT0_PKfS3_PKT_PKiS8_iS3_ ; -- Begin function _Z35paged_attention_ll4mi_reduce_kernelIDF16_DF16_Li64ELi64ELi256ELi16EEvPT0_PKfS3_PKT_PKiS8_iS3_
	.globl	_Z35paged_attention_ll4mi_reduce_kernelIDF16_DF16_Li64ELi64ELi256ELi16EEvPT0_PKfS3_PKT_PKiS8_iS3_
	.p2align	8
	.type	_Z35paged_attention_ll4mi_reduce_kernelIDF16_DF16_Li64ELi64ELi256ELi16EEvPT0_PKfS3_PKT_PKiS8_iS3_,@function
_Z35paged_attention_ll4mi_reduce_kernelIDF16_DF16_Li64ELi64ELi256ELi16EEvPT0_PKfS3_PKT_PKiS8_iS3_: ; @_Z35paged_attention_ll4mi_reduce_kernelIDF16_DF16_Li64ELi64ELi256ELi16EEvPT0_PKfS3_PKT_PKiS8_iS3_
; %bb.0:
	s_get_pc_i64 s[2:3]
	s_add_nc_u64 s[2:3], s[2:3], __PRETTY_FUNCTION__._Z35paged_attention_ll4mi_reduce_kernelIDF16_DF16_Li64ELi64ELi256ELi16EEvPT0_PKfS3_PKT_PKiS8_iS3_@rel64+4
	s_delay_alu instid0(SALU_CYCLE_1)
	v_dual_mov_b32 v0, 0xbdd :: v_dual_mov_b32 v1, s2
	v_mov_b32_e32 v2, s3
	s_add_nc_u64 s[8:9], s[0:1], 64
	s_get_pc_i64 s[0:1]
	s_add_nc_u64 s[0:1], s[0:1], __assert_fail@rel64+4
	s_mov_b32 s32, 0
	s_swap_pc_i64 s[30:31], s[0:1]
	.section	.rodata,"a",@progbits
	.p2align	6, 0x0
	.amdhsa_kernel _Z35paged_attention_ll4mi_reduce_kernelIDF16_DF16_Li64ELi64ELi256ELi16EEvPT0_PKfS3_PKT_PKiS8_iS3_
		.amdhsa_group_segment_fixed_size 0
		.amdhsa_private_segment_fixed_size 64
		.amdhsa_kernarg_size 320
		.amdhsa_user_sgpr_count 2
		.amdhsa_user_sgpr_dispatch_ptr 0
		.amdhsa_user_sgpr_queue_ptr 0
		.amdhsa_user_sgpr_kernarg_segment_ptr 1
		.amdhsa_user_sgpr_dispatch_id 0
		.amdhsa_user_sgpr_kernarg_preload_length 0
		.amdhsa_user_sgpr_kernarg_preload_offset 0
		.amdhsa_user_sgpr_private_segment_size 0
		.amdhsa_wavefront_size32 1
		.amdhsa_uses_dynamic_stack 0
		.amdhsa_enable_private_segment 1
		.amdhsa_system_sgpr_workgroup_id_x 1
		.amdhsa_system_sgpr_workgroup_id_y 0
		.amdhsa_system_sgpr_workgroup_id_z 0
		.amdhsa_system_sgpr_workgroup_info 0
		.amdhsa_system_vgpr_workitem_id 0
		.amdhsa_next_free_vgpr 51
		.amdhsa_next_free_sgpr 34
		.amdhsa_named_barrier_count 0
		.amdhsa_reserve_vcc 1
		.amdhsa_float_round_mode_32 0
		.amdhsa_float_round_mode_16_64 0
		.amdhsa_float_denorm_mode_32 3
		.amdhsa_float_denorm_mode_16_64 3
		.amdhsa_fp16_overflow 0
		.amdhsa_memory_ordered 1
		.amdhsa_forward_progress 1
		.amdhsa_inst_pref_size 1
		.amdhsa_round_robin_scheduling 0
		.amdhsa_exception_fp_ieee_invalid_op 0
		.amdhsa_exception_fp_denorm_src 0
		.amdhsa_exception_fp_ieee_div_zero 0
		.amdhsa_exception_fp_ieee_overflow 0
		.amdhsa_exception_fp_ieee_underflow 0
		.amdhsa_exception_fp_ieee_inexact 0
		.amdhsa_exception_int_div_zero 0
	.end_amdhsa_kernel
	.section	.text._Z35paged_attention_ll4mi_reduce_kernelIDF16_DF16_Li64ELi64ELi256ELi16EEvPT0_PKfS3_PKT_PKiS8_iS3_,"axG",@progbits,_Z35paged_attention_ll4mi_reduce_kernelIDF16_DF16_Li64ELi64ELi256ELi16EEvPT0_PKfS3_PKT_PKiS8_iS3_,comdat
.Lfunc_end93:
	.size	_Z35paged_attention_ll4mi_reduce_kernelIDF16_DF16_Li64ELi64ELi256ELi16EEvPT0_PKfS3_PKT_PKiS8_iS3_, .Lfunc_end93-_Z35paged_attention_ll4mi_reduce_kernelIDF16_DF16_Li64ELi64ELi256ELi16EEvPT0_PKfS3_PKT_PKiS8_iS3_
                                        ; -- End function
	.set _Z35paged_attention_ll4mi_reduce_kernelIDF16_DF16_Li64ELi64ELi256ELi16EEvPT0_PKfS3_PKT_PKiS8_iS3_.num_vgpr, max(3, .L__assert_fail.num_vgpr)
	.set _Z35paged_attention_ll4mi_reduce_kernelIDF16_DF16_Li64ELi64ELi256ELi16EEvPT0_PKfS3_PKT_PKiS8_iS3_.num_agpr, max(0, .L__assert_fail.num_agpr)
	.set _Z35paged_attention_ll4mi_reduce_kernelIDF16_DF16_Li64ELi64ELi256ELi16EEvPT0_PKfS3_PKT_PKiS8_iS3_.numbered_sgpr, max(33, .L__assert_fail.numbered_sgpr)
	.set _Z35paged_attention_ll4mi_reduce_kernelIDF16_DF16_Li64ELi64ELi256ELi16EEvPT0_PKfS3_PKT_PKiS8_iS3_.num_named_barrier, max(0, .L__assert_fail.num_named_barrier)
	.set _Z35paged_attention_ll4mi_reduce_kernelIDF16_DF16_Li64ELi64ELi256ELi16EEvPT0_PKfS3_PKT_PKiS8_iS3_.private_seg_size, 0+max(.L__assert_fail.private_seg_size)
	.set _Z35paged_attention_ll4mi_reduce_kernelIDF16_DF16_Li64ELi64ELi256ELi16EEvPT0_PKfS3_PKT_PKiS8_iS3_.uses_vcc, or(1, .L__assert_fail.uses_vcc)
	.set _Z35paged_attention_ll4mi_reduce_kernelIDF16_DF16_Li64ELi64ELi256ELi16EEvPT0_PKfS3_PKT_PKiS8_iS3_.uses_flat_scratch, or(0, .L__assert_fail.uses_flat_scratch)
	.set _Z35paged_attention_ll4mi_reduce_kernelIDF16_DF16_Li64ELi64ELi256ELi16EEvPT0_PKfS3_PKT_PKiS8_iS3_.has_dyn_sized_stack, or(0, .L__assert_fail.has_dyn_sized_stack)
	.set _Z35paged_attention_ll4mi_reduce_kernelIDF16_DF16_Li64ELi64ELi256ELi16EEvPT0_PKfS3_PKT_PKiS8_iS3_.has_recursion, or(0, .L__assert_fail.has_recursion)
	.set _Z35paged_attention_ll4mi_reduce_kernelIDF16_DF16_Li64ELi64ELi256ELi16EEvPT0_PKfS3_PKT_PKiS8_iS3_.has_indirect_call, or(0, .L__assert_fail.has_indirect_call)
	.section	.AMDGPU.csdata,"",@progbits
; Kernel info:
; codeLenInByte = 64
; TotalNumSgprs: 36
; NumVgprs: 51
; ScratchSize: 64
; MemoryBound: 0
; FloatMode: 240
; IeeeMode: 1
; LDSByteSize: 0 bytes/workgroup (compile time only)
; SGPRBlocks: 0
; VGPRBlocks: 3
; NumSGPRsForWavesPerEU: 36
; NumVGPRsForWavesPerEU: 51
; NamedBarCnt: 0
; Occupancy: 16
; WaveLimiterHint : 1
; COMPUTE_PGM_RSRC2:SCRATCH_EN: 1
; COMPUTE_PGM_RSRC2:USER_SGPR: 2
; COMPUTE_PGM_RSRC2:TRAP_HANDLER: 0
; COMPUTE_PGM_RSRC2:TGID_X_EN: 1
; COMPUTE_PGM_RSRC2:TGID_Y_EN: 0
; COMPUTE_PGM_RSRC2:TGID_Z_EN: 0
; COMPUTE_PGM_RSRC2:TIDIG_COMP_CNT: 0
	.section	.text._Z38paged_attention_ll4mi_QKV_mfma4_kernelIDF16_DF16_LN4vllm18Fp8KVCacheDataTypeE0EDF16_Li16ELi64ELi256ELb0ELi1EEvPKT_PKT0_S7_ifPKiS9_S9_iPKfiiiPfSC_PS2_PT2_iSB_SB_,"axG",@progbits,_Z38paged_attention_ll4mi_QKV_mfma4_kernelIDF16_DF16_LN4vllm18Fp8KVCacheDataTypeE0EDF16_Li16ELi64ELi256ELb0ELi1EEvPKT_PKT0_S7_ifPKiS9_S9_iPKfiiiPfSC_PS2_PT2_iSB_SB_,comdat
	.protected	_Z38paged_attention_ll4mi_QKV_mfma4_kernelIDF16_DF16_LN4vllm18Fp8KVCacheDataTypeE0EDF16_Li16ELi64ELi256ELb0ELi1EEvPKT_PKT0_S7_ifPKiS9_S9_iPKfiiiPfSC_PS2_PT2_iSB_SB_ ; -- Begin function _Z38paged_attention_ll4mi_QKV_mfma4_kernelIDF16_DF16_LN4vllm18Fp8KVCacheDataTypeE0EDF16_Li16ELi64ELi256ELb0ELi1EEvPKT_PKT0_S7_ifPKiS9_S9_iPKfiiiPfSC_PS2_PT2_iSB_SB_
	.globl	_Z38paged_attention_ll4mi_QKV_mfma4_kernelIDF16_DF16_LN4vllm18Fp8KVCacheDataTypeE0EDF16_Li16ELi64ELi256ELb0ELi1EEvPKT_PKT0_S7_ifPKiS9_S9_iPKfiiiPfSC_PS2_PT2_iSB_SB_
	.p2align	8
	.type	_Z38paged_attention_ll4mi_QKV_mfma4_kernelIDF16_DF16_LN4vllm18Fp8KVCacheDataTypeE0EDF16_Li16ELi64ELi256ELb0ELi1EEvPKT_PKT0_S7_ifPKiS9_S9_iPKfiiiPfSC_PS2_PT2_iSB_SB_,@function
_Z38paged_attention_ll4mi_QKV_mfma4_kernelIDF16_DF16_LN4vllm18Fp8KVCacheDataTypeE0EDF16_Li16ELi64ELi256ELb0ELi1EEvPKT_PKT0_S7_ifPKiS9_S9_iPKfiiiPfSC_PS2_PT2_iSB_SB_: ; @_Z38paged_attention_ll4mi_QKV_mfma4_kernelIDF16_DF16_LN4vllm18Fp8KVCacheDataTypeE0EDF16_Li16ELi64ELi256ELb0ELi1EEvPKT_PKT0_S7_ifPKiS9_S9_iPKfiiiPfSC_PS2_PT2_iSB_SB_
; %bb.0:
	s_get_pc_i64 s[2:3]
	s_add_nc_u64 s[2:3], s[2:3], __PRETTY_FUNCTION__._Z38paged_attention_ll4mi_QKV_mfma4_kernelIDF16_DF16_LN4vllm18Fp8KVCacheDataTypeE0EDF16_Li16ELi64ELi256ELb0ELi1EEvPKT_PKT0_S7_ifPKiS9_S9_iPKfiiiPfSC_PS2_PT2_iSB_SB_@rel64+4
	s_delay_alu instid0(SALU_CYCLE_1)
	v_dual_mov_b32 v0, 0xbce :: v_dual_mov_b32 v1, s2
	v_mov_b32_e32 v2, s3
	s_add_nc_u64 s[8:9], s[0:1], 0x90
	s_get_pc_i64 s[0:1]
	s_add_nc_u64 s[0:1], s[0:1], __assert_fail@rel64+4
	s_mov_b32 s32, 0
	s_swap_pc_i64 s[30:31], s[0:1]
	.section	.rodata,"a",@progbits
	.p2align	6, 0x0
	.amdhsa_kernel _Z38paged_attention_ll4mi_QKV_mfma4_kernelIDF16_DF16_LN4vllm18Fp8KVCacheDataTypeE0EDF16_Li16ELi64ELi256ELb0ELi1EEvPKT_PKT0_S7_ifPKiS9_S9_iPKfiiiPfSC_PS2_PT2_iSB_SB_
		.amdhsa_group_segment_fixed_size 0
		.amdhsa_private_segment_fixed_size 64
		.amdhsa_kernarg_size 400
		.amdhsa_user_sgpr_count 2
		.amdhsa_user_sgpr_dispatch_ptr 0
		.amdhsa_user_sgpr_queue_ptr 0
		.amdhsa_user_sgpr_kernarg_segment_ptr 1
		.amdhsa_user_sgpr_dispatch_id 0
		.amdhsa_user_sgpr_kernarg_preload_length 0
		.amdhsa_user_sgpr_kernarg_preload_offset 0
		.amdhsa_user_sgpr_private_segment_size 0
		.amdhsa_wavefront_size32 1
		.amdhsa_uses_dynamic_stack 0
		.amdhsa_enable_private_segment 1
		.amdhsa_system_sgpr_workgroup_id_x 1
		.amdhsa_system_sgpr_workgroup_id_y 0
		.amdhsa_system_sgpr_workgroup_id_z 0
		.amdhsa_system_sgpr_workgroup_info 0
		.amdhsa_system_vgpr_workitem_id 0
		.amdhsa_next_free_vgpr 51
		.amdhsa_next_free_sgpr 34
		.amdhsa_named_barrier_count 0
		.amdhsa_reserve_vcc 1
		.amdhsa_float_round_mode_32 0
		.amdhsa_float_round_mode_16_64 0
		.amdhsa_float_denorm_mode_32 3
		.amdhsa_float_denorm_mode_16_64 3
		.amdhsa_fp16_overflow 0
		.amdhsa_memory_ordered 1
		.amdhsa_forward_progress 1
		.amdhsa_inst_pref_size 1
		.amdhsa_round_robin_scheduling 0
		.amdhsa_exception_fp_ieee_invalid_op 0
		.amdhsa_exception_fp_denorm_src 0
		.amdhsa_exception_fp_ieee_div_zero 0
		.amdhsa_exception_fp_ieee_overflow 0
		.amdhsa_exception_fp_ieee_underflow 0
		.amdhsa_exception_fp_ieee_inexact 0
		.amdhsa_exception_int_div_zero 0
	.end_amdhsa_kernel
	.section	.text._Z38paged_attention_ll4mi_QKV_mfma4_kernelIDF16_DF16_LN4vllm18Fp8KVCacheDataTypeE0EDF16_Li16ELi64ELi256ELb0ELi1EEvPKT_PKT0_S7_ifPKiS9_S9_iPKfiiiPfSC_PS2_PT2_iSB_SB_,"axG",@progbits,_Z38paged_attention_ll4mi_QKV_mfma4_kernelIDF16_DF16_LN4vllm18Fp8KVCacheDataTypeE0EDF16_Li16ELi64ELi256ELb0ELi1EEvPKT_PKT0_S7_ifPKiS9_S9_iPKfiiiPfSC_PS2_PT2_iSB_SB_,comdat
.Lfunc_end94:
	.size	_Z38paged_attention_ll4mi_QKV_mfma4_kernelIDF16_DF16_LN4vllm18Fp8KVCacheDataTypeE0EDF16_Li16ELi64ELi256ELb0ELi1EEvPKT_PKT0_S7_ifPKiS9_S9_iPKfiiiPfSC_PS2_PT2_iSB_SB_, .Lfunc_end94-_Z38paged_attention_ll4mi_QKV_mfma4_kernelIDF16_DF16_LN4vllm18Fp8KVCacheDataTypeE0EDF16_Li16ELi64ELi256ELb0ELi1EEvPKT_PKT0_S7_ifPKiS9_S9_iPKfiiiPfSC_PS2_PT2_iSB_SB_
                                        ; -- End function
	.set _Z38paged_attention_ll4mi_QKV_mfma4_kernelIDF16_DF16_LN4vllm18Fp8KVCacheDataTypeE0EDF16_Li16ELi64ELi256ELb0ELi1EEvPKT_PKT0_S7_ifPKiS9_S9_iPKfiiiPfSC_PS2_PT2_iSB_SB_.num_vgpr, max(3, .L__assert_fail.num_vgpr)
	.set _Z38paged_attention_ll4mi_QKV_mfma4_kernelIDF16_DF16_LN4vllm18Fp8KVCacheDataTypeE0EDF16_Li16ELi64ELi256ELb0ELi1EEvPKT_PKT0_S7_ifPKiS9_S9_iPKfiiiPfSC_PS2_PT2_iSB_SB_.num_agpr, max(0, .L__assert_fail.num_agpr)
	.set _Z38paged_attention_ll4mi_QKV_mfma4_kernelIDF16_DF16_LN4vllm18Fp8KVCacheDataTypeE0EDF16_Li16ELi64ELi256ELb0ELi1EEvPKT_PKT0_S7_ifPKiS9_S9_iPKfiiiPfSC_PS2_PT2_iSB_SB_.numbered_sgpr, max(33, .L__assert_fail.numbered_sgpr)
	.set _Z38paged_attention_ll4mi_QKV_mfma4_kernelIDF16_DF16_LN4vllm18Fp8KVCacheDataTypeE0EDF16_Li16ELi64ELi256ELb0ELi1EEvPKT_PKT0_S7_ifPKiS9_S9_iPKfiiiPfSC_PS2_PT2_iSB_SB_.num_named_barrier, max(0, .L__assert_fail.num_named_barrier)
	.set _Z38paged_attention_ll4mi_QKV_mfma4_kernelIDF16_DF16_LN4vllm18Fp8KVCacheDataTypeE0EDF16_Li16ELi64ELi256ELb0ELi1EEvPKT_PKT0_S7_ifPKiS9_S9_iPKfiiiPfSC_PS2_PT2_iSB_SB_.private_seg_size, 0+max(.L__assert_fail.private_seg_size)
	.set _Z38paged_attention_ll4mi_QKV_mfma4_kernelIDF16_DF16_LN4vllm18Fp8KVCacheDataTypeE0EDF16_Li16ELi64ELi256ELb0ELi1EEvPKT_PKT0_S7_ifPKiS9_S9_iPKfiiiPfSC_PS2_PT2_iSB_SB_.uses_vcc, or(1, .L__assert_fail.uses_vcc)
	.set _Z38paged_attention_ll4mi_QKV_mfma4_kernelIDF16_DF16_LN4vllm18Fp8KVCacheDataTypeE0EDF16_Li16ELi64ELi256ELb0ELi1EEvPKT_PKT0_S7_ifPKiS9_S9_iPKfiiiPfSC_PS2_PT2_iSB_SB_.uses_flat_scratch, or(0, .L__assert_fail.uses_flat_scratch)
	.set _Z38paged_attention_ll4mi_QKV_mfma4_kernelIDF16_DF16_LN4vllm18Fp8KVCacheDataTypeE0EDF16_Li16ELi64ELi256ELb0ELi1EEvPKT_PKT0_S7_ifPKiS9_S9_iPKfiiiPfSC_PS2_PT2_iSB_SB_.has_dyn_sized_stack, or(0, .L__assert_fail.has_dyn_sized_stack)
	.set _Z38paged_attention_ll4mi_QKV_mfma4_kernelIDF16_DF16_LN4vllm18Fp8KVCacheDataTypeE0EDF16_Li16ELi64ELi256ELb0ELi1EEvPKT_PKT0_S7_ifPKiS9_S9_iPKfiiiPfSC_PS2_PT2_iSB_SB_.has_recursion, or(0, .L__assert_fail.has_recursion)
	.set _Z38paged_attention_ll4mi_QKV_mfma4_kernelIDF16_DF16_LN4vllm18Fp8KVCacheDataTypeE0EDF16_Li16ELi64ELi256ELb0ELi1EEvPKT_PKT0_S7_ifPKiS9_S9_iPKfiiiPfSC_PS2_PT2_iSB_SB_.has_indirect_call, or(0, .L__assert_fail.has_indirect_call)
	.section	.AMDGPU.csdata,"",@progbits
; Kernel info:
; codeLenInByte = 68
; TotalNumSgprs: 36
; NumVgprs: 51
; ScratchSize: 64
; MemoryBound: 0
; FloatMode: 240
; IeeeMode: 1
; LDSByteSize: 0 bytes/workgroup (compile time only)
; SGPRBlocks: 0
; VGPRBlocks: 3
; NumSGPRsForWavesPerEU: 36
; NumVGPRsForWavesPerEU: 51
; NamedBarCnt: 0
; Occupancy: 16
; WaveLimiterHint : 1
; COMPUTE_PGM_RSRC2:SCRATCH_EN: 1
; COMPUTE_PGM_RSRC2:USER_SGPR: 2
; COMPUTE_PGM_RSRC2:TRAP_HANDLER: 0
; COMPUTE_PGM_RSRC2:TGID_X_EN: 1
; COMPUTE_PGM_RSRC2:TGID_Y_EN: 0
; COMPUTE_PGM_RSRC2:TGID_Z_EN: 0
; COMPUTE_PGM_RSRC2:TIDIG_COMP_CNT: 0
	.section	.text._Z38paged_attention_ll4mi_QKV_mfma4_kernelIDF16_DF16_LN4vllm18Fp8KVCacheDataTypeE0EDF16_Li16ELi64ELi256ELb0ELi2EEvPKT_PKT0_S7_ifPKiS9_S9_iPKfiiiPfSC_PS2_PT2_iSB_SB_,"axG",@progbits,_Z38paged_attention_ll4mi_QKV_mfma4_kernelIDF16_DF16_LN4vllm18Fp8KVCacheDataTypeE0EDF16_Li16ELi64ELi256ELb0ELi2EEvPKT_PKT0_S7_ifPKiS9_S9_iPKfiiiPfSC_PS2_PT2_iSB_SB_,comdat
	.protected	_Z38paged_attention_ll4mi_QKV_mfma4_kernelIDF16_DF16_LN4vllm18Fp8KVCacheDataTypeE0EDF16_Li16ELi64ELi256ELb0ELi2EEvPKT_PKT0_S7_ifPKiS9_S9_iPKfiiiPfSC_PS2_PT2_iSB_SB_ ; -- Begin function _Z38paged_attention_ll4mi_QKV_mfma4_kernelIDF16_DF16_LN4vllm18Fp8KVCacheDataTypeE0EDF16_Li16ELi64ELi256ELb0ELi2EEvPKT_PKT0_S7_ifPKiS9_S9_iPKfiiiPfSC_PS2_PT2_iSB_SB_
	.globl	_Z38paged_attention_ll4mi_QKV_mfma4_kernelIDF16_DF16_LN4vllm18Fp8KVCacheDataTypeE0EDF16_Li16ELi64ELi256ELb0ELi2EEvPKT_PKT0_S7_ifPKiS9_S9_iPKfiiiPfSC_PS2_PT2_iSB_SB_
	.p2align	8
	.type	_Z38paged_attention_ll4mi_QKV_mfma4_kernelIDF16_DF16_LN4vllm18Fp8KVCacheDataTypeE0EDF16_Li16ELi64ELi256ELb0ELi2EEvPKT_PKT0_S7_ifPKiS9_S9_iPKfiiiPfSC_PS2_PT2_iSB_SB_,@function
_Z38paged_attention_ll4mi_QKV_mfma4_kernelIDF16_DF16_LN4vllm18Fp8KVCacheDataTypeE0EDF16_Li16ELi64ELi256ELb0ELi2EEvPKT_PKT0_S7_ifPKiS9_S9_iPKfiiiPfSC_PS2_PT2_iSB_SB_: ; @_Z38paged_attention_ll4mi_QKV_mfma4_kernelIDF16_DF16_LN4vllm18Fp8KVCacheDataTypeE0EDF16_Li16ELi64ELi256ELb0ELi2EEvPKT_PKT0_S7_ifPKiS9_S9_iPKfiiiPfSC_PS2_PT2_iSB_SB_
; %bb.0:
	s_get_pc_i64 s[2:3]
	s_add_nc_u64 s[2:3], s[2:3], __PRETTY_FUNCTION__._Z38paged_attention_ll4mi_QKV_mfma4_kernelIDF16_DF16_LN4vllm18Fp8KVCacheDataTypeE0EDF16_Li16ELi64ELi256ELb0ELi2EEvPKT_PKT0_S7_ifPKiS9_S9_iPKfiiiPfSC_PS2_PT2_iSB_SB_@rel64+4
	s_delay_alu instid0(SALU_CYCLE_1)
	v_dual_mov_b32 v0, 0xbce :: v_dual_mov_b32 v1, s2
	v_mov_b32_e32 v2, s3
	s_add_nc_u64 s[8:9], s[0:1], 0x90
	s_get_pc_i64 s[0:1]
	s_add_nc_u64 s[0:1], s[0:1], __assert_fail@rel64+4
	s_mov_b32 s32, 0
	s_swap_pc_i64 s[30:31], s[0:1]
	.section	.rodata,"a",@progbits
	.p2align	6, 0x0
	.amdhsa_kernel _Z38paged_attention_ll4mi_QKV_mfma4_kernelIDF16_DF16_LN4vllm18Fp8KVCacheDataTypeE0EDF16_Li16ELi64ELi256ELb0ELi2EEvPKT_PKT0_S7_ifPKiS9_S9_iPKfiiiPfSC_PS2_PT2_iSB_SB_
		.amdhsa_group_segment_fixed_size 0
		.amdhsa_private_segment_fixed_size 64
		.amdhsa_kernarg_size 400
		.amdhsa_user_sgpr_count 2
		.amdhsa_user_sgpr_dispatch_ptr 0
		.amdhsa_user_sgpr_queue_ptr 0
		.amdhsa_user_sgpr_kernarg_segment_ptr 1
		.amdhsa_user_sgpr_dispatch_id 0
		.amdhsa_user_sgpr_kernarg_preload_length 0
		.amdhsa_user_sgpr_kernarg_preload_offset 0
		.amdhsa_user_sgpr_private_segment_size 0
		.amdhsa_wavefront_size32 1
		.amdhsa_uses_dynamic_stack 0
		.amdhsa_enable_private_segment 1
		.amdhsa_system_sgpr_workgroup_id_x 1
		.amdhsa_system_sgpr_workgroup_id_y 0
		.amdhsa_system_sgpr_workgroup_id_z 0
		.amdhsa_system_sgpr_workgroup_info 0
		.amdhsa_system_vgpr_workitem_id 0
		.amdhsa_next_free_vgpr 51
		.amdhsa_next_free_sgpr 34
		.amdhsa_named_barrier_count 0
		.amdhsa_reserve_vcc 1
		.amdhsa_float_round_mode_32 0
		.amdhsa_float_round_mode_16_64 0
		.amdhsa_float_denorm_mode_32 3
		.amdhsa_float_denorm_mode_16_64 3
		.amdhsa_fp16_overflow 0
		.amdhsa_memory_ordered 1
		.amdhsa_forward_progress 1
		.amdhsa_inst_pref_size 1
		.amdhsa_round_robin_scheduling 0
		.amdhsa_exception_fp_ieee_invalid_op 0
		.amdhsa_exception_fp_denorm_src 0
		.amdhsa_exception_fp_ieee_div_zero 0
		.amdhsa_exception_fp_ieee_overflow 0
		.amdhsa_exception_fp_ieee_underflow 0
		.amdhsa_exception_fp_ieee_inexact 0
		.amdhsa_exception_int_div_zero 0
	.end_amdhsa_kernel
	.section	.text._Z38paged_attention_ll4mi_QKV_mfma4_kernelIDF16_DF16_LN4vllm18Fp8KVCacheDataTypeE0EDF16_Li16ELi64ELi256ELb0ELi2EEvPKT_PKT0_S7_ifPKiS9_S9_iPKfiiiPfSC_PS2_PT2_iSB_SB_,"axG",@progbits,_Z38paged_attention_ll4mi_QKV_mfma4_kernelIDF16_DF16_LN4vllm18Fp8KVCacheDataTypeE0EDF16_Li16ELi64ELi256ELb0ELi2EEvPKT_PKT0_S7_ifPKiS9_S9_iPKfiiiPfSC_PS2_PT2_iSB_SB_,comdat
.Lfunc_end95:
	.size	_Z38paged_attention_ll4mi_QKV_mfma4_kernelIDF16_DF16_LN4vllm18Fp8KVCacheDataTypeE0EDF16_Li16ELi64ELi256ELb0ELi2EEvPKT_PKT0_S7_ifPKiS9_S9_iPKfiiiPfSC_PS2_PT2_iSB_SB_, .Lfunc_end95-_Z38paged_attention_ll4mi_QKV_mfma4_kernelIDF16_DF16_LN4vllm18Fp8KVCacheDataTypeE0EDF16_Li16ELi64ELi256ELb0ELi2EEvPKT_PKT0_S7_ifPKiS9_S9_iPKfiiiPfSC_PS2_PT2_iSB_SB_
                                        ; -- End function
	.set _Z38paged_attention_ll4mi_QKV_mfma4_kernelIDF16_DF16_LN4vllm18Fp8KVCacheDataTypeE0EDF16_Li16ELi64ELi256ELb0ELi2EEvPKT_PKT0_S7_ifPKiS9_S9_iPKfiiiPfSC_PS2_PT2_iSB_SB_.num_vgpr, max(3, .L__assert_fail.num_vgpr)
	.set _Z38paged_attention_ll4mi_QKV_mfma4_kernelIDF16_DF16_LN4vllm18Fp8KVCacheDataTypeE0EDF16_Li16ELi64ELi256ELb0ELi2EEvPKT_PKT0_S7_ifPKiS9_S9_iPKfiiiPfSC_PS2_PT2_iSB_SB_.num_agpr, max(0, .L__assert_fail.num_agpr)
	.set _Z38paged_attention_ll4mi_QKV_mfma4_kernelIDF16_DF16_LN4vllm18Fp8KVCacheDataTypeE0EDF16_Li16ELi64ELi256ELb0ELi2EEvPKT_PKT0_S7_ifPKiS9_S9_iPKfiiiPfSC_PS2_PT2_iSB_SB_.numbered_sgpr, max(33, .L__assert_fail.numbered_sgpr)
	.set _Z38paged_attention_ll4mi_QKV_mfma4_kernelIDF16_DF16_LN4vllm18Fp8KVCacheDataTypeE0EDF16_Li16ELi64ELi256ELb0ELi2EEvPKT_PKT0_S7_ifPKiS9_S9_iPKfiiiPfSC_PS2_PT2_iSB_SB_.num_named_barrier, max(0, .L__assert_fail.num_named_barrier)
	.set _Z38paged_attention_ll4mi_QKV_mfma4_kernelIDF16_DF16_LN4vllm18Fp8KVCacheDataTypeE0EDF16_Li16ELi64ELi256ELb0ELi2EEvPKT_PKT0_S7_ifPKiS9_S9_iPKfiiiPfSC_PS2_PT2_iSB_SB_.private_seg_size, 0+max(.L__assert_fail.private_seg_size)
	.set _Z38paged_attention_ll4mi_QKV_mfma4_kernelIDF16_DF16_LN4vllm18Fp8KVCacheDataTypeE0EDF16_Li16ELi64ELi256ELb0ELi2EEvPKT_PKT0_S7_ifPKiS9_S9_iPKfiiiPfSC_PS2_PT2_iSB_SB_.uses_vcc, or(1, .L__assert_fail.uses_vcc)
	.set _Z38paged_attention_ll4mi_QKV_mfma4_kernelIDF16_DF16_LN4vllm18Fp8KVCacheDataTypeE0EDF16_Li16ELi64ELi256ELb0ELi2EEvPKT_PKT0_S7_ifPKiS9_S9_iPKfiiiPfSC_PS2_PT2_iSB_SB_.uses_flat_scratch, or(0, .L__assert_fail.uses_flat_scratch)
	.set _Z38paged_attention_ll4mi_QKV_mfma4_kernelIDF16_DF16_LN4vllm18Fp8KVCacheDataTypeE0EDF16_Li16ELi64ELi256ELb0ELi2EEvPKT_PKT0_S7_ifPKiS9_S9_iPKfiiiPfSC_PS2_PT2_iSB_SB_.has_dyn_sized_stack, or(0, .L__assert_fail.has_dyn_sized_stack)
	.set _Z38paged_attention_ll4mi_QKV_mfma4_kernelIDF16_DF16_LN4vllm18Fp8KVCacheDataTypeE0EDF16_Li16ELi64ELi256ELb0ELi2EEvPKT_PKT0_S7_ifPKiS9_S9_iPKfiiiPfSC_PS2_PT2_iSB_SB_.has_recursion, or(0, .L__assert_fail.has_recursion)
	.set _Z38paged_attention_ll4mi_QKV_mfma4_kernelIDF16_DF16_LN4vllm18Fp8KVCacheDataTypeE0EDF16_Li16ELi64ELi256ELb0ELi2EEvPKT_PKT0_S7_ifPKiS9_S9_iPKfiiiPfSC_PS2_PT2_iSB_SB_.has_indirect_call, or(0, .L__assert_fail.has_indirect_call)
	.section	.AMDGPU.csdata,"",@progbits
; Kernel info:
; codeLenInByte = 68
; TotalNumSgprs: 36
; NumVgprs: 51
; ScratchSize: 64
; MemoryBound: 0
; FloatMode: 240
; IeeeMode: 1
; LDSByteSize: 0 bytes/workgroup (compile time only)
; SGPRBlocks: 0
; VGPRBlocks: 3
; NumSGPRsForWavesPerEU: 36
; NumVGPRsForWavesPerEU: 51
; NamedBarCnt: 0
; Occupancy: 16
; WaveLimiterHint : 1
; COMPUTE_PGM_RSRC2:SCRATCH_EN: 1
; COMPUTE_PGM_RSRC2:USER_SGPR: 2
; COMPUTE_PGM_RSRC2:TRAP_HANDLER: 0
; COMPUTE_PGM_RSRC2:TGID_X_EN: 1
; COMPUTE_PGM_RSRC2:TGID_Y_EN: 0
; COMPUTE_PGM_RSRC2:TGID_Z_EN: 0
; COMPUTE_PGM_RSRC2:TIDIG_COMP_CNT: 0
	.section	.text._Z38paged_attention_ll4mi_QKV_mfma4_kernelIDF16_DF16_LN4vllm18Fp8KVCacheDataTypeE0EDF16_Li16ELi64ELi256ELb0ELi3EEvPKT_PKT0_S7_ifPKiS9_S9_iPKfiiiPfSC_PS2_PT2_iSB_SB_,"axG",@progbits,_Z38paged_attention_ll4mi_QKV_mfma4_kernelIDF16_DF16_LN4vllm18Fp8KVCacheDataTypeE0EDF16_Li16ELi64ELi256ELb0ELi3EEvPKT_PKT0_S7_ifPKiS9_S9_iPKfiiiPfSC_PS2_PT2_iSB_SB_,comdat
	.protected	_Z38paged_attention_ll4mi_QKV_mfma4_kernelIDF16_DF16_LN4vllm18Fp8KVCacheDataTypeE0EDF16_Li16ELi64ELi256ELb0ELi3EEvPKT_PKT0_S7_ifPKiS9_S9_iPKfiiiPfSC_PS2_PT2_iSB_SB_ ; -- Begin function _Z38paged_attention_ll4mi_QKV_mfma4_kernelIDF16_DF16_LN4vllm18Fp8KVCacheDataTypeE0EDF16_Li16ELi64ELi256ELb0ELi3EEvPKT_PKT0_S7_ifPKiS9_S9_iPKfiiiPfSC_PS2_PT2_iSB_SB_
	.globl	_Z38paged_attention_ll4mi_QKV_mfma4_kernelIDF16_DF16_LN4vllm18Fp8KVCacheDataTypeE0EDF16_Li16ELi64ELi256ELb0ELi3EEvPKT_PKT0_S7_ifPKiS9_S9_iPKfiiiPfSC_PS2_PT2_iSB_SB_
	.p2align	8
	.type	_Z38paged_attention_ll4mi_QKV_mfma4_kernelIDF16_DF16_LN4vllm18Fp8KVCacheDataTypeE0EDF16_Li16ELi64ELi256ELb0ELi3EEvPKT_PKT0_S7_ifPKiS9_S9_iPKfiiiPfSC_PS2_PT2_iSB_SB_,@function
_Z38paged_attention_ll4mi_QKV_mfma4_kernelIDF16_DF16_LN4vllm18Fp8KVCacheDataTypeE0EDF16_Li16ELi64ELi256ELb0ELi3EEvPKT_PKT0_S7_ifPKiS9_S9_iPKfiiiPfSC_PS2_PT2_iSB_SB_: ; @_Z38paged_attention_ll4mi_QKV_mfma4_kernelIDF16_DF16_LN4vllm18Fp8KVCacheDataTypeE0EDF16_Li16ELi64ELi256ELb0ELi3EEvPKT_PKT0_S7_ifPKiS9_S9_iPKfiiiPfSC_PS2_PT2_iSB_SB_
; %bb.0:
	s_get_pc_i64 s[2:3]
	s_add_nc_u64 s[2:3], s[2:3], __PRETTY_FUNCTION__._Z38paged_attention_ll4mi_QKV_mfma4_kernelIDF16_DF16_LN4vllm18Fp8KVCacheDataTypeE0EDF16_Li16ELi64ELi256ELb0ELi3EEvPKT_PKT0_S7_ifPKiS9_S9_iPKfiiiPfSC_PS2_PT2_iSB_SB_@rel64+4
	s_delay_alu instid0(SALU_CYCLE_1)
	v_dual_mov_b32 v0, 0xbce :: v_dual_mov_b32 v1, s2
	v_mov_b32_e32 v2, s3
	s_add_nc_u64 s[8:9], s[0:1], 0x90
	s_get_pc_i64 s[0:1]
	s_add_nc_u64 s[0:1], s[0:1], __assert_fail@rel64+4
	s_mov_b32 s32, 0
	s_swap_pc_i64 s[30:31], s[0:1]
	.section	.rodata,"a",@progbits
	.p2align	6, 0x0
	.amdhsa_kernel _Z38paged_attention_ll4mi_QKV_mfma4_kernelIDF16_DF16_LN4vllm18Fp8KVCacheDataTypeE0EDF16_Li16ELi64ELi256ELb0ELi3EEvPKT_PKT0_S7_ifPKiS9_S9_iPKfiiiPfSC_PS2_PT2_iSB_SB_
		.amdhsa_group_segment_fixed_size 0
		.amdhsa_private_segment_fixed_size 64
		.amdhsa_kernarg_size 400
		.amdhsa_user_sgpr_count 2
		.amdhsa_user_sgpr_dispatch_ptr 0
		.amdhsa_user_sgpr_queue_ptr 0
		.amdhsa_user_sgpr_kernarg_segment_ptr 1
		.amdhsa_user_sgpr_dispatch_id 0
		.amdhsa_user_sgpr_kernarg_preload_length 0
		.amdhsa_user_sgpr_kernarg_preload_offset 0
		.amdhsa_user_sgpr_private_segment_size 0
		.amdhsa_wavefront_size32 1
		.amdhsa_uses_dynamic_stack 0
		.amdhsa_enable_private_segment 1
		.amdhsa_system_sgpr_workgroup_id_x 1
		.amdhsa_system_sgpr_workgroup_id_y 0
		.amdhsa_system_sgpr_workgroup_id_z 0
		.amdhsa_system_sgpr_workgroup_info 0
		.amdhsa_system_vgpr_workitem_id 0
		.amdhsa_next_free_vgpr 51
		.amdhsa_next_free_sgpr 34
		.amdhsa_named_barrier_count 0
		.amdhsa_reserve_vcc 1
		.amdhsa_float_round_mode_32 0
		.amdhsa_float_round_mode_16_64 0
		.amdhsa_float_denorm_mode_32 3
		.amdhsa_float_denorm_mode_16_64 3
		.amdhsa_fp16_overflow 0
		.amdhsa_memory_ordered 1
		.amdhsa_forward_progress 1
		.amdhsa_inst_pref_size 1
		.amdhsa_round_robin_scheduling 0
		.amdhsa_exception_fp_ieee_invalid_op 0
		.amdhsa_exception_fp_denorm_src 0
		.amdhsa_exception_fp_ieee_div_zero 0
		.amdhsa_exception_fp_ieee_overflow 0
		.amdhsa_exception_fp_ieee_underflow 0
		.amdhsa_exception_fp_ieee_inexact 0
		.amdhsa_exception_int_div_zero 0
	.end_amdhsa_kernel
	.section	.text._Z38paged_attention_ll4mi_QKV_mfma4_kernelIDF16_DF16_LN4vllm18Fp8KVCacheDataTypeE0EDF16_Li16ELi64ELi256ELb0ELi3EEvPKT_PKT0_S7_ifPKiS9_S9_iPKfiiiPfSC_PS2_PT2_iSB_SB_,"axG",@progbits,_Z38paged_attention_ll4mi_QKV_mfma4_kernelIDF16_DF16_LN4vllm18Fp8KVCacheDataTypeE0EDF16_Li16ELi64ELi256ELb0ELi3EEvPKT_PKT0_S7_ifPKiS9_S9_iPKfiiiPfSC_PS2_PT2_iSB_SB_,comdat
.Lfunc_end96:
	.size	_Z38paged_attention_ll4mi_QKV_mfma4_kernelIDF16_DF16_LN4vllm18Fp8KVCacheDataTypeE0EDF16_Li16ELi64ELi256ELb0ELi3EEvPKT_PKT0_S7_ifPKiS9_S9_iPKfiiiPfSC_PS2_PT2_iSB_SB_, .Lfunc_end96-_Z38paged_attention_ll4mi_QKV_mfma4_kernelIDF16_DF16_LN4vllm18Fp8KVCacheDataTypeE0EDF16_Li16ELi64ELi256ELb0ELi3EEvPKT_PKT0_S7_ifPKiS9_S9_iPKfiiiPfSC_PS2_PT2_iSB_SB_
                                        ; -- End function
	.set _Z38paged_attention_ll4mi_QKV_mfma4_kernelIDF16_DF16_LN4vllm18Fp8KVCacheDataTypeE0EDF16_Li16ELi64ELi256ELb0ELi3EEvPKT_PKT0_S7_ifPKiS9_S9_iPKfiiiPfSC_PS2_PT2_iSB_SB_.num_vgpr, max(3, .L__assert_fail.num_vgpr)
	.set _Z38paged_attention_ll4mi_QKV_mfma4_kernelIDF16_DF16_LN4vllm18Fp8KVCacheDataTypeE0EDF16_Li16ELi64ELi256ELb0ELi3EEvPKT_PKT0_S7_ifPKiS9_S9_iPKfiiiPfSC_PS2_PT2_iSB_SB_.num_agpr, max(0, .L__assert_fail.num_agpr)
	.set _Z38paged_attention_ll4mi_QKV_mfma4_kernelIDF16_DF16_LN4vllm18Fp8KVCacheDataTypeE0EDF16_Li16ELi64ELi256ELb0ELi3EEvPKT_PKT0_S7_ifPKiS9_S9_iPKfiiiPfSC_PS2_PT2_iSB_SB_.numbered_sgpr, max(33, .L__assert_fail.numbered_sgpr)
	.set _Z38paged_attention_ll4mi_QKV_mfma4_kernelIDF16_DF16_LN4vllm18Fp8KVCacheDataTypeE0EDF16_Li16ELi64ELi256ELb0ELi3EEvPKT_PKT0_S7_ifPKiS9_S9_iPKfiiiPfSC_PS2_PT2_iSB_SB_.num_named_barrier, max(0, .L__assert_fail.num_named_barrier)
	.set _Z38paged_attention_ll4mi_QKV_mfma4_kernelIDF16_DF16_LN4vllm18Fp8KVCacheDataTypeE0EDF16_Li16ELi64ELi256ELb0ELi3EEvPKT_PKT0_S7_ifPKiS9_S9_iPKfiiiPfSC_PS2_PT2_iSB_SB_.private_seg_size, 0+max(.L__assert_fail.private_seg_size)
	.set _Z38paged_attention_ll4mi_QKV_mfma4_kernelIDF16_DF16_LN4vllm18Fp8KVCacheDataTypeE0EDF16_Li16ELi64ELi256ELb0ELi3EEvPKT_PKT0_S7_ifPKiS9_S9_iPKfiiiPfSC_PS2_PT2_iSB_SB_.uses_vcc, or(1, .L__assert_fail.uses_vcc)
	.set _Z38paged_attention_ll4mi_QKV_mfma4_kernelIDF16_DF16_LN4vllm18Fp8KVCacheDataTypeE0EDF16_Li16ELi64ELi256ELb0ELi3EEvPKT_PKT0_S7_ifPKiS9_S9_iPKfiiiPfSC_PS2_PT2_iSB_SB_.uses_flat_scratch, or(0, .L__assert_fail.uses_flat_scratch)
	.set _Z38paged_attention_ll4mi_QKV_mfma4_kernelIDF16_DF16_LN4vllm18Fp8KVCacheDataTypeE0EDF16_Li16ELi64ELi256ELb0ELi3EEvPKT_PKT0_S7_ifPKiS9_S9_iPKfiiiPfSC_PS2_PT2_iSB_SB_.has_dyn_sized_stack, or(0, .L__assert_fail.has_dyn_sized_stack)
	.set _Z38paged_attention_ll4mi_QKV_mfma4_kernelIDF16_DF16_LN4vllm18Fp8KVCacheDataTypeE0EDF16_Li16ELi64ELi256ELb0ELi3EEvPKT_PKT0_S7_ifPKiS9_S9_iPKfiiiPfSC_PS2_PT2_iSB_SB_.has_recursion, or(0, .L__assert_fail.has_recursion)
	.set _Z38paged_attention_ll4mi_QKV_mfma4_kernelIDF16_DF16_LN4vllm18Fp8KVCacheDataTypeE0EDF16_Li16ELi64ELi256ELb0ELi3EEvPKT_PKT0_S7_ifPKiS9_S9_iPKfiiiPfSC_PS2_PT2_iSB_SB_.has_indirect_call, or(0, .L__assert_fail.has_indirect_call)
	.section	.AMDGPU.csdata,"",@progbits
; Kernel info:
; codeLenInByte = 68
; TotalNumSgprs: 36
; NumVgprs: 51
; ScratchSize: 64
; MemoryBound: 0
; FloatMode: 240
; IeeeMode: 1
; LDSByteSize: 0 bytes/workgroup (compile time only)
; SGPRBlocks: 0
; VGPRBlocks: 3
; NumSGPRsForWavesPerEU: 36
; NumVGPRsForWavesPerEU: 51
; NamedBarCnt: 0
; Occupancy: 16
; WaveLimiterHint : 1
; COMPUTE_PGM_RSRC2:SCRATCH_EN: 1
; COMPUTE_PGM_RSRC2:USER_SGPR: 2
; COMPUTE_PGM_RSRC2:TRAP_HANDLER: 0
; COMPUTE_PGM_RSRC2:TGID_X_EN: 1
; COMPUTE_PGM_RSRC2:TGID_Y_EN: 0
; COMPUTE_PGM_RSRC2:TGID_Z_EN: 0
; COMPUTE_PGM_RSRC2:TIDIG_COMP_CNT: 0
	.section	.text._Z38paged_attention_ll4mi_QKV_mfma4_kernelIDF16_DF16_LN4vllm18Fp8KVCacheDataTypeE0EDF16_Li16ELi64ELi256ELb0ELi4EEvPKT_PKT0_S7_ifPKiS9_S9_iPKfiiiPfSC_PS2_PT2_iSB_SB_,"axG",@progbits,_Z38paged_attention_ll4mi_QKV_mfma4_kernelIDF16_DF16_LN4vllm18Fp8KVCacheDataTypeE0EDF16_Li16ELi64ELi256ELb0ELi4EEvPKT_PKT0_S7_ifPKiS9_S9_iPKfiiiPfSC_PS2_PT2_iSB_SB_,comdat
	.protected	_Z38paged_attention_ll4mi_QKV_mfma4_kernelIDF16_DF16_LN4vllm18Fp8KVCacheDataTypeE0EDF16_Li16ELi64ELi256ELb0ELi4EEvPKT_PKT0_S7_ifPKiS9_S9_iPKfiiiPfSC_PS2_PT2_iSB_SB_ ; -- Begin function _Z38paged_attention_ll4mi_QKV_mfma4_kernelIDF16_DF16_LN4vllm18Fp8KVCacheDataTypeE0EDF16_Li16ELi64ELi256ELb0ELi4EEvPKT_PKT0_S7_ifPKiS9_S9_iPKfiiiPfSC_PS2_PT2_iSB_SB_
	.globl	_Z38paged_attention_ll4mi_QKV_mfma4_kernelIDF16_DF16_LN4vllm18Fp8KVCacheDataTypeE0EDF16_Li16ELi64ELi256ELb0ELi4EEvPKT_PKT0_S7_ifPKiS9_S9_iPKfiiiPfSC_PS2_PT2_iSB_SB_
	.p2align	8
	.type	_Z38paged_attention_ll4mi_QKV_mfma4_kernelIDF16_DF16_LN4vllm18Fp8KVCacheDataTypeE0EDF16_Li16ELi64ELi256ELb0ELi4EEvPKT_PKT0_S7_ifPKiS9_S9_iPKfiiiPfSC_PS2_PT2_iSB_SB_,@function
_Z38paged_attention_ll4mi_QKV_mfma4_kernelIDF16_DF16_LN4vllm18Fp8KVCacheDataTypeE0EDF16_Li16ELi64ELi256ELb0ELi4EEvPKT_PKT0_S7_ifPKiS9_S9_iPKfiiiPfSC_PS2_PT2_iSB_SB_: ; @_Z38paged_attention_ll4mi_QKV_mfma4_kernelIDF16_DF16_LN4vllm18Fp8KVCacheDataTypeE0EDF16_Li16ELi64ELi256ELb0ELi4EEvPKT_PKT0_S7_ifPKiS9_S9_iPKfiiiPfSC_PS2_PT2_iSB_SB_
; %bb.0:
	s_get_pc_i64 s[2:3]
	s_add_nc_u64 s[2:3], s[2:3], __PRETTY_FUNCTION__._Z38paged_attention_ll4mi_QKV_mfma4_kernelIDF16_DF16_LN4vllm18Fp8KVCacheDataTypeE0EDF16_Li16ELi64ELi256ELb0ELi4EEvPKT_PKT0_S7_ifPKiS9_S9_iPKfiiiPfSC_PS2_PT2_iSB_SB_@rel64+4
	s_delay_alu instid0(SALU_CYCLE_1)
	v_dual_mov_b32 v0, 0xbce :: v_dual_mov_b32 v1, s2
	v_mov_b32_e32 v2, s3
	s_add_nc_u64 s[8:9], s[0:1], 0x90
	s_get_pc_i64 s[0:1]
	s_add_nc_u64 s[0:1], s[0:1], __assert_fail@rel64+4
	s_mov_b32 s32, 0
	s_swap_pc_i64 s[30:31], s[0:1]
	.section	.rodata,"a",@progbits
	.p2align	6, 0x0
	.amdhsa_kernel _Z38paged_attention_ll4mi_QKV_mfma4_kernelIDF16_DF16_LN4vllm18Fp8KVCacheDataTypeE0EDF16_Li16ELi64ELi256ELb0ELi4EEvPKT_PKT0_S7_ifPKiS9_S9_iPKfiiiPfSC_PS2_PT2_iSB_SB_
		.amdhsa_group_segment_fixed_size 0
		.amdhsa_private_segment_fixed_size 64
		.amdhsa_kernarg_size 400
		.amdhsa_user_sgpr_count 2
		.amdhsa_user_sgpr_dispatch_ptr 0
		.amdhsa_user_sgpr_queue_ptr 0
		.amdhsa_user_sgpr_kernarg_segment_ptr 1
		.amdhsa_user_sgpr_dispatch_id 0
		.amdhsa_user_sgpr_kernarg_preload_length 0
		.amdhsa_user_sgpr_kernarg_preload_offset 0
		.amdhsa_user_sgpr_private_segment_size 0
		.amdhsa_wavefront_size32 1
		.amdhsa_uses_dynamic_stack 0
		.amdhsa_enable_private_segment 1
		.amdhsa_system_sgpr_workgroup_id_x 1
		.amdhsa_system_sgpr_workgroup_id_y 0
		.amdhsa_system_sgpr_workgroup_id_z 0
		.amdhsa_system_sgpr_workgroup_info 0
		.amdhsa_system_vgpr_workitem_id 0
		.amdhsa_next_free_vgpr 51
		.amdhsa_next_free_sgpr 34
		.amdhsa_named_barrier_count 0
		.amdhsa_reserve_vcc 1
		.amdhsa_float_round_mode_32 0
		.amdhsa_float_round_mode_16_64 0
		.amdhsa_float_denorm_mode_32 3
		.amdhsa_float_denorm_mode_16_64 3
		.amdhsa_fp16_overflow 0
		.amdhsa_memory_ordered 1
		.amdhsa_forward_progress 1
		.amdhsa_inst_pref_size 1
		.amdhsa_round_robin_scheduling 0
		.amdhsa_exception_fp_ieee_invalid_op 0
		.amdhsa_exception_fp_denorm_src 0
		.amdhsa_exception_fp_ieee_div_zero 0
		.amdhsa_exception_fp_ieee_overflow 0
		.amdhsa_exception_fp_ieee_underflow 0
		.amdhsa_exception_fp_ieee_inexact 0
		.amdhsa_exception_int_div_zero 0
	.end_amdhsa_kernel
	.section	.text._Z38paged_attention_ll4mi_QKV_mfma4_kernelIDF16_DF16_LN4vllm18Fp8KVCacheDataTypeE0EDF16_Li16ELi64ELi256ELb0ELi4EEvPKT_PKT0_S7_ifPKiS9_S9_iPKfiiiPfSC_PS2_PT2_iSB_SB_,"axG",@progbits,_Z38paged_attention_ll4mi_QKV_mfma4_kernelIDF16_DF16_LN4vllm18Fp8KVCacheDataTypeE0EDF16_Li16ELi64ELi256ELb0ELi4EEvPKT_PKT0_S7_ifPKiS9_S9_iPKfiiiPfSC_PS2_PT2_iSB_SB_,comdat
.Lfunc_end97:
	.size	_Z38paged_attention_ll4mi_QKV_mfma4_kernelIDF16_DF16_LN4vllm18Fp8KVCacheDataTypeE0EDF16_Li16ELi64ELi256ELb0ELi4EEvPKT_PKT0_S7_ifPKiS9_S9_iPKfiiiPfSC_PS2_PT2_iSB_SB_, .Lfunc_end97-_Z38paged_attention_ll4mi_QKV_mfma4_kernelIDF16_DF16_LN4vllm18Fp8KVCacheDataTypeE0EDF16_Li16ELi64ELi256ELb0ELi4EEvPKT_PKT0_S7_ifPKiS9_S9_iPKfiiiPfSC_PS2_PT2_iSB_SB_
                                        ; -- End function
	.set _Z38paged_attention_ll4mi_QKV_mfma4_kernelIDF16_DF16_LN4vllm18Fp8KVCacheDataTypeE0EDF16_Li16ELi64ELi256ELb0ELi4EEvPKT_PKT0_S7_ifPKiS9_S9_iPKfiiiPfSC_PS2_PT2_iSB_SB_.num_vgpr, max(3, .L__assert_fail.num_vgpr)
	.set _Z38paged_attention_ll4mi_QKV_mfma4_kernelIDF16_DF16_LN4vllm18Fp8KVCacheDataTypeE0EDF16_Li16ELi64ELi256ELb0ELi4EEvPKT_PKT0_S7_ifPKiS9_S9_iPKfiiiPfSC_PS2_PT2_iSB_SB_.num_agpr, max(0, .L__assert_fail.num_agpr)
	.set _Z38paged_attention_ll4mi_QKV_mfma4_kernelIDF16_DF16_LN4vllm18Fp8KVCacheDataTypeE0EDF16_Li16ELi64ELi256ELb0ELi4EEvPKT_PKT0_S7_ifPKiS9_S9_iPKfiiiPfSC_PS2_PT2_iSB_SB_.numbered_sgpr, max(33, .L__assert_fail.numbered_sgpr)
	.set _Z38paged_attention_ll4mi_QKV_mfma4_kernelIDF16_DF16_LN4vllm18Fp8KVCacheDataTypeE0EDF16_Li16ELi64ELi256ELb0ELi4EEvPKT_PKT0_S7_ifPKiS9_S9_iPKfiiiPfSC_PS2_PT2_iSB_SB_.num_named_barrier, max(0, .L__assert_fail.num_named_barrier)
	.set _Z38paged_attention_ll4mi_QKV_mfma4_kernelIDF16_DF16_LN4vllm18Fp8KVCacheDataTypeE0EDF16_Li16ELi64ELi256ELb0ELi4EEvPKT_PKT0_S7_ifPKiS9_S9_iPKfiiiPfSC_PS2_PT2_iSB_SB_.private_seg_size, 0+max(.L__assert_fail.private_seg_size)
	.set _Z38paged_attention_ll4mi_QKV_mfma4_kernelIDF16_DF16_LN4vllm18Fp8KVCacheDataTypeE0EDF16_Li16ELi64ELi256ELb0ELi4EEvPKT_PKT0_S7_ifPKiS9_S9_iPKfiiiPfSC_PS2_PT2_iSB_SB_.uses_vcc, or(1, .L__assert_fail.uses_vcc)
	.set _Z38paged_attention_ll4mi_QKV_mfma4_kernelIDF16_DF16_LN4vllm18Fp8KVCacheDataTypeE0EDF16_Li16ELi64ELi256ELb0ELi4EEvPKT_PKT0_S7_ifPKiS9_S9_iPKfiiiPfSC_PS2_PT2_iSB_SB_.uses_flat_scratch, or(0, .L__assert_fail.uses_flat_scratch)
	.set _Z38paged_attention_ll4mi_QKV_mfma4_kernelIDF16_DF16_LN4vllm18Fp8KVCacheDataTypeE0EDF16_Li16ELi64ELi256ELb0ELi4EEvPKT_PKT0_S7_ifPKiS9_S9_iPKfiiiPfSC_PS2_PT2_iSB_SB_.has_dyn_sized_stack, or(0, .L__assert_fail.has_dyn_sized_stack)
	.set _Z38paged_attention_ll4mi_QKV_mfma4_kernelIDF16_DF16_LN4vllm18Fp8KVCacheDataTypeE0EDF16_Li16ELi64ELi256ELb0ELi4EEvPKT_PKT0_S7_ifPKiS9_S9_iPKfiiiPfSC_PS2_PT2_iSB_SB_.has_recursion, or(0, .L__assert_fail.has_recursion)
	.set _Z38paged_attention_ll4mi_QKV_mfma4_kernelIDF16_DF16_LN4vllm18Fp8KVCacheDataTypeE0EDF16_Li16ELi64ELi256ELb0ELi4EEvPKT_PKT0_S7_ifPKiS9_S9_iPKfiiiPfSC_PS2_PT2_iSB_SB_.has_indirect_call, or(0, .L__assert_fail.has_indirect_call)
	.section	.AMDGPU.csdata,"",@progbits
; Kernel info:
; codeLenInByte = 68
; TotalNumSgprs: 36
; NumVgprs: 51
; ScratchSize: 64
; MemoryBound: 0
; FloatMode: 240
; IeeeMode: 1
; LDSByteSize: 0 bytes/workgroup (compile time only)
; SGPRBlocks: 0
; VGPRBlocks: 3
; NumSGPRsForWavesPerEU: 36
; NumVGPRsForWavesPerEU: 51
; NamedBarCnt: 0
; Occupancy: 16
; WaveLimiterHint : 1
; COMPUTE_PGM_RSRC2:SCRATCH_EN: 1
; COMPUTE_PGM_RSRC2:USER_SGPR: 2
; COMPUTE_PGM_RSRC2:TRAP_HANDLER: 0
; COMPUTE_PGM_RSRC2:TGID_X_EN: 1
; COMPUTE_PGM_RSRC2:TGID_Y_EN: 0
; COMPUTE_PGM_RSRC2:TGID_Z_EN: 0
; COMPUTE_PGM_RSRC2:TIDIG_COMP_CNT: 0
	.section	.text._Z39paged_attention_ll4mi_QKV_mfma16_kernelIDF16_DF16_LN4vllm18Fp8KVCacheDataTypeE0EDF16_Li16ELi64ELi256ELb0ELi5EEvPKT_PKT0_S7_ifPKiS9_S9_iPKfiiiPfSC_PS2_PT2_iSB_SB_,"axG",@progbits,_Z39paged_attention_ll4mi_QKV_mfma16_kernelIDF16_DF16_LN4vllm18Fp8KVCacheDataTypeE0EDF16_Li16ELi64ELi256ELb0ELi5EEvPKT_PKT0_S7_ifPKiS9_S9_iPKfiiiPfSC_PS2_PT2_iSB_SB_,comdat
	.protected	_Z39paged_attention_ll4mi_QKV_mfma16_kernelIDF16_DF16_LN4vllm18Fp8KVCacheDataTypeE0EDF16_Li16ELi64ELi256ELb0ELi5EEvPKT_PKT0_S7_ifPKiS9_S9_iPKfiiiPfSC_PS2_PT2_iSB_SB_ ; -- Begin function _Z39paged_attention_ll4mi_QKV_mfma16_kernelIDF16_DF16_LN4vllm18Fp8KVCacheDataTypeE0EDF16_Li16ELi64ELi256ELb0ELi5EEvPKT_PKT0_S7_ifPKiS9_S9_iPKfiiiPfSC_PS2_PT2_iSB_SB_
	.globl	_Z39paged_attention_ll4mi_QKV_mfma16_kernelIDF16_DF16_LN4vllm18Fp8KVCacheDataTypeE0EDF16_Li16ELi64ELi256ELb0ELi5EEvPKT_PKT0_S7_ifPKiS9_S9_iPKfiiiPfSC_PS2_PT2_iSB_SB_
	.p2align	8
	.type	_Z39paged_attention_ll4mi_QKV_mfma16_kernelIDF16_DF16_LN4vllm18Fp8KVCacheDataTypeE0EDF16_Li16ELi64ELi256ELb0ELi5EEvPKT_PKT0_S7_ifPKiS9_S9_iPKfiiiPfSC_PS2_PT2_iSB_SB_,@function
_Z39paged_attention_ll4mi_QKV_mfma16_kernelIDF16_DF16_LN4vllm18Fp8KVCacheDataTypeE0EDF16_Li16ELi64ELi256ELb0ELi5EEvPKT_PKT0_S7_ifPKiS9_S9_iPKfiiiPfSC_PS2_PT2_iSB_SB_: ; @_Z39paged_attention_ll4mi_QKV_mfma16_kernelIDF16_DF16_LN4vllm18Fp8KVCacheDataTypeE0EDF16_Li16ELi64ELi256ELb0ELi5EEvPKT_PKT0_S7_ifPKiS9_S9_iPKfiiiPfSC_PS2_PT2_iSB_SB_
; %bb.0:
	s_get_pc_i64 s[2:3]
	s_add_nc_u64 s[2:3], s[2:3], __PRETTY_FUNCTION__._Z39paged_attention_ll4mi_QKV_mfma16_kernelIDF16_DF16_LN4vllm18Fp8KVCacheDataTypeE0EDF16_Li16ELi64ELi256ELb0ELi5EEvPKT_PKT0_S7_ifPKiS9_S9_iPKfiiiPfSC_PS2_PT2_iSB_SB_@rel64+4
	s_delay_alu instid0(SALU_CYCLE_1)
	v_dual_mov_b32 v0, 0xbb3 :: v_dual_mov_b32 v1, s2
	v_mov_b32_e32 v2, s3
	s_add_nc_u64 s[8:9], s[0:1], 0x90
	s_get_pc_i64 s[0:1]
	s_add_nc_u64 s[0:1], s[0:1], __assert_fail@rel64+4
	s_mov_b32 s32, 0
	s_swap_pc_i64 s[30:31], s[0:1]
	.section	.rodata,"a",@progbits
	.p2align	6, 0x0
	.amdhsa_kernel _Z39paged_attention_ll4mi_QKV_mfma16_kernelIDF16_DF16_LN4vllm18Fp8KVCacheDataTypeE0EDF16_Li16ELi64ELi256ELb0ELi5EEvPKT_PKT0_S7_ifPKiS9_S9_iPKfiiiPfSC_PS2_PT2_iSB_SB_
		.amdhsa_group_segment_fixed_size 0
		.amdhsa_private_segment_fixed_size 64
		.amdhsa_kernarg_size 400
		.amdhsa_user_sgpr_count 2
		.amdhsa_user_sgpr_dispatch_ptr 0
		.amdhsa_user_sgpr_queue_ptr 0
		.amdhsa_user_sgpr_kernarg_segment_ptr 1
		.amdhsa_user_sgpr_dispatch_id 0
		.amdhsa_user_sgpr_kernarg_preload_length 0
		.amdhsa_user_sgpr_kernarg_preload_offset 0
		.amdhsa_user_sgpr_private_segment_size 0
		.amdhsa_wavefront_size32 1
		.amdhsa_uses_dynamic_stack 0
		.amdhsa_enable_private_segment 1
		.amdhsa_system_sgpr_workgroup_id_x 1
		.amdhsa_system_sgpr_workgroup_id_y 0
		.amdhsa_system_sgpr_workgroup_id_z 0
		.amdhsa_system_sgpr_workgroup_info 0
		.amdhsa_system_vgpr_workitem_id 0
		.amdhsa_next_free_vgpr 51
		.amdhsa_next_free_sgpr 34
		.amdhsa_named_barrier_count 0
		.amdhsa_reserve_vcc 1
		.amdhsa_float_round_mode_32 0
		.amdhsa_float_round_mode_16_64 0
		.amdhsa_float_denorm_mode_32 3
		.amdhsa_float_denorm_mode_16_64 3
		.amdhsa_fp16_overflow 0
		.amdhsa_memory_ordered 1
		.amdhsa_forward_progress 1
		.amdhsa_inst_pref_size 1
		.amdhsa_round_robin_scheduling 0
		.amdhsa_exception_fp_ieee_invalid_op 0
		.amdhsa_exception_fp_denorm_src 0
		.amdhsa_exception_fp_ieee_div_zero 0
		.amdhsa_exception_fp_ieee_overflow 0
		.amdhsa_exception_fp_ieee_underflow 0
		.amdhsa_exception_fp_ieee_inexact 0
		.amdhsa_exception_int_div_zero 0
	.end_amdhsa_kernel
	.section	.text._Z39paged_attention_ll4mi_QKV_mfma16_kernelIDF16_DF16_LN4vllm18Fp8KVCacheDataTypeE0EDF16_Li16ELi64ELi256ELb0ELi5EEvPKT_PKT0_S7_ifPKiS9_S9_iPKfiiiPfSC_PS2_PT2_iSB_SB_,"axG",@progbits,_Z39paged_attention_ll4mi_QKV_mfma16_kernelIDF16_DF16_LN4vllm18Fp8KVCacheDataTypeE0EDF16_Li16ELi64ELi256ELb0ELi5EEvPKT_PKT0_S7_ifPKiS9_S9_iPKfiiiPfSC_PS2_PT2_iSB_SB_,comdat
.Lfunc_end98:
	.size	_Z39paged_attention_ll4mi_QKV_mfma16_kernelIDF16_DF16_LN4vllm18Fp8KVCacheDataTypeE0EDF16_Li16ELi64ELi256ELb0ELi5EEvPKT_PKT0_S7_ifPKiS9_S9_iPKfiiiPfSC_PS2_PT2_iSB_SB_, .Lfunc_end98-_Z39paged_attention_ll4mi_QKV_mfma16_kernelIDF16_DF16_LN4vllm18Fp8KVCacheDataTypeE0EDF16_Li16ELi64ELi256ELb0ELi5EEvPKT_PKT0_S7_ifPKiS9_S9_iPKfiiiPfSC_PS2_PT2_iSB_SB_
                                        ; -- End function
	.set _Z39paged_attention_ll4mi_QKV_mfma16_kernelIDF16_DF16_LN4vllm18Fp8KVCacheDataTypeE0EDF16_Li16ELi64ELi256ELb0ELi5EEvPKT_PKT0_S7_ifPKiS9_S9_iPKfiiiPfSC_PS2_PT2_iSB_SB_.num_vgpr, max(3, .L__assert_fail.num_vgpr)
	.set _Z39paged_attention_ll4mi_QKV_mfma16_kernelIDF16_DF16_LN4vllm18Fp8KVCacheDataTypeE0EDF16_Li16ELi64ELi256ELb0ELi5EEvPKT_PKT0_S7_ifPKiS9_S9_iPKfiiiPfSC_PS2_PT2_iSB_SB_.num_agpr, max(0, .L__assert_fail.num_agpr)
	.set _Z39paged_attention_ll4mi_QKV_mfma16_kernelIDF16_DF16_LN4vllm18Fp8KVCacheDataTypeE0EDF16_Li16ELi64ELi256ELb0ELi5EEvPKT_PKT0_S7_ifPKiS9_S9_iPKfiiiPfSC_PS2_PT2_iSB_SB_.numbered_sgpr, max(33, .L__assert_fail.numbered_sgpr)
	.set _Z39paged_attention_ll4mi_QKV_mfma16_kernelIDF16_DF16_LN4vllm18Fp8KVCacheDataTypeE0EDF16_Li16ELi64ELi256ELb0ELi5EEvPKT_PKT0_S7_ifPKiS9_S9_iPKfiiiPfSC_PS2_PT2_iSB_SB_.num_named_barrier, max(0, .L__assert_fail.num_named_barrier)
	.set _Z39paged_attention_ll4mi_QKV_mfma16_kernelIDF16_DF16_LN4vllm18Fp8KVCacheDataTypeE0EDF16_Li16ELi64ELi256ELb0ELi5EEvPKT_PKT0_S7_ifPKiS9_S9_iPKfiiiPfSC_PS2_PT2_iSB_SB_.private_seg_size, 0+max(.L__assert_fail.private_seg_size)
	.set _Z39paged_attention_ll4mi_QKV_mfma16_kernelIDF16_DF16_LN4vllm18Fp8KVCacheDataTypeE0EDF16_Li16ELi64ELi256ELb0ELi5EEvPKT_PKT0_S7_ifPKiS9_S9_iPKfiiiPfSC_PS2_PT2_iSB_SB_.uses_vcc, or(1, .L__assert_fail.uses_vcc)
	.set _Z39paged_attention_ll4mi_QKV_mfma16_kernelIDF16_DF16_LN4vllm18Fp8KVCacheDataTypeE0EDF16_Li16ELi64ELi256ELb0ELi5EEvPKT_PKT0_S7_ifPKiS9_S9_iPKfiiiPfSC_PS2_PT2_iSB_SB_.uses_flat_scratch, or(0, .L__assert_fail.uses_flat_scratch)
	.set _Z39paged_attention_ll4mi_QKV_mfma16_kernelIDF16_DF16_LN4vllm18Fp8KVCacheDataTypeE0EDF16_Li16ELi64ELi256ELb0ELi5EEvPKT_PKT0_S7_ifPKiS9_S9_iPKfiiiPfSC_PS2_PT2_iSB_SB_.has_dyn_sized_stack, or(0, .L__assert_fail.has_dyn_sized_stack)
	.set _Z39paged_attention_ll4mi_QKV_mfma16_kernelIDF16_DF16_LN4vllm18Fp8KVCacheDataTypeE0EDF16_Li16ELi64ELi256ELb0ELi5EEvPKT_PKT0_S7_ifPKiS9_S9_iPKfiiiPfSC_PS2_PT2_iSB_SB_.has_recursion, or(0, .L__assert_fail.has_recursion)
	.set _Z39paged_attention_ll4mi_QKV_mfma16_kernelIDF16_DF16_LN4vllm18Fp8KVCacheDataTypeE0EDF16_Li16ELi64ELi256ELb0ELi5EEvPKT_PKT0_S7_ifPKiS9_S9_iPKfiiiPfSC_PS2_PT2_iSB_SB_.has_indirect_call, or(0, .L__assert_fail.has_indirect_call)
	.section	.AMDGPU.csdata,"",@progbits
; Kernel info:
; codeLenInByte = 68
; TotalNumSgprs: 36
; NumVgprs: 51
; ScratchSize: 64
; MemoryBound: 0
; FloatMode: 240
; IeeeMode: 1
; LDSByteSize: 0 bytes/workgroup (compile time only)
; SGPRBlocks: 0
; VGPRBlocks: 3
; NumSGPRsForWavesPerEU: 36
; NumVGPRsForWavesPerEU: 51
; NamedBarCnt: 0
; Occupancy: 16
; WaveLimiterHint : 1
; COMPUTE_PGM_RSRC2:SCRATCH_EN: 1
; COMPUTE_PGM_RSRC2:USER_SGPR: 2
; COMPUTE_PGM_RSRC2:TRAP_HANDLER: 0
; COMPUTE_PGM_RSRC2:TGID_X_EN: 1
; COMPUTE_PGM_RSRC2:TGID_Y_EN: 0
; COMPUTE_PGM_RSRC2:TGID_Z_EN: 0
; COMPUTE_PGM_RSRC2:TIDIG_COMP_CNT: 0
	.section	.text._Z39paged_attention_ll4mi_QKV_mfma16_kernelIDF16_DF16_LN4vllm18Fp8KVCacheDataTypeE0EDF16_Li16ELi64ELi256ELb0ELi6EEvPKT_PKT0_S7_ifPKiS9_S9_iPKfiiiPfSC_PS2_PT2_iSB_SB_,"axG",@progbits,_Z39paged_attention_ll4mi_QKV_mfma16_kernelIDF16_DF16_LN4vllm18Fp8KVCacheDataTypeE0EDF16_Li16ELi64ELi256ELb0ELi6EEvPKT_PKT0_S7_ifPKiS9_S9_iPKfiiiPfSC_PS2_PT2_iSB_SB_,comdat
	.protected	_Z39paged_attention_ll4mi_QKV_mfma16_kernelIDF16_DF16_LN4vllm18Fp8KVCacheDataTypeE0EDF16_Li16ELi64ELi256ELb0ELi6EEvPKT_PKT0_S7_ifPKiS9_S9_iPKfiiiPfSC_PS2_PT2_iSB_SB_ ; -- Begin function _Z39paged_attention_ll4mi_QKV_mfma16_kernelIDF16_DF16_LN4vllm18Fp8KVCacheDataTypeE0EDF16_Li16ELi64ELi256ELb0ELi6EEvPKT_PKT0_S7_ifPKiS9_S9_iPKfiiiPfSC_PS2_PT2_iSB_SB_
	.globl	_Z39paged_attention_ll4mi_QKV_mfma16_kernelIDF16_DF16_LN4vllm18Fp8KVCacheDataTypeE0EDF16_Li16ELi64ELi256ELb0ELi6EEvPKT_PKT0_S7_ifPKiS9_S9_iPKfiiiPfSC_PS2_PT2_iSB_SB_
	.p2align	8
	.type	_Z39paged_attention_ll4mi_QKV_mfma16_kernelIDF16_DF16_LN4vllm18Fp8KVCacheDataTypeE0EDF16_Li16ELi64ELi256ELb0ELi6EEvPKT_PKT0_S7_ifPKiS9_S9_iPKfiiiPfSC_PS2_PT2_iSB_SB_,@function
_Z39paged_attention_ll4mi_QKV_mfma16_kernelIDF16_DF16_LN4vllm18Fp8KVCacheDataTypeE0EDF16_Li16ELi64ELi256ELb0ELi6EEvPKT_PKT0_S7_ifPKiS9_S9_iPKfiiiPfSC_PS2_PT2_iSB_SB_: ; @_Z39paged_attention_ll4mi_QKV_mfma16_kernelIDF16_DF16_LN4vllm18Fp8KVCacheDataTypeE0EDF16_Li16ELi64ELi256ELb0ELi6EEvPKT_PKT0_S7_ifPKiS9_S9_iPKfiiiPfSC_PS2_PT2_iSB_SB_
; %bb.0:
	s_get_pc_i64 s[2:3]
	s_add_nc_u64 s[2:3], s[2:3], __PRETTY_FUNCTION__._Z39paged_attention_ll4mi_QKV_mfma16_kernelIDF16_DF16_LN4vllm18Fp8KVCacheDataTypeE0EDF16_Li16ELi64ELi256ELb0ELi6EEvPKT_PKT0_S7_ifPKiS9_S9_iPKfiiiPfSC_PS2_PT2_iSB_SB_@rel64+4
	s_delay_alu instid0(SALU_CYCLE_1)
	v_dual_mov_b32 v0, 0xbb3 :: v_dual_mov_b32 v1, s2
	v_mov_b32_e32 v2, s3
	s_add_nc_u64 s[8:9], s[0:1], 0x90
	s_get_pc_i64 s[0:1]
	s_add_nc_u64 s[0:1], s[0:1], __assert_fail@rel64+4
	s_mov_b32 s32, 0
	s_swap_pc_i64 s[30:31], s[0:1]
	.section	.rodata,"a",@progbits
	.p2align	6, 0x0
	.amdhsa_kernel _Z39paged_attention_ll4mi_QKV_mfma16_kernelIDF16_DF16_LN4vllm18Fp8KVCacheDataTypeE0EDF16_Li16ELi64ELi256ELb0ELi6EEvPKT_PKT0_S7_ifPKiS9_S9_iPKfiiiPfSC_PS2_PT2_iSB_SB_
		.amdhsa_group_segment_fixed_size 0
		.amdhsa_private_segment_fixed_size 64
		.amdhsa_kernarg_size 400
		.amdhsa_user_sgpr_count 2
		.amdhsa_user_sgpr_dispatch_ptr 0
		.amdhsa_user_sgpr_queue_ptr 0
		.amdhsa_user_sgpr_kernarg_segment_ptr 1
		.amdhsa_user_sgpr_dispatch_id 0
		.amdhsa_user_sgpr_kernarg_preload_length 0
		.amdhsa_user_sgpr_kernarg_preload_offset 0
		.amdhsa_user_sgpr_private_segment_size 0
		.amdhsa_wavefront_size32 1
		.amdhsa_uses_dynamic_stack 0
		.amdhsa_enable_private_segment 1
		.amdhsa_system_sgpr_workgroup_id_x 1
		.amdhsa_system_sgpr_workgroup_id_y 0
		.amdhsa_system_sgpr_workgroup_id_z 0
		.amdhsa_system_sgpr_workgroup_info 0
		.amdhsa_system_vgpr_workitem_id 0
		.amdhsa_next_free_vgpr 51
		.amdhsa_next_free_sgpr 34
		.amdhsa_named_barrier_count 0
		.amdhsa_reserve_vcc 1
		.amdhsa_float_round_mode_32 0
		.amdhsa_float_round_mode_16_64 0
		.amdhsa_float_denorm_mode_32 3
		.amdhsa_float_denorm_mode_16_64 3
		.amdhsa_fp16_overflow 0
		.amdhsa_memory_ordered 1
		.amdhsa_forward_progress 1
		.amdhsa_inst_pref_size 1
		.amdhsa_round_robin_scheduling 0
		.amdhsa_exception_fp_ieee_invalid_op 0
		.amdhsa_exception_fp_denorm_src 0
		.amdhsa_exception_fp_ieee_div_zero 0
		.amdhsa_exception_fp_ieee_overflow 0
		.amdhsa_exception_fp_ieee_underflow 0
		.amdhsa_exception_fp_ieee_inexact 0
		.amdhsa_exception_int_div_zero 0
	.end_amdhsa_kernel
	.section	.text._Z39paged_attention_ll4mi_QKV_mfma16_kernelIDF16_DF16_LN4vllm18Fp8KVCacheDataTypeE0EDF16_Li16ELi64ELi256ELb0ELi6EEvPKT_PKT0_S7_ifPKiS9_S9_iPKfiiiPfSC_PS2_PT2_iSB_SB_,"axG",@progbits,_Z39paged_attention_ll4mi_QKV_mfma16_kernelIDF16_DF16_LN4vllm18Fp8KVCacheDataTypeE0EDF16_Li16ELi64ELi256ELb0ELi6EEvPKT_PKT0_S7_ifPKiS9_S9_iPKfiiiPfSC_PS2_PT2_iSB_SB_,comdat
.Lfunc_end99:
	.size	_Z39paged_attention_ll4mi_QKV_mfma16_kernelIDF16_DF16_LN4vllm18Fp8KVCacheDataTypeE0EDF16_Li16ELi64ELi256ELb0ELi6EEvPKT_PKT0_S7_ifPKiS9_S9_iPKfiiiPfSC_PS2_PT2_iSB_SB_, .Lfunc_end99-_Z39paged_attention_ll4mi_QKV_mfma16_kernelIDF16_DF16_LN4vllm18Fp8KVCacheDataTypeE0EDF16_Li16ELi64ELi256ELb0ELi6EEvPKT_PKT0_S7_ifPKiS9_S9_iPKfiiiPfSC_PS2_PT2_iSB_SB_
                                        ; -- End function
	.set _Z39paged_attention_ll4mi_QKV_mfma16_kernelIDF16_DF16_LN4vllm18Fp8KVCacheDataTypeE0EDF16_Li16ELi64ELi256ELb0ELi6EEvPKT_PKT0_S7_ifPKiS9_S9_iPKfiiiPfSC_PS2_PT2_iSB_SB_.num_vgpr, max(3, .L__assert_fail.num_vgpr)
	.set _Z39paged_attention_ll4mi_QKV_mfma16_kernelIDF16_DF16_LN4vllm18Fp8KVCacheDataTypeE0EDF16_Li16ELi64ELi256ELb0ELi6EEvPKT_PKT0_S7_ifPKiS9_S9_iPKfiiiPfSC_PS2_PT2_iSB_SB_.num_agpr, max(0, .L__assert_fail.num_agpr)
	.set _Z39paged_attention_ll4mi_QKV_mfma16_kernelIDF16_DF16_LN4vllm18Fp8KVCacheDataTypeE0EDF16_Li16ELi64ELi256ELb0ELi6EEvPKT_PKT0_S7_ifPKiS9_S9_iPKfiiiPfSC_PS2_PT2_iSB_SB_.numbered_sgpr, max(33, .L__assert_fail.numbered_sgpr)
	.set _Z39paged_attention_ll4mi_QKV_mfma16_kernelIDF16_DF16_LN4vllm18Fp8KVCacheDataTypeE0EDF16_Li16ELi64ELi256ELb0ELi6EEvPKT_PKT0_S7_ifPKiS9_S9_iPKfiiiPfSC_PS2_PT2_iSB_SB_.num_named_barrier, max(0, .L__assert_fail.num_named_barrier)
	.set _Z39paged_attention_ll4mi_QKV_mfma16_kernelIDF16_DF16_LN4vllm18Fp8KVCacheDataTypeE0EDF16_Li16ELi64ELi256ELb0ELi6EEvPKT_PKT0_S7_ifPKiS9_S9_iPKfiiiPfSC_PS2_PT2_iSB_SB_.private_seg_size, 0+max(.L__assert_fail.private_seg_size)
	.set _Z39paged_attention_ll4mi_QKV_mfma16_kernelIDF16_DF16_LN4vllm18Fp8KVCacheDataTypeE0EDF16_Li16ELi64ELi256ELb0ELi6EEvPKT_PKT0_S7_ifPKiS9_S9_iPKfiiiPfSC_PS2_PT2_iSB_SB_.uses_vcc, or(1, .L__assert_fail.uses_vcc)
	.set _Z39paged_attention_ll4mi_QKV_mfma16_kernelIDF16_DF16_LN4vllm18Fp8KVCacheDataTypeE0EDF16_Li16ELi64ELi256ELb0ELi6EEvPKT_PKT0_S7_ifPKiS9_S9_iPKfiiiPfSC_PS2_PT2_iSB_SB_.uses_flat_scratch, or(0, .L__assert_fail.uses_flat_scratch)
	.set _Z39paged_attention_ll4mi_QKV_mfma16_kernelIDF16_DF16_LN4vllm18Fp8KVCacheDataTypeE0EDF16_Li16ELi64ELi256ELb0ELi6EEvPKT_PKT0_S7_ifPKiS9_S9_iPKfiiiPfSC_PS2_PT2_iSB_SB_.has_dyn_sized_stack, or(0, .L__assert_fail.has_dyn_sized_stack)
	.set _Z39paged_attention_ll4mi_QKV_mfma16_kernelIDF16_DF16_LN4vllm18Fp8KVCacheDataTypeE0EDF16_Li16ELi64ELi256ELb0ELi6EEvPKT_PKT0_S7_ifPKiS9_S9_iPKfiiiPfSC_PS2_PT2_iSB_SB_.has_recursion, or(0, .L__assert_fail.has_recursion)
	.set _Z39paged_attention_ll4mi_QKV_mfma16_kernelIDF16_DF16_LN4vllm18Fp8KVCacheDataTypeE0EDF16_Li16ELi64ELi256ELb0ELi6EEvPKT_PKT0_S7_ifPKiS9_S9_iPKfiiiPfSC_PS2_PT2_iSB_SB_.has_indirect_call, or(0, .L__assert_fail.has_indirect_call)
	.section	.AMDGPU.csdata,"",@progbits
; Kernel info:
; codeLenInByte = 68
; TotalNumSgprs: 36
; NumVgprs: 51
; ScratchSize: 64
; MemoryBound: 0
; FloatMode: 240
; IeeeMode: 1
; LDSByteSize: 0 bytes/workgroup (compile time only)
; SGPRBlocks: 0
; VGPRBlocks: 3
; NumSGPRsForWavesPerEU: 36
; NumVGPRsForWavesPerEU: 51
; NamedBarCnt: 0
; Occupancy: 16
; WaveLimiterHint : 1
; COMPUTE_PGM_RSRC2:SCRATCH_EN: 1
; COMPUTE_PGM_RSRC2:USER_SGPR: 2
; COMPUTE_PGM_RSRC2:TRAP_HANDLER: 0
; COMPUTE_PGM_RSRC2:TGID_X_EN: 1
; COMPUTE_PGM_RSRC2:TGID_Y_EN: 0
; COMPUTE_PGM_RSRC2:TGID_Z_EN: 0
; COMPUTE_PGM_RSRC2:TIDIG_COMP_CNT: 0
	.section	.text._Z39paged_attention_ll4mi_QKV_mfma16_kernelIDF16_DF16_LN4vllm18Fp8KVCacheDataTypeE0EDF16_Li16ELi64ELi256ELb0ELi7EEvPKT_PKT0_S7_ifPKiS9_S9_iPKfiiiPfSC_PS2_PT2_iSB_SB_,"axG",@progbits,_Z39paged_attention_ll4mi_QKV_mfma16_kernelIDF16_DF16_LN4vllm18Fp8KVCacheDataTypeE0EDF16_Li16ELi64ELi256ELb0ELi7EEvPKT_PKT0_S7_ifPKiS9_S9_iPKfiiiPfSC_PS2_PT2_iSB_SB_,comdat
	.protected	_Z39paged_attention_ll4mi_QKV_mfma16_kernelIDF16_DF16_LN4vllm18Fp8KVCacheDataTypeE0EDF16_Li16ELi64ELi256ELb0ELi7EEvPKT_PKT0_S7_ifPKiS9_S9_iPKfiiiPfSC_PS2_PT2_iSB_SB_ ; -- Begin function _Z39paged_attention_ll4mi_QKV_mfma16_kernelIDF16_DF16_LN4vllm18Fp8KVCacheDataTypeE0EDF16_Li16ELi64ELi256ELb0ELi7EEvPKT_PKT0_S7_ifPKiS9_S9_iPKfiiiPfSC_PS2_PT2_iSB_SB_
	.globl	_Z39paged_attention_ll4mi_QKV_mfma16_kernelIDF16_DF16_LN4vllm18Fp8KVCacheDataTypeE0EDF16_Li16ELi64ELi256ELb0ELi7EEvPKT_PKT0_S7_ifPKiS9_S9_iPKfiiiPfSC_PS2_PT2_iSB_SB_
	.p2align	8
	.type	_Z39paged_attention_ll4mi_QKV_mfma16_kernelIDF16_DF16_LN4vllm18Fp8KVCacheDataTypeE0EDF16_Li16ELi64ELi256ELb0ELi7EEvPKT_PKT0_S7_ifPKiS9_S9_iPKfiiiPfSC_PS2_PT2_iSB_SB_,@function
_Z39paged_attention_ll4mi_QKV_mfma16_kernelIDF16_DF16_LN4vllm18Fp8KVCacheDataTypeE0EDF16_Li16ELi64ELi256ELb0ELi7EEvPKT_PKT0_S7_ifPKiS9_S9_iPKfiiiPfSC_PS2_PT2_iSB_SB_: ; @_Z39paged_attention_ll4mi_QKV_mfma16_kernelIDF16_DF16_LN4vllm18Fp8KVCacheDataTypeE0EDF16_Li16ELi64ELi256ELb0ELi7EEvPKT_PKT0_S7_ifPKiS9_S9_iPKfiiiPfSC_PS2_PT2_iSB_SB_
; %bb.0:
	s_get_pc_i64 s[2:3]
	s_add_nc_u64 s[2:3], s[2:3], __PRETTY_FUNCTION__._Z39paged_attention_ll4mi_QKV_mfma16_kernelIDF16_DF16_LN4vllm18Fp8KVCacheDataTypeE0EDF16_Li16ELi64ELi256ELb0ELi7EEvPKT_PKT0_S7_ifPKiS9_S9_iPKfiiiPfSC_PS2_PT2_iSB_SB_@rel64+4
	s_delay_alu instid0(SALU_CYCLE_1)
	v_dual_mov_b32 v0, 0xbb3 :: v_dual_mov_b32 v1, s2
	v_mov_b32_e32 v2, s3
	s_add_nc_u64 s[8:9], s[0:1], 0x90
	s_get_pc_i64 s[0:1]
	s_add_nc_u64 s[0:1], s[0:1], __assert_fail@rel64+4
	s_mov_b32 s32, 0
	s_swap_pc_i64 s[30:31], s[0:1]
	.section	.rodata,"a",@progbits
	.p2align	6, 0x0
	.amdhsa_kernel _Z39paged_attention_ll4mi_QKV_mfma16_kernelIDF16_DF16_LN4vllm18Fp8KVCacheDataTypeE0EDF16_Li16ELi64ELi256ELb0ELi7EEvPKT_PKT0_S7_ifPKiS9_S9_iPKfiiiPfSC_PS2_PT2_iSB_SB_
		.amdhsa_group_segment_fixed_size 0
		.amdhsa_private_segment_fixed_size 64
		.amdhsa_kernarg_size 400
		.amdhsa_user_sgpr_count 2
		.amdhsa_user_sgpr_dispatch_ptr 0
		.amdhsa_user_sgpr_queue_ptr 0
		.amdhsa_user_sgpr_kernarg_segment_ptr 1
		.amdhsa_user_sgpr_dispatch_id 0
		.amdhsa_user_sgpr_kernarg_preload_length 0
		.amdhsa_user_sgpr_kernarg_preload_offset 0
		.amdhsa_user_sgpr_private_segment_size 0
		.amdhsa_wavefront_size32 1
		.amdhsa_uses_dynamic_stack 0
		.amdhsa_enable_private_segment 1
		.amdhsa_system_sgpr_workgroup_id_x 1
		.amdhsa_system_sgpr_workgroup_id_y 0
		.amdhsa_system_sgpr_workgroup_id_z 0
		.amdhsa_system_sgpr_workgroup_info 0
		.amdhsa_system_vgpr_workitem_id 0
		.amdhsa_next_free_vgpr 51
		.amdhsa_next_free_sgpr 34
		.amdhsa_named_barrier_count 0
		.amdhsa_reserve_vcc 1
		.amdhsa_float_round_mode_32 0
		.amdhsa_float_round_mode_16_64 0
		.amdhsa_float_denorm_mode_32 3
		.amdhsa_float_denorm_mode_16_64 3
		.amdhsa_fp16_overflow 0
		.amdhsa_memory_ordered 1
		.amdhsa_forward_progress 1
		.amdhsa_inst_pref_size 1
		.amdhsa_round_robin_scheduling 0
		.amdhsa_exception_fp_ieee_invalid_op 0
		.amdhsa_exception_fp_denorm_src 0
		.amdhsa_exception_fp_ieee_div_zero 0
		.amdhsa_exception_fp_ieee_overflow 0
		.amdhsa_exception_fp_ieee_underflow 0
		.amdhsa_exception_fp_ieee_inexact 0
		.amdhsa_exception_int_div_zero 0
	.end_amdhsa_kernel
	.section	.text._Z39paged_attention_ll4mi_QKV_mfma16_kernelIDF16_DF16_LN4vllm18Fp8KVCacheDataTypeE0EDF16_Li16ELi64ELi256ELb0ELi7EEvPKT_PKT0_S7_ifPKiS9_S9_iPKfiiiPfSC_PS2_PT2_iSB_SB_,"axG",@progbits,_Z39paged_attention_ll4mi_QKV_mfma16_kernelIDF16_DF16_LN4vllm18Fp8KVCacheDataTypeE0EDF16_Li16ELi64ELi256ELb0ELi7EEvPKT_PKT0_S7_ifPKiS9_S9_iPKfiiiPfSC_PS2_PT2_iSB_SB_,comdat
.Lfunc_end100:
	.size	_Z39paged_attention_ll4mi_QKV_mfma16_kernelIDF16_DF16_LN4vllm18Fp8KVCacheDataTypeE0EDF16_Li16ELi64ELi256ELb0ELi7EEvPKT_PKT0_S7_ifPKiS9_S9_iPKfiiiPfSC_PS2_PT2_iSB_SB_, .Lfunc_end100-_Z39paged_attention_ll4mi_QKV_mfma16_kernelIDF16_DF16_LN4vllm18Fp8KVCacheDataTypeE0EDF16_Li16ELi64ELi256ELb0ELi7EEvPKT_PKT0_S7_ifPKiS9_S9_iPKfiiiPfSC_PS2_PT2_iSB_SB_
                                        ; -- End function
	.set _Z39paged_attention_ll4mi_QKV_mfma16_kernelIDF16_DF16_LN4vllm18Fp8KVCacheDataTypeE0EDF16_Li16ELi64ELi256ELb0ELi7EEvPKT_PKT0_S7_ifPKiS9_S9_iPKfiiiPfSC_PS2_PT2_iSB_SB_.num_vgpr, max(3, .L__assert_fail.num_vgpr)
	.set _Z39paged_attention_ll4mi_QKV_mfma16_kernelIDF16_DF16_LN4vllm18Fp8KVCacheDataTypeE0EDF16_Li16ELi64ELi256ELb0ELi7EEvPKT_PKT0_S7_ifPKiS9_S9_iPKfiiiPfSC_PS2_PT2_iSB_SB_.num_agpr, max(0, .L__assert_fail.num_agpr)
	.set _Z39paged_attention_ll4mi_QKV_mfma16_kernelIDF16_DF16_LN4vllm18Fp8KVCacheDataTypeE0EDF16_Li16ELi64ELi256ELb0ELi7EEvPKT_PKT0_S7_ifPKiS9_S9_iPKfiiiPfSC_PS2_PT2_iSB_SB_.numbered_sgpr, max(33, .L__assert_fail.numbered_sgpr)
	.set _Z39paged_attention_ll4mi_QKV_mfma16_kernelIDF16_DF16_LN4vllm18Fp8KVCacheDataTypeE0EDF16_Li16ELi64ELi256ELb0ELi7EEvPKT_PKT0_S7_ifPKiS9_S9_iPKfiiiPfSC_PS2_PT2_iSB_SB_.num_named_barrier, max(0, .L__assert_fail.num_named_barrier)
	.set _Z39paged_attention_ll4mi_QKV_mfma16_kernelIDF16_DF16_LN4vllm18Fp8KVCacheDataTypeE0EDF16_Li16ELi64ELi256ELb0ELi7EEvPKT_PKT0_S7_ifPKiS9_S9_iPKfiiiPfSC_PS2_PT2_iSB_SB_.private_seg_size, 0+max(.L__assert_fail.private_seg_size)
	.set _Z39paged_attention_ll4mi_QKV_mfma16_kernelIDF16_DF16_LN4vllm18Fp8KVCacheDataTypeE0EDF16_Li16ELi64ELi256ELb0ELi7EEvPKT_PKT0_S7_ifPKiS9_S9_iPKfiiiPfSC_PS2_PT2_iSB_SB_.uses_vcc, or(1, .L__assert_fail.uses_vcc)
	.set _Z39paged_attention_ll4mi_QKV_mfma16_kernelIDF16_DF16_LN4vllm18Fp8KVCacheDataTypeE0EDF16_Li16ELi64ELi256ELb0ELi7EEvPKT_PKT0_S7_ifPKiS9_S9_iPKfiiiPfSC_PS2_PT2_iSB_SB_.uses_flat_scratch, or(0, .L__assert_fail.uses_flat_scratch)
	.set _Z39paged_attention_ll4mi_QKV_mfma16_kernelIDF16_DF16_LN4vllm18Fp8KVCacheDataTypeE0EDF16_Li16ELi64ELi256ELb0ELi7EEvPKT_PKT0_S7_ifPKiS9_S9_iPKfiiiPfSC_PS2_PT2_iSB_SB_.has_dyn_sized_stack, or(0, .L__assert_fail.has_dyn_sized_stack)
	.set _Z39paged_attention_ll4mi_QKV_mfma16_kernelIDF16_DF16_LN4vllm18Fp8KVCacheDataTypeE0EDF16_Li16ELi64ELi256ELb0ELi7EEvPKT_PKT0_S7_ifPKiS9_S9_iPKfiiiPfSC_PS2_PT2_iSB_SB_.has_recursion, or(0, .L__assert_fail.has_recursion)
	.set _Z39paged_attention_ll4mi_QKV_mfma16_kernelIDF16_DF16_LN4vllm18Fp8KVCacheDataTypeE0EDF16_Li16ELi64ELi256ELb0ELi7EEvPKT_PKT0_S7_ifPKiS9_S9_iPKfiiiPfSC_PS2_PT2_iSB_SB_.has_indirect_call, or(0, .L__assert_fail.has_indirect_call)
	.section	.AMDGPU.csdata,"",@progbits
; Kernel info:
; codeLenInByte = 68
; TotalNumSgprs: 36
; NumVgprs: 51
; ScratchSize: 64
; MemoryBound: 0
; FloatMode: 240
; IeeeMode: 1
; LDSByteSize: 0 bytes/workgroup (compile time only)
; SGPRBlocks: 0
; VGPRBlocks: 3
; NumSGPRsForWavesPerEU: 36
; NumVGPRsForWavesPerEU: 51
; NamedBarCnt: 0
; Occupancy: 16
; WaveLimiterHint : 1
; COMPUTE_PGM_RSRC2:SCRATCH_EN: 1
; COMPUTE_PGM_RSRC2:USER_SGPR: 2
; COMPUTE_PGM_RSRC2:TRAP_HANDLER: 0
; COMPUTE_PGM_RSRC2:TGID_X_EN: 1
; COMPUTE_PGM_RSRC2:TGID_Y_EN: 0
; COMPUTE_PGM_RSRC2:TGID_Z_EN: 0
; COMPUTE_PGM_RSRC2:TIDIG_COMP_CNT: 0
	.section	.text._Z39paged_attention_ll4mi_QKV_mfma16_kernelIDF16_DF16_LN4vllm18Fp8KVCacheDataTypeE0EDF16_Li16ELi64ELi256ELb0ELi8EEvPKT_PKT0_S7_ifPKiS9_S9_iPKfiiiPfSC_PS2_PT2_iSB_SB_,"axG",@progbits,_Z39paged_attention_ll4mi_QKV_mfma16_kernelIDF16_DF16_LN4vllm18Fp8KVCacheDataTypeE0EDF16_Li16ELi64ELi256ELb0ELi8EEvPKT_PKT0_S7_ifPKiS9_S9_iPKfiiiPfSC_PS2_PT2_iSB_SB_,comdat
	.protected	_Z39paged_attention_ll4mi_QKV_mfma16_kernelIDF16_DF16_LN4vllm18Fp8KVCacheDataTypeE0EDF16_Li16ELi64ELi256ELb0ELi8EEvPKT_PKT0_S7_ifPKiS9_S9_iPKfiiiPfSC_PS2_PT2_iSB_SB_ ; -- Begin function _Z39paged_attention_ll4mi_QKV_mfma16_kernelIDF16_DF16_LN4vllm18Fp8KVCacheDataTypeE0EDF16_Li16ELi64ELi256ELb0ELi8EEvPKT_PKT0_S7_ifPKiS9_S9_iPKfiiiPfSC_PS2_PT2_iSB_SB_
	.globl	_Z39paged_attention_ll4mi_QKV_mfma16_kernelIDF16_DF16_LN4vllm18Fp8KVCacheDataTypeE0EDF16_Li16ELi64ELi256ELb0ELi8EEvPKT_PKT0_S7_ifPKiS9_S9_iPKfiiiPfSC_PS2_PT2_iSB_SB_
	.p2align	8
	.type	_Z39paged_attention_ll4mi_QKV_mfma16_kernelIDF16_DF16_LN4vllm18Fp8KVCacheDataTypeE0EDF16_Li16ELi64ELi256ELb0ELi8EEvPKT_PKT0_S7_ifPKiS9_S9_iPKfiiiPfSC_PS2_PT2_iSB_SB_,@function
_Z39paged_attention_ll4mi_QKV_mfma16_kernelIDF16_DF16_LN4vllm18Fp8KVCacheDataTypeE0EDF16_Li16ELi64ELi256ELb0ELi8EEvPKT_PKT0_S7_ifPKiS9_S9_iPKfiiiPfSC_PS2_PT2_iSB_SB_: ; @_Z39paged_attention_ll4mi_QKV_mfma16_kernelIDF16_DF16_LN4vllm18Fp8KVCacheDataTypeE0EDF16_Li16ELi64ELi256ELb0ELi8EEvPKT_PKT0_S7_ifPKiS9_S9_iPKfiiiPfSC_PS2_PT2_iSB_SB_
; %bb.0:
	s_get_pc_i64 s[2:3]
	s_add_nc_u64 s[2:3], s[2:3], __PRETTY_FUNCTION__._Z39paged_attention_ll4mi_QKV_mfma16_kernelIDF16_DF16_LN4vllm18Fp8KVCacheDataTypeE0EDF16_Li16ELi64ELi256ELb0ELi8EEvPKT_PKT0_S7_ifPKiS9_S9_iPKfiiiPfSC_PS2_PT2_iSB_SB_@rel64+4
	s_delay_alu instid0(SALU_CYCLE_1)
	v_dual_mov_b32 v0, 0xbb3 :: v_dual_mov_b32 v1, s2
	v_mov_b32_e32 v2, s3
	s_add_nc_u64 s[8:9], s[0:1], 0x90
	s_get_pc_i64 s[0:1]
	s_add_nc_u64 s[0:1], s[0:1], __assert_fail@rel64+4
	s_mov_b32 s32, 0
	s_swap_pc_i64 s[30:31], s[0:1]
	.section	.rodata,"a",@progbits
	.p2align	6, 0x0
	.amdhsa_kernel _Z39paged_attention_ll4mi_QKV_mfma16_kernelIDF16_DF16_LN4vllm18Fp8KVCacheDataTypeE0EDF16_Li16ELi64ELi256ELb0ELi8EEvPKT_PKT0_S7_ifPKiS9_S9_iPKfiiiPfSC_PS2_PT2_iSB_SB_
		.amdhsa_group_segment_fixed_size 0
		.amdhsa_private_segment_fixed_size 64
		.amdhsa_kernarg_size 400
		.amdhsa_user_sgpr_count 2
		.amdhsa_user_sgpr_dispatch_ptr 0
		.amdhsa_user_sgpr_queue_ptr 0
		.amdhsa_user_sgpr_kernarg_segment_ptr 1
		.amdhsa_user_sgpr_dispatch_id 0
		.amdhsa_user_sgpr_kernarg_preload_length 0
		.amdhsa_user_sgpr_kernarg_preload_offset 0
		.amdhsa_user_sgpr_private_segment_size 0
		.amdhsa_wavefront_size32 1
		.amdhsa_uses_dynamic_stack 0
		.amdhsa_enable_private_segment 1
		.amdhsa_system_sgpr_workgroup_id_x 1
		.amdhsa_system_sgpr_workgroup_id_y 0
		.amdhsa_system_sgpr_workgroup_id_z 0
		.amdhsa_system_sgpr_workgroup_info 0
		.amdhsa_system_vgpr_workitem_id 0
		.amdhsa_next_free_vgpr 51
		.amdhsa_next_free_sgpr 34
		.amdhsa_named_barrier_count 0
		.amdhsa_reserve_vcc 1
		.amdhsa_float_round_mode_32 0
		.amdhsa_float_round_mode_16_64 0
		.amdhsa_float_denorm_mode_32 3
		.amdhsa_float_denorm_mode_16_64 3
		.amdhsa_fp16_overflow 0
		.amdhsa_memory_ordered 1
		.amdhsa_forward_progress 1
		.amdhsa_inst_pref_size 1
		.amdhsa_round_robin_scheduling 0
		.amdhsa_exception_fp_ieee_invalid_op 0
		.amdhsa_exception_fp_denorm_src 0
		.amdhsa_exception_fp_ieee_div_zero 0
		.amdhsa_exception_fp_ieee_overflow 0
		.amdhsa_exception_fp_ieee_underflow 0
		.amdhsa_exception_fp_ieee_inexact 0
		.amdhsa_exception_int_div_zero 0
	.end_amdhsa_kernel
	.section	.text._Z39paged_attention_ll4mi_QKV_mfma16_kernelIDF16_DF16_LN4vllm18Fp8KVCacheDataTypeE0EDF16_Li16ELi64ELi256ELb0ELi8EEvPKT_PKT0_S7_ifPKiS9_S9_iPKfiiiPfSC_PS2_PT2_iSB_SB_,"axG",@progbits,_Z39paged_attention_ll4mi_QKV_mfma16_kernelIDF16_DF16_LN4vllm18Fp8KVCacheDataTypeE0EDF16_Li16ELi64ELi256ELb0ELi8EEvPKT_PKT0_S7_ifPKiS9_S9_iPKfiiiPfSC_PS2_PT2_iSB_SB_,comdat
.Lfunc_end101:
	.size	_Z39paged_attention_ll4mi_QKV_mfma16_kernelIDF16_DF16_LN4vllm18Fp8KVCacheDataTypeE0EDF16_Li16ELi64ELi256ELb0ELi8EEvPKT_PKT0_S7_ifPKiS9_S9_iPKfiiiPfSC_PS2_PT2_iSB_SB_, .Lfunc_end101-_Z39paged_attention_ll4mi_QKV_mfma16_kernelIDF16_DF16_LN4vllm18Fp8KVCacheDataTypeE0EDF16_Li16ELi64ELi256ELb0ELi8EEvPKT_PKT0_S7_ifPKiS9_S9_iPKfiiiPfSC_PS2_PT2_iSB_SB_
                                        ; -- End function
	.set _Z39paged_attention_ll4mi_QKV_mfma16_kernelIDF16_DF16_LN4vllm18Fp8KVCacheDataTypeE0EDF16_Li16ELi64ELi256ELb0ELi8EEvPKT_PKT0_S7_ifPKiS9_S9_iPKfiiiPfSC_PS2_PT2_iSB_SB_.num_vgpr, max(3, .L__assert_fail.num_vgpr)
	.set _Z39paged_attention_ll4mi_QKV_mfma16_kernelIDF16_DF16_LN4vllm18Fp8KVCacheDataTypeE0EDF16_Li16ELi64ELi256ELb0ELi8EEvPKT_PKT0_S7_ifPKiS9_S9_iPKfiiiPfSC_PS2_PT2_iSB_SB_.num_agpr, max(0, .L__assert_fail.num_agpr)
	.set _Z39paged_attention_ll4mi_QKV_mfma16_kernelIDF16_DF16_LN4vllm18Fp8KVCacheDataTypeE0EDF16_Li16ELi64ELi256ELb0ELi8EEvPKT_PKT0_S7_ifPKiS9_S9_iPKfiiiPfSC_PS2_PT2_iSB_SB_.numbered_sgpr, max(33, .L__assert_fail.numbered_sgpr)
	.set _Z39paged_attention_ll4mi_QKV_mfma16_kernelIDF16_DF16_LN4vllm18Fp8KVCacheDataTypeE0EDF16_Li16ELi64ELi256ELb0ELi8EEvPKT_PKT0_S7_ifPKiS9_S9_iPKfiiiPfSC_PS2_PT2_iSB_SB_.num_named_barrier, max(0, .L__assert_fail.num_named_barrier)
	.set _Z39paged_attention_ll4mi_QKV_mfma16_kernelIDF16_DF16_LN4vllm18Fp8KVCacheDataTypeE0EDF16_Li16ELi64ELi256ELb0ELi8EEvPKT_PKT0_S7_ifPKiS9_S9_iPKfiiiPfSC_PS2_PT2_iSB_SB_.private_seg_size, 0+max(.L__assert_fail.private_seg_size)
	.set _Z39paged_attention_ll4mi_QKV_mfma16_kernelIDF16_DF16_LN4vllm18Fp8KVCacheDataTypeE0EDF16_Li16ELi64ELi256ELb0ELi8EEvPKT_PKT0_S7_ifPKiS9_S9_iPKfiiiPfSC_PS2_PT2_iSB_SB_.uses_vcc, or(1, .L__assert_fail.uses_vcc)
	.set _Z39paged_attention_ll4mi_QKV_mfma16_kernelIDF16_DF16_LN4vllm18Fp8KVCacheDataTypeE0EDF16_Li16ELi64ELi256ELb0ELi8EEvPKT_PKT0_S7_ifPKiS9_S9_iPKfiiiPfSC_PS2_PT2_iSB_SB_.uses_flat_scratch, or(0, .L__assert_fail.uses_flat_scratch)
	.set _Z39paged_attention_ll4mi_QKV_mfma16_kernelIDF16_DF16_LN4vllm18Fp8KVCacheDataTypeE0EDF16_Li16ELi64ELi256ELb0ELi8EEvPKT_PKT0_S7_ifPKiS9_S9_iPKfiiiPfSC_PS2_PT2_iSB_SB_.has_dyn_sized_stack, or(0, .L__assert_fail.has_dyn_sized_stack)
	.set _Z39paged_attention_ll4mi_QKV_mfma16_kernelIDF16_DF16_LN4vllm18Fp8KVCacheDataTypeE0EDF16_Li16ELi64ELi256ELb0ELi8EEvPKT_PKT0_S7_ifPKiS9_S9_iPKfiiiPfSC_PS2_PT2_iSB_SB_.has_recursion, or(0, .L__assert_fail.has_recursion)
	.set _Z39paged_attention_ll4mi_QKV_mfma16_kernelIDF16_DF16_LN4vllm18Fp8KVCacheDataTypeE0EDF16_Li16ELi64ELi256ELb0ELi8EEvPKT_PKT0_S7_ifPKiS9_S9_iPKfiiiPfSC_PS2_PT2_iSB_SB_.has_indirect_call, or(0, .L__assert_fail.has_indirect_call)
	.section	.AMDGPU.csdata,"",@progbits
; Kernel info:
; codeLenInByte = 68
; TotalNumSgprs: 36
; NumVgprs: 51
; ScratchSize: 64
; MemoryBound: 0
; FloatMode: 240
; IeeeMode: 1
; LDSByteSize: 0 bytes/workgroup (compile time only)
; SGPRBlocks: 0
; VGPRBlocks: 3
; NumSGPRsForWavesPerEU: 36
; NumVGPRsForWavesPerEU: 51
; NamedBarCnt: 0
; Occupancy: 16
; WaveLimiterHint : 1
; COMPUTE_PGM_RSRC2:SCRATCH_EN: 1
; COMPUTE_PGM_RSRC2:USER_SGPR: 2
; COMPUTE_PGM_RSRC2:TRAP_HANDLER: 0
; COMPUTE_PGM_RSRC2:TGID_X_EN: 1
; COMPUTE_PGM_RSRC2:TGID_Y_EN: 0
; COMPUTE_PGM_RSRC2:TGID_Z_EN: 0
; COMPUTE_PGM_RSRC2:TIDIG_COMP_CNT: 0
	.section	.text._Z39paged_attention_ll4mi_QKV_mfma16_kernelIDF16_DF16_LN4vllm18Fp8KVCacheDataTypeE0EDF16_Li16ELi64ELi256ELb0ELi9EEvPKT_PKT0_S7_ifPKiS9_S9_iPKfiiiPfSC_PS2_PT2_iSB_SB_,"axG",@progbits,_Z39paged_attention_ll4mi_QKV_mfma16_kernelIDF16_DF16_LN4vllm18Fp8KVCacheDataTypeE0EDF16_Li16ELi64ELi256ELb0ELi9EEvPKT_PKT0_S7_ifPKiS9_S9_iPKfiiiPfSC_PS2_PT2_iSB_SB_,comdat
	.protected	_Z39paged_attention_ll4mi_QKV_mfma16_kernelIDF16_DF16_LN4vllm18Fp8KVCacheDataTypeE0EDF16_Li16ELi64ELi256ELb0ELi9EEvPKT_PKT0_S7_ifPKiS9_S9_iPKfiiiPfSC_PS2_PT2_iSB_SB_ ; -- Begin function _Z39paged_attention_ll4mi_QKV_mfma16_kernelIDF16_DF16_LN4vllm18Fp8KVCacheDataTypeE0EDF16_Li16ELi64ELi256ELb0ELi9EEvPKT_PKT0_S7_ifPKiS9_S9_iPKfiiiPfSC_PS2_PT2_iSB_SB_
	.globl	_Z39paged_attention_ll4mi_QKV_mfma16_kernelIDF16_DF16_LN4vllm18Fp8KVCacheDataTypeE0EDF16_Li16ELi64ELi256ELb0ELi9EEvPKT_PKT0_S7_ifPKiS9_S9_iPKfiiiPfSC_PS2_PT2_iSB_SB_
	.p2align	8
	.type	_Z39paged_attention_ll4mi_QKV_mfma16_kernelIDF16_DF16_LN4vllm18Fp8KVCacheDataTypeE0EDF16_Li16ELi64ELi256ELb0ELi9EEvPKT_PKT0_S7_ifPKiS9_S9_iPKfiiiPfSC_PS2_PT2_iSB_SB_,@function
_Z39paged_attention_ll4mi_QKV_mfma16_kernelIDF16_DF16_LN4vllm18Fp8KVCacheDataTypeE0EDF16_Li16ELi64ELi256ELb0ELi9EEvPKT_PKT0_S7_ifPKiS9_S9_iPKfiiiPfSC_PS2_PT2_iSB_SB_: ; @_Z39paged_attention_ll4mi_QKV_mfma16_kernelIDF16_DF16_LN4vllm18Fp8KVCacheDataTypeE0EDF16_Li16ELi64ELi256ELb0ELi9EEvPKT_PKT0_S7_ifPKiS9_S9_iPKfiiiPfSC_PS2_PT2_iSB_SB_
; %bb.0:
	s_get_pc_i64 s[2:3]
	s_add_nc_u64 s[2:3], s[2:3], __PRETTY_FUNCTION__._Z39paged_attention_ll4mi_QKV_mfma16_kernelIDF16_DF16_LN4vllm18Fp8KVCacheDataTypeE0EDF16_Li16ELi64ELi256ELb0ELi9EEvPKT_PKT0_S7_ifPKiS9_S9_iPKfiiiPfSC_PS2_PT2_iSB_SB_@rel64+4
	s_delay_alu instid0(SALU_CYCLE_1)
	v_dual_mov_b32 v0, 0xbb3 :: v_dual_mov_b32 v1, s2
	v_mov_b32_e32 v2, s3
	s_add_nc_u64 s[8:9], s[0:1], 0x90
	s_get_pc_i64 s[0:1]
	s_add_nc_u64 s[0:1], s[0:1], __assert_fail@rel64+4
	s_mov_b32 s32, 0
	s_swap_pc_i64 s[30:31], s[0:1]
	.section	.rodata,"a",@progbits
	.p2align	6, 0x0
	.amdhsa_kernel _Z39paged_attention_ll4mi_QKV_mfma16_kernelIDF16_DF16_LN4vllm18Fp8KVCacheDataTypeE0EDF16_Li16ELi64ELi256ELb0ELi9EEvPKT_PKT0_S7_ifPKiS9_S9_iPKfiiiPfSC_PS2_PT2_iSB_SB_
		.amdhsa_group_segment_fixed_size 0
		.amdhsa_private_segment_fixed_size 64
		.amdhsa_kernarg_size 400
		.amdhsa_user_sgpr_count 2
		.amdhsa_user_sgpr_dispatch_ptr 0
		.amdhsa_user_sgpr_queue_ptr 0
		.amdhsa_user_sgpr_kernarg_segment_ptr 1
		.amdhsa_user_sgpr_dispatch_id 0
		.amdhsa_user_sgpr_kernarg_preload_length 0
		.amdhsa_user_sgpr_kernarg_preload_offset 0
		.amdhsa_user_sgpr_private_segment_size 0
		.amdhsa_wavefront_size32 1
		.amdhsa_uses_dynamic_stack 0
		.amdhsa_enable_private_segment 1
		.amdhsa_system_sgpr_workgroup_id_x 1
		.amdhsa_system_sgpr_workgroup_id_y 0
		.amdhsa_system_sgpr_workgroup_id_z 0
		.amdhsa_system_sgpr_workgroup_info 0
		.amdhsa_system_vgpr_workitem_id 0
		.amdhsa_next_free_vgpr 51
		.amdhsa_next_free_sgpr 34
		.amdhsa_named_barrier_count 0
		.amdhsa_reserve_vcc 1
		.amdhsa_float_round_mode_32 0
		.amdhsa_float_round_mode_16_64 0
		.amdhsa_float_denorm_mode_32 3
		.amdhsa_float_denorm_mode_16_64 3
		.amdhsa_fp16_overflow 0
		.amdhsa_memory_ordered 1
		.amdhsa_forward_progress 1
		.amdhsa_inst_pref_size 1
		.amdhsa_round_robin_scheduling 0
		.amdhsa_exception_fp_ieee_invalid_op 0
		.amdhsa_exception_fp_denorm_src 0
		.amdhsa_exception_fp_ieee_div_zero 0
		.amdhsa_exception_fp_ieee_overflow 0
		.amdhsa_exception_fp_ieee_underflow 0
		.amdhsa_exception_fp_ieee_inexact 0
		.amdhsa_exception_int_div_zero 0
	.end_amdhsa_kernel
	.section	.text._Z39paged_attention_ll4mi_QKV_mfma16_kernelIDF16_DF16_LN4vllm18Fp8KVCacheDataTypeE0EDF16_Li16ELi64ELi256ELb0ELi9EEvPKT_PKT0_S7_ifPKiS9_S9_iPKfiiiPfSC_PS2_PT2_iSB_SB_,"axG",@progbits,_Z39paged_attention_ll4mi_QKV_mfma16_kernelIDF16_DF16_LN4vllm18Fp8KVCacheDataTypeE0EDF16_Li16ELi64ELi256ELb0ELi9EEvPKT_PKT0_S7_ifPKiS9_S9_iPKfiiiPfSC_PS2_PT2_iSB_SB_,comdat
.Lfunc_end102:
	.size	_Z39paged_attention_ll4mi_QKV_mfma16_kernelIDF16_DF16_LN4vllm18Fp8KVCacheDataTypeE0EDF16_Li16ELi64ELi256ELb0ELi9EEvPKT_PKT0_S7_ifPKiS9_S9_iPKfiiiPfSC_PS2_PT2_iSB_SB_, .Lfunc_end102-_Z39paged_attention_ll4mi_QKV_mfma16_kernelIDF16_DF16_LN4vllm18Fp8KVCacheDataTypeE0EDF16_Li16ELi64ELi256ELb0ELi9EEvPKT_PKT0_S7_ifPKiS9_S9_iPKfiiiPfSC_PS2_PT2_iSB_SB_
                                        ; -- End function
	.set _Z39paged_attention_ll4mi_QKV_mfma16_kernelIDF16_DF16_LN4vllm18Fp8KVCacheDataTypeE0EDF16_Li16ELi64ELi256ELb0ELi9EEvPKT_PKT0_S7_ifPKiS9_S9_iPKfiiiPfSC_PS2_PT2_iSB_SB_.num_vgpr, max(3, .L__assert_fail.num_vgpr)
	.set _Z39paged_attention_ll4mi_QKV_mfma16_kernelIDF16_DF16_LN4vllm18Fp8KVCacheDataTypeE0EDF16_Li16ELi64ELi256ELb0ELi9EEvPKT_PKT0_S7_ifPKiS9_S9_iPKfiiiPfSC_PS2_PT2_iSB_SB_.num_agpr, max(0, .L__assert_fail.num_agpr)
	.set _Z39paged_attention_ll4mi_QKV_mfma16_kernelIDF16_DF16_LN4vllm18Fp8KVCacheDataTypeE0EDF16_Li16ELi64ELi256ELb0ELi9EEvPKT_PKT0_S7_ifPKiS9_S9_iPKfiiiPfSC_PS2_PT2_iSB_SB_.numbered_sgpr, max(33, .L__assert_fail.numbered_sgpr)
	.set _Z39paged_attention_ll4mi_QKV_mfma16_kernelIDF16_DF16_LN4vllm18Fp8KVCacheDataTypeE0EDF16_Li16ELi64ELi256ELb0ELi9EEvPKT_PKT0_S7_ifPKiS9_S9_iPKfiiiPfSC_PS2_PT2_iSB_SB_.num_named_barrier, max(0, .L__assert_fail.num_named_barrier)
	.set _Z39paged_attention_ll4mi_QKV_mfma16_kernelIDF16_DF16_LN4vllm18Fp8KVCacheDataTypeE0EDF16_Li16ELi64ELi256ELb0ELi9EEvPKT_PKT0_S7_ifPKiS9_S9_iPKfiiiPfSC_PS2_PT2_iSB_SB_.private_seg_size, 0+max(.L__assert_fail.private_seg_size)
	.set _Z39paged_attention_ll4mi_QKV_mfma16_kernelIDF16_DF16_LN4vllm18Fp8KVCacheDataTypeE0EDF16_Li16ELi64ELi256ELb0ELi9EEvPKT_PKT0_S7_ifPKiS9_S9_iPKfiiiPfSC_PS2_PT2_iSB_SB_.uses_vcc, or(1, .L__assert_fail.uses_vcc)
	.set _Z39paged_attention_ll4mi_QKV_mfma16_kernelIDF16_DF16_LN4vllm18Fp8KVCacheDataTypeE0EDF16_Li16ELi64ELi256ELb0ELi9EEvPKT_PKT0_S7_ifPKiS9_S9_iPKfiiiPfSC_PS2_PT2_iSB_SB_.uses_flat_scratch, or(0, .L__assert_fail.uses_flat_scratch)
	.set _Z39paged_attention_ll4mi_QKV_mfma16_kernelIDF16_DF16_LN4vllm18Fp8KVCacheDataTypeE0EDF16_Li16ELi64ELi256ELb0ELi9EEvPKT_PKT0_S7_ifPKiS9_S9_iPKfiiiPfSC_PS2_PT2_iSB_SB_.has_dyn_sized_stack, or(0, .L__assert_fail.has_dyn_sized_stack)
	.set _Z39paged_attention_ll4mi_QKV_mfma16_kernelIDF16_DF16_LN4vllm18Fp8KVCacheDataTypeE0EDF16_Li16ELi64ELi256ELb0ELi9EEvPKT_PKT0_S7_ifPKiS9_S9_iPKfiiiPfSC_PS2_PT2_iSB_SB_.has_recursion, or(0, .L__assert_fail.has_recursion)
	.set _Z39paged_attention_ll4mi_QKV_mfma16_kernelIDF16_DF16_LN4vllm18Fp8KVCacheDataTypeE0EDF16_Li16ELi64ELi256ELb0ELi9EEvPKT_PKT0_S7_ifPKiS9_S9_iPKfiiiPfSC_PS2_PT2_iSB_SB_.has_indirect_call, or(0, .L__assert_fail.has_indirect_call)
	.section	.AMDGPU.csdata,"",@progbits
; Kernel info:
; codeLenInByte = 68
; TotalNumSgprs: 36
; NumVgprs: 51
; ScratchSize: 64
; MemoryBound: 0
; FloatMode: 240
; IeeeMode: 1
; LDSByteSize: 0 bytes/workgroup (compile time only)
; SGPRBlocks: 0
; VGPRBlocks: 3
; NumSGPRsForWavesPerEU: 36
; NumVGPRsForWavesPerEU: 51
; NamedBarCnt: 0
; Occupancy: 16
; WaveLimiterHint : 1
; COMPUTE_PGM_RSRC2:SCRATCH_EN: 1
; COMPUTE_PGM_RSRC2:USER_SGPR: 2
; COMPUTE_PGM_RSRC2:TRAP_HANDLER: 0
; COMPUTE_PGM_RSRC2:TGID_X_EN: 1
; COMPUTE_PGM_RSRC2:TGID_Y_EN: 0
; COMPUTE_PGM_RSRC2:TGID_Z_EN: 0
; COMPUTE_PGM_RSRC2:TIDIG_COMP_CNT: 0
	.section	.text._Z39paged_attention_ll4mi_QKV_mfma16_kernelIDF16_DF16_LN4vllm18Fp8KVCacheDataTypeE0EDF16_Li16ELi64ELi256ELb0ELi10EEvPKT_PKT0_S7_ifPKiS9_S9_iPKfiiiPfSC_PS2_PT2_iSB_SB_,"axG",@progbits,_Z39paged_attention_ll4mi_QKV_mfma16_kernelIDF16_DF16_LN4vllm18Fp8KVCacheDataTypeE0EDF16_Li16ELi64ELi256ELb0ELi10EEvPKT_PKT0_S7_ifPKiS9_S9_iPKfiiiPfSC_PS2_PT2_iSB_SB_,comdat
	.protected	_Z39paged_attention_ll4mi_QKV_mfma16_kernelIDF16_DF16_LN4vllm18Fp8KVCacheDataTypeE0EDF16_Li16ELi64ELi256ELb0ELi10EEvPKT_PKT0_S7_ifPKiS9_S9_iPKfiiiPfSC_PS2_PT2_iSB_SB_ ; -- Begin function _Z39paged_attention_ll4mi_QKV_mfma16_kernelIDF16_DF16_LN4vllm18Fp8KVCacheDataTypeE0EDF16_Li16ELi64ELi256ELb0ELi10EEvPKT_PKT0_S7_ifPKiS9_S9_iPKfiiiPfSC_PS2_PT2_iSB_SB_
	.globl	_Z39paged_attention_ll4mi_QKV_mfma16_kernelIDF16_DF16_LN4vllm18Fp8KVCacheDataTypeE0EDF16_Li16ELi64ELi256ELb0ELi10EEvPKT_PKT0_S7_ifPKiS9_S9_iPKfiiiPfSC_PS2_PT2_iSB_SB_
	.p2align	8
	.type	_Z39paged_attention_ll4mi_QKV_mfma16_kernelIDF16_DF16_LN4vllm18Fp8KVCacheDataTypeE0EDF16_Li16ELi64ELi256ELb0ELi10EEvPKT_PKT0_S7_ifPKiS9_S9_iPKfiiiPfSC_PS2_PT2_iSB_SB_,@function
_Z39paged_attention_ll4mi_QKV_mfma16_kernelIDF16_DF16_LN4vllm18Fp8KVCacheDataTypeE0EDF16_Li16ELi64ELi256ELb0ELi10EEvPKT_PKT0_S7_ifPKiS9_S9_iPKfiiiPfSC_PS2_PT2_iSB_SB_: ; @_Z39paged_attention_ll4mi_QKV_mfma16_kernelIDF16_DF16_LN4vllm18Fp8KVCacheDataTypeE0EDF16_Li16ELi64ELi256ELb0ELi10EEvPKT_PKT0_S7_ifPKiS9_S9_iPKfiiiPfSC_PS2_PT2_iSB_SB_
; %bb.0:
	s_get_pc_i64 s[2:3]
	s_add_nc_u64 s[2:3], s[2:3], __PRETTY_FUNCTION__._Z39paged_attention_ll4mi_QKV_mfma16_kernelIDF16_DF16_LN4vllm18Fp8KVCacheDataTypeE0EDF16_Li16ELi64ELi256ELb0ELi10EEvPKT_PKT0_S7_ifPKiS9_S9_iPKfiiiPfSC_PS2_PT2_iSB_SB_@rel64+4
	s_delay_alu instid0(SALU_CYCLE_1)
	v_dual_mov_b32 v0, 0xbb3 :: v_dual_mov_b32 v1, s2
	v_mov_b32_e32 v2, s3
	s_add_nc_u64 s[8:9], s[0:1], 0x90
	s_get_pc_i64 s[0:1]
	s_add_nc_u64 s[0:1], s[0:1], __assert_fail@rel64+4
	s_mov_b32 s32, 0
	s_swap_pc_i64 s[30:31], s[0:1]
	.section	.rodata,"a",@progbits
	.p2align	6, 0x0
	.amdhsa_kernel _Z39paged_attention_ll4mi_QKV_mfma16_kernelIDF16_DF16_LN4vllm18Fp8KVCacheDataTypeE0EDF16_Li16ELi64ELi256ELb0ELi10EEvPKT_PKT0_S7_ifPKiS9_S9_iPKfiiiPfSC_PS2_PT2_iSB_SB_
		.amdhsa_group_segment_fixed_size 0
		.amdhsa_private_segment_fixed_size 64
		.amdhsa_kernarg_size 400
		.amdhsa_user_sgpr_count 2
		.amdhsa_user_sgpr_dispatch_ptr 0
		.amdhsa_user_sgpr_queue_ptr 0
		.amdhsa_user_sgpr_kernarg_segment_ptr 1
		.amdhsa_user_sgpr_dispatch_id 0
		.amdhsa_user_sgpr_kernarg_preload_length 0
		.amdhsa_user_sgpr_kernarg_preload_offset 0
		.amdhsa_user_sgpr_private_segment_size 0
		.amdhsa_wavefront_size32 1
		.amdhsa_uses_dynamic_stack 0
		.amdhsa_enable_private_segment 1
		.amdhsa_system_sgpr_workgroup_id_x 1
		.amdhsa_system_sgpr_workgroup_id_y 0
		.amdhsa_system_sgpr_workgroup_id_z 0
		.amdhsa_system_sgpr_workgroup_info 0
		.amdhsa_system_vgpr_workitem_id 0
		.amdhsa_next_free_vgpr 51
		.amdhsa_next_free_sgpr 34
		.amdhsa_named_barrier_count 0
		.amdhsa_reserve_vcc 1
		.amdhsa_float_round_mode_32 0
		.amdhsa_float_round_mode_16_64 0
		.amdhsa_float_denorm_mode_32 3
		.amdhsa_float_denorm_mode_16_64 3
		.amdhsa_fp16_overflow 0
		.amdhsa_memory_ordered 1
		.amdhsa_forward_progress 1
		.amdhsa_inst_pref_size 1
		.amdhsa_round_robin_scheduling 0
		.amdhsa_exception_fp_ieee_invalid_op 0
		.amdhsa_exception_fp_denorm_src 0
		.amdhsa_exception_fp_ieee_div_zero 0
		.amdhsa_exception_fp_ieee_overflow 0
		.amdhsa_exception_fp_ieee_underflow 0
		.amdhsa_exception_fp_ieee_inexact 0
		.amdhsa_exception_int_div_zero 0
	.end_amdhsa_kernel
	.section	.text._Z39paged_attention_ll4mi_QKV_mfma16_kernelIDF16_DF16_LN4vllm18Fp8KVCacheDataTypeE0EDF16_Li16ELi64ELi256ELb0ELi10EEvPKT_PKT0_S7_ifPKiS9_S9_iPKfiiiPfSC_PS2_PT2_iSB_SB_,"axG",@progbits,_Z39paged_attention_ll4mi_QKV_mfma16_kernelIDF16_DF16_LN4vllm18Fp8KVCacheDataTypeE0EDF16_Li16ELi64ELi256ELb0ELi10EEvPKT_PKT0_S7_ifPKiS9_S9_iPKfiiiPfSC_PS2_PT2_iSB_SB_,comdat
.Lfunc_end103:
	.size	_Z39paged_attention_ll4mi_QKV_mfma16_kernelIDF16_DF16_LN4vllm18Fp8KVCacheDataTypeE0EDF16_Li16ELi64ELi256ELb0ELi10EEvPKT_PKT0_S7_ifPKiS9_S9_iPKfiiiPfSC_PS2_PT2_iSB_SB_, .Lfunc_end103-_Z39paged_attention_ll4mi_QKV_mfma16_kernelIDF16_DF16_LN4vllm18Fp8KVCacheDataTypeE0EDF16_Li16ELi64ELi256ELb0ELi10EEvPKT_PKT0_S7_ifPKiS9_S9_iPKfiiiPfSC_PS2_PT2_iSB_SB_
                                        ; -- End function
	.set _Z39paged_attention_ll4mi_QKV_mfma16_kernelIDF16_DF16_LN4vllm18Fp8KVCacheDataTypeE0EDF16_Li16ELi64ELi256ELb0ELi10EEvPKT_PKT0_S7_ifPKiS9_S9_iPKfiiiPfSC_PS2_PT2_iSB_SB_.num_vgpr, max(3, .L__assert_fail.num_vgpr)
	.set _Z39paged_attention_ll4mi_QKV_mfma16_kernelIDF16_DF16_LN4vllm18Fp8KVCacheDataTypeE0EDF16_Li16ELi64ELi256ELb0ELi10EEvPKT_PKT0_S7_ifPKiS9_S9_iPKfiiiPfSC_PS2_PT2_iSB_SB_.num_agpr, max(0, .L__assert_fail.num_agpr)
	.set _Z39paged_attention_ll4mi_QKV_mfma16_kernelIDF16_DF16_LN4vllm18Fp8KVCacheDataTypeE0EDF16_Li16ELi64ELi256ELb0ELi10EEvPKT_PKT0_S7_ifPKiS9_S9_iPKfiiiPfSC_PS2_PT2_iSB_SB_.numbered_sgpr, max(33, .L__assert_fail.numbered_sgpr)
	.set _Z39paged_attention_ll4mi_QKV_mfma16_kernelIDF16_DF16_LN4vllm18Fp8KVCacheDataTypeE0EDF16_Li16ELi64ELi256ELb0ELi10EEvPKT_PKT0_S7_ifPKiS9_S9_iPKfiiiPfSC_PS2_PT2_iSB_SB_.num_named_barrier, max(0, .L__assert_fail.num_named_barrier)
	.set _Z39paged_attention_ll4mi_QKV_mfma16_kernelIDF16_DF16_LN4vllm18Fp8KVCacheDataTypeE0EDF16_Li16ELi64ELi256ELb0ELi10EEvPKT_PKT0_S7_ifPKiS9_S9_iPKfiiiPfSC_PS2_PT2_iSB_SB_.private_seg_size, 0+max(.L__assert_fail.private_seg_size)
	.set _Z39paged_attention_ll4mi_QKV_mfma16_kernelIDF16_DF16_LN4vllm18Fp8KVCacheDataTypeE0EDF16_Li16ELi64ELi256ELb0ELi10EEvPKT_PKT0_S7_ifPKiS9_S9_iPKfiiiPfSC_PS2_PT2_iSB_SB_.uses_vcc, or(1, .L__assert_fail.uses_vcc)
	.set _Z39paged_attention_ll4mi_QKV_mfma16_kernelIDF16_DF16_LN4vllm18Fp8KVCacheDataTypeE0EDF16_Li16ELi64ELi256ELb0ELi10EEvPKT_PKT0_S7_ifPKiS9_S9_iPKfiiiPfSC_PS2_PT2_iSB_SB_.uses_flat_scratch, or(0, .L__assert_fail.uses_flat_scratch)
	.set _Z39paged_attention_ll4mi_QKV_mfma16_kernelIDF16_DF16_LN4vllm18Fp8KVCacheDataTypeE0EDF16_Li16ELi64ELi256ELb0ELi10EEvPKT_PKT0_S7_ifPKiS9_S9_iPKfiiiPfSC_PS2_PT2_iSB_SB_.has_dyn_sized_stack, or(0, .L__assert_fail.has_dyn_sized_stack)
	.set _Z39paged_attention_ll4mi_QKV_mfma16_kernelIDF16_DF16_LN4vllm18Fp8KVCacheDataTypeE0EDF16_Li16ELi64ELi256ELb0ELi10EEvPKT_PKT0_S7_ifPKiS9_S9_iPKfiiiPfSC_PS2_PT2_iSB_SB_.has_recursion, or(0, .L__assert_fail.has_recursion)
	.set _Z39paged_attention_ll4mi_QKV_mfma16_kernelIDF16_DF16_LN4vllm18Fp8KVCacheDataTypeE0EDF16_Li16ELi64ELi256ELb0ELi10EEvPKT_PKT0_S7_ifPKiS9_S9_iPKfiiiPfSC_PS2_PT2_iSB_SB_.has_indirect_call, or(0, .L__assert_fail.has_indirect_call)
	.section	.AMDGPU.csdata,"",@progbits
; Kernel info:
; codeLenInByte = 68
; TotalNumSgprs: 36
; NumVgprs: 51
; ScratchSize: 64
; MemoryBound: 0
; FloatMode: 240
; IeeeMode: 1
; LDSByteSize: 0 bytes/workgroup (compile time only)
; SGPRBlocks: 0
; VGPRBlocks: 3
; NumSGPRsForWavesPerEU: 36
; NumVGPRsForWavesPerEU: 51
; NamedBarCnt: 0
; Occupancy: 16
; WaveLimiterHint : 1
; COMPUTE_PGM_RSRC2:SCRATCH_EN: 1
; COMPUTE_PGM_RSRC2:USER_SGPR: 2
; COMPUTE_PGM_RSRC2:TRAP_HANDLER: 0
; COMPUTE_PGM_RSRC2:TGID_X_EN: 1
; COMPUTE_PGM_RSRC2:TGID_Y_EN: 0
; COMPUTE_PGM_RSRC2:TGID_Z_EN: 0
; COMPUTE_PGM_RSRC2:TIDIG_COMP_CNT: 0
	.section	.text._Z39paged_attention_ll4mi_QKV_mfma16_kernelIDF16_DF16_LN4vllm18Fp8KVCacheDataTypeE0EDF16_Li16ELi64ELi256ELb0ELi11EEvPKT_PKT0_S7_ifPKiS9_S9_iPKfiiiPfSC_PS2_PT2_iSB_SB_,"axG",@progbits,_Z39paged_attention_ll4mi_QKV_mfma16_kernelIDF16_DF16_LN4vllm18Fp8KVCacheDataTypeE0EDF16_Li16ELi64ELi256ELb0ELi11EEvPKT_PKT0_S7_ifPKiS9_S9_iPKfiiiPfSC_PS2_PT2_iSB_SB_,comdat
	.protected	_Z39paged_attention_ll4mi_QKV_mfma16_kernelIDF16_DF16_LN4vllm18Fp8KVCacheDataTypeE0EDF16_Li16ELi64ELi256ELb0ELi11EEvPKT_PKT0_S7_ifPKiS9_S9_iPKfiiiPfSC_PS2_PT2_iSB_SB_ ; -- Begin function _Z39paged_attention_ll4mi_QKV_mfma16_kernelIDF16_DF16_LN4vllm18Fp8KVCacheDataTypeE0EDF16_Li16ELi64ELi256ELb0ELi11EEvPKT_PKT0_S7_ifPKiS9_S9_iPKfiiiPfSC_PS2_PT2_iSB_SB_
	.globl	_Z39paged_attention_ll4mi_QKV_mfma16_kernelIDF16_DF16_LN4vllm18Fp8KVCacheDataTypeE0EDF16_Li16ELi64ELi256ELb0ELi11EEvPKT_PKT0_S7_ifPKiS9_S9_iPKfiiiPfSC_PS2_PT2_iSB_SB_
	.p2align	8
	.type	_Z39paged_attention_ll4mi_QKV_mfma16_kernelIDF16_DF16_LN4vllm18Fp8KVCacheDataTypeE0EDF16_Li16ELi64ELi256ELb0ELi11EEvPKT_PKT0_S7_ifPKiS9_S9_iPKfiiiPfSC_PS2_PT2_iSB_SB_,@function
_Z39paged_attention_ll4mi_QKV_mfma16_kernelIDF16_DF16_LN4vllm18Fp8KVCacheDataTypeE0EDF16_Li16ELi64ELi256ELb0ELi11EEvPKT_PKT0_S7_ifPKiS9_S9_iPKfiiiPfSC_PS2_PT2_iSB_SB_: ; @_Z39paged_attention_ll4mi_QKV_mfma16_kernelIDF16_DF16_LN4vllm18Fp8KVCacheDataTypeE0EDF16_Li16ELi64ELi256ELb0ELi11EEvPKT_PKT0_S7_ifPKiS9_S9_iPKfiiiPfSC_PS2_PT2_iSB_SB_
; %bb.0:
	s_get_pc_i64 s[2:3]
	s_add_nc_u64 s[2:3], s[2:3], __PRETTY_FUNCTION__._Z39paged_attention_ll4mi_QKV_mfma16_kernelIDF16_DF16_LN4vllm18Fp8KVCacheDataTypeE0EDF16_Li16ELi64ELi256ELb0ELi11EEvPKT_PKT0_S7_ifPKiS9_S9_iPKfiiiPfSC_PS2_PT2_iSB_SB_@rel64+4
	s_delay_alu instid0(SALU_CYCLE_1)
	v_dual_mov_b32 v0, 0xbb3 :: v_dual_mov_b32 v1, s2
	v_mov_b32_e32 v2, s3
	s_add_nc_u64 s[8:9], s[0:1], 0x90
	s_get_pc_i64 s[0:1]
	s_add_nc_u64 s[0:1], s[0:1], __assert_fail@rel64+4
	s_mov_b32 s32, 0
	s_swap_pc_i64 s[30:31], s[0:1]
	.section	.rodata,"a",@progbits
	.p2align	6, 0x0
	.amdhsa_kernel _Z39paged_attention_ll4mi_QKV_mfma16_kernelIDF16_DF16_LN4vllm18Fp8KVCacheDataTypeE0EDF16_Li16ELi64ELi256ELb0ELi11EEvPKT_PKT0_S7_ifPKiS9_S9_iPKfiiiPfSC_PS2_PT2_iSB_SB_
		.amdhsa_group_segment_fixed_size 0
		.amdhsa_private_segment_fixed_size 64
		.amdhsa_kernarg_size 400
		.amdhsa_user_sgpr_count 2
		.amdhsa_user_sgpr_dispatch_ptr 0
		.amdhsa_user_sgpr_queue_ptr 0
		.amdhsa_user_sgpr_kernarg_segment_ptr 1
		.amdhsa_user_sgpr_dispatch_id 0
		.amdhsa_user_sgpr_kernarg_preload_length 0
		.amdhsa_user_sgpr_kernarg_preload_offset 0
		.amdhsa_user_sgpr_private_segment_size 0
		.amdhsa_wavefront_size32 1
		.amdhsa_uses_dynamic_stack 0
		.amdhsa_enable_private_segment 1
		.amdhsa_system_sgpr_workgroup_id_x 1
		.amdhsa_system_sgpr_workgroup_id_y 0
		.amdhsa_system_sgpr_workgroup_id_z 0
		.amdhsa_system_sgpr_workgroup_info 0
		.amdhsa_system_vgpr_workitem_id 0
		.amdhsa_next_free_vgpr 51
		.amdhsa_next_free_sgpr 34
		.amdhsa_named_barrier_count 0
		.amdhsa_reserve_vcc 1
		.amdhsa_float_round_mode_32 0
		.amdhsa_float_round_mode_16_64 0
		.amdhsa_float_denorm_mode_32 3
		.amdhsa_float_denorm_mode_16_64 3
		.amdhsa_fp16_overflow 0
		.amdhsa_memory_ordered 1
		.amdhsa_forward_progress 1
		.amdhsa_inst_pref_size 1
		.amdhsa_round_robin_scheduling 0
		.amdhsa_exception_fp_ieee_invalid_op 0
		.amdhsa_exception_fp_denorm_src 0
		.amdhsa_exception_fp_ieee_div_zero 0
		.amdhsa_exception_fp_ieee_overflow 0
		.amdhsa_exception_fp_ieee_underflow 0
		.amdhsa_exception_fp_ieee_inexact 0
		.amdhsa_exception_int_div_zero 0
	.end_amdhsa_kernel
	.section	.text._Z39paged_attention_ll4mi_QKV_mfma16_kernelIDF16_DF16_LN4vllm18Fp8KVCacheDataTypeE0EDF16_Li16ELi64ELi256ELb0ELi11EEvPKT_PKT0_S7_ifPKiS9_S9_iPKfiiiPfSC_PS2_PT2_iSB_SB_,"axG",@progbits,_Z39paged_attention_ll4mi_QKV_mfma16_kernelIDF16_DF16_LN4vllm18Fp8KVCacheDataTypeE0EDF16_Li16ELi64ELi256ELb0ELi11EEvPKT_PKT0_S7_ifPKiS9_S9_iPKfiiiPfSC_PS2_PT2_iSB_SB_,comdat
.Lfunc_end104:
	.size	_Z39paged_attention_ll4mi_QKV_mfma16_kernelIDF16_DF16_LN4vllm18Fp8KVCacheDataTypeE0EDF16_Li16ELi64ELi256ELb0ELi11EEvPKT_PKT0_S7_ifPKiS9_S9_iPKfiiiPfSC_PS2_PT2_iSB_SB_, .Lfunc_end104-_Z39paged_attention_ll4mi_QKV_mfma16_kernelIDF16_DF16_LN4vllm18Fp8KVCacheDataTypeE0EDF16_Li16ELi64ELi256ELb0ELi11EEvPKT_PKT0_S7_ifPKiS9_S9_iPKfiiiPfSC_PS2_PT2_iSB_SB_
                                        ; -- End function
	.set _Z39paged_attention_ll4mi_QKV_mfma16_kernelIDF16_DF16_LN4vllm18Fp8KVCacheDataTypeE0EDF16_Li16ELi64ELi256ELb0ELi11EEvPKT_PKT0_S7_ifPKiS9_S9_iPKfiiiPfSC_PS2_PT2_iSB_SB_.num_vgpr, max(3, .L__assert_fail.num_vgpr)
	.set _Z39paged_attention_ll4mi_QKV_mfma16_kernelIDF16_DF16_LN4vllm18Fp8KVCacheDataTypeE0EDF16_Li16ELi64ELi256ELb0ELi11EEvPKT_PKT0_S7_ifPKiS9_S9_iPKfiiiPfSC_PS2_PT2_iSB_SB_.num_agpr, max(0, .L__assert_fail.num_agpr)
	.set _Z39paged_attention_ll4mi_QKV_mfma16_kernelIDF16_DF16_LN4vllm18Fp8KVCacheDataTypeE0EDF16_Li16ELi64ELi256ELb0ELi11EEvPKT_PKT0_S7_ifPKiS9_S9_iPKfiiiPfSC_PS2_PT2_iSB_SB_.numbered_sgpr, max(33, .L__assert_fail.numbered_sgpr)
	.set _Z39paged_attention_ll4mi_QKV_mfma16_kernelIDF16_DF16_LN4vllm18Fp8KVCacheDataTypeE0EDF16_Li16ELi64ELi256ELb0ELi11EEvPKT_PKT0_S7_ifPKiS9_S9_iPKfiiiPfSC_PS2_PT2_iSB_SB_.num_named_barrier, max(0, .L__assert_fail.num_named_barrier)
	.set _Z39paged_attention_ll4mi_QKV_mfma16_kernelIDF16_DF16_LN4vllm18Fp8KVCacheDataTypeE0EDF16_Li16ELi64ELi256ELb0ELi11EEvPKT_PKT0_S7_ifPKiS9_S9_iPKfiiiPfSC_PS2_PT2_iSB_SB_.private_seg_size, 0+max(.L__assert_fail.private_seg_size)
	.set _Z39paged_attention_ll4mi_QKV_mfma16_kernelIDF16_DF16_LN4vllm18Fp8KVCacheDataTypeE0EDF16_Li16ELi64ELi256ELb0ELi11EEvPKT_PKT0_S7_ifPKiS9_S9_iPKfiiiPfSC_PS2_PT2_iSB_SB_.uses_vcc, or(1, .L__assert_fail.uses_vcc)
	.set _Z39paged_attention_ll4mi_QKV_mfma16_kernelIDF16_DF16_LN4vllm18Fp8KVCacheDataTypeE0EDF16_Li16ELi64ELi256ELb0ELi11EEvPKT_PKT0_S7_ifPKiS9_S9_iPKfiiiPfSC_PS2_PT2_iSB_SB_.uses_flat_scratch, or(0, .L__assert_fail.uses_flat_scratch)
	.set _Z39paged_attention_ll4mi_QKV_mfma16_kernelIDF16_DF16_LN4vllm18Fp8KVCacheDataTypeE0EDF16_Li16ELi64ELi256ELb0ELi11EEvPKT_PKT0_S7_ifPKiS9_S9_iPKfiiiPfSC_PS2_PT2_iSB_SB_.has_dyn_sized_stack, or(0, .L__assert_fail.has_dyn_sized_stack)
	.set _Z39paged_attention_ll4mi_QKV_mfma16_kernelIDF16_DF16_LN4vllm18Fp8KVCacheDataTypeE0EDF16_Li16ELi64ELi256ELb0ELi11EEvPKT_PKT0_S7_ifPKiS9_S9_iPKfiiiPfSC_PS2_PT2_iSB_SB_.has_recursion, or(0, .L__assert_fail.has_recursion)
	.set _Z39paged_attention_ll4mi_QKV_mfma16_kernelIDF16_DF16_LN4vllm18Fp8KVCacheDataTypeE0EDF16_Li16ELi64ELi256ELb0ELi11EEvPKT_PKT0_S7_ifPKiS9_S9_iPKfiiiPfSC_PS2_PT2_iSB_SB_.has_indirect_call, or(0, .L__assert_fail.has_indirect_call)
	.section	.AMDGPU.csdata,"",@progbits
; Kernel info:
; codeLenInByte = 68
; TotalNumSgprs: 36
; NumVgprs: 51
; ScratchSize: 64
; MemoryBound: 0
; FloatMode: 240
; IeeeMode: 1
; LDSByteSize: 0 bytes/workgroup (compile time only)
; SGPRBlocks: 0
; VGPRBlocks: 3
; NumSGPRsForWavesPerEU: 36
; NumVGPRsForWavesPerEU: 51
; NamedBarCnt: 0
; Occupancy: 16
; WaveLimiterHint : 1
; COMPUTE_PGM_RSRC2:SCRATCH_EN: 1
; COMPUTE_PGM_RSRC2:USER_SGPR: 2
; COMPUTE_PGM_RSRC2:TRAP_HANDLER: 0
; COMPUTE_PGM_RSRC2:TGID_X_EN: 1
; COMPUTE_PGM_RSRC2:TGID_Y_EN: 0
; COMPUTE_PGM_RSRC2:TGID_Z_EN: 0
; COMPUTE_PGM_RSRC2:TIDIG_COMP_CNT: 0
	.section	.text._Z39paged_attention_ll4mi_QKV_mfma16_kernelIDF16_DF16_LN4vllm18Fp8KVCacheDataTypeE0EDF16_Li16ELi64ELi256ELb0ELi12EEvPKT_PKT0_S7_ifPKiS9_S9_iPKfiiiPfSC_PS2_PT2_iSB_SB_,"axG",@progbits,_Z39paged_attention_ll4mi_QKV_mfma16_kernelIDF16_DF16_LN4vllm18Fp8KVCacheDataTypeE0EDF16_Li16ELi64ELi256ELb0ELi12EEvPKT_PKT0_S7_ifPKiS9_S9_iPKfiiiPfSC_PS2_PT2_iSB_SB_,comdat
	.protected	_Z39paged_attention_ll4mi_QKV_mfma16_kernelIDF16_DF16_LN4vllm18Fp8KVCacheDataTypeE0EDF16_Li16ELi64ELi256ELb0ELi12EEvPKT_PKT0_S7_ifPKiS9_S9_iPKfiiiPfSC_PS2_PT2_iSB_SB_ ; -- Begin function _Z39paged_attention_ll4mi_QKV_mfma16_kernelIDF16_DF16_LN4vllm18Fp8KVCacheDataTypeE0EDF16_Li16ELi64ELi256ELb0ELi12EEvPKT_PKT0_S7_ifPKiS9_S9_iPKfiiiPfSC_PS2_PT2_iSB_SB_
	.globl	_Z39paged_attention_ll4mi_QKV_mfma16_kernelIDF16_DF16_LN4vllm18Fp8KVCacheDataTypeE0EDF16_Li16ELi64ELi256ELb0ELi12EEvPKT_PKT0_S7_ifPKiS9_S9_iPKfiiiPfSC_PS2_PT2_iSB_SB_
	.p2align	8
	.type	_Z39paged_attention_ll4mi_QKV_mfma16_kernelIDF16_DF16_LN4vllm18Fp8KVCacheDataTypeE0EDF16_Li16ELi64ELi256ELb0ELi12EEvPKT_PKT0_S7_ifPKiS9_S9_iPKfiiiPfSC_PS2_PT2_iSB_SB_,@function
_Z39paged_attention_ll4mi_QKV_mfma16_kernelIDF16_DF16_LN4vllm18Fp8KVCacheDataTypeE0EDF16_Li16ELi64ELi256ELb0ELi12EEvPKT_PKT0_S7_ifPKiS9_S9_iPKfiiiPfSC_PS2_PT2_iSB_SB_: ; @_Z39paged_attention_ll4mi_QKV_mfma16_kernelIDF16_DF16_LN4vllm18Fp8KVCacheDataTypeE0EDF16_Li16ELi64ELi256ELb0ELi12EEvPKT_PKT0_S7_ifPKiS9_S9_iPKfiiiPfSC_PS2_PT2_iSB_SB_
; %bb.0:
	s_get_pc_i64 s[2:3]
	s_add_nc_u64 s[2:3], s[2:3], __PRETTY_FUNCTION__._Z39paged_attention_ll4mi_QKV_mfma16_kernelIDF16_DF16_LN4vllm18Fp8KVCacheDataTypeE0EDF16_Li16ELi64ELi256ELb0ELi12EEvPKT_PKT0_S7_ifPKiS9_S9_iPKfiiiPfSC_PS2_PT2_iSB_SB_@rel64+4
	s_delay_alu instid0(SALU_CYCLE_1)
	v_dual_mov_b32 v0, 0xbb3 :: v_dual_mov_b32 v1, s2
	v_mov_b32_e32 v2, s3
	s_add_nc_u64 s[8:9], s[0:1], 0x90
	s_get_pc_i64 s[0:1]
	s_add_nc_u64 s[0:1], s[0:1], __assert_fail@rel64+4
	s_mov_b32 s32, 0
	s_swap_pc_i64 s[30:31], s[0:1]
	.section	.rodata,"a",@progbits
	.p2align	6, 0x0
	.amdhsa_kernel _Z39paged_attention_ll4mi_QKV_mfma16_kernelIDF16_DF16_LN4vllm18Fp8KVCacheDataTypeE0EDF16_Li16ELi64ELi256ELb0ELi12EEvPKT_PKT0_S7_ifPKiS9_S9_iPKfiiiPfSC_PS2_PT2_iSB_SB_
		.amdhsa_group_segment_fixed_size 0
		.amdhsa_private_segment_fixed_size 64
		.amdhsa_kernarg_size 400
		.amdhsa_user_sgpr_count 2
		.amdhsa_user_sgpr_dispatch_ptr 0
		.amdhsa_user_sgpr_queue_ptr 0
		.amdhsa_user_sgpr_kernarg_segment_ptr 1
		.amdhsa_user_sgpr_dispatch_id 0
		.amdhsa_user_sgpr_kernarg_preload_length 0
		.amdhsa_user_sgpr_kernarg_preload_offset 0
		.amdhsa_user_sgpr_private_segment_size 0
		.amdhsa_wavefront_size32 1
		.amdhsa_uses_dynamic_stack 0
		.amdhsa_enable_private_segment 1
		.amdhsa_system_sgpr_workgroup_id_x 1
		.amdhsa_system_sgpr_workgroup_id_y 0
		.amdhsa_system_sgpr_workgroup_id_z 0
		.amdhsa_system_sgpr_workgroup_info 0
		.amdhsa_system_vgpr_workitem_id 0
		.amdhsa_next_free_vgpr 51
		.amdhsa_next_free_sgpr 34
		.amdhsa_named_barrier_count 0
		.amdhsa_reserve_vcc 1
		.amdhsa_float_round_mode_32 0
		.amdhsa_float_round_mode_16_64 0
		.amdhsa_float_denorm_mode_32 3
		.amdhsa_float_denorm_mode_16_64 3
		.amdhsa_fp16_overflow 0
		.amdhsa_memory_ordered 1
		.amdhsa_forward_progress 1
		.amdhsa_inst_pref_size 1
		.amdhsa_round_robin_scheduling 0
		.amdhsa_exception_fp_ieee_invalid_op 0
		.amdhsa_exception_fp_denorm_src 0
		.amdhsa_exception_fp_ieee_div_zero 0
		.amdhsa_exception_fp_ieee_overflow 0
		.amdhsa_exception_fp_ieee_underflow 0
		.amdhsa_exception_fp_ieee_inexact 0
		.amdhsa_exception_int_div_zero 0
	.end_amdhsa_kernel
	.section	.text._Z39paged_attention_ll4mi_QKV_mfma16_kernelIDF16_DF16_LN4vllm18Fp8KVCacheDataTypeE0EDF16_Li16ELi64ELi256ELb0ELi12EEvPKT_PKT0_S7_ifPKiS9_S9_iPKfiiiPfSC_PS2_PT2_iSB_SB_,"axG",@progbits,_Z39paged_attention_ll4mi_QKV_mfma16_kernelIDF16_DF16_LN4vllm18Fp8KVCacheDataTypeE0EDF16_Li16ELi64ELi256ELb0ELi12EEvPKT_PKT0_S7_ifPKiS9_S9_iPKfiiiPfSC_PS2_PT2_iSB_SB_,comdat
.Lfunc_end105:
	.size	_Z39paged_attention_ll4mi_QKV_mfma16_kernelIDF16_DF16_LN4vllm18Fp8KVCacheDataTypeE0EDF16_Li16ELi64ELi256ELb0ELi12EEvPKT_PKT0_S7_ifPKiS9_S9_iPKfiiiPfSC_PS2_PT2_iSB_SB_, .Lfunc_end105-_Z39paged_attention_ll4mi_QKV_mfma16_kernelIDF16_DF16_LN4vllm18Fp8KVCacheDataTypeE0EDF16_Li16ELi64ELi256ELb0ELi12EEvPKT_PKT0_S7_ifPKiS9_S9_iPKfiiiPfSC_PS2_PT2_iSB_SB_
                                        ; -- End function
	.set _Z39paged_attention_ll4mi_QKV_mfma16_kernelIDF16_DF16_LN4vllm18Fp8KVCacheDataTypeE0EDF16_Li16ELi64ELi256ELb0ELi12EEvPKT_PKT0_S7_ifPKiS9_S9_iPKfiiiPfSC_PS2_PT2_iSB_SB_.num_vgpr, max(3, .L__assert_fail.num_vgpr)
	.set _Z39paged_attention_ll4mi_QKV_mfma16_kernelIDF16_DF16_LN4vllm18Fp8KVCacheDataTypeE0EDF16_Li16ELi64ELi256ELb0ELi12EEvPKT_PKT0_S7_ifPKiS9_S9_iPKfiiiPfSC_PS2_PT2_iSB_SB_.num_agpr, max(0, .L__assert_fail.num_agpr)
	.set _Z39paged_attention_ll4mi_QKV_mfma16_kernelIDF16_DF16_LN4vllm18Fp8KVCacheDataTypeE0EDF16_Li16ELi64ELi256ELb0ELi12EEvPKT_PKT0_S7_ifPKiS9_S9_iPKfiiiPfSC_PS2_PT2_iSB_SB_.numbered_sgpr, max(33, .L__assert_fail.numbered_sgpr)
	.set _Z39paged_attention_ll4mi_QKV_mfma16_kernelIDF16_DF16_LN4vllm18Fp8KVCacheDataTypeE0EDF16_Li16ELi64ELi256ELb0ELi12EEvPKT_PKT0_S7_ifPKiS9_S9_iPKfiiiPfSC_PS2_PT2_iSB_SB_.num_named_barrier, max(0, .L__assert_fail.num_named_barrier)
	.set _Z39paged_attention_ll4mi_QKV_mfma16_kernelIDF16_DF16_LN4vllm18Fp8KVCacheDataTypeE0EDF16_Li16ELi64ELi256ELb0ELi12EEvPKT_PKT0_S7_ifPKiS9_S9_iPKfiiiPfSC_PS2_PT2_iSB_SB_.private_seg_size, 0+max(.L__assert_fail.private_seg_size)
	.set _Z39paged_attention_ll4mi_QKV_mfma16_kernelIDF16_DF16_LN4vllm18Fp8KVCacheDataTypeE0EDF16_Li16ELi64ELi256ELb0ELi12EEvPKT_PKT0_S7_ifPKiS9_S9_iPKfiiiPfSC_PS2_PT2_iSB_SB_.uses_vcc, or(1, .L__assert_fail.uses_vcc)
	.set _Z39paged_attention_ll4mi_QKV_mfma16_kernelIDF16_DF16_LN4vllm18Fp8KVCacheDataTypeE0EDF16_Li16ELi64ELi256ELb0ELi12EEvPKT_PKT0_S7_ifPKiS9_S9_iPKfiiiPfSC_PS2_PT2_iSB_SB_.uses_flat_scratch, or(0, .L__assert_fail.uses_flat_scratch)
	.set _Z39paged_attention_ll4mi_QKV_mfma16_kernelIDF16_DF16_LN4vllm18Fp8KVCacheDataTypeE0EDF16_Li16ELi64ELi256ELb0ELi12EEvPKT_PKT0_S7_ifPKiS9_S9_iPKfiiiPfSC_PS2_PT2_iSB_SB_.has_dyn_sized_stack, or(0, .L__assert_fail.has_dyn_sized_stack)
	.set _Z39paged_attention_ll4mi_QKV_mfma16_kernelIDF16_DF16_LN4vllm18Fp8KVCacheDataTypeE0EDF16_Li16ELi64ELi256ELb0ELi12EEvPKT_PKT0_S7_ifPKiS9_S9_iPKfiiiPfSC_PS2_PT2_iSB_SB_.has_recursion, or(0, .L__assert_fail.has_recursion)
	.set _Z39paged_attention_ll4mi_QKV_mfma16_kernelIDF16_DF16_LN4vllm18Fp8KVCacheDataTypeE0EDF16_Li16ELi64ELi256ELb0ELi12EEvPKT_PKT0_S7_ifPKiS9_S9_iPKfiiiPfSC_PS2_PT2_iSB_SB_.has_indirect_call, or(0, .L__assert_fail.has_indirect_call)
	.section	.AMDGPU.csdata,"",@progbits
; Kernel info:
; codeLenInByte = 68
; TotalNumSgprs: 36
; NumVgprs: 51
; ScratchSize: 64
; MemoryBound: 0
; FloatMode: 240
; IeeeMode: 1
; LDSByteSize: 0 bytes/workgroup (compile time only)
; SGPRBlocks: 0
; VGPRBlocks: 3
; NumSGPRsForWavesPerEU: 36
; NumVGPRsForWavesPerEU: 51
; NamedBarCnt: 0
; Occupancy: 16
; WaveLimiterHint : 1
; COMPUTE_PGM_RSRC2:SCRATCH_EN: 1
; COMPUTE_PGM_RSRC2:USER_SGPR: 2
; COMPUTE_PGM_RSRC2:TRAP_HANDLER: 0
; COMPUTE_PGM_RSRC2:TGID_X_EN: 1
; COMPUTE_PGM_RSRC2:TGID_Y_EN: 0
; COMPUTE_PGM_RSRC2:TGID_Z_EN: 0
; COMPUTE_PGM_RSRC2:TIDIG_COMP_CNT: 0
	.section	.text._Z39paged_attention_ll4mi_QKV_mfma16_kernelIDF16_DF16_LN4vllm18Fp8KVCacheDataTypeE0EDF16_Li16ELi64ELi256ELb0ELi13EEvPKT_PKT0_S7_ifPKiS9_S9_iPKfiiiPfSC_PS2_PT2_iSB_SB_,"axG",@progbits,_Z39paged_attention_ll4mi_QKV_mfma16_kernelIDF16_DF16_LN4vllm18Fp8KVCacheDataTypeE0EDF16_Li16ELi64ELi256ELb0ELi13EEvPKT_PKT0_S7_ifPKiS9_S9_iPKfiiiPfSC_PS2_PT2_iSB_SB_,comdat
	.protected	_Z39paged_attention_ll4mi_QKV_mfma16_kernelIDF16_DF16_LN4vllm18Fp8KVCacheDataTypeE0EDF16_Li16ELi64ELi256ELb0ELi13EEvPKT_PKT0_S7_ifPKiS9_S9_iPKfiiiPfSC_PS2_PT2_iSB_SB_ ; -- Begin function _Z39paged_attention_ll4mi_QKV_mfma16_kernelIDF16_DF16_LN4vllm18Fp8KVCacheDataTypeE0EDF16_Li16ELi64ELi256ELb0ELi13EEvPKT_PKT0_S7_ifPKiS9_S9_iPKfiiiPfSC_PS2_PT2_iSB_SB_
	.globl	_Z39paged_attention_ll4mi_QKV_mfma16_kernelIDF16_DF16_LN4vllm18Fp8KVCacheDataTypeE0EDF16_Li16ELi64ELi256ELb0ELi13EEvPKT_PKT0_S7_ifPKiS9_S9_iPKfiiiPfSC_PS2_PT2_iSB_SB_
	.p2align	8
	.type	_Z39paged_attention_ll4mi_QKV_mfma16_kernelIDF16_DF16_LN4vllm18Fp8KVCacheDataTypeE0EDF16_Li16ELi64ELi256ELb0ELi13EEvPKT_PKT0_S7_ifPKiS9_S9_iPKfiiiPfSC_PS2_PT2_iSB_SB_,@function
_Z39paged_attention_ll4mi_QKV_mfma16_kernelIDF16_DF16_LN4vllm18Fp8KVCacheDataTypeE0EDF16_Li16ELi64ELi256ELb0ELi13EEvPKT_PKT0_S7_ifPKiS9_S9_iPKfiiiPfSC_PS2_PT2_iSB_SB_: ; @_Z39paged_attention_ll4mi_QKV_mfma16_kernelIDF16_DF16_LN4vllm18Fp8KVCacheDataTypeE0EDF16_Li16ELi64ELi256ELb0ELi13EEvPKT_PKT0_S7_ifPKiS9_S9_iPKfiiiPfSC_PS2_PT2_iSB_SB_
; %bb.0:
	s_get_pc_i64 s[2:3]
	s_add_nc_u64 s[2:3], s[2:3], __PRETTY_FUNCTION__._Z39paged_attention_ll4mi_QKV_mfma16_kernelIDF16_DF16_LN4vllm18Fp8KVCacheDataTypeE0EDF16_Li16ELi64ELi256ELb0ELi13EEvPKT_PKT0_S7_ifPKiS9_S9_iPKfiiiPfSC_PS2_PT2_iSB_SB_@rel64+4
	s_delay_alu instid0(SALU_CYCLE_1)
	v_dual_mov_b32 v0, 0xbb3 :: v_dual_mov_b32 v1, s2
	v_mov_b32_e32 v2, s3
	s_add_nc_u64 s[8:9], s[0:1], 0x90
	s_get_pc_i64 s[0:1]
	s_add_nc_u64 s[0:1], s[0:1], __assert_fail@rel64+4
	s_mov_b32 s32, 0
	s_swap_pc_i64 s[30:31], s[0:1]
	.section	.rodata,"a",@progbits
	.p2align	6, 0x0
	.amdhsa_kernel _Z39paged_attention_ll4mi_QKV_mfma16_kernelIDF16_DF16_LN4vllm18Fp8KVCacheDataTypeE0EDF16_Li16ELi64ELi256ELb0ELi13EEvPKT_PKT0_S7_ifPKiS9_S9_iPKfiiiPfSC_PS2_PT2_iSB_SB_
		.amdhsa_group_segment_fixed_size 0
		.amdhsa_private_segment_fixed_size 64
		.amdhsa_kernarg_size 400
		.amdhsa_user_sgpr_count 2
		.amdhsa_user_sgpr_dispatch_ptr 0
		.amdhsa_user_sgpr_queue_ptr 0
		.amdhsa_user_sgpr_kernarg_segment_ptr 1
		.amdhsa_user_sgpr_dispatch_id 0
		.amdhsa_user_sgpr_kernarg_preload_length 0
		.amdhsa_user_sgpr_kernarg_preload_offset 0
		.amdhsa_user_sgpr_private_segment_size 0
		.amdhsa_wavefront_size32 1
		.amdhsa_uses_dynamic_stack 0
		.amdhsa_enable_private_segment 1
		.amdhsa_system_sgpr_workgroup_id_x 1
		.amdhsa_system_sgpr_workgroup_id_y 0
		.amdhsa_system_sgpr_workgroup_id_z 0
		.amdhsa_system_sgpr_workgroup_info 0
		.amdhsa_system_vgpr_workitem_id 0
		.amdhsa_next_free_vgpr 51
		.amdhsa_next_free_sgpr 34
		.amdhsa_named_barrier_count 0
		.amdhsa_reserve_vcc 1
		.amdhsa_float_round_mode_32 0
		.amdhsa_float_round_mode_16_64 0
		.amdhsa_float_denorm_mode_32 3
		.amdhsa_float_denorm_mode_16_64 3
		.amdhsa_fp16_overflow 0
		.amdhsa_memory_ordered 1
		.amdhsa_forward_progress 1
		.amdhsa_inst_pref_size 1
		.amdhsa_round_robin_scheduling 0
		.amdhsa_exception_fp_ieee_invalid_op 0
		.amdhsa_exception_fp_denorm_src 0
		.amdhsa_exception_fp_ieee_div_zero 0
		.amdhsa_exception_fp_ieee_overflow 0
		.amdhsa_exception_fp_ieee_underflow 0
		.amdhsa_exception_fp_ieee_inexact 0
		.amdhsa_exception_int_div_zero 0
	.end_amdhsa_kernel
	.section	.text._Z39paged_attention_ll4mi_QKV_mfma16_kernelIDF16_DF16_LN4vllm18Fp8KVCacheDataTypeE0EDF16_Li16ELi64ELi256ELb0ELi13EEvPKT_PKT0_S7_ifPKiS9_S9_iPKfiiiPfSC_PS2_PT2_iSB_SB_,"axG",@progbits,_Z39paged_attention_ll4mi_QKV_mfma16_kernelIDF16_DF16_LN4vllm18Fp8KVCacheDataTypeE0EDF16_Li16ELi64ELi256ELb0ELi13EEvPKT_PKT0_S7_ifPKiS9_S9_iPKfiiiPfSC_PS2_PT2_iSB_SB_,comdat
.Lfunc_end106:
	.size	_Z39paged_attention_ll4mi_QKV_mfma16_kernelIDF16_DF16_LN4vllm18Fp8KVCacheDataTypeE0EDF16_Li16ELi64ELi256ELb0ELi13EEvPKT_PKT0_S7_ifPKiS9_S9_iPKfiiiPfSC_PS2_PT2_iSB_SB_, .Lfunc_end106-_Z39paged_attention_ll4mi_QKV_mfma16_kernelIDF16_DF16_LN4vllm18Fp8KVCacheDataTypeE0EDF16_Li16ELi64ELi256ELb0ELi13EEvPKT_PKT0_S7_ifPKiS9_S9_iPKfiiiPfSC_PS2_PT2_iSB_SB_
                                        ; -- End function
	.set _Z39paged_attention_ll4mi_QKV_mfma16_kernelIDF16_DF16_LN4vllm18Fp8KVCacheDataTypeE0EDF16_Li16ELi64ELi256ELb0ELi13EEvPKT_PKT0_S7_ifPKiS9_S9_iPKfiiiPfSC_PS2_PT2_iSB_SB_.num_vgpr, max(3, .L__assert_fail.num_vgpr)
	.set _Z39paged_attention_ll4mi_QKV_mfma16_kernelIDF16_DF16_LN4vllm18Fp8KVCacheDataTypeE0EDF16_Li16ELi64ELi256ELb0ELi13EEvPKT_PKT0_S7_ifPKiS9_S9_iPKfiiiPfSC_PS2_PT2_iSB_SB_.num_agpr, max(0, .L__assert_fail.num_agpr)
	.set _Z39paged_attention_ll4mi_QKV_mfma16_kernelIDF16_DF16_LN4vllm18Fp8KVCacheDataTypeE0EDF16_Li16ELi64ELi256ELb0ELi13EEvPKT_PKT0_S7_ifPKiS9_S9_iPKfiiiPfSC_PS2_PT2_iSB_SB_.numbered_sgpr, max(33, .L__assert_fail.numbered_sgpr)
	.set _Z39paged_attention_ll4mi_QKV_mfma16_kernelIDF16_DF16_LN4vllm18Fp8KVCacheDataTypeE0EDF16_Li16ELi64ELi256ELb0ELi13EEvPKT_PKT0_S7_ifPKiS9_S9_iPKfiiiPfSC_PS2_PT2_iSB_SB_.num_named_barrier, max(0, .L__assert_fail.num_named_barrier)
	.set _Z39paged_attention_ll4mi_QKV_mfma16_kernelIDF16_DF16_LN4vllm18Fp8KVCacheDataTypeE0EDF16_Li16ELi64ELi256ELb0ELi13EEvPKT_PKT0_S7_ifPKiS9_S9_iPKfiiiPfSC_PS2_PT2_iSB_SB_.private_seg_size, 0+max(.L__assert_fail.private_seg_size)
	.set _Z39paged_attention_ll4mi_QKV_mfma16_kernelIDF16_DF16_LN4vllm18Fp8KVCacheDataTypeE0EDF16_Li16ELi64ELi256ELb0ELi13EEvPKT_PKT0_S7_ifPKiS9_S9_iPKfiiiPfSC_PS2_PT2_iSB_SB_.uses_vcc, or(1, .L__assert_fail.uses_vcc)
	.set _Z39paged_attention_ll4mi_QKV_mfma16_kernelIDF16_DF16_LN4vllm18Fp8KVCacheDataTypeE0EDF16_Li16ELi64ELi256ELb0ELi13EEvPKT_PKT0_S7_ifPKiS9_S9_iPKfiiiPfSC_PS2_PT2_iSB_SB_.uses_flat_scratch, or(0, .L__assert_fail.uses_flat_scratch)
	.set _Z39paged_attention_ll4mi_QKV_mfma16_kernelIDF16_DF16_LN4vllm18Fp8KVCacheDataTypeE0EDF16_Li16ELi64ELi256ELb0ELi13EEvPKT_PKT0_S7_ifPKiS9_S9_iPKfiiiPfSC_PS2_PT2_iSB_SB_.has_dyn_sized_stack, or(0, .L__assert_fail.has_dyn_sized_stack)
	.set _Z39paged_attention_ll4mi_QKV_mfma16_kernelIDF16_DF16_LN4vllm18Fp8KVCacheDataTypeE0EDF16_Li16ELi64ELi256ELb0ELi13EEvPKT_PKT0_S7_ifPKiS9_S9_iPKfiiiPfSC_PS2_PT2_iSB_SB_.has_recursion, or(0, .L__assert_fail.has_recursion)
	.set _Z39paged_attention_ll4mi_QKV_mfma16_kernelIDF16_DF16_LN4vllm18Fp8KVCacheDataTypeE0EDF16_Li16ELi64ELi256ELb0ELi13EEvPKT_PKT0_S7_ifPKiS9_S9_iPKfiiiPfSC_PS2_PT2_iSB_SB_.has_indirect_call, or(0, .L__assert_fail.has_indirect_call)
	.section	.AMDGPU.csdata,"",@progbits
; Kernel info:
; codeLenInByte = 68
; TotalNumSgprs: 36
; NumVgprs: 51
; ScratchSize: 64
; MemoryBound: 0
; FloatMode: 240
; IeeeMode: 1
; LDSByteSize: 0 bytes/workgroup (compile time only)
; SGPRBlocks: 0
; VGPRBlocks: 3
; NumSGPRsForWavesPerEU: 36
; NumVGPRsForWavesPerEU: 51
; NamedBarCnt: 0
; Occupancy: 16
; WaveLimiterHint : 1
; COMPUTE_PGM_RSRC2:SCRATCH_EN: 1
; COMPUTE_PGM_RSRC2:USER_SGPR: 2
; COMPUTE_PGM_RSRC2:TRAP_HANDLER: 0
; COMPUTE_PGM_RSRC2:TGID_X_EN: 1
; COMPUTE_PGM_RSRC2:TGID_Y_EN: 0
; COMPUTE_PGM_RSRC2:TGID_Z_EN: 0
; COMPUTE_PGM_RSRC2:TIDIG_COMP_CNT: 0
	.section	.text._Z39paged_attention_ll4mi_QKV_mfma16_kernelIDF16_DF16_LN4vllm18Fp8KVCacheDataTypeE0EDF16_Li16ELi64ELi256ELb0ELi14EEvPKT_PKT0_S7_ifPKiS9_S9_iPKfiiiPfSC_PS2_PT2_iSB_SB_,"axG",@progbits,_Z39paged_attention_ll4mi_QKV_mfma16_kernelIDF16_DF16_LN4vllm18Fp8KVCacheDataTypeE0EDF16_Li16ELi64ELi256ELb0ELi14EEvPKT_PKT0_S7_ifPKiS9_S9_iPKfiiiPfSC_PS2_PT2_iSB_SB_,comdat
	.protected	_Z39paged_attention_ll4mi_QKV_mfma16_kernelIDF16_DF16_LN4vllm18Fp8KVCacheDataTypeE0EDF16_Li16ELi64ELi256ELb0ELi14EEvPKT_PKT0_S7_ifPKiS9_S9_iPKfiiiPfSC_PS2_PT2_iSB_SB_ ; -- Begin function _Z39paged_attention_ll4mi_QKV_mfma16_kernelIDF16_DF16_LN4vllm18Fp8KVCacheDataTypeE0EDF16_Li16ELi64ELi256ELb0ELi14EEvPKT_PKT0_S7_ifPKiS9_S9_iPKfiiiPfSC_PS2_PT2_iSB_SB_
	.globl	_Z39paged_attention_ll4mi_QKV_mfma16_kernelIDF16_DF16_LN4vllm18Fp8KVCacheDataTypeE0EDF16_Li16ELi64ELi256ELb0ELi14EEvPKT_PKT0_S7_ifPKiS9_S9_iPKfiiiPfSC_PS2_PT2_iSB_SB_
	.p2align	8
	.type	_Z39paged_attention_ll4mi_QKV_mfma16_kernelIDF16_DF16_LN4vllm18Fp8KVCacheDataTypeE0EDF16_Li16ELi64ELi256ELb0ELi14EEvPKT_PKT0_S7_ifPKiS9_S9_iPKfiiiPfSC_PS2_PT2_iSB_SB_,@function
_Z39paged_attention_ll4mi_QKV_mfma16_kernelIDF16_DF16_LN4vllm18Fp8KVCacheDataTypeE0EDF16_Li16ELi64ELi256ELb0ELi14EEvPKT_PKT0_S7_ifPKiS9_S9_iPKfiiiPfSC_PS2_PT2_iSB_SB_: ; @_Z39paged_attention_ll4mi_QKV_mfma16_kernelIDF16_DF16_LN4vllm18Fp8KVCacheDataTypeE0EDF16_Li16ELi64ELi256ELb0ELi14EEvPKT_PKT0_S7_ifPKiS9_S9_iPKfiiiPfSC_PS2_PT2_iSB_SB_
; %bb.0:
	s_get_pc_i64 s[2:3]
	s_add_nc_u64 s[2:3], s[2:3], __PRETTY_FUNCTION__._Z39paged_attention_ll4mi_QKV_mfma16_kernelIDF16_DF16_LN4vllm18Fp8KVCacheDataTypeE0EDF16_Li16ELi64ELi256ELb0ELi14EEvPKT_PKT0_S7_ifPKiS9_S9_iPKfiiiPfSC_PS2_PT2_iSB_SB_@rel64+4
	s_delay_alu instid0(SALU_CYCLE_1)
	v_dual_mov_b32 v0, 0xbb3 :: v_dual_mov_b32 v1, s2
	v_mov_b32_e32 v2, s3
	s_add_nc_u64 s[8:9], s[0:1], 0x90
	s_get_pc_i64 s[0:1]
	s_add_nc_u64 s[0:1], s[0:1], __assert_fail@rel64+4
	s_mov_b32 s32, 0
	s_swap_pc_i64 s[30:31], s[0:1]
	.section	.rodata,"a",@progbits
	.p2align	6, 0x0
	.amdhsa_kernel _Z39paged_attention_ll4mi_QKV_mfma16_kernelIDF16_DF16_LN4vllm18Fp8KVCacheDataTypeE0EDF16_Li16ELi64ELi256ELb0ELi14EEvPKT_PKT0_S7_ifPKiS9_S9_iPKfiiiPfSC_PS2_PT2_iSB_SB_
		.amdhsa_group_segment_fixed_size 0
		.amdhsa_private_segment_fixed_size 64
		.amdhsa_kernarg_size 400
		.amdhsa_user_sgpr_count 2
		.amdhsa_user_sgpr_dispatch_ptr 0
		.amdhsa_user_sgpr_queue_ptr 0
		.amdhsa_user_sgpr_kernarg_segment_ptr 1
		.amdhsa_user_sgpr_dispatch_id 0
		.amdhsa_user_sgpr_kernarg_preload_length 0
		.amdhsa_user_sgpr_kernarg_preload_offset 0
		.amdhsa_user_sgpr_private_segment_size 0
		.amdhsa_wavefront_size32 1
		.amdhsa_uses_dynamic_stack 0
		.amdhsa_enable_private_segment 1
		.amdhsa_system_sgpr_workgroup_id_x 1
		.amdhsa_system_sgpr_workgroup_id_y 0
		.amdhsa_system_sgpr_workgroup_id_z 0
		.amdhsa_system_sgpr_workgroup_info 0
		.amdhsa_system_vgpr_workitem_id 0
		.amdhsa_next_free_vgpr 51
		.amdhsa_next_free_sgpr 34
		.amdhsa_named_barrier_count 0
		.amdhsa_reserve_vcc 1
		.amdhsa_float_round_mode_32 0
		.amdhsa_float_round_mode_16_64 0
		.amdhsa_float_denorm_mode_32 3
		.amdhsa_float_denorm_mode_16_64 3
		.amdhsa_fp16_overflow 0
		.amdhsa_memory_ordered 1
		.amdhsa_forward_progress 1
		.amdhsa_inst_pref_size 1
		.amdhsa_round_robin_scheduling 0
		.amdhsa_exception_fp_ieee_invalid_op 0
		.amdhsa_exception_fp_denorm_src 0
		.amdhsa_exception_fp_ieee_div_zero 0
		.amdhsa_exception_fp_ieee_overflow 0
		.amdhsa_exception_fp_ieee_underflow 0
		.amdhsa_exception_fp_ieee_inexact 0
		.amdhsa_exception_int_div_zero 0
	.end_amdhsa_kernel
	.section	.text._Z39paged_attention_ll4mi_QKV_mfma16_kernelIDF16_DF16_LN4vllm18Fp8KVCacheDataTypeE0EDF16_Li16ELi64ELi256ELb0ELi14EEvPKT_PKT0_S7_ifPKiS9_S9_iPKfiiiPfSC_PS2_PT2_iSB_SB_,"axG",@progbits,_Z39paged_attention_ll4mi_QKV_mfma16_kernelIDF16_DF16_LN4vllm18Fp8KVCacheDataTypeE0EDF16_Li16ELi64ELi256ELb0ELi14EEvPKT_PKT0_S7_ifPKiS9_S9_iPKfiiiPfSC_PS2_PT2_iSB_SB_,comdat
.Lfunc_end107:
	.size	_Z39paged_attention_ll4mi_QKV_mfma16_kernelIDF16_DF16_LN4vllm18Fp8KVCacheDataTypeE0EDF16_Li16ELi64ELi256ELb0ELi14EEvPKT_PKT0_S7_ifPKiS9_S9_iPKfiiiPfSC_PS2_PT2_iSB_SB_, .Lfunc_end107-_Z39paged_attention_ll4mi_QKV_mfma16_kernelIDF16_DF16_LN4vllm18Fp8KVCacheDataTypeE0EDF16_Li16ELi64ELi256ELb0ELi14EEvPKT_PKT0_S7_ifPKiS9_S9_iPKfiiiPfSC_PS2_PT2_iSB_SB_
                                        ; -- End function
	.set _Z39paged_attention_ll4mi_QKV_mfma16_kernelIDF16_DF16_LN4vllm18Fp8KVCacheDataTypeE0EDF16_Li16ELi64ELi256ELb0ELi14EEvPKT_PKT0_S7_ifPKiS9_S9_iPKfiiiPfSC_PS2_PT2_iSB_SB_.num_vgpr, max(3, .L__assert_fail.num_vgpr)
	.set _Z39paged_attention_ll4mi_QKV_mfma16_kernelIDF16_DF16_LN4vllm18Fp8KVCacheDataTypeE0EDF16_Li16ELi64ELi256ELb0ELi14EEvPKT_PKT0_S7_ifPKiS9_S9_iPKfiiiPfSC_PS2_PT2_iSB_SB_.num_agpr, max(0, .L__assert_fail.num_agpr)
	.set _Z39paged_attention_ll4mi_QKV_mfma16_kernelIDF16_DF16_LN4vllm18Fp8KVCacheDataTypeE0EDF16_Li16ELi64ELi256ELb0ELi14EEvPKT_PKT0_S7_ifPKiS9_S9_iPKfiiiPfSC_PS2_PT2_iSB_SB_.numbered_sgpr, max(33, .L__assert_fail.numbered_sgpr)
	.set _Z39paged_attention_ll4mi_QKV_mfma16_kernelIDF16_DF16_LN4vllm18Fp8KVCacheDataTypeE0EDF16_Li16ELi64ELi256ELb0ELi14EEvPKT_PKT0_S7_ifPKiS9_S9_iPKfiiiPfSC_PS2_PT2_iSB_SB_.num_named_barrier, max(0, .L__assert_fail.num_named_barrier)
	.set _Z39paged_attention_ll4mi_QKV_mfma16_kernelIDF16_DF16_LN4vllm18Fp8KVCacheDataTypeE0EDF16_Li16ELi64ELi256ELb0ELi14EEvPKT_PKT0_S7_ifPKiS9_S9_iPKfiiiPfSC_PS2_PT2_iSB_SB_.private_seg_size, 0+max(.L__assert_fail.private_seg_size)
	.set _Z39paged_attention_ll4mi_QKV_mfma16_kernelIDF16_DF16_LN4vllm18Fp8KVCacheDataTypeE0EDF16_Li16ELi64ELi256ELb0ELi14EEvPKT_PKT0_S7_ifPKiS9_S9_iPKfiiiPfSC_PS2_PT2_iSB_SB_.uses_vcc, or(1, .L__assert_fail.uses_vcc)
	.set _Z39paged_attention_ll4mi_QKV_mfma16_kernelIDF16_DF16_LN4vllm18Fp8KVCacheDataTypeE0EDF16_Li16ELi64ELi256ELb0ELi14EEvPKT_PKT0_S7_ifPKiS9_S9_iPKfiiiPfSC_PS2_PT2_iSB_SB_.uses_flat_scratch, or(0, .L__assert_fail.uses_flat_scratch)
	.set _Z39paged_attention_ll4mi_QKV_mfma16_kernelIDF16_DF16_LN4vllm18Fp8KVCacheDataTypeE0EDF16_Li16ELi64ELi256ELb0ELi14EEvPKT_PKT0_S7_ifPKiS9_S9_iPKfiiiPfSC_PS2_PT2_iSB_SB_.has_dyn_sized_stack, or(0, .L__assert_fail.has_dyn_sized_stack)
	.set _Z39paged_attention_ll4mi_QKV_mfma16_kernelIDF16_DF16_LN4vllm18Fp8KVCacheDataTypeE0EDF16_Li16ELi64ELi256ELb0ELi14EEvPKT_PKT0_S7_ifPKiS9_S9_iPKfiiiPfSC_PS2_PT2_iSB_SB_.has_recursion, or(0, .L__assert_fail.has_recursion)
	.set _Z39paged_attention_ll4mi_QKV_mfma16_kernelIDF16_DF16_LN4vllm18Fp8KVCacheDataTypeE0EDF16_Li16ELi64ELi256ELb0ELi14EEvPKT_PKT0_S7_ifPKiS9_S9_iPKfiiiPfSC_PS2_PT2_iSB_SB_.has_indirect_call, or(0, .L__assert_fail.has_indirect_call)
	.section	.AMDGPU.csdata,"",@progbits
; Kernel info:
; codeLenInByte = 68
; TotalNumSgprs: 36
; NumVgprs: 51
; ScratchSize: 64
; MemoryBound: 0
; FloatMode: 240
; IeeeMode: 1
; LDSByteSize: 0 bytes/workgroup (compile time only)
; SGPRBlocks: 0
; VGPRBlocks: 3
; NumSGPRsForWavesPerEU: 36
; NumVGPRsForWavesPerEU: 51
; NamedBarCnt: 0
; Occupancy: 16
; WaveLimiterHint : 1
; COMPUTE_PGM_RSRC2:SCRATCH_EN: 1
; COMPUTE_PGM_RSRC2:USER_SGPR: 2
; COMPUTE_PGM_RSRC2:TRAP_HANDLER: 0
; COMPUTE_PGM_RSRC2:TGID_X_EN: 1
; COMPUTE_PGM_RSRC2:TGID_Y_EN: 0
; COMPUTE_PGM_RSRC2:TGID_Z_EN: 0
; COMPUTE_PGM_RSRC2:TIDIG_COMP_CNT: 0
	.section	.text._Z39paged_attention_ll4mi_QKV_mfma16_kernelIDF16_DF16_LN4vllm18Fp8KVCacheDataTypeE0EDF16_Li16ELi64ELi256ELb0ELi15EEvPKT_PKT0_S7_ifPKiS9_S9_iPKfiiiPfSC_PS2_PT2_iSB_SB_,"axG",@progbits,_Z39paged_attention_ll4mi_QKV_mfma16_kernelIDF16_DF16_LN4vllm18Fp8KVCacheDataTypeE0EDF16_Li16ELi64ELi256ELb0ELi15EEvPKT_PKT0_S7_ifPKiS9_S9_iPKfiiiPfSC_PS2_PT2_iSB_SB_,comdat
	.protected	_Z39paged_attention_ll4mi_QKV_mfma16_kernelIDF16_DF16_LN4vllm18Fp8KVCacheDataTypeE0EDF16_Li16ELi64ELi256ELb0ELi15EEvPKT_PKT0_S7_ifPKiS9_S9_iPKfiiiPfSC_PS2_PT2_iSB_SB_ ; -- Begin function _Z39paged_attention_ll4mi_QKV_mfma16_kernelIDF16_DF16_LN4vllm18Fp8KVCacheDataTypeE0EDF16_Li16ELi64ELi256ELb0ELi15EEvPKT_PKT0_S7_ifPKiS9_S9_iPKfiiiPfSC_PS2_PT2_iSB_SB_
	.globl	_Z39paged_attention_ll4mi_QKV_mfma16_kernelIDF16_DF16_LN4vllm18Fp8KVCacheDataTypeE0EDF16_Li16ELi64ELi256ELb0ELi15EEvPKT_PKT0_S7_ifPKiS9_S9_iPKfiiiPfSC_PS2_PT2_iSB_SB_
	.p2align	8
	.type	_Z39paged_attention_ll4mi_QKV_mfma16_kernelIDF16_DF16_LN4vllm18Fp8KVCacheDataTypeE0EDF16_Li16ELi64ELi256ELb0ELi15EEvPKT_PKT0_S7_ifPKiS9_S9_iPKfiiiPfSC_PS2_PT2_iSB_SB_,@function
_Z39paged_attention_ll4mi_QKV_mfma16_kernelIDF16_DF16_LN4vllm18Fp8KVCacheDataTypeE0EDF16_Li16ELi64ELi256ELb0ELi15EEvPKT_PKT0_S7_ifPKiS9_S9_iPKfiiiPfSC_PS2_PT2_iSB_SB_: ; @_Z39paged_attention_ll4mi_QKV_mfma16_kernelIDF16_DF16_LN4vllm18Fp8KVCacheDataTypeE0EDF16_Li16ELi64ELi256ELb0ELi15EEvPKT_PKT0_S7_ifPKiS9_S9_iPKfiiiPfSC_PS2_PT2_iSB_SB_
; %bb.0:
	s_get_pc_i64 s[2:3]
	s_add_nc_u64 s[2:3], s[2:3], __PRETTY_FUNCTION__._Z39paged_attention_ll4mi_QKV_mfma16_kernelIDF16_DF16_LN4vllm18Fp8KVCacheDataTypeE0EDF16_Li16ELi64ELi256ELb0ELi15EEvPKT_PKT0_S7_ifPKiS9_S9_iPKfiiiPfSC_PS2_PT2_iSB_SB_@rel64+4
	s_delay_alu instid0(SALU_CYCLE_1)
	v_dual_mov_b32 v0, 0xbb3 :: v_dual_mov_b32 v1, s2
	v_mov_b32_e32 v2, s3
	s_add_nc_u64 s[8:9], s[0:1], 0x90
	s_get_pc_i64 s[0:1]
	s_add_nc_u64 s[0:1], s[0:1], __assert_fail@rel64+4
	s_mov_b32 s32, 0
	s_swap_pc_i64 s[30:31], s[0:1]
	.section	.rodata,"a",@progbits
	.p2align	6, 0x0
	.amdhsa_kernel _Z39paged_attention_ll4mi_QKV_mfma16_kernelIDF16_DF16_LN4vllm18Fp8KVCacheDataTypeE0EDF16_Li16ELi64ELi256ELb0ELi15EEvPKT_PKT0_S7_ifPKiS9_S9_iPKfiiiPfSC_PS2_PT2_iSB_SB_
		.amdhsa_group_segment_fixed_size 0
		.amdhsa_private_segment_fixed_size 64
		.amdhsa_kernarg_size 400
		.amdhsa_user_sgpr_count 2
		.amdhsa_user_sgpr_dispatch_ptr 0
		.amdhsa_user_sgpr_queue_ptr 0
		.amdhsa_user_sgpr_kernarg_segment_ptr 1
		.amdhsa_user_sgpr_dispatch_id 0
		.amdhsa_user_sgpr_kernarg_preload_length 0
		.amdhsa_user_sgpr_kernarg_preload_offset 0
		.amdhsa_user_sgpr_private_segment_size 0
		.amdhsa_wavefront_size32 1
		.amdhsa_uses_dynamic_stack 0
		.amdhsa_enable_private_segment 1
		.amdhsa_system_sgpr_workgroup_id_x 1
		.amdhsa_system_sgpr_workgroup_id_y 0
		.amdhsa_system_sgpr_workgroup_id_z 0
		.amdhsa_system_sgpr_workgroup_info 0
		.amdhsa_system_vgpr_workitem_id 0
		.amdhsa_next_free_vgpr 51
		.amdhsa_next_free_sgpr 34
		.amdhsa_named_barrier_count 0
		.amdhsa_reserve_vcc 1
		.amdhsa_float_round_mode_32 0
		.amdhsa_float_round_mode_16_64 0
		.amdhsa_float_denorm_mode_32 3
		.amdhsa_float_denorm_mode_16_64 3
		.amdhsa_fp16_overflow 0
		.amdhsa_memory_ordered 1
		.amdhsa_forward_progress 1
		.amdhsa_inst_pref_size 1
		.amdhsa_round_robin_scheduling 0
		.amdhsa_exception_fp_ieee_invalid_op 0
		.amdhsa_exception_fp_denorm_src 0
		.amdhsa_exception_fp_ieee_div_zero 0
		.amdhsa_exception_fp_ieee_overflow 0
		.amdhsa_exception_fp_ieee_underflow 0
		.amdhsa_exception_fp_ieee_inexact 0
		.amdhsa_exception_int_div_zero 0
	.end_amdhsa_kernel
	.section	.text._Z39paged_attention_ll4mi_QKV_mfma16_kernelIDF16_DF16_LN4vllm18Fp8KVCacheDataTypeE0EDF16_Li16ELi64ELi256ELb0ELi15EEvPKT_PKT0_S7_ifPKiS9_S9_iPKfiiiPfSC_PS2_PT2_iSB_SB_,"axG",@progbits,_Z39paged_attention_ll4mi_QKV_mfma16_kernelIDF16_DF16_LN4vllm18Fp8KVCacheDataTypeE0EDF16_Li16ELi64ELi256ELb0ELi15EEvPKT_PKT0_S7_ifPKiS9_S9_iPKfiiiPfSC_PS2_PT2_iSB_SB_,comdat
.Lfunc_end108:
	.size	_Z39paged_attention_ll4mi_QKV_mfma16_kernelIDF16_DF16_LN4vllm18Fp8KVCacheDataTypeE0EDF16_Li16ELi64ELi256ELb0ELi15EEvPKT_PKT0_S7_ifPKiS9_S9_iPKfiiiPfSC_PS2_PT2_iSB_SB_, .Lfunc_end108-_Z39paged_attention_ll4mi_QKV_mfma16_kernelIDF16_DF16_LN4vllm18Fp8KVCacheDataTypeE0EDF16_Li16ELi64ELi256ELb0ELi15EEvPKT_PKT0_S7_ifPKiS9_S9_iPKfiiiPfSC_PS2_PT2_iSB_SB_
                                        ; -- End function
	.set _Z39paged_attention_ll4mi_QKV_mfma16_kernelIDF16_DF16_LN4vllm18Fp8KVCacheDataTypeE0EDF16_Li16ELi64ELi256ELb0ELi15EEvPKT_PKT0_S7_ifPKiS9_S9_iPKfiiiPfSC_PS2_PT2_iSB_SB_.num_vgpr, max(3, .L__assert_fail.num_vgpr)
	.set _Z39paged_attention_ll4mi_QKV_mfma16_kernelIDF16_DF16_LN4vllm18Fp8KVCacheDataTypeE0EDF16_Li16ELi64ELi256ELb0ELi15EEvPKT_PKT0_S7_ifPKiS9_S9_iPKfiiiPfSC_PS2_PT2_iSB_SB_.num_agpr, max(0, .L__assert_fail.num_agpr)
	.set _Z39paged_attention_ll4mi_QKV_mfma16_kernelIDF16_DF16_LN4vllm18Fp8KVCacheDataTypeE0EDF16_Li16ELi64ELi256ELb0ELi15EEvPKT_PKT0_S7_ifPKiS9_S9_iPKfiiiPfSC_PS2_PT2_iSB_SB_.numbered_sgpr, max(33, .L__assert_fail.numbered_sgpr)
	.set _Z39paged_attention_ll4mi_QKV_mfma16_kernelIDF16_DF16_LN4vllm18Fp8KVCacheDataTypeE0EDF16_Li16ELi64ELi256ELb0ELi15EEvPKT_PKT0_S7_ifPKiS9_S9_iPKfiiiPfSC_PS2_PT2_iSB_SB_.num_named_barrier, max(0, .L__assert_fail.num_named_barrier)
	.set _Z39paged_attention_ll4mi_QKV_mfma16_kernelIDF16_DF16_LN4vllm18Fp8KVCacheDataTypeE0EDF16_Li16ELi64ELi256ELb0ELi15EEvPKT_PKT0_S7_ifPKiS9_S9_iPKfiiiPfSC_PS2_PT2_iSB_SB_.private_seg_size, 0+max(.L__assert_fail.private_seg_size)
	.set _Z39paged_attention_ll4mi_QKV_mfma16_kernelIDF16_DF16_LN4vllm18Fp8KVCacheDataTypeE0EDF16_Li16ELi64ELi256ELb0ELi15EEvPKT_PKT0_S7_ifPKiS9_S9_iPKfiiiPfSC_PS2_PT2_iSB_SB_.uses_vcc, or(1, .L__assert_fail.uses_vcc)
	.set _Z39paged_attention_ll4mi_QKV_mfma16_kernelIDF16_DF16_LN4vllm18Fp8KVCacheDataTypeE0EDF16_Li16ELi64ELi256ELb0ELi15EEvPKT_PKT0_S7_ifPKiS9_S9_iPKfiiiPfSC_PS2_PT2_iSB_SB_.uses_flat_scratch, or(0, .L__assert_fail.uses_flat_scratch)
	.set _Z39paged_attention_ll4mi_QKV_mfma16_kernelIDF16_DF16_LN4vllm18Fp8KVCacheDataTypeE0EDF16_Li16ELi64ELi256ELb0ELi15EEvPKT_PKT0_S7_ifPKiS9_S9_iPKfiiiPfSC_PS2_PT2_iSB_SB_.has_dyn_sized_stack, or(0, .L__assert_fail.has_dyn_sized_stack)
	.set _Z39paged_attention_ll4mi_QKV_mfma16_kernelIDF16_DF16_LN4vllm18Fp8KVCacheDataTypeE0EDF16_Li16ELi64ELi256ELb0ELi15EEvPKT_PKT0_S7_ifPKiS9_S9_iPKfiiiPfSC_PS2_PT2_iSB_SB_.has_recursion, or(0, .L__assert_fail.has_recursion)
	.set _Z39paged_attention_ll4mi_QKV_mfma16_kernelIDF16_DF16_LN4vllm18Fp8KVCacheDataTypeE0EDF16_Li16ELi64ELi256ELb0ELi15EEvPKT_PKT0_S7_ifPKiS9_S9_iPKfiiiPfSC_PS2_PT2_iSB_SB_.has_indirect_call, or(0, .L__assert_fail.has_indirect_call)
	.section	.AMDGPU.csdata,"",@progbits
; Kernel info:
; codeLenInByte = 68
; TotalNumSgprs: 36
; NumVgprs: 51
; ScratchSize: 64
; MemoryBound: 0
; FloatMode: 240
; IeeeMode: 1
; LDSByteSize: 0 bytes/workgroup (compile time only)
; SGPRBlocks: 0
; VGPRBlocks: 3
; NumSGPRsForWavesPerEU: 36
; NumVGPRsForWavesPerEU: 51
; NamedBarCnt: 0
; Occupancy: 16
; WaveLimiterHint : 1
; COMPUTE_PGM_RSRC2:SCRATCH_EN: 1
; COMPUTE_PGM_RSRC2:USER_SGPR: 2
; COMPUTE_PGM_RSRC2:TRAP_HANDLER: 0
; COMPUTE_PGM_RSRC2:TGID_X_EN: 1
; COMPUTE_PGM_RSRC2:TGID_Y_EN: 0
; COMPUTE_PGM_RSRC2:TGID_Z_EN: 0
; COMPUTE_PGM_RSRC2:TIDIG_COMP_CNT: 0
	.section	.text._Z39paged_attention_ll4mi_QKV_mfma16_kernelIDF16_DF16_LN4vllm18Fp8KVCacheDataTypeE0EDF16_Li16ELi64ELi256ELb0ELi16EEvPKT_PKT0_S7_ifPKiS9_S9_iPKfiiiPfSC_PS2_PT2_iSB_SB_,"axG",@progbits,_Z39paged_attention_ll4mi_QKV_mfma16_kernelIDF16_DF16_LN4vllm18Fp8KVCacheDataTypeE0EDF16_Li16ELi64ELi256ELb0ELi16EEvPKT_PKT0_S7_ifPKiS9_S9_iPKfiiiPfSC_PS2_PT2_iSB_SB_,comdat
	.protected	_Z39paged_attention_ll4mi_QKV_mfma16_kernelIDF16_DF16_LN4vllm18Fp8KVCacheDataTypeE0EDF16_Li16ELi64ELi256ELb0ELi16EEvPKT_PKT0_S7_ifPKiS9_S9_iPKfiiiPfSC_PS2_PT2_iSB_SB_ ; -- Begin function _Z39paged_attention_ll4mi_QKV_mfma16_kernelIDF16_DF16_LN4vllm18Fp8KVCacheDataTypeE0EDF16_Li16ELi64ELi256ELb0ELi16EEvPKT_PKT0_S7_ifPKiS9_S9_iPKfiiiPfSC_PS2_PT2_iSB_SB_
	.globl	_Z39paged_attention_ll4mi_QKV_mfma16_kernelIDF16_DF16_LN4vllm18Fp8KVCacheDataTypeE0EDF16_Li16ELi64ELi256ELb0ELi16EEvPKT_PKT0_S7_ifPKiS9_S9_iPKfiiiPfSC_PS2_PT2_iSB_SB_
	.p2align	8
	.type	_Z39paged_attention_ll4mi_QKV_mfma16_kernelIDF16_DF16_LN4vllm18Fp8KVCacheDataTypeE0EDF16_Li16ELi64ELi256ELb0ELi16EEvPKT_PKT0_S7_ifPKiS9_S9_iPKfiiiPfSC_PS2_PT2_iSB_SB_,@function
_Z39paged_attention_ll4mi_QKV_mfma16_kernelIDF16_DF16_LN4vllm18Fp8KVCacheDataTypeE0EDF16_Li16ELi64ELi256ELb0ELi16EEvPKT_PKT0_S7_ifPKiS9_S9_iPKfiiiPfSC_PS2_PT2_iSB_SB_: ; @_Z39paged_attention_ll4mi_QKV_mfma16_kernelIDF16_DF16_LN4vllm18Fp8KVCacheDataTypeE0EDF16_Li16ELi64ELi256ELb0ELi16EEvPKT_PKT0_S7_ifPKiS9_S9_iPKfiiiPfSC_PS2_PT2_iSB_SB_
; %bb.0:
	s_get_pc_i64 s[2:3]
	s_add_nc_u64 s[2:3], s[2:3], __PRETTY_FUNCTION__._Z39paged_attention_ll4mi_QKV_mfma16_kernelIDF16_DF16_LN4vllm18Fp8KVCacheDataTypeE0EDF16_Li16ELi64ELi256ELb0ELi16EEvPKT_PKT0_S7_ifPKiS9_S9_iPKfiiiPfSC_PS2_PT2_iSB_SB_@rel64+4
	s_delay_alu instid0(SALU_CYCLE_1)
	v_dual_mov_b32 v0, 0xbb3 :: v_dual_mov_b32 v1, s2
	v_mov_b32_e32 v2, s3
	s_add_nc_u64 s[8:9], s[0:1], 0x90
	s_get_pc_i64 s[0:1]
	s_add_nc_u64 s[0:1], s[0:1], __assert_fail@rel64+4
	s_mov_b32 s32, 0
	s_swap_pc_i64 s[30:31], s[0:1]
	.section	.rodata,"a",@progbits
	.p2align	6, 0x0
	.amdhsa_kernel _Z39paged_attention_ll4mi_QKV_mfma16_kernelIDF16_DF16_LN4vllm18Fp8KVCacheDataTypeE0EDF16_Li16ELi64ELi256ELb0ELi16EEvPKT_PKT0_S7_ifPKiS9_S9_iPKfiiiPfSC_PS2_PT2_iSB_SB_
		.amdhsa_group_segment_fixed_size 0
		.amdhsa_private_segment_fixed_size 64
		.amdhsa_kernarg_size 400
		.amdhsa_user_sgpr_count 2
		.amdhsa_user_sgpr_dispatch_ptr 0
		.amdhsa_user_sgpr_queue_ptr 0
		.amdhsa_user_sgpr_kernarg_segment_ptr 1
		.amdhsa_user_sgpr_dispatch_id 0
		.amdhsa_user_sgpr_kernarg_preload_length 0
		.amdhsa_user_sgpr_kernarg_preload_offset 0
		.amdhsa_user_sgpr_private_segment_size 0
		.amdhsa_wavefront_size32 1
		.amdhsa_uses_dynamic_stack 0
		.amdhsa_enable_private_segment 1
		.amdhsa_system_sgpr_workgroup_id_x 1
		.amdhsa_system_sgpr_workgroup_id_y 0
		.amdhsa_system_sgpr_workgroup_id_z 0
		.amdhsa_system_sgpr_workgroup_info 0
		.amdhsa_system_vgpr_workitem_id 0
		.amdhsa_next_free_vgpr 51
		.amdhsa_next_free_sgpr 34
		.amdhsa_named_barrier_count 0
		.amdhsa_reserve_vcc 1
		.amdhsa_float_round_mode_32 0
		.amdhsa_float_round_mode_16_64 0
		.amdhsa_float_denorm_mode_32 3
		.amdhsa_float_denorm_mode_16_64 3
		.amdhsa_fp16_overflow 0
		.amdhsa_memory_ordered 1
		.amdhsa_forward_progress 1
		.amdhsa_inst_pref_size 1
		.amdhsa_round_robin_scheduling 0
		.amdhsa_exception_fp_ieee_invalid_op 0
		.amdhsa_exception_fp_denorm_src 0
		.amdhsa_exception_fp_ieee_div_zero 0
		.amdhsa_exception_fp_ieee_overflow 0
		.amdhsa_exception_fp_ieee_underflow 0
		.amdhsa_exception_fp_ieee_inexact 0
		.amdhsa_exception_int_div_zero 0
	.end_amdhsa_kernel
	.section	.text._Z39paged_attention_ll4mi_QKV_mfma16_kernelIDF16_DF16_LN4vllm18Fp8KVCacheDataTypeE0EDF16_Li16ELi64ELi256ELb0ELi16EEvPKT_PKT0_S7_ifPKiS9_S9_iPKfiiiPfSC_PS2_PT2_iSB_SB_,"axG",@progbits,_Z39paged_attention_ll4mi_QKV_mfma16_kernelIDF16_DF16_LN4vllm18Fp8KVCacheDataTypeE0EDF16_Li16ELi64ELi256ELb0ELi16EEvPKT_PKT0_S7_ifPKiS9_S9_iPKfiiiPfSC_PS2_PT2_iSB_SB_,comdat
.Lfunc_end109:
	.size	_Z39paged_attention_ll4mi_QKV_mfma16_kernelIDF16_DF16_LN4vllm18Fp8KVCacheDataTypeE0EDF16_Li16ELi64ELi256ELb0ELi16EEvPKT_PKT0_S7_ifPKiS9_S9_iPKfiiiPfSC_PS2_PT2_iSB_SB_, .Lfunc_end109-_Z39paged_attention_ll4mi_QKV_mfma16_kernelIDF16_DF16_LN4vllm18Fp8KVCacheDataTypeE0EDF16_Li16ELi64ELi256ELb0ELi16EEvPKT_PKT0_S7_ifPKiS9_S9_iPKfiiiPfSC_PS2_PT2_iSB_SB_
                                        ; -- End function
	.set _Z39paged_attention_ll4mi_QKV_mfma16_kernelIDF16_DF16_LN4vllm18Fp8KVCacheDataTypeE0EDF16_Li16ELi64ELi256ELb0ELi16EEvPKT_PKT0_S7_ifPKiS9_S9_iPKfiiiPfSC_PS2_PT2_iSB_SB_.num_vgpr, max(3, .L__assert_fail.num_vgpr)
	.set _Z39paged_attention_ll4mi_QKV_mfma16_kernelIDF16_DF16_LN4vllm18Fp8KVCacheDataTypeE0EDF16_Li16ELi64ELi256ELb0ELi16EEvPKT_PKT0_S7_ifPKiS9_S9_iPKfiiiPfSC_PS2_PT2_iSB_SB_.num_agpr, max(0, .L__assert_fail.num_agpr)
	.set _Z39paged_attention_ll4mi_QKV_mfma16_kernelIDF16_DF16_LN4vllm18Fp8KVCacheDataTypeE0EDF16_Li16ELi64ELi256ELb0ELi16EEvPKT_PKT0_S7_ifPKiS9_S9_iPKfiiiPfSC_PS2_PT2_iSB_SB_.numbered_sgpr, max(33, .L__assert_fail.numbered_sgpr)
	.set _Z39paged_attention_ll4mi_QKV_mfma16_kernelIDF16_DF16_LN4vllm18Fp8KVCacheDataTypeE0EDF16_Li16ELi64ELi256ELb0ELi16EEvPKT_PKT0_S7_ifPKiS9_S9_iPKfiiiPfSC_PS2_PT2_iSB_SB_.num_named_barrier, max(0, .L__assert_fail.num_named_barrier)
	.set _Z39paged_attention_ll4mi_QKV_mfma16_kernelIDF16_DF16_LN4vllm18Fp8KVCacheDataTypeE0EDF16_Li16ELi64ELi256ELb0ELi16EEvPKT_PKT0_S7_ifPKiS9_S9_iPKfiiiPfSC_PS2_PT2_iSB_SB_.private_seg_size, 0+max(.L__assert_fail.private_seg_size)
	.set _Z39paged_attention_ll4mi_QKV_mfma16_kernelIDF16_DF16_LN4vllm18Fp8KVCacheDataTypeE0EDF16_Li16ELi64ELi256ELb0ELi16EEvPKT_PKT0_S7_ifPKiS9_S9_iPKfiiiPfSC_PS2_PT2_iSB_SB_.uses_vcc, or(1, .L__assert_fail.uses_vcc)
	.set _Z39paged_attention_ll4mi_QKV_mfma16_kernelIDF16_DF16_LN4vllm18Fp8KVCacheDataTypeE0EDF16_Li16ELi64ELi256ELb0ELi16EEvPKT_PKT0_S7_ifPKiS9_S9_iPKfiiiPfSC_PS2_PT2_iSB_SB_.uses_flat_scratch, or(0, .L__assert_fail.uses_flat_scratch)
	.set _Z39paged_attention_ll4mi_QKV_mfma16_kernelIDF16_DF16_LN4vllm18Fp8KVCacheDataTypeE0EDF16_Li16ELi64ELi256ELb0ELi16EEvPKT_PKT0_S7_ifPKiS9_S9_iPKfiiiPfSC_PS2_PT2_iSB_SB_.has_dyn_sized_stack, or(0, .L__assert_fail.has_dyn_sized_stack)
	.set _Z39paged_attention_ll4mi_QKV_mfma16_kernelIDF16_DF16_LN4vllm18Fp8KVCacheDataTypeE0EDF16_Li16ELi64ELi256ELb0ELi16EEvPKT_PKT0_S7_ifPKiS9_S9_iPKfiiiPfSC_PS2_PT2_iSB_SB_.has_recursion, or(0, .L__assert_fail.has_recursion)
	.set _Z39paged_attention_ll4mi_QKV_mfma16_kernelIDF16_DF16_LN4vllm18Fp8KVCacheDataTypeE0EDF16_Li16ELi64ELi256ELb0ELi16EEvPKT_PKT0_S7_ifPKiS9_S9_iPKfiiiPfSC_PS2_PT2_iSB_SB_.has_indirect_call, or(0, .L__assert_fail.has_indirect_call)
	.section	.AMDGPU.csdata,"",@progbits
; Kernel info:
; codeLenInByte = 68
; TotalNumSgprs: 36
; NumVgprs: 51
; ScratchSize: 64
; MemoryBound: 0
; FloatMode: 240
; IeeeMode: 1
; LDSByteSize: 0 bytes/workgroup (compile time only)
; SGPRBlocks: 0
; VGPRBlocks: 3
; NumSGPRsForWavesPerEU: 36
; NumVGPRsForWavesPerEU: 51
; NamedBarCnt: 0
; Occupancy: 16
; WaveLimiterHint : 1
; COMPUTE_PGM_RSRC2:SCRATCH_EN: 1
; COMPUTE_PGM_RSRC2:USER_SGPR: 2
; COMPUTE_PGM_RSRC2:TRAP_HANDLER: 0
; COMPUTE_PGM_RSRC2:TGID_X_EN: 1
; COMPUTE_PGM_RSRC2:TGID_Y_EN: 0
; COMPUTE_PGM_RSRC2:TGID_Z_EN: 0
; COMPUTE_PGM_RSRC2:TIDIG_COMP_CNT: 0
	.section	.text._Z39paged_attention_ll4mi_QKV_mfma16_kernelIDF16_DF16_LN4vllm18Fp8KVCacheDataTypeE0EDF16_Li16ELi64ELi256ELb0ELi1EEvPKT_PKT0_S7_ifPKiS9_S9_iPKfiiiPfSC_PS2_PT2_iSB_SB_,"axG",@progbits,_Z39paged_attention_ll4mi_QKV_mfma16_kernelIDF16_DF16_LN4vllm18Fp8KVCacheDataTypeE0EDF16_Li16ELi64ELi256ELb0ELi1EEvPKT_PKT0_S7_ifPKiS9_S9_iPKfiiiPfSC_PS2_PT2_iSB_SB_,comdat
	.protected	_Z39paged_attention_ll4mi_QKV_mfma16_kernelIDF16_DF16_LN4vllm18Fp8KVCacheDataTypeE0EDF16_Li16ELi64ELi256ELb0ELi1EEvPKT_PKT0_S7_ifPKiS9_S9_iPKfiiiPfSC_PS2_PT2_iSB_SB_ ; -- Begin function _Z39paged_attention_ll4mi_QKV_mfma16_kernelIDF16_DF16_LN4vllm18Fp8KVCacheDataTypeE0EDF16_Li16ELi64ELi256ELb0ELi1EEvPKT_PKT0_S7_ifPKiS9_S9_iPKfiiiPfSC_PS2_PT2_iSB_SB_
	.globl	_Z39paged_attention_ll4mi_QKV_mfma16_kernelIDF16_DF16_LN4vllm18Fp8KVCacheDataTypeE0EDF16_Li16ELi64ELi256ELb0ELi1EEvPKT_PKT0_S7_ifPKiS9_S9_iPKfiiiPfSC_PS2_PT2_iSB_SB_
	.p2align	8
	.type	_Z39paged_attention_ll4mi_QKV_mfma16_kernelIDF16_DF16_LN4vllm18Fp8KVCacheDataTypeE0EDF16_Li16ELi64ELi256ELb0ELi1EEvPKT_PKT0_S7_ifPKiS9_S9_iPKfiiiPfSC_PS2_PT2_iSB_SB_,@function
_Z39paged_attention_ll4mi_QKV_mfma16_kernelIDF16_DF16_LN4vllm18Fp8KVCacheDataTypeE0EDF16_Li16ELi64ELi256ELb0ELi1EEvPKT_PKT0_S7_ifPKiS9_S9_iPKfiiiPfSC_PS2_PT2_iSB_SB_: ; @_Z39paged_attention_ll4mi_QKV_mfma16_kernelIDF16_DF16_LN4vllm18Fp8KVCacheDataTypeE0EDF16_Li16ELi64ELi256ELb0ELi1EEvPKT_PKT0_S7_ifPKiS9_S9_iPKfiiiPfSC_PS2_PT2_iSB_SB_
; %bb.0:
	s_get_pc_i64 s[2:3]
	s_add_nc_u64 s[2:3], s[2:3], __PRETTY_FUNCTION__._Z39paged_attention_ll4mi_QKV_mfma16_kernelIDF16_DF16_LN4vllm18Fp8KVCacheDataTypeE0EDF16_Li16ELi64ELi256ELb0ELi1EEvPKT_PKT0_S7_ifPKiS9_S9_iPKfiiiPfSC_PS2_PT2_iSB_SB_@rel64+4
	s_delay_alu instid0(SALU_CYCLE_1)
	v_dual_mov_b32 v0, 0xbb3 :: v_dual_mov_b32 v1, s2
	v_mov_b32_e32 v2, s3
	s_add_nc_u64 s[8:9], s[0:1], 0x90
	s_get_pc_i64 s[0:1]
	s_add_nc_u64 s[0:1], s[0:1], __assert_fail@rel64+4
	s_mov_b32 s32, 0
	s_swap_pc_i64 s[30:31], s[0:1]
	.section	.rodata,"a",@progbits
	.p2align	6, 0x0
	.amdhsa_kernel _Z39paged_attention_ll4mi_QKV_mfma16_kernelIDF16_DF16_LN4vllm18Fp8KVCacheDataTypeE0EDF16_Li16ELi64ELi256ELb0ELi1EEvPKT_PKT0_S7_ifPKiS9_S9_iPKfiiiPfSC_PS2_PT2_iSB_SB_
		.amdhsa_group_segment_fixed_size 0
		.amdhsa_private_segment_fixed_size 64
		.amdhsa_kernarg_size 400
		.amdhsa_user_sgpr_count 2
		.amdhsa_user_sgpr_dispatch_ptr 0
		.amdhsa_user_sgpr_queue_ptr 0
		.amdhsa_user_sgpr_kernarg_segment_ptr 1
		.amdhsa_user_sgpr_dispatch_id 0
		.amdhsa_user_sgpr_kernarg_preload_length 0
		.amdhsa_user_sgpr_kernarg_preload_offset 0
		.amdhsa_user_sgpr_private_segment_size 0
		.amdhsa_wavefront_size32 1
		.amdhsa_uses_dynamic_stack 0
		.amdhsa_enable_private_segment 1
		.amdhsa_system_sgpr_workgroup_id_x 1
		.amdhsa_system_sgpr_workgroup_id_y 0
		.amdhsa_system_sgpr_workgroup_id_z 0
		.amdhsa_system_sgpr_workgroup_info 0
		.amdhsa_system_vgpr_workitem_id 0
		.amdhsa_next_free_vgpr 51
		.amdhsa_next_free_sgpr 34
		.amdhsa_named_barrier_count 0
		.amdhsa_reserve_vcc 1
		.amdhsa_float_round_mode_32 0
		.amdhsa_float_round_mode_16_64 0
		.amdhsa_float_denorm_mode_32 3
		.amdhsa_float_denorm_mode_16_64 3
		.amdhsa_fp16_overflow 0
		.amdhsa_memory_ordered 1
		.amdhsa_forward_progress 1
		.amdhsa_inst_pref_size 1
		.amdhsa_round_robin_scheduling 0
		.amdhsa_exception_fp_ieee_invalid_op 0
		.amdhsa_exception_fp_denorm_src 0
		.amdhsa_exception_fp_ieee_div_zero 0
		.amdhsa_exception_fp_ieee_overflow 0
		.amdhsa_exception_fp_ieee_underflow 0
		.amdhsa_exception_fp_ieee_inexact 0
		.amdhsa_exception_int_div_zero 0
	.end_amdhsa_kernel
	.section	.text._Z39paged_attention_ll4mi_QKV_mfma16_kernelIDF16_DF16_LN4vllm18Fp8KVCacheDataTypeE0EDF16_Li16ELi64ELi256ELb0ELi1EEvPKT_PKT0_S7_ifPKiS9_S9_iPKfiiiPfSC_PS2_PT2_iSB_SB_,"axG",@progbits,_Z39paged_attention_ll4mi_QKV_mfma16_kernelIDF16_DF16_LN4vllm18Fp8KVCacheDataTypeE0EDF16_Li16ELi64ELi256ELb0ELi1EEvPKT_PKT0_S7_ifPKiS9_S9_iPKfiiiPfSC_PS2_PT2_iSB_SB_,comdat
.Lfunc_end110:
	.size	_Z39paged_attention_ll4mi_QKV_mfma16_kernelIDF16_DF16_LN4vllm18Fp8KVCacheDataTypeE0EDF16_Li16ELi64ELi256ELb0ELi1EEvPKT_PKT0_S7_ifPKiS9_S9_iPKfiiiPfSC_PS2_PT2_iSB_SB_, .Lfunc_end110-_Z39paged_attention_ll4mi_QKV_mfma16_kernelIDF16_DF16_LN4vllm18Fp8KVCacheDataTypeE0EDF16_Li16ELi64ELi256ELb0ELi1EEvPKT_PKT0_S7_ifPKiS9_S9_iPKfiiiPfSC_PS2_PT2_iSB_SB_
                                        ; -- End function
	.set _Z39paged_attention_ll4mi_QKV_mfma16_kernelIDF16_DF16_LN4vllm18Fp8KVCacheDataTypeE0EDF16_Li16ELi64ELi256ELb0ELi1EEvPKT_PKT0_S7_ifPKiS9_S9_iPKfiiiPfSC_PS2_PT2_iSB_SB_.num_vgpr, max(3, .L__assert_fail.num_vgpr)
	.set _Z39paged_attention_ll4mi_QKV_mfma16_kernelIDF16_DF16_LN4vllm18Fp8KVCacheDataTypeE0EDF16_Li16ELi64ELi256ELb0ELi1EEvPKT_PKT0_S7_ifPKiS9_S9_iPKfiiiPfSC_PS2_PT2_iSB_SB_.num_agpr, max(0, .L__assert_fail.num_agpr)
	.set _Z39paged_attention_ll4mi_QKV_mfma16_kernelIDF16_DF16_LN4vllm18Fp8KVCacheDataTypeE0EDF16_Li16ELi64ELi256ELb0ELi1EEvPKT_PKT0_S7_ifPKiS9_S9_iPKfiiiPfSC_PS2_PT2_iSB_SB_.numbered_sgpr, max(33, .L__assert_fail.numbered_sgpr)
	.set _Z39paged_attention_ll4mi_QKV_mfma16_kernelIDF16_DF16_LN4vllm18Fp8KVCacheDataTypeE0EDF16_Li16ELi64ELi256ELb0ELi1EEvPKT_PKT0_S7_ifPKiS9_S9_iPKfiiiPfSC_PS2_PT2_iSB_SB_.num_named_barrier, max(0, .L__assert_fail.num_named_barrier)
	.set _Z39paged_attention_ll4mi_QKV_mfma16_kernelIDF16_DF16_LN4vllm18Fp8KVCacheDataTypeE0EDF16_Li16ELi64ELi256ELb0ELi1EEvPKT_PKT0_S7_ifPKiS9_S9_iPKfiiiPfSC_PS2_PT2_iSB_SB_.private_seg_size, 0+max(.L__assert_fail.private_seg_size)
	.set _Z39paged_attention_ll4mi_QKV_mfma16_kernelIDF16_DF16_LN4vllm18Fp8KVCacheDataTypeE0EDF16_Li16ELi64ELi256ELb0ELi1EEvPKT_PKT0_S7_ifPKiS9_S9_iPKfiiiPfSC_PS2_PT2_iSB_SB_.uses_vcc, or(1, .L__assert_fail.uses_vcc)
	.set _Z39paged_attention_ll4mi_QKV_mfma16_kernelIDF16_DF16_LN4vllm18Fp8KVCacheDataTypeE0EDF16_Li16ELi64ELi256ELb0ELi1EEvPKT_PKT0_S7_ifPKiS9_S9_iPKfiiiPfSC_PS2_PT2_iSB_SB_.uses_flat_scratch, or(0, .L__assert_fail.uses_flat_scratch)
	.set _Z39paged_attention_ll4mi_QKV_mfma16_kernelIDF16_DF16_LN4vllm18Fp8KVCacheDataTypeE0EDF16_Li16ELi64ELi256ELb0ELi1EEvPKT_PKT0_S7_ifPKiS9_S9_iPKfiiiPfSC_PS2_PT2_iSB_SB_.has_dyn_sized_stack, or(0, .L__assert_fail.has_dyn_sized_stack)
	.set _Z39paged_attention_ll4mi_QKV_mfma16_kernelIDF16_DF16_LN4vllm18Fp8KVCacheDataTypeE0EDF16_Li16ELi64ELi256ELb0ELi1EEvPKT_PKT0_S7_ifPKiS9_S9_iPKfiiiPfSC_PS2_PT2_iSB_SB_.has_recursion, or(0, .L__assert_fail.has_recursion)
	.set _Z39paged_attention_ll4mi_QKV_mfma16_kernelIDF16_DF16_LN4vllm18Fp8KVCacheDataTypeE0EDF16_Li16ELi64ELi256ELb0ELi1EEvPKT_PKT0_S7_ifPKiS9_S9_iPKfiiiPfSC_PS2_PT2_iSB_SB_.has_indirect_call, or(0, .L__assert_fail.has_indirect_call)
	.section	.AMDGPU.csdata,"",@progbits
; Kernel info:
; codeLenInByte = 68
; TotalNumSgprs: 36
; NumVgprs: 51
; ScratchSize: 64
; MemoryBound: 0
; FloatMode: 240
; IeeeMode: 1
; LDSByteSize: 0 bytes/workgroup (compile time only)
; SGPRBlocks: 0
; VGPRBlocks: 3
; NumSGPRsForWavesPerEU: 36
; NumVGPRsForWavesPerEU: 51
; NamedBarCnt: 0
; Occupancy: 16
; WaveLimiterHint : 1
; COMPUTE_PGM_RSRC2:SCRATCH_EN: 1
; COMPUTE_PGM_RSRC2:USER_SGPR: 2
; COMPUTE_PGM_RSRC2:TRAP_HANDLER: 0
; COMPUTE_PGM_RSRC2:TGID_X_EN: 1
; COMPUTE_PGM_RSRC2:TGID_Y_EN: 0
; COMPUTE_PGM_RSRC2:TGID_Z_EN: 0
; COMPUTE_PGM_RSRC2:TIDIG_COMP_CNT: 0
	.section	.text._Z39paged_attention_ll4mi_QKV_mfma16_kernelIDF16_DF16_LN4vllm18Fp8KVCacheDataTypeE0EDF16_Li16ELi64ELi256ELb0ELi2EEvPKT_PKT0_S7_ifPKiS9_S9_iPKfiiiPfSC_PS2_PT2_iSB_SB_,"axG",@progbits,_Z39paged_attention_ll4mi_QKV_mfma16_kernelIDF16_DF16_LN4vllm18Fp8KVCacheDataTypeE0EDF16_Li16ELi64ELi256ELb0ELi2EEvPKT_PKT0_S7_ifPKiS9_S9_iPKfiiiPfSC_PS2_PT2_iSB_SB_,comdat
	.protected	_Z39paged_attention_ll4mi_QKV_mfma16_kernelIDF16_DF16_LN4vllm18Fp8KVCacheDataTypeE0EDF16_Li16ELi64ELi256ELb0ELi2EEvPKT_PKT0_S7_ifPKiS9_S9_iPKfiiiPfSC_PS2_PT2_iSB_SB_ ; -- Begin function _Z39paged_attention_ll4mi_QKV_mfma16_kernelIDF16_DF16_LN4vllm18Fp8KVCacheDataTypeE0EDF16_Li16ELi64ELi256ELb0ELi2EEvPKT_PKT0_S7_ifPKiS9_S9_iPKfiiiPfSC_PS2_PT2_iSB_SB_
	.globl	_Z39paged_attention_ll4mi_QKV_mfma16_kernelIDF16_DF16_LN4vllm18Fp8KVCacheDataTypeE0EDF16_Li16ELi64ELi256ELb0ELi2EEvPKT_PKT0_S7_ifPKiS9_S9_iPKfiiiPfSC_PS2_PT2_iSB_SB_
	.p2align	8
	.type	_Z39paged_attention_ll4mi_QKV_mfma16_kernelIDF16_DF16_LN4vllm18Fp8KVCacheDataTypeE0EDF16_Li16ELi64ELi256ELb0ELi2EEvPKT_PKT0_S7_ifPKiS9_S9_iPKfiiiPfSC_PS2_PT2_iSB_SB_,@function
_Z39paged_attention_ll4mi_QKV_mfma16_kernelIDF16_DF16_LN4vllm18Fp8KVCacheDataTypeE0EDF16_Li16ELi64ELi256ELb0ELi2EEvPKT_PKT0_S7_ifPKiS9_S9_iPKfiiiPfSC_PS2_PT2_iSB_SB_: ; @_Z39paged_attention_ll4mi_QKV_mfma16_kernelIDF16_DF16_LN4vllm18Fp8KVCacheDataTypeE0EDF16_Li16ELi64ELi256ELb0ELi2EEvPKT_PKT0_S7_ifPKiS9_S9_iPKfiiiPfSC_PS2_PT2_iSB_SB_
; %bb.0:
	s_get_pc_i64 s[2:3]
	s_add_nc_u64 s[2:3], s[2:3], __PRETTY_FUNCTION__._Z39paged_attention_ll4mi_QKV_mfma16_kernelIDF16_DF16_LN4vllm18Fp8KVCacheDataTypeE0EDF16_Li16ELi64ELi256ELb0ELi2EEvPKT_PKT0_S7_ifPKiS9_S9_iPKfiiiPfSC_PS2_PT2_iSB_SB_@rel64+4
	s_delay_alu instid0(SALU_CYCLE_1)
	v_dual_mov_b32 v0, 0xbb3 :: v_dual_mov_b32 v1, s2
	v_mov_b32_e32 v2, s3
	s_add_nc_u64 s[8:9], s[0:1], 0x90
	s_get_pc_i64 s[0:1]
	s_add_nc_u64 s[0:1], s[0:1], __assert_fail@rel64+4
	s_mov_b32 s32, 0
	s_swap_pc_i64 s[30:31], s[0:1]
	.section	.rodata,"a",@progbits
	.p2align	6, 0x0
	.amdhsa_kernel _Z39paged_attention_ll4mi_QKV_mfma16_kernelIDF16_DF16_LN4vllm18Fp8KVCacheDataTypeE0EDF16_Li16ELi64ELi256ELb0ELi2EEvPKT_PKT0_S7_ifPKiS9_S9_iPKfiiiPfSC_PS2_PT2_iSB_SB_
		.amdhsa_group_segment_fixed_size 0
		.amdhsa_private_segment_fixed_size 64
		.amdhsa_kernarg_size 400
		.amdhsa_user_sgpr_count 2
		.amdhsa_user_sgpr_dispatch_ptr 0
		.amdhsa_user_sgpr_queue_ptr 0
		.amdhsa_user_sgpr_kernarg_segment_ptr 1
		.amdhsa_user_sgpr_dispatch_id 0
		.amdhsa_user_sgpr_kernarg_preload_length 0
		.amdhsa_user_sgpr_kernarg_preload_offset 0
		.amdhsa_user_sgpr_private_segment_size 0
		.amdhsa_wavefront_size32 1
		.amdhsa_uses_dynamic_stack 0
		.amdhsa_enable_private_segment 1
		.amdhsa_system_sgpr_workgroup_id_x 1
		.amdhsa_system_sgpr_workgroup_id_y 0
		.amdhsa_system_sgpr_workgroup_id_z 0
		.amdhsa_system_sgpr_workgroup_info 0
		.amdhsa_system_vgpr_workitem_id 0
		.amdhsa_next_free_vgpr 51
		.amdhsa_next_free_sgpr 34
		.amdhsa_named_barrier_count 0
		.amdhsa_reserve_vcc 1
		.amdhsa_float_round_mode_32 0
		.amdhsa_float_round_mode_16_64 0
		.amdhsa_float_denorm_mode_32 3
		.amdhsa_float_denorm_mode_16_64 3
		.amdhsa_fp16_overflow 0
		.amdhsa_memory_ordered 1
		.amdhsa_forward_progress 1
		.amdhsa_inst_pref_size 1
		.amdhsa_round_robin_scheduling 0
		.amdhsa_exception_fp_ieee_invalid_op 0
		.amdhsa_exception_fp_denorm_src 0
		.amdhsa_exception_fp_ieee_div_zero 0
		.amdhsa_exception_fp_ieee_overflow 0
		.amdhsa_exception_fp_ieee_underflow 0
		.amdhsa_exception_fp_ieee_inexact 0
		.amdhsa_exception_int_div_zero 0
	.end_amdhsa_kernel
	.section	.text._Z39paged_attention_ll4mi_QKV_mfma16_kernelIDF16_DF16_LN4vllm18Fp8KVCacheDataTypeE0EDF16_Li16ELi64ELi256ELb0ELi2EEvPKT_PKT0_S7_ifPKiS9_S9_iPKfiiiPfSC_PS2_PT2_iSB_SB_,"axG",@progbits,_Z39paged_attention_ll4mi_QKV_mfma16_kernelIDF16_DF16_LN4vllm18Fp8KVCacheDataTypeE0EDF16_Li16ELi64ELi256ELb0ELi2EEvPKT_PKT0_S7_ifPKiS9_S9_iPKfiiiPfSC_PS2_PT2_iSB_SB_,comdat
.Lfunc_end111:
	.size	_Z39paged_attention_ll4mi_QKV_mfma16_kernelIDF16_DF16_LN4vllm18Fp8KVCacheDataTypeE0EDF16_Li16ELi64ELi256ELb0ELi2EEvPKT_PKT0_S7_ifPKiS9_S9_iPKfiiiPfSC_PS2_PT2_iSB_SB_, .Lfunc_end111-_Z39paged_attention_ll4mi_QKV_mfma16_kernelIDF16_DF16_LN4vllm18Fp8KVCacheDataTypeE0EDF16_Li16ELi64ELi256ELb0ELi2EEvPKT_PKT0_S7_ifPKiS9_S9_iPKfiiiPfSC_PS2_PT2_iSB_SB_
                                        ; -- End function
	.set _Z39paged_attention_ll4mi_QKV_mfma16_kernelIDF16_DF16_LN4vllm18Fp8KVCacheDataTypeE0EDF16_Li16ELi64ELi256ELb0ELi2EEvPKT_PKT0_S7_ifPKiS9_S9_iPKfiiiPfSC_PS2_PT2_iSB_SB_.num_vgpr, max(3, .L__assert_fail.num_vgpr)
	.set _Z39paged_attention_ll4mi_QKV_mfma16_kernelIDF16_DF16_LN4vllm18Fp8KVCacheDataTypeE0EDF16_Li16ELi64ELi256ELb0ELi2EEvPKT_PKT0_S7_ifPKiS9_S9_iPKfiiiPfSC_PS2_PT2_iSB_SB_.num_agpr, max(0, .L__assert_fail.num_agpr)
	.set _Z39paged_attention_ll4mi_QKV_mfma16_kernelIDF16_DF16_LN4vllm18Fp8KVCacheDataTypeE0EDF16_Li16ELi64ELi256ELb0ELi2EEvPKT_PKT0_S7_ifPKiS9_S9_iPKfiiiPfSC_PS2_PT2_iSB_SB_.numbered_sgpr, max(33, .L__assert_fail.numbered_sgpr)
	.set _Z39paged_attention_ll4mi_QKV_mfma16_kernelIDF16_DF16_LN4vllm18Fp8KVCacheDataTypeE0EDF16_Li16ELi64ELi256ELb0ELi2EEvPKT_PKT0_S7_ifPKiS9_S9_iPKfiiiPfSC_PS2_PT2_iSB_SB_.num_named_barrier, max(0, .L__assert_fail.num_named_barrier)
	.set _Z39paged_attention_ll4mi_QKV_mfma16_kernelIDF16_DF16_LN4vllm18Fp8KVCacheDataTypeE0EDF16_Li16ELi64ELi256ELb0ELi2EEvPKT_PKT0_S7_ifPKiS9_S9_iPKfiiiPfSC_PS2_PT2_iSB_SB_.private_seg_size, 0+max(.L__assert_fail.private_seg_size)
	.set _Z39paged_attention_ll4mi_QKV_mfma16_kernelIDF16_DF16_LN4vllm18Fp8KVCacheDataTypeE0EDF16_Li16ELi64ELi256ELb0ELi2EEvPKT_PKT0_S7_ifPKiS9_S9_iPKfiiiPfSC_PS2_PT2_iSB_SB_.uses_vcc, or(1, .L__assert_fail.uses_vcc)
	.set _Z39paged_attention_ll4mi_QKV_mfma16_kernelIDF16_DF16_LN4vllm18Fp8KVCacheDataTypeE0EDF16_Li16ELi64ELi256ELb0ELi2EEvPKT_PKT0_S7_ifPKiS9_S9_iPKfiiiPfSC_PS2_PT2_iSB_SB_.uses_flat_scratch, or(0, .L__assert_fail.uses_flat_scratch)
	.set _Z39paged_attention_ll4mi_QKV_mfma16_kernelIDF16_DF16_LN4vllm18Fp8KVCacheDataTypeE0EDF16_Li16ELi64ELi256ELb0ELi2EEvPKT_PKT0_S7_ifPKiS9_S9_iPKfiiiPfSC_PS2_PT2_iSB_SB_.has_dyn_sized_stack, or(0, .L__assert_fail.has_dyn_sized_stack)
	.set _Z39paged_attention_ll4mi_QKV_mfma16_kernelIDF16_DF16_LN4vllm18Fp8KVCacheDataTypeE0EDF16_Li16ELi64ELi256ELb0ELi2EEvPKT_PKT0_S7_ifPKiS9_S9_iPKfiiiPfSC_PS2_PT2_iSB_SB_.has_recursion, or(0, .L__assert_fail.has_recursion)
	.set _Z39paged_attention_ll4mi_QKV_mfma16_kernelIDF16_DF16_LN4vllm18Fp8KVCacheDataTypeE0EDF16_Li16ELi64ELi256ELb0ELi2EEvPKT_PKT0_S7_ifPKiS9_S9_iPKfiiiPfSC_PS2_PT2_iSB_SB_.has_indirect_call, or(0, .L__assert_fail.has_indirect_call)
	.section	.AMDGPU.csdata,"",@progbits
; Kernel info:
; codeLenInByte = 68
; TotalNumSgprs: 36
; NumVgprs: 51
; ScratchSize: 64
; MemoryBound: 0
; FloatMode: 240
; IeeeMode: 1
; LDSByteSize: 0 bytes/workgroup (compile time only)
; SGPRBlocks: 0
; VGPRBlocks: 3
; NumSGPRsForWavesPerEU: 36
; NumVGPRsForWavesPerEU: 51
; NamedBarCnt: 0
; Occupancy: 16
; WaveLimiterHint : 1
; COMPUTE_PGM_RSRC2:SCRATCH_EN: 1
; COMPUTE_PGM_RSRC2:USER_SGPR: 2
; COMPUTE_PGM_RSRC2:TRAP_HANDLER: 0
; COMPUTE_PGM_RSRC2:TGID_X_EN: 1
; COMPUTE_PGM_RSRC2:TGID_Y_EN: 0
; COMPUTE_PGM_RSRC2:TGID_Z_EN: 0
; COMPUTE_PGM_RSRC2:TIDIG_COMP_CNT: 0
	.section	.text._Z39paged_attention_ll4mi_QKV_mfma16_kernelIDF16_DF16_LN4vllm18Fp8KVCacheDataTypeE0EDF16_Li16ELi64ELi256ELb0ELi3EEvPKT_PKT0_S7_ifPKiS9_S9_iPKfiiiPfSC_PS2_PT2_iSB_SB_,"axG",@progbits,_Z39paged_attention_ll4mi_QKV_mfma16_kernelIDF16_DF16_LN4vllm18Fp8KVCacheDataTypeE0EDF16_Li16ELi64ELi256ELb0ELi3EEvPKT_PKT0_S7_ifPKiS9_S9_iPKfiiiPfSC_PS2_PT2_iSB_SB_,comdat
	.protected	_Z39paged_attention_ll4mi_QKV_mfma16_kernelIDF16_DF16_LN4vllm18Fp8KVCacheDataTypeE0EDF16_Li16ELi64ELi256ELb0ELi3EEvPKT_PKT0_S7_ifPKiS9_S9_iPKfiiiPfSC_PS2_PT2_iSB_SB_ ; -- Begin function _Z39paged_attention_ll4mi_QKV_mfma16_kernelIDF16_DF16_LN4vllm18Fp8KVCacheDataTypeE0EDF16_Li16ELi64ELi256ELb0ELi3EEvPKT_PKT0_S7_ifPKiS9_S9_iPKfiiiPfSC_PS2_PT2_iSB_SB_
	.globl	_Z39paged_attention_ll4mi_QKV_mfma16_kernelIDF16_DF16_LN4vllm18Fp8KVCacheDataTypeE0EDF16_Li16ELi64ELi256ELb0ELi3EEvPKT_PKT0_S7_ifPKiS9_S9_iPKfiiiPfSC_PS2_PT2_iSB_SB_
	.p2align	8
	.type	_Z39paged_attention_ll4mi_QKV_mfma16_kernelIDF16_DF16_LN4vllm18Fp8KVCacheDataTypeE0EDF16_Li16ELi64ELi256ELb0ELi3EEvPKT_PKT0_S7_ifPKiS9_S9_iPKfiiiPfSC_PS2_PT2_iSB_SB_,@function
_Z39paged_attention_ll4mi_QKV_mfma16_kernelIDF16_DF16_LN4vllm18Fp8KVCacheDataTypeE0EDF16_Li16ELi64ELi256ELb0ELi3EEvPKT_PKT0_S7_ifPKiS9_S9_iPKfiiiPfSC_PS2_PT2_iSB_SB_: ; @_Z39paged_attention_ll4mi_QKV_mfma16_kernelIDF16_DF16_LN4vllm18Fp8KVCacheDataTypeE0EDF16_Li16ELi64ELi256ELb0ELi3EEvPKT_PKT0_S7_ifPKiS9_S9_iPKfiiiPfSC_PS2_PT2_iSB_SB_
; %bb.0:
	s_get_pc_i64 s[2:3]
	s_add_nc_u64 s[2:3], s[2:3], __PRETTY_FUNCTION__._Z39paged_attention_ll4mi_QKV_mfma16_kernelIDF16_DF16_LN4vllm18Fp8KVCacheDataTypeE0EDF16_Li16ELi64ELi256ELb0ELi3EEvPKT_PKT0_S7_ifPKiS9_S9_iPKfiiiPfSC_PS2_PT2_iSB_SB_@rel64+4
	s_delay_alu instid0(SALU_CYCLE_1)
	v_dual_mov_b32 v0, 0xbb3 :: v_dual_mov_b32 v1, s2
	v_mov_b32_e32 v2, s3
	s_add_nc_u64 s[8:9], s[0:1], 0x90
	s_get_pc_i64 s[0:1]
	s_add_nc_u64 s[0:1], s[0:1], __assert_fail@rel64+4
	s_mov_b32 s32, 0
	s_swap_pc_i64 s[30:31], s[0:1]
	.section	.rodata,"a",@progbits
	.p2align	6, 0x0
	.amdhsa_kernel _Z39paged_attention_ll4mi_QKV_mfma16_kernelIDF16_DF16_LN4vllm18Fp8KVCacheDataTypeE0EDF16_Li16ELi64ELi256ELb0ELi3EEvPKT_PKT0_S7_ifPKiS9_S9_iPKfiiiPfSC_PS2_PT2_iSB_SB_
		.amdhsa_group_segment_fixed_size 0
		.amdhsa_private_segment_fixed_size 64
		.amdhsa_kernarg_size 400
		.amdhsa_user_sgpr_count 2
		.amdhsa_user_sgpr_dispatch_ptr 0
		.amdhsa_user_sgpr_queue_ptr 0
		.amdhsa_user_sgpr_kernarg_segment_ptr 1
		.amdhsa_user_sgpr_dispatch_id 0
		.amdhsa_user_sgpr_kernarg_preload_length 0
		.amdhsa_user_sgpr_kernarg_preload_offset 0
		.amdhsa_user_sgpr_private_segment_size 0
		.amdhsa_wavefront_size32 1
		.amdhsa_uses_dynamic_stack 0
		.amdhsa_enable_private_segment 1
		.amdhsa_system_sgpr_workgroup_id_x 1
		.amdhsa_system_sgpr_workgroup_id_y 0
		.amdhsa_system_sgpr_workgroup_id_z 0
		.amdhsa_system_sgpr_workgroup_info 0
		.amdhsa_system_vgpr_workitem_id 0
		.amdhsa_next_free_vgpr 51
		.amdhsa_next_free_sgpr 34
		.amdhsa_named_barrier_count 0
		.amdhsa_reserve_vcc 1
		.amdhsa_float_round_mode_32 0
		.amdhsa_float_round_mode_16_64 0
		.amdhsa_float_denorm_mode_32 3
		.amdhsa_float_denorm_mode_16_64 3
		.amdhsa_fp16_overflow 0
		.amdhsa_memory_ordered 1
		.amdhsa_forward_progress 1
		.amdhsa_inst_pref_size 1
		.amdhsa_round_robin_scheduling 0
		.amdhsa_exception_fp_ieee_invalid_op 0
		.amdhsa_exception_fp_denorm_src 0
		.amdhsa_exception_fp_ieee_div_zero 0
		.amdhsa_exception_fp_ieee_overflow 0
		.amdhsa_exception_fp_ieee_underflow 0
		.amdhsa_exception_fp_ieee_inexact 0
		.amdhsa_exception_int_div_zero 0
	.end_amdhsa_kernel
	.section	.text._Z39paged_attention_ll4mi_QKV_mfma16_kernelIDF16_DF16_LN4vllm18Fp8KVCacheDataTypeE0EDF16_Li16ELi64ELi256ELb0ELi3EEvPKT_PKT0_S7_ifPKiS9_S9_iPKfiiiPfSC_PS2_PT2_iSB_SB_,"axG",@progbits,_Z39paged_attention_ll4mi_QKV_mfma16_kernelIDF16_DF16_LN4vllm18Fp8KVCacheDataTypeE0EDF16_Li16ELi64ELi256ELb0ELi3EEvPKT_PKT0_S7_ifPKiS9_S9_iPKfiiiPfSC_PS2_PT2_iSB_SB_,comdat
.Lfunc_end112:
	.size	_Z39paged_attention_ll4mi_QKV_mfma16_kernelIDF16_DF16_LN4vllm18Fp8KVCacheDataTypeE0EDF16_Li16ELi64ELi256ELb0ELi3EEvPKT_PKT0_S7_ifPKiS9_S9_iPKfiiiPfSC_PS2_PT2_iSB_SB_, .Lfunc_end112-_Z39paged_attention_ll4mi_QKV_mfma16_kernelIDF16_DF16_LN4vllm18Fp8KVCacheDataTypeE0EDF16_Li16ELi64ELi256ELb0ELi3EEvPKT_PKT0_S7_ifPKiS9_S9_iPKfiiiPfSC_PS2_PT2_iSB_SB_
                                        ; -- End function
	.set _Z39paged_attention_ll4mi_QKV_mfma16_kernelIDF16_DF16_LN4vllm18Fp8KVCacheDataTypeE0EDF16_Li16ELi64ELi256ELb0ELi3EEvPKT_PKT0_S7_ifPKiS9_S9_iPKfiiiPfSC_PS2_PT2_iSB_SB_.num_vgpr, max(3, .L__assert_fail.num_vgpr)
	.set _Z39paged_attention_ll4mi_QKV_mfma16_kernelIDF16_DF16_LN4vllm18Fp8KVCacheDataTypeE0EDF16_Li16ELi64ELi256ELb0ELi3EEvPKT_PKT0_S7_ifPKiS9_S9_iPKfiiiPfSC_PS2_PT2_iSB_SB_.num_agpr, max(0, .L__assert_fail.num_agpr)
	.set _Z39paged_attention_ll4mi_QKV_mfma16_kernelIDF16_DF16_LN4vllm18Fp8KVCacheDataTypeE0EDF16_Li16ELi64ELi256ELb0ELi3EEvPKT_PKT0_S7_ifPKiS9_S9_iPKfiiiPfSC_PS2_PT2_iSB_SB_.numbered_sgpr, max(33, .L__assert_fail.numbered_sgpr)
	.set _Z39paged_attention_ll4mi_QKV_mfma16_kernelIDF16_DF16_LN4vllm18Fp8KVCacheDataTypeE0EDF16_Li16ELi64ELi256ELb0ELi3EEvPKT_PKT0_S7_ifPKiS9_S9_iPKfiiiPfSC_PS2_PT2_iSB_SB_.num_named_barrier, max(0, .L__assert_fail.num_named_barrier)
	.set _Z39paged_attention_ll4mi_QKV_mfma16_kernelIDF16_DF16_LN4vllm18Fp8KVCacheDataTypeE0EDF16_Li16ELi64ELi256ELb0ELi3EEvPKT_PKT0_S7_ifPKiS9_S9_iPKfiiiPfSC_PS2_PT2_iSB_SB_.private_seg_size, 0+max(.L__assert_fail.private_seg_size)
	.set _Z39paged_attention_ll4mi_QKV_mfma16_kernelIDF16_DF16_LN4vllm18Fp8KVCacheDataTypeE0EDF16_Li16ELi64ELi256ELb0ELi3EEvPKT_PKT0_S7_ifPKiS9_S9_iPKfiiiPfSC_PS2_PT2_iSB_SB_.uses_vcc, or(1, .L__assert_fail.uses_vcc)
	.set _Z39paged_attention_ll4mi_QKV_mfma16_kernelIDF16_DF16_LN4vllm18Fp8KVCacheDataTypeE0EDF16_Li16ELi64ELi256ELb0ELi3EEvPKT_PKT0_S7_ifPKiS9_S9_iPKfiiiPfSC_PS2_PT2_iSB_SB_.uses_flat_scratch, or(0, .L__assert_fail.uses_flat_scratch)
	.set _Z39paged_attention_ll4mi_QKV_mfma16_kernelIDF16_DF16_LN4vllm18Fp8KVCacheDataTypeE0EDF16_Li16ELi64ELi256ELb0ELi3EEvPKT_PKT0_S7_ifPKiS9_S9_iPKfiiiPfSC_PS2_PT2_iSB_SB_.has_dyn_sized_stack, or(0, .L__assert_fail.has_dyn_sized_stack)
	.set _Z39paged_attention_ll4mi_QKV_mfma16_kernelIDF16_DF16_LN4vllm18Fp8KVCacheDataTypeE0EDF16_Li16ELi64ELi256ELb0ELi3EEvPKT_PKT0_S7_ifPKiS9_S9_iPKfiiiPfSC_PS2_PT2_iSB_SB_.has_recursion, or(0, .L__assert_fail.has_recursion)
	.set _Z39paged_attention_ll4mi_QKV_mfma16_kernelIDF16_DF16_LN4vllm18Fp8KVCacheDataTypeE0EDF16_Li16ELi64ELi256ELb0ELi3EEvPKT_PKT0_S7_ifPKiS9_S9_iPKfiiiPfSC_PS2_PT2_iSB_SB_.has_indirect_call, or(0, .L__assert_fail.has_indirect_call)
	.section	.AMDGPU.csdata,"",@progbits
; Kernel info:
; codeLenInByte = 68
; TotalNumSgprs: 36
; NumVgprs: 51
; ScratchSize: 64
; MemoryBound: 0
; FloatMode: 240
; IeeeMode: 1
; LDSByteSize: 0 bytes/workgroup (compile time only)
; SGPRBlocks: 0
; VGPRBlocks: 3
; NumSGPRsForWavesPerEU: 36
; NumVGPRsForWavesPerEU: 51
; NamedBarCnt: 0
; Occupancy: 16
; WaveLimiterHint : 1
; COMPUTE_PGM_RSRC2:SCRATCH_EN: 1
; COMPUTE_PGM_RSRC2:USER_SGPR: 2
; COMPUTE_PGM_RSRC2:TRAP_HANDLER: 0
; COMPUTE_PGM_RSRC2:TGID_X_EN: 1
; COMPUTE_PGM_RSRC2:TGID_Y_EN: 0
; COMPUTE_PGM_RSRC2:TGID_Z_EN: 0
; COMPUTE_PGM_RSRC2:TIDIG_COMP_CNT: 0
	.section	.text._Z39paged_attention_ll4mi_QKV_mfma16_kernelIDF16_DF16_LN4vllm18Fp8KVCacheDataTypeE0EDF16_Li16ELi64ELi256ELb0ELi4EEvPKT_PKT0_S7_ifPKiS9_S9_iPKfiiiPfSC_PS2_PT2_iSB_SB_,"axG",@progbits,_Z39paged_attention_ll4mi_QKV_mfma16_kernelIDF16_DF16_LN4vllm18Fp8KVCacheDataTypeE0EDF16_Li16ELi64ELi256ELb0ELi4EEvPKT_PKT0_S7_ifPKiS9_S9_iPKfiiiPfSC_PS2_PT2_iSB_SB_,comdat
	.protected	_Z39paged_attention_ll4mi_QKV_mfma16_kernelIDF16_DF16_LN4vllm18Fp8KVCacheDataTypeE0EDF16_Li16ELi64ELi256ELb0ELi4EEvPKT_PKT0_S7_ifPKiS9_S9_iPKfiiiPfSC_PS2_PT2_iSB_SB_ ; -- Begin function _Z39paged_attention_ll4mi_QKV_mfma16_kernelIDF16_DF16_LN4vllm18Fp8KVCacheDataTypeE0EDF16_Li16ELi64ELi256ELb0ELi4EEvPKT_PKT0_S7_ifPKiS9_S9_iPKfiiiPfSC_PS2_PT2_iSB_SB_
	.globl	_Z39paged_attention_ll4mi_QKV_mfma16_kernelIDF16_DF16_LN4vllm18Fp8KVCacheDataTypeE0EDF16_Li16ELi64ELi256ELb0ELi4EEvPKT_PKT0_S7_ifPKiS9_S9_iPKfiiiPfSC_PS2_PT2_iSB_SB_
	.p2align	8
	.type	_Z39paged_attention_ll4mi_QKV_mfma16_kernelIDF16_DF16_LN4vllm18Fp8KVCacheDataTypeE0EDF16_Li16ELi64ELi256ELb0ELi4EEvPKT_PKT0_S7_ifPKiS9_S9_iPKfiiiPfSC_PS2_PT2_iSB_SB_,@function
_Z39paged_attention_ll4mi_QKV_mfma16_kernelIDF16_DF16_LN4vllm18Fp8KVCacheDataTypeE0EDF16_Li16ELi64ELi256ELb0ELi4EEvPKT_PKT0_S7_ifPKiS9_S9_iPKfiiiPfSC_PS2_PT2_iSB_SB_: ; @_Z39paged_attention_ll4mi_QKV_mfma16_kernelIDF16_DF16_LN4vllm18Fp8KVCacheDataTypeE0EDF16_Li16ELi64ELi256ELb0ELi4EEvPKT_PKT0_S7_ifPKiS9_S9_iPKfiiiPfSC_PS2_PT2_iSB_SB_
; %bb.0:
	s_get_pc_i64 s[2:3]
	s_add_nc_u64 s[2:3], s[2:3], __PRETTY_FUNCTION__._Z39paged_attention_ll4mi_QKV_mfma16_kernelIDF16_DF16_LN4vllm18Fp8KVCacheDataTypeE0EDF16_Li16ELi64ELi256ELb0ELi4EEvPKT_PKT0_S7_ifPKiS9_S9_iPKfiiiPfSC_PS2_PT2_iSB_SB_@rel64+4
	s_delay_alu instid0(SALU_CYCLE_1)
	v_dual_mov_b32 v0, 0xbb3 :: v_dual_mov_b32 v1, s2
	v_mov_b32_e32 v2, s3
	s_add_nc_u64 s[8:9], s[0:1], 0x90
	s_get_pc_i64 s[0:1]
	s_add_nc_u64 s[0:1], s[0:1], __assert_fail@rel64+4
	s_mov_b32 s32, 0
	s_swap_pc_i64 s[30:31], s[0:1]
	.section	.rodata,"a",@progbits
	.p2align	6, 0x0
	.amdhsa_kernel _Z39paged_attention_ll4mi_QKV_mfma16_kernelIDF16_DF16_LN4vllm18Fp8KVCacheDataTypeE0EDF16_Li16ELi64ELi256ELb0ELi4EEvPKT_PKT0_S7_ifPKiS9_S9_iPKfiiiPfSC_PS2_PT2_iSB_SB_
		.amdhsa_group_segment_fixed_size 0
		.amdhsa_private_segment_fixed_size 64
		.amdhsa_kernarg_size 400
		.amdhsa_user_sgpr_count 2
		.amdhsa_user_sgpr_dispatch_ptr 0
		.amdhsa_user_sgpr_queue_ptr 0
		.amdhsa_user_sgpr_kernarg_segment_ptr 1
		.amdhsa_user_sgpr_dispatch_id 0
		.amdhsa_user_sgpr_kernarg_preload_length 0
		.amdhsa_user_sgpr_kernarg_preload_offset 0
		.amdhsa_user_sgpr_private_segment_size 0
		.amdhsa_wavefront_size32 1
		.amdhsa_uses_dynamic_stack 0
		.amdhsa_enable_private_segment 1
		.amdhsa_system_sgpr_workgroup_id_x 1
		.amdhsa_system_sgpr_workgroup_id_y 0
		.amdhsa_system_sgpr_workgroup_id_z 0
		.amdhsa_system_sgpr_workgroup_info 0
		.amdhsa_system_vgpr_workitem_id 0
		.amdhsa_next_free_vgpr 51
		.amdhsa_next_free_sgpr 34
		.amdhsa_named_barrier_count 0
		.amdhsa_reserve_vcc 1
		.amdhsa_float_round_mode_32 0
		.amdhsa_float_round_mode_16_64 0
		.amdhsa_float_denorm_mode_32 3
		.amdhsa_float_denorm_mode_16_64 3
		.amdhsa_fp16_overflow 0
		.amdhsa_memory_ordered 1
		.amdhsa_forward_progress 1
		.amdhsa_inst_pref_size 1
		.amdhsa_round_robin_scheduling 0
		.amdhsa_exception_fp_ieee_invalid_op 0
		.amdhsa_exception_fp_denorm_src 0
		.amdhsa_exception_fp_ieee_div_zero 0
		.amdhsa_exception_fp_ieee_overflow 0
		.amdhsa_exception_fp_ieee_underflow 0
		.amdhsa_exception_fp_ieee_inexact 0
		.amdhsa_exception_int_div_zero 0
	.end_amdhsa_kernel
	.section	.text._Z39paged_attention_ll4mi_QKV_mfma16_kernelIDF16_DF16_LN4vllm18Fp8KVCacheDataTypeE0EDF16_Li16ELi64ELi256ELb0ELi4EEvPKT_PKT0_S7_ifPKiS9_S9_iPKfiiiPfSC_PS2_PT2_iSB_SB_,"axG",@progbits,_Z39paged_attention_ll4mi_QKV_mfma16_kernelIDF16_DF16_LN4vllm18Fp8KVCacheDataTypeE0EDF16_Li16ELi64ELi256ELb0ELi4EEvPKT_PKT0_S7_ifPKiS9_S9_iPKfiiiPfSC_PS2_PT2_iSB_SB_,comdat
.Lfunc_end113:
	.size	_Z39paged_attention_ll4mi_QKV_mfma16_kernelIDF16_DF16_LN4vllm18Fp8KVCacheDataTypeE0EDF16_Li16ELi64ELi256ELb0ELi4EEvPKT_PKT0_S7_ifPKiS9_S9_iPKfiiiPfSC_PS2_PT2_iSB_SB_, .Lfunc_end113-_Z39paged_attention_ll4mi_QKV_mfma16_kernelIDF16_DF16_LN4vllm18Fp8KVCacheDataTypeE0EDF16_Li16ELi64ELi256ELb0ELi4EEvPKT_PKT0_S7_ifPKiS9_S9_iPKfiiiPfSC_PS2_PT2_iSB_SB_
                                        ; -- End function
	.set _Z39paged_attention_ll4mi_QKV_mfma16_kernelIDF16_DF16_LN4vllm18Fp8KVCacheDataTypeE0EDF16_Li16ELi64ELi256ELb0ELi4EEvPKT_PKT0_S7_ifPKiS9_S9_iPKfiiiPfSC_PS2_PT2_iSB_SB_.num_vgpr, max(3, .L__assert_fail.num_vgpr)
	.set _Z39paged_attention_ll4mi_QKV_mfma16_kernelIDF16_DF16_LN4vllm18Fp8KVCacheDataTypeE0EDF16_Li16ELi64ELi256ELb0ELi4EEvPKT_PKT0_S7_ifPKiS9_S9_iPKfiiiPfSC_PS2_PT2_iSB_SB_.num_agpr, max(0, .L__assert_fail.num_agpr)
	.set _Z39paged_attention_ll4mi_QKV_mfma16_kernelIDF16_DF16_LN4vllm18Fp8KVCacheDataTypeE0EDF16_Li16ELi64ELi256ELb0ELi4EEvPKT_PKT0_S7_ifPKiS9_S9_iPKfiiiPfSC_PS2_PT2_iSB_SB_.numbered_sgpr, max(33, .L__assert_fail.numbered_sgpr)
	.set _Z39paged_attention_ll4mi_QKV_mfma16_kernelIDF16_DF16_LN4vllm18Fp8KVCacheDataTypeE0EDF16_Li16ELi64ELi256ELb0ELi4EEvPKT_PKT0_S7_ifPKiS9_S9_iPKfiiiPfSC_PS2_PT2_iSB_SB_.num_named_barrier, max(0, .L__assert_fail.num_named_barrier)
	.set _Z39paged_attention_ll4mi_QKV_mfma16_kernelIDF16_DF16_LN4vllm18Fp8KVCacheDataTypeE0EDF16_Li16ELi64ELi256ELb0ELi4EEvPKT_PKT0_S7_ifPKiS9_S9_iPKfiiiPfSC_PS2_PT2_iSB_SB_.private_seg_size, 0+max(.L__assert_fail.private_seg_size)
	.set _Z39paged_attention_ll4mi_QKV_mfma16_kernelIDF16_DF16_LN4vllm18Fp8KVCacheDataTypeE0EDF16_Li16ELi64ELi256ELb0ELi4EEvPKT_PKT0_S7_ifPKiS9_S9_iPKfiiiPfSC_PS2_PT2_iSB_SB_.uses_vcc, or(1, .L__assert_fail.uses_vcc)
	.set _Z39paged_attention_ll4mi_QKV_mfma16_kernelIDF16_DF16_LN4vllm18Fp8KVCacheDataTypeE0EDF16_Li16ELi64ELi256ELb0ELi4EEvPKT_PKT0_S7_ifPKiS9_S9_iPKfiiiPfSC_PS2_PT2_iSB_SB_.uses_flat_scratch, or(0, .L__assert_fail.uses_flat_scratch)
	.set _Z39paged_attention_ll4mi_QKV_mfma16_kernelIDF16_DF16_LN4vllm18Fp8KVCacheDataTypeE0EDF16_Li16ELi64ELi256ELb0ELi4EEvPKT_PKT0_S7_ifPKiS9_S9_iPKfiiiPfSC_PS2_PT2_iSB_SB_.has_dyn_sized_stack, or(0, .L__assert_fail.has_dyn_sized_stack)
	.set _Z39paged_attention_ll4mi_QKV_mfma16_kernelIDF16_DF16_LN4vllm18Fp8KVCacheDataTypeE0EDF16_Li16ELi64ELi256ELb0ELi4EEvPKT_PKT0_S7_ifPKiS9_S9_iPKfiiiPfSC_PS2_PT2_iSB_SB_.has_recursion, or(0, .L__assert_fail.has_recursion)
	.set _Z39paged_attention_ll4mi_QKV_mfma16_kernelIDF16_DF16_LN4vllm18Fp8KVCacheDataTypeE0EDF16_Li16ELi64ELi256ELb0ELi4EEvPKT_PKT0_S7_ifPKiS9_S9_iPKfiiiPfSC_PS2_PT2_iSB_SB_.has_indirect_call, or(0, .L__assert_fail.has_indirect_call)
	.section	.AMDGPU.csdata,"",@progbits
; Kernel info:
; codeLenInByte = 68
; TotalNumSgprs: 36
; NumVgprs: 51
; ScratchSize: 64
; MemoryBound: 0
; FloatMode: 240
; IeeeMode: 1
; LDSByteSize: 0 bytes/workgroup (compile time only)
; SGPRBlocks: 0
; VGPRBlocks: 3
; NumSGPRsForWavesPerEU: 36
; NumVGPRsForWavesPerEU: 51
; NamedBarCnt: 0
; Occupancy: 16
; WaveLimiterHint : 1
; COMPUTE_PGM_RSRC2:SCRATCH_EN: 1
; COMPUTE_PGM_RSRC2:USER_SGPR: 2
; COMPUTE_PGM_RSRC2:TRAP_HANDLER: 0
; COMPUTE_PGM_RSRC2:TGID_X_EN: 1
; COMPUTE_PGM_RSRC2:TGID_Y_EN: 0
; COMPUTE_PGM_RSRC2:TGID_Z_EN: 0
; COMPUTE_PGM_RSRC2:TIDIG_COMP_CNT: 0
	.section	.text._Z38paged_attention_ll4mi_QKV_mfma4_kernelIDF16_DF16_LN4vllm18Fp8KVCacheDataTypeE0EhLi32ELi64ELi256ELb1ELi1EEvPKT_PKT0_S7_ifPKiS9_S9_iPKfiiiPfSC_PS2_PT2_iSB_SB_,"axG",@progbits,_Z38paged_attention_ll4mi_QKV_mfma4_kernelIDF16_DF16_LN4vllm18Fp8KVCacheDataTypeE0EhLi32ELi64ELi256ELb1ELi1EEvPKT_PKT0_S7_ifPKiS9_S9_iPKfiiiPfSC_PS2_PT2_iSB_SB_,comdat
	.protected	_Z38paged_attention_ll4mi_QKV_mfma4_kernelIDF16_DF16_LN4vllm18Fp8KVCacheDataTypeE0EhLi32ELi64ELi256ELb1ELi1EEvPKT_PKT0_S7_ifPKiS9_S9_iPKfiiiPfSC_PS2_PT2_iSB_SB_ ; -- Begin function _Z38paged_attention_ll4mi_QKV_mfma4_kernelIDF16_DF16_LN4vllm18Fp8KVCacheDataTypeE0EhLi32ELi64ELi256ELb1ELi1EEvPKT_PKT0_S7_ifPKiS9_S9_iPKfiiiPfSC_PS2_PT2_iSB_SB_
	.globl	_Z38paged_attention_ll4mi_QKV_mfma4_kernelIDF16_DF16_LN4vllm18Fp8KVCacheDataTypeE0EhLi32ELi64ELi256ELb1ELi1EEvPKT_PKT0_S7_ifPKiS9_S9_iPKfiiiPfSC_PS2_PT2_iSB_SB_
	.p2align	8
	.type	_Z38paged_attention_ll4mi_QKV_mfma4_kernelIDF16_DF16_LN4vllm18Fp8KVCacheDataTypeE0EhLi32ELi64ELi256ELb1ELi1EEvPKT_PKT0_S7_ifPKiS9_S9_iPKfiiiPfSC_PS2_PT2_iSB_SB_,@function
_Z38paged_attention_ll4mi_QKV_mfma4_kernelIDF16_DF16_LN4vllm18Fp8KVCacheDataTypeE0EhLi32ELi64ELi256ELb1ELi1EEvPKT_PKT0_S7_ifPKiS9_S9_iPKfiiiPfSC_PS2_PT2_iSB_SB_: ; @_Z38paged_attention_ll4mi_QKV_mfma4_kernelIDF16_DF16_LN4vllm18Fp8KVCacheDataTypeE0EhLi32ELi64ELi256ELb1ELi1EEvPKT_PKT0_S7_ifPKiS9_S9_iPKfiiiPfSC_PS2_PT2_iSB_SB_
; %bb.0:
	s_get_pc_i64 s[2:3]
	s_add_nc_u64 s[2:3], s[2:3], __PRETTY_FUNCTION__._Z38paged_attention_ll4mi_QKV_mfma4_kernelIDF16_DF16_LN4vllm18Fp8KVCacheDataTypeE0EhLi32ELi64ELi256ELb1ELi1EEvPKT_PKT0_S7_ifPKiS9_S9_iPKfiiiPfSC_PS2_PT2_iSB_SB_@rel64+4
	s_delay_alu instid0(SALU_CYCLE_1)
	v_dual_mov_b32 v0, 0xbce :: v_dual_mov_b32 v1, s2
	v_mov_b32_e32 v2, s3
	s_add_nc_u64 s[8:9], s[0:1], 0x90
	s_get_pc_i64 s[0:1]
	s_add_nc_u64 s[0:1], s[0:1], __assert_fail@rel64+4
	s_mov_b32 s32, 0
	s_swap_pc_i64 s[30:31], s[0:1]
	.section	.rodata,"a",@progbits
	.p2align	6, 0x0
	.amdhsa_kernel _Z38paged_attention_ll4mi_QKV_mfma4_kernelIDF16_DF16_LN4vllm18Fp8KVCacheDataTypeE0EhLi32ELi64ELi256ELb1ELi1EEvPKT_PKT0_S7_ifPKiS9_S9_iPKfiiiPfSC_PS2_PT2_iSB_SB_
		.amdhsa_group_segment_fixed_size 0
		.amdhsa_private_segment_fixed_size 64
		.amdhsa_kernarg_size 400
		.amdhsa_user_sgpr_count 2
		.amdhsa_user_sgpr_dispatch_ptr 0
		.amdhsa_user_sgpr_queue_ptr 0
		.amdhsa_user_sgpr_kernarg_segment_ptr 1
		.amdhsa_user_sgpr_dispatch_id 0
		.amdhsa_user_sgpr_kernarg_preload_length 0
		.amdhsa_user_sgpr_kernarg_preload_offset 0
		.amdhsa_user_sgpr_private_segment_size 0
		.amdhsa_wavefront_size32 1
		.amdhsa_uses_dynamic_stack 0
		.amdhsa_enable_private_segment 1
		.amdhsa_system_sgpr_workgroup_id_x 1
		.amdhsa_system_sgpr_workgroup_id_y 0
		.amdhsa_system_sgpr_workgroup_id_z 0
		.amdhsa_system_sgpr_workgroup_info 0
		.amdhsa_system_vgpr_workitem_id 0
		.amdhsa_next_free_vgpr 51
		.amdhsa_next_free_sgpr 34
		.amdhsa_named_barrier_count 0
		.amdhsa_reserve_vcc 1
		.amdhsa_float_round_mode_32 0
		.amdhsa_float_round_mode_16_64 0
		.amdhsa_float_denorm_mode_32 3
		.amdhsa_float_denorm_mode_16_64 3
		.amdhsa_fp16_overflow 0
		.amdhsa_memory_ordered 1
		.amdhsa_forward_progress 1
		.amdhsa_inst_pref_size 1
		.amdhsa_round_robin_scheduling 0
		.amdhsa_exception_fp_ieee_invalid_op 0
		.amdhsa_exception_fp_denorm_src 0
		.amdhsa_exception_fp_ieee_div_zero 0
		.amdhsa_exception_fp_ieee_overflow 0
		.amdhsa_exception_fp_ieee_underflow 0
		.amdhsa_exception_fp_ieee_inexact 0
		.amdhsa_exception_int_div_zero 0
	.end_amdhsa_kernel
	.section	.text._Z38paged_attention_ll4mi_QKV_mfma4_kernelIDF16_DF16_LN4vllm18Fp8KVCacheDataTypeE0EhLi32ELi64ELi256ELb1ELi1EEvPKT_PKT0_S7_ifPKiS9_S9_iPKfiiiPfSC_PS2_PT2_iSB_SB_,"axG",@progbits,_Z38paged_attention_ll4mi_QKV_mfma4_kernelIDF16_DF16_LN4vllm18Fp8KVCacheDataTypeE0EhLi32ELi64ELi256ELb1ELi1EEvPKT_PKT0_S7_ifPKiS9_S9_iPKfiiiPfSC_PS2_PT2_iSB_SB_,comdat
.Lfunc_end114:
	.size	_Z38paged_attention_ll4mi_QKV_mfma4_kernelIDF16_DF16_LN4vllm18Fp8KVCacheDataTypeE0EhLi32ELi64ELi256ELb1ELi1EEvPKT_PKT0_S7_ifPKiS9_S9_iPKfiiiPfSC_PS2_PT2_iSB_SB_, .Lfunc_end114-_Z38paged_attention_ll4mi_QKV_mfma4_kernelIDF16_DF16_LN4vllm18Fp8KVCacheDataTypeE0EhLi32ELi64ELi256ELb1ELi1EEvPKT_PKT0_S7_ifPKiS9_S9_iPKfiiiPfSC_PS2_PT2_iSB_SB_
                                        ; -- End function
	.set _Z38paged_attention_ll4mi_QKV_mfma4_kernelIDF16_DF16_LN4vllm18Fp8KVCacheDataTypeE0EhLi32ELi64ELi256ELb1ELi1EEvPKT_PKT0_S7_ifPKiS9_S9_iPKfiiiPfSC_PS2_PT2_iSB_SB_.num_vgpr, max(3, .L__assert_fail.num_vgpr)
	.set _Z38paged_attention_ll4mi_QKV_mfma4_kernelIDF16_DF16_LN4vllm18Fp8KVCacheDataTypeE0EhLi32ELi64ELi256ELb1ELi1EEvPKT_PKT0_S7_ifPKiS9_S9_iPKfiiiPfSC_PS2_PT2_iSB_SB_.num_agpr, max(0, .L__assert_fail.num_agpr)
	.set _Z38paged_attention_ll4mi_QKV_mfma4_kernelIDF16_DF16_LN4vllm18Fp8KVCacheDataTypeE0EhLi32ELi64ELi256ELb1ELi1EEvPKT_PKT0_S7_ifPKiS9_S9_iPKfiiiPfSC_PS2_PT2_iSB_SB_.numbered_sgpr, max(33, .L__assert_fail.numbered_sgpr)
	.set _Z38paged_attention_ll4mi_QKV_mfma4_kernelIDF16_DF16_LN4vllm18Fp8KVCacheDataTypeE0EhLi32ELi64ELi256ELb1ELi1EEvPKT_PKT0_S7_ifPKiS9_S9_iPKfiiiPfSC_PS2_PT2_iSB_SB_.num_named_barrier, max(0, .L__assert_fail.num_named_barrier)
	.set _Z38paged_attention_ll4mi_QKV_mfma4_kernelIDF16_DF16_LN4vllm18Fp8KVCacheDataTypeE0EhLi32ELi64ELi256ELb1ELi1EEvPKT_PKT0_S7_ifPKiS9_S9_iPKfiiiPfSC_PS2_PT2_iSB_SB_.private_seg_size, 0+max(.L__assert_fail.private_seg_size)
	.set _Z38paged_attention_ll4mi_QKV_mfma4_kernelIDF16_DF16_LN4vllm18Fp8KVCacheDataTypeE0EhLi32ELi64ELi256ELb1ELi1EEvPKT_PKT0_S7_ifPKiS9_S9_iPKfiiiPfSC_PS2_PT2_iSB_SB_.uses_vcc, or(1, .L__assert_fail.uses_vcc)
	.set _Z38paged_attention_ll4mi_QKV_mfma4_kernelIDF16_DF16_LN4vllm18Fp8KVCacheDataTypeE0EhLi32ELi64ELi256ELb1ELi1EEvPKT_PKT0_S7_ifPKiS9_S9_iPKfiiiPfSC_PS2_PT2_iSB_SB_.uses_flat_scratch, or(0, .L__assert_fail.uses_flat_scratch)
	.set _Z38paged_attention_ll4mi_QKV_mfma4_kernelIDF16_DF16_LN4vllm18Fp8KVCacheDataTypeE0EhLi32ELi64ELi256ELb1ELi1EEvPKT_PKT0_S7_ifPKiS9_S9_iPKfiiiPfSC_PS2_PT2_iSB_SB_.has_dyn_sized_stack, or(0, .L__assert_fail.has_dyn_sized_stack)
	.set _Z38paged_attention_ll4mi_QKV_mfma4_kernelIDF16_DF16_LN4vllm18Fp8KVCacheDataTypeE0EhLi32ELi64ELi256ELb1ELi1EEvPKT_PKT0_S7_ifPKiS9_S9_iPKfiiiPfSC_PS2_PT2_iSB_SB_.has_recursion, or(0, .L__assert_fail.has_recursion)
	.set _Z38paged_attention_ll4mi_QKV_mfma4_kernelIDF16_DF16_LN4vllm18Fp8KVCacheDataTypeE0EhLi32ELi64ELi256ELb1ELi1EEvPKT_PKT0_S7_ifPKiS9_S9_iPKfiiiPfSC_PS2_PT2_iSB_SB_.has_indirect_call, or(0, .L__assert_fail.has_indirect_call)
	.section	.AMDGPU.csdata,"",@progbits
; Kernel info:
; codeLenInByte = 68
; TotalNumSgprs: 36
; NumVgprs: 51
; ScratchSize: 64
; MemoryBound: 0
; FloatMode: 240
; IeeeMode: 1
; LDSByteSize: 0 bytes/workgroup (compile time only)
; SGPRBlocks: 0
; VGPRBlocks: 3
; NumSGPRsForWavesPerEU: 36
; NumVGPRsForWavesPerEU: 51
; NamedBarCnt: 0
; Occupancy: 16
; WaveLimiterHint : 1
; COMPUTE_PGM_RSRC2:SCRATCH_EN: 1
; COMPUTE_PGM_RSRC2:USER_SGPR: 2
; COMPUTE_PGM_RSRC2:TRAP_HANDLER: 0
; COMPUTE_PGM_RSRC2:TGID_X_EN: 1
; COMPUTE_PGM_RSRC2:TGID_Y_EN: 0
; COMPUTE_PGM_RSRC2:TGID_Z_EN: 0
; COMPUTE_PGM_RSRC2:TIDIG_COMP_CNT: 0
	.section	.text._Z38paged_attention_ll4mi_QKV_mfma4_kernelIDF16_DF16_LN4vllm18Fp8KVCacheDataTypeE0EhLi32ELi64ELi256ELb1ELi2EEvPKT_PKT0_S7_ifPKiS9_S9_iPKfiiiPfSC_PS2_PT2_iSB_SB_,"axG",@progbits,_Z38paged_attention_ll4mi_QKV_mfma4_kernelIDF16_DF16_LN4vllm18Fp8KVCacheDataTypeE0EhLi32ELi64ELi256ELb1ELi2EEvPKT_PKT0_S7_ifPKiS9_S9_iPKfiiiPfSC_PS2_PT2_iSB_SB_,comdat
	.protected	_Z38paged_attention_ll4mi_QKV_mfma4_kernelIDF16_DF16_LN4vllm18Fp8KVCacheDataTypeE0EhLi32ELi64ELi256ELb1ELi2EEvPKT_PKT0_S7_ifPKiS9_S9_iPKfiiiPfSC_PS2_PT2_iSB_SB_ ; -- Begin function _Z38paged_attention_ll4mi_QKV_mfma4_kernelIDF16_DF16_LN4vllm18Fp8KVCacheDataTypeE0EhLi32ELi64ELi256ELb1ELi2EEvPKT_PKT0_S7_ifPKiS9_S9_iPKfiiiPfSC_PS2_PT2_iSB_SB_
	.globl	_Z38paged_attention_ll4mi_QKV_mfma4_kernelIDF16_DF16_LN4vllm18Fp8KVCacheDataTypeE0EhLi32ELi64ELi256ELb1ELi2EEvPKT_PKT0_S7_ifPKiS9_S9_iPKfiiiPfSC_PS2_PT2_iSB_SB_
	.p2align	8
	.type	_Z38paged_attention_ll4mi_QKV_mfma4_kernelIDF16_DF16_LN4vllm18Fp8KVCacheDataTypeE0EhLi32ELi64ELi256ELb1ELi2EEvPKT_PKT0_S7_ifPKiS9_S9_iPKfiiiPfSC_PS2_PT2_iSB_SB_,@function
_Z38paged_attention_ll4mi_QKV_mfma4_kernelIDF16_DF16_LN4vllm18Fp8KVCacheDataTypeE0EhLi32ELi64ELi256ELb1ELi2EEvPKT_PKT0_S7_ifPKiS9_S9_iPKfiiiPfSC_PS2_PT2_iSB_SB_: ; @_Z38paged_attention_ll4mi_QKV_mfma4_kernelIDF16_DF16_LN4vllm18Fp8KVCacheDataTypeE0EhLi32ELi64ELi256ELb1ELi2EEvPKT_PKT0_S7_ifPKiS9_S9_iPKfiiiPfSC_PS2_PT2_iSB_SB_
; %bb.0:
	s_get_pc_i64 s[2:3]
	s_add_nc_u64 s[2:3], s[2:3], __PRETTY_FUNCTION__._Z38paged_attention_ll4mi_QKV_mfma4_kernelIDF16_DF16_LN4vllm18Fp8KVCacheDataTypeE0EhLi32ELi64ELi256ELb1ELi2EEvPKT_PKT0_S7_ifPKiS9_S9_iPKfiiiPfSC_PS2_PT2_iSB_SB_@rel64+4
	s_delay_alu instid0(SALU_CYCLE_1)
	v_dual_mov_b32 v0, 0xbce :: v_dual_mov_b32 v1, s2
	v_mov_b32_e32 v2, s3
	s_add_nc_u64 s[8:9], s[0:1], 0x90
	s_get_pc_i64 s[0:1]
	s_add_nc_u64 s[0:1], s[0:1], __assert_fail@rel64+4
	s_mov_b32 s32, 0
	s_swap_pc_i64 s[30:31], s[0:1]
	.section	.rodata,"a",@progbits
	.p2align	6, 0x0
	.amdhsa_kernel _Z38paged_attention_ll4mi_QKV_mfma4_kernelIDF16_DF16_LN4vllm18Fp8KVCacheDataTypeE0EhLi32ELi64ELi256ELb1ELi2EEvPKT_PKT0_S7_ifPKiS9_S9_iPKfiiiPfSC_PS2_PT2_iSB_SB_
		.amdhsa_group_segment_fixed_size 0
		.amdhsa_private_segment_fixed_size 64
		.amdhsa_kernarg_size 400
		.amdhsa_user_sgpr_count 2
		.amdhsa_user_sgpr_dispatch_ptr 0
		.amdhsa_user_sgpr_queue_ptr 0
		.amdhsa_user_sgpr_kernarg_segment_ptr 1
		.amdhsa_user_sgpr_dispatch_id 0
		.amdhsa_user_sgpr_kernarg_preload_length 0
		.amdhsa_user_sgpr_kernarg_preload_offset 0
		.amdhsa_user_sgpr_private_segment_size 0
		.amdhsa_wavefront_size32 1
		.amdhsa_uses_dynamic_stack 0
		.amdhsa_enable_private_segment 1
		.amdhsa_system_sgpr_workgroup_id_x 1
		.amdhsa_system_sgpr_workgroup_id_y 0
		.amdhsa_system_sgpr_workgroup_id_z 0
		.amdhsa_system_sgpr_workgroup_info 0
		.amdhsa_system_vgpr_workitem_id 0
		.amdhsa_next_free_vgpr 51
		.amdhsa_next_free_sgpr 34
		.amdhsa_named_barrier_count 0
		.amdhsa_reserve_vcc 1
		.amdhsa_float_round_mode_32 0
		.amdhsa_float_round_mode_16_64 0
		.amdhsa_float_denorm_mode_32 3
		.amdhsa_float_denorm_mode_16_64 3
		.amdhsa_fp16_overflow 0
		.amdhsa_memory_ordered 1
		.amdhsa_forward_progress 1
		.amdhsa_inst_pref_size 1
		.amdhsa_round_robin_scheduling 0
		.amdhsa_exception_fp_ieee_invalid_op 0
		.amdhsa_exception_fp_denorm_src 0
		.amdhsa_exception_fp_ieee_div_zero 0
		.amdhsa_exception_fp_ieee_overflow 0
		.amdhsa_exception_fp_ieee_underflow 0
		.amdhsa_exception_fp_ieee_inexact 0
		.amdhsa_exception_int_div_zero 0
	.end_amdhsa_kernel
	.section	.text._Z38paged_attention_ll4mi_QKV_mfma4_kernelIDF16_DF16_LN4vllm18Fp8KVCacheDataTypeE0EhLi32ELi64ELi256ELb1ELi2EEvPKT_PKT0_S7_ifPKiS9_S9_iPKfiiiPfSC_PS2_PT2_iSB_SB_,"axG",@progbits,_Z38paged_attention_ll4mi_QKV_mfma4_kernelIDF16_DF16_LN4vllm18Fp8KVCacheDataTypeE0EhLi32ELi64ELi256ELb1ELi2EEvPKT_PKT0_S7_ifPKiS9_S9_iPKfiiiPfSC_PS2_PT2_iSB_SB_,comdat
.Lfunc_end115:
	.size	_Z38paged_attention_ll4mi_QKV_mfma4_kernelIDF16_DF16_LN4vllm18Fp8KVCacheDataTypeE0EhLi32ELi64ELi256ELb1ELi2EEvPKT_PKT0_S7_ifPKiS9_S9_iPKfiiiPfSC_PS2_PT2_iSB_SB_, .Lfunc_end115-_Z38paged_attention_ll4mi_QKV_mfma4_kernelIDF16_DF16_LN4vllm18Fp8KVCacheDataTypeE0EhLi32ELi64ELi256ELb1ELi2EEvPKT_PKT0_S7_ifPKiS9_S9_iPKfiiiPfSC_PS2_PT2_iSB_SB_
                                        ; -- End function
	.set _Z38paged_attention_ll4mi_QKV_mfma4_kernelIDF16_DF16_LN4vllm18Fp8KVCacheDataTypeE0EhLi32ELi64ELi256ELb1ELi2EEvPKT_PKT0_S7_ifPKiS9_S9_iPKfiiiPfSC_PS2_PT2_iSB_SB_.num_vgpr, max(3, .L__assert_fail.num_vgpr)
	.set _Z38paged_attention_ll4mi_QKV_mfma4_kernelIDF16_DF16_LN4vllm18Fp8KVCacheDataTypeE0EhLi32ELi64ELi256ELb1ELi2EEvPKT_PKT0_S7_ifPKiS9_S9_iPKfiiiPfSC_PS2_PT2_iSB_SB_.num_agpr, max(0, .L__assert_fail.num_agpr)
	.set _Z38paged_attention_ll4mi_QKV_mfma4_kernelIDF16_DF16_LN4vllm18Fp8KVCacheDataTypeE0EhLi32ELi64ELi256ELb1ELi2EEvPKT_PKT0_S7_ifPKiS9_S9_iPKfiiiPfSC_PS2_PT2_iSB_SB_.numbered_sgpr, max(33, .L__assert_fail.numbered_sgpr)
	.set _Z38paged_attention_ll4mi_QKV_mfma4_kernelIDF16_DF16_LN4vllm18Fp8KVCacheDataTypeE0EhLi32ELi64ELi256ELb1ELi2EEvPKT_PKT0_S7_ifPKiS9_S9_iPKfiiiPfSC_PS2_PT2_iSB_SB_.num_named_barrier, max(0, .L__assert_fail.num_named_barrier)
	.set _Z38paged_attention_ll4mi_QKV_mfma4_kernelIDF16_DF16_LN4vllm18Fp8KVCacheDataTypeE0EhLi32ELi64ELi256ELb1ELi2EEvPKT_PKT0_S7_ifPKiS9_S9_iPKfiiiPfSC_PS2_PT2_iSB_SB_.private_seg_size, 0+max(.L__assert_fail.private_seg_size)
	.set _Z38paged_attention_ll4mi_QKV_mfma4_kernelIDF16_DF16_LN4vllm18Fp8KVCacheDataTypeE0EhLi32ELi64ELi256ELb1ELi2EEvPKT_PKT0_S7_ifPKiS9_S9_iPKfiiiPfSC_PS2_PT2_iSB_SB_.uses_vcc, or(1, .L__assert_fail.uses_vcc)
	.set _Z38paged_attention_ll4mi_QKV_mfma4_kernelIDF16_DF16_LN4vllm18Fp8KVCacheDataTypeE0EhLi32ELi64ELi256ELb1ELi2EEvPKT_PKT0_S7_ifPKiS9_S9_iPKfiiiPfSC_PS2_PT2_iSB_SB_.uses_flat_scratch, or(0, .L__assert_fail.uses_flat_scratch)
	.set _Z38paged_attention_ll4mi_QKV_mfma4_kernelIDF16_DF16_LN4vllm18Fp8KVCacheDataTypeE0EhLi32ELi64ELi256ELb1ELi2EEvPKT_PKT0_S7_ifPKiS9_S9_iPKfiiiPfSC_PS2_PT2_iSB_SB_.has_dyn_sized_stack, or(0, .L__assert_fail.has_dyn_sized_stack)
	.set _Z38paged_attention_ll4mi_QKV_mfma4_kernelIDF16_DF16_LN4vllm18Fp8KVCacheDataTypeE0EhLi32ELi64ELi256ELb1ELi2EEvPKT_PKT0_S7_ifPKiS9_S9_iPKfiiiPfSC_PS2_PT2_iSB_SB_.has_recursion, or(0, .L__assert_fail.has_recursion)
	.set _Z38paged_attention_ll4mi_QKV_mfma4_kernelIDF16_DF16_LN4vllm18Fp8KVCacheDataTypeE0EhLi32ELi64ELi256ELb1ELi2EEvPKT_PKT0_S7_ifPKiS9_S9_iPKfiiiPfSC_PS2_PT2_iSB_SB_.has_indirect_call, or(0, .L__assert_fail.has_indirect_call)
	.section	.AMDGPU.csdata,"",@progbits
; Kernel info:
; codeLenInByte = 68
; TotalNumSgprs: 36
; NumVgprs: 51
; ScratchSize: 64
; MemoryBound: 0
; FloatMode: 240
; IeeeMode: 1
; LDSByteSize: 0 bytes/workgroup (compile time only)
; SGPRBlocks: 0
; VGPRBlocks: 3
; NumSGPRsForWavesPerEU: 36
; NumVGPRsForWavesPerEU: 51
; NamedBarCnt: 0
; Occupancy: 16
; WaveLimiterHint : 1
; COMPUTE_PGM_RSRC2:SCRATCH_EN: 1
; COMPUTE_PGM_RSRC2:USER_SGPR: 2
; COMPUTE_PGM_RSRC2:TRAP_HANDLER: 0
; COMPUTE_PGM_RSRC2:TGID_X_EN: 1
; COMPUTE_PGM_RSRC2:TGID_Y_EN: 0
; COMPUTE_PGM_RSRC2:TGID_Z_EN: 0
; COMPUTE_PGM_RSRC2:TIDIG_COMP_CNT: 0
	.section	.text._Z38paged_attention_ll4mi_QKV_mfma4_kernelIDF16_DF16_LN4vllm18Fp8KVCacheDataTypeE0EhLi32ELi64ELi256ELb1ELi3EEvPKT_PKT0_S7_ifPKiS9_S9_iPKfiiiPfSC_PS2_PT2_iSB_SB_,"axG",@progbits,_Z38paged_attention_ll4mi_QKV_mfma4_kernelIDF16_DF16_LN4vllm18Fp8KVCacheDataTypeE0EhLi32ELi64ELi256ELb1ELi3EEvPKT_PKT0_S7_ifPKiS9_S9_iPKfiiiPfSC_PS2_PT2_iSB_SB_,comdat
	.protected	_Z38paged_attention_ll4mi_QKV_mfma4_kernelIDF16_DF16_LN4vllm18Fp8KVCacheDataTypeE0EhLi32ELi64ELi256ELb1ELi3EEvPKT_PKT0_S7_ifPKiS9_S9_iPKfiiiPfSC_PS2_PT2_iSB_SB_ ; -- Begin function _Z38paged_attention_ll4mi_QKV_mfma4_kernelIDF16_DF16_LN4vllm18Fp8KVCacheDataTypeE0EhLi32ELi64ELi256ELb1ELi3EEvPKT_PKT0_S7_ifPKiS9_S9_iPKfiiiPfSC_PS2_PT2_iSB_SB_
	.globl	_Z38paged_attention_ll4mi_QKV_mfma4_kernelIDF16_DF16_LN4vllm18Fp8KVCacheDataTypeE0EhLi32ELi64ELi256ELb1ELi3EEvPKT_PKT0_S7_ifPKiS9_S9_iPKfiiiPfSC_PS2_PT2_iSB_SB_
	.p2align	8
	.type	_Z38paged_attention_ll4mi_QKV_mfma4_kernelIDF16_DF16_LN4vllm18Fp8KVCacheDataTypeE0EhLi32ELi64ELi256ELb1ELi3EEvPKT_PKT0_S7_ifPKiS9_S9_iPKfiiiPfSC_PS2_PT2_iSB_SB_,@function
_Z38paged_attention_ll4mi_QKV_mfma4_kernelIDF16_DF16_LN4vllm18Fp8KVCacheDataTypeE0EhLi32ELi64ELi256ELb1ELi3EEvPKT_PKT0_S7_ifPKiS9_S9_iPKfiiiPfSC_PS2_PT2_iSB_SB_: ; @_Z38paged_attention_ll4mi_QKV_mfma4_kernelIDF16_DF16_LN4vllm18Fp8KVCacheDataTypeE0EhLi32ELi64ELi256ELb1ELi3EEvPKT_PKT0_S7_ifPKiS9_S9_iPKfiiiPfSC_PS2_PT2_iSB_SB_
; %bb.0:
	s_get_pc_i64 s[2:3]
	s_add_nc_u64 s[2:3], s[2:3], __PRETTY_FUNCTION__._Z38paged_attention_ll4mi_QKV_mfma4_kernelIDF16_DF16_LN4vllm18Fp8KVCacheDataTypeE0EhLi32ELi64ELi256ELb1ELi3EEvPKT_PKT0_S7_ifPKiS9_S9_iPKfiiiPfSC_PS2_PT2_iSB_SB_@rel64+4
	s_delay_alu instid0(SALU_CYCLE_1)
	v_dual_mov_b32 v0, 0xbce :: v_dual_mov_b32 v1, s2
	v_mov_b32_e32 v2, s3
	s_add_nc_u64 s[8:9], s[0:1], 0x90
	s_get_pc_i64 s[0:1]
	s_add_nc_u64 s[0:1], s[0:1], __assert_fail@rel64+4
	s_mov_b32 s32, 0
	s_swap_pc_i64 s[30:31], s[0:1]
	.section	.rodata,"a",@progbits
	.p2align	6, 0x0
	.amdhsa_kernel _Z38paged_attention_ll4mi_QKV_mfma4_kernelIDF16_DF16_LN4vllm18Fp8KVCacheDataTypeE0EhLi32ELi64ELi256ELb1ELi3EEvPKT_PKT0_S7_ifPKiS9_S9_iPKfiiiPfSC_PS2_PT2_iSB_SB_
		.amdhsa_group_segment_fixed_size 0
		.amdhsa_private_segment_fixed_size 64
		.amdhsa_kernarg_size 400
		.amdhsa_user_sgpr_count 2
		.amdhsa_user_sgpr_dispatch_ptr 0
		.amdhsa_user_sgpr_queue_ptr 0
		.amdhsa_user_sgpr_kernarg_segment_ptr 1
		.amdhsa_user_sgpr_dispatch_id 0
		.amdhsa_user_sgpr_kernarg_preload_length 0
		.amdhsa_user_sgpr_kernarg_preload_offset 0
		.amdhsa_user_sgpr_private_segment_size 0
		.amdhsa_wavefront_size32 1
		.amdhsa_uses_dynamic_stack 0
		.amdhsa_enable_private_segment 1
		.amdhsa_system_sgpr_workgroup_id_x 1
		.amdhsa_system_sgpr_workgroup_id_y 0
		.amdhsa_system_sgpr_workgroup_id_z 0
		.amdhsa_system_sgpr_workgroup_info 0
		.amdhsa_system_vgpr_workitem_id 0
		.amdhsa_next_free_vgpr 51
		.amdhsa_next_free_sgpr 34
		.amdhsa_named_barrier_count 0
		.amdhsa_reserve_vcc 1
		.amdhsa_float_round_mode_32 0
		.amdhsa_float_round_mode_16_64 0
		.amdhsa_float_denorm_mode_32 3
		.amdhsa_float_denorm_mode_16_64 3
		.amdhsa_fp16_overflow 0
		.amdhsa_memory_ordered 1
		.amdhsa_forward_progress 1
		.amdhsa_inst_pref_size 1
		.amdhsa_round_robin_scheduling 0
		.amdhsa_exception_fp_ieee_invalid_op 0
		.amdhsa_exception_fp_denorm_src 0
		.amdhsa_exception_fp_ieee_div_zero 0
		.amdhsa_exception_fp_ieee_overflow 0
		.amdhsa_exception_fp_ieee_underflow 0
		.amdhsa_exception_fp_ieee_inexact 0
		.amdhsa_exception_int_div_zero 0
	.end_amdhsa_kernel
	.section	.text._Z38paged_attention_ll4mi_QKV_mfma4_kernelIDF16_DF16_LN4vllm18Fp8KVCacheDataTypeE0EhLi32ELi64ELi256ELb1ELi3EEvPKT_PKT0_S7_ifPKiS9_S9_iPKfiiiPfSC_PS2_PT2_iSB_SB_,"axG",@progbits,_Z38paged_attention_ll4mi_QKV_mfma4_kernelIDF16_DF16_LN4vllm18Fp8KVCacheDataTypeE0EhLi32ELi64ELi256ELb1ELi3EEvPKT_PKT0_S7_ifPKiS9_S9_iPKfiiiPfSC_PS2_PT2_iSB_SB_,comdat
.Lfunc_end116:
	.size	_Z38paged_attention_ll4mi_QKV_mfma4_kernelIDF16_DF16_LN4vllm18Fp8KVCacheDataTypeE0EhLi32ELi64ELi256ELb1ELi3EEvPKT_PKT0_S7_ifPKiS9_S9_iPKfiiiPfSC_PS2_PT2_iSB_SB_, .Lfunc_end116-_Z38paged_attention_ll4mi_QKV_mfma4_kernelIDF16_DF16_LN4vllm18Fp8KVCacheDataTypeE0EhLi32ELi64ELi256ELb1ELi3EEvPKT_PKT0_S7_ifPKiS9_S9_iPKfiiiPfSC_PS2_PT2_iSB_SB_
                                        ; -- End function
	.set _Z38paged_attention_ll4mi_QKV_mfma4_kernelIDF16_DF16_LN4vllm18Fp8KVCacheDataTypeE0EhLi32ELi64ELi256ELb1ELi3EEvPKT_PKT0_S7_ifPKiS9_S9_iPKfiiiPfSC_PS2_PT2_iSB_SB_.num_vgpr, max(3, .L__assert_fail.num_vgpr)
	.set _Z38paged_attention_ll4mi_QKV_mfma4_kernelIDF16_DF16_LN4vllm18Fp8KVCacheDataTypeE0EhLi32ELi64ELi256ELb1ELi3EEvPKT_PKT0_S7_ifPKiS9_S9_iPKfiiiPfSC_PS2_PT2_iSB_SB_.num_agpr, max(0, .L__assert_fail.num_agpr)
	.set _Z38paged_attention_ll4mi_QKV_mfma4_kernelIDF16_DF16_LN4vllm18Fp8KVCacheDataTypeE0EhLi32ELi64ELi256ELb1ELi3EEvPKT_PKT0_S7_ifPKiS9_S9_iPKfiiiPfSC_PS2_PT2_iSB_SB_.numbered_sgpr, max(33, .L__assert_fail.numbered_sgpr)
	.set _Z38paged_attention_ll4mi_QKV_mfma4_kernelIDF16_DF16_LN4vllm18Fp8KVCacheDataTypeE0EhLi32ELi64ELi256ELb1ELi3EEvPKT_PKT0_S7_ifPKiS9_S9_iPKfiiiPfSC_PS2_PT2_iSB_SB_.num_named_barrier, max(0, .L__assert_fail.num_named_barrier)
	.set _Z38paged_attention_ll4mi_QKV_mfma4_kernelIDF16_DF16_LN4vllm18Fp8KVCacheDataTypeE0EhLi32ELi64ELi256ELb1ELi3EEvPKT_PKT0_S7_ifPKiS9_S9_iPKfiiiPfSC_PS2_PT2_iSB_SB_.private_seg_size, 0+max(.L__assert_fail.private_seg_size)
	.set _Z38paged_attention_ll4mi_QKV_mfma4_kernelIDF16_DF16_LN4vllm18Fp8KVCacheDataTypeE0EhLi32ELi64ELi256ELb1ELi3EEvPKT_PKT0_S7_ifPKiS9_S9_iPKfiiiPfSC_PS2_PT2_iSB_SB_.uses_vcc, or(1, .L__assert_fail.uses_vcc)
	.set _Z38paged_attention_ll4mi_QKV_mfma4_kernelIDF16_DF16_LN4vllm18Fp8KVCacheDataTypeE0EhLi32ELi64ELi256ELb1ELi3EEvPKT_PKT0_S7_ifPKiS9_S9_iPKfiiiPfSC_PS2_PT2_iSB_SB_.uses_flat_scratch, or(0, .L__assert_fail.uses_flat_scratch)
	.set _Z38paged_attention_ll4mi_QKV_mfma4_kernelIDF16_DF16_LN4vllm18Fp8KVCacheDataTypeE0EhLi32ELi64ELi256ELb1ELi3EEvPKT_PKT0_S7_ifPKiS9_S9_iPKfiiiPfSC_PS2_PT2_iSB_SB_.has_dyn_sized_stack, or(0, .L__assert_fail.has_dyn_sized_stack)
	.set _Z38paged_attention_ll4mi_QKV_mfma4_kernelIDF16_DF16_LN4vllm18Fp8KVCacheDataTypeE0EhLi32ELi64ELi256ELb1ELi3EEvPKT_PKT0_S7_ifPKiS9_S9_iPKfiiiPfSC_PS2_PT2_iSB_SB_.has_recursion, or(0, .L__assert_fail.has_recursion)
	.set _Z38paged_attention_ll4mi_QKV_mfma4_kernelIDF16_DF16_LN4vllm18Fp8KVCacheDataTypeE0EhLi32ELi64ELi256ELb1ELi3EEvPKT_PKT0_S7_ifPKiS9_S9_iPKfiiiPfSC_PS2_PT2_iSB_SB_.has_indirect_call, or(0, .L__assert_fail.has_indirect_call)
	.section	.AMDGPU.csdata,"",@progbits
; Kernel info:
; codeLenInByte = 68
; TotalNumSgprs: 36
; NumVgprs: 51
; ScratchSize: 64
; MemoryBound: 0
; FloatMode: 240
; IeeeMode: 1
; LDSByteSize: 0 bytes/workgroup (compile time only)
; SGPRBlocks: 0
; VGPRBlocks: 3
; NumSGPRsForWavesPerEU: 36
; NumVGPRsForWavesPerEU: 51
; NamedBarCnt: 0
; Occupancy: 16
; WaveLimiterHint : 1
; COMPUTE_PGM_RSRC2:SCRATCH_EN: 1
; COMPUTE_PGM_RSRC2:USER_SGPR: 2
; COMPUTE_PGM_RSRC2:TRAP_HANDLER: 0
; COMPUTE_PGM_RSRC2:TGID_X_EN: 1
; COMPUTE_PGM_RSRC2:TGID_Y_EN: 0
; COMPUTE_PGM_RSRC2:TGID_Z_EN: 0
; COMPUTE_PGM_RSRC2:TIDIG_COMP_CNT: 0
	.section	.text._Z38paged_attention_ll4mi_QKV_mfma4_kernelIDF16_DF16_LN4vllm18Fp8KVCacheDataTypeE0EhLi32ELi64ELi256ELb1ELi4EEvPKT_PKT0_S7_ifPKiS9_S9_iPKfiiiPfSC_PS2_PT2_iSB_SB_,"axG",@progbits,_Z38paged_attention_ll4mi_QKV_mfma4_kernelIDF16_DF16_LN4vllm18Fp8KVCacheDataTypeE0EhLi32ELi64ELi256ELb1ELi4EEvPKT_PKT0_S7_ifPKiS9_S9_iPKfiiiPfSC_PS2_PT2_iSB_SB_,comdat
	.protected	_Z38paged_attention_ll4mi_QKV_mfma4_kernelIDF16_DF16_LN4vllm18Fp8KVCacheDataTypeE0EhLi32ELi64ELi256ELb1ELi4EEvPKT_PKT0_S7_ifPKiS9_S9_iPKfiiiPfSC_PS2_PT2_iSB_SB_ ; -- Begin function _Z38paged_attention_ll4mi_QKV_mfma4_kernelIDF16_DF16_LN4vllm18Fp8KVCacheDataTypeE0EhLi32ELi64ELi256ELb1ELi4EEvPKT_PKT0_S7_ifPKiS9_S9_iPKfiiiPfSC_PS2_PT2_iSB_SB_
	.globl	_Z38paged_attention_ll4mi_QKV_mfma4_kernelIDF16_DF16_LN4vllm18Fp8KVCacheDataTypeE0EhLi32ELi64ELi256ELb1ELi4EEvPKT_PKT0_S7_ifPKiS9_S9_iPKfiiiPfSC_PS2_PT2_iSB_SB_
	.p2align	8
	.type	_Z38paged_attention_ll4mi_QKV_mfma4_kernelIDF16_DF16_LN4vllm18Fp8KVCacheDataTypeE0EhLi32ELi64ELi256ELb1ELi4EEvPKT_PKT0_S7_ifPKiS9_S9_iPKfiiiPfSC_PS2_PT2_iSB_SB_,@function
_Z38paged_attention_ll4mi_QKV_mfma4_kernelIDF16_DF16_LN4vllm18Fp8KVCacheDataTypeE0EhLi32ELi64ELi256ELb1ELi4EEvPKT_PKT0_S7_ifPKiS9_S9_iPKfiiiPfSC_PS2_PT2_iSB_SB_: ; @_Z38paged_attention_ll4mi_QKV_mfma4_kernelIDF16_DF16_LN4vllm18Fp8KVCacheDataTypeE0EhLi32ELi64ELi256ELb1ELi4EEvPKT_PKT0_S7_ifPKiS9_S9_iPKfiiiPfSC_PS2_PT2_iSB_SB_
; %bb.0:
	s_get_pc_i64 s[2:3]
	s_add_nc_u64 s[2:3], s[2:3], __PRETTY_FUNCTION__._Z38paged_attention_ll4mi_QKV_mfma4_kernelIDF16_DF16_LN4vllm18Fp8KVCacheDataTypeE0EhLi32ELi64ELi256ELb1ELi4EEvPKT_PKT0_S7_ifPKiS9_S9_iPKfiiiPfSC_PS2_PT2_iSB_SB_@rel64+4
	s_delay_alu instid0(SALU_CYCLE_1)
	v_dual_mov_b32 v0, 0xbce :: v_dual_mov_b32 v1, s2
	v_mov_b32_e32 v2, s3
	s_add_nc_u64 s[8:9], s[0:1], 0x90
	s_get_pc_i64 s[0:1]
	s_add_nc_u64 s[0:1], s[0:1], __assert_fail@rel64+4
	s_mov_b32 s32, 0
	s_swap_pc_i64 s[30:31], s[0:1]
	.section	.rodata,"a",@progbits
	.p2align	6, 0x0
	.amdhsa_kernel _Z38paged_attention_ll4mi_QKV_mfma4_kernelIDF16_DF16_LN4vllm18Fp8KVCacheDataTypeE0EhLi32ELi64ELi256ELb1ELi4EEvPKT_PKT0_S7_ifPKiS9_S9_iPKfiiiPfSC_PS2_PT2_iSB_SB_
		.amdhsa_group_segment_fixed_size 0
		.amdhsa_private_segment_fixed_size 64
		.amdhsa_kernarg_size 400
		.amdhsa_user_sgpr_count 2
		.amdhsa_user_sgpr_dispatch_ptr 0
		.amdhsa_user_sgpr_queue_ptr 0
		.amdhsa_user_sgpr_kernarg_segment_ptr 1
		.amdhsa_user_sgpr_dispatch_id 0
		.amdhsa_user_sgpr_kernarg_preload_length 0
		.amdhsa_user_sgpr_kernarg_preload_offset 0
		.amdhsa_user_sgpr_private_segment_size 0
		.amdhsa_wavefront_size32 1
		.amdhsa_uses_dynamic_stack 0
		.amdhsa_enable_private_segment 1
		.amdhsa_system_sgpr_workgroup_id_x 1
		.amdhsa_system_sgpr_workgroup_id_y 0
		.amdhsa_system_sgpr_workgroup_id_z 0
		.amdhsa_system_sgpr_workgroup_info 0
		.amdhsa_system_vgpr_workitem_id 0
		.amdhsa_next_free_vgpr 51
		.amdhsa_next_free_sgpr 34
		.amdhsa_named_barrier_count 0
		.amdhsa_reserve_vcc 1
		.amdhsa_float_round_mode_32 0
		.amdhsa_float_round_mode_16_64 0
		.amdhsa_float_denorm_mode_32 3
		.amdhsa_float_denorm_mode_16_64 3
		.amdhsa_fp16_overflow 0
		.amdhsa_memory_ordered 1
		.amdhsa_forward_progress 1
		.amdhsa_inst_pref_size 1
		.amdhsa_round_robin_scheduling 0
		.amdhsa_exception_fp_ieee_invalid_op 0
		.amdhsa_exception_fp_denorm_src 0
		.amdhsa_exception_fp_ieee_div_zero 0
		.amdhsa_exception_fp_ieee_overflow 0
		.amdhsa_exception_fp_ieee_underflow 0
		.amdhsa_exception_fp_ieee_inexact 0
		.amdhsa_exception_int_div_zero 0
	.end_amdhsa_kernel
	.section	.text._Z38paged_attention_ll4mi_QKV_mfma4_kernelIDF16_DF16_LN4vllm18Fp8KVCacheDataTypeE0EhLi32ELi64ELi256ELb1ELi4EEvPKT_PKT0_S7_ifPKiS9_S9_iPKfiiiPfSC_PS2_PT2_iSB_SB_,"axG",@progbits,_Z38paged_attention_ll4mi_QKV_mfma4_kernelIDF16_DF16_LN4vllm18Fp8KVCacheDataTypeE0EhLi32ELi64ELi256ELb1ELi4EEvPKT_PKT0_S7_ifPKiS9_S9_iPKfiiiPfSC_PS2_PT2_iSB_SB_,comdat
.Lfunc_end117:
	.size	_Z38paged_attention_ll4mi_QKV_mfma4_kernelIDF16_DF16_LN4vllm18Fp8KVCacheDataTypeE0EhLi32ELi64ELi256ELb1ELi4EEvPKT_PKT0_S7_ifPKiS9_S9_iPKfiiiPfSC_PS2_PT2_iSB_SB_, .Lfunc_end117-_Z38paged_attention_ll4mi_QKV_mfma4_kernelIDF16_DF16_LN4vllm18Fp8KVCacheDataTypeE0EhLi32ELi64ELi256ELb1ELi4EEvPKT_PKT0_S7_ifPKiS9_S9_iPKfiiiPfSC_PS2_PT2_iSB_SB_
                                        ; -- End function
	.set _Z38paged_attention_ll4mi_QKV_mfma4_kernelIDF16_DF16_LN4vllm18Fp8KVCacheDataTypeE0EhLi32ELi64ELi256ELb1ELi4EEvPKT_PKT0_S7_ifPKiS9_S9_iPKfiiiPfSC_PS2_PT2_iSB_SB_.num_vgpr, max(3, .L__assert_fail.num_vgpr)
	.set _Z38paged_attention_ll4mi_QKV_mfma4_kernelIDF16_DF16_LN4vllm18Fp8KVCacheDataTypeE0EhLi32ELi64ELi256ELb1ELi4EEvPKT_PKT0_S7_ifPKiS9_S9_iPKfiiiPfSC_PS2_PT2_iSB_SB_.num_agpr, max(0, .L__assert_fail.num_agpr)
	.set _Z38paged_attention_ll4mi_QKV_mfma4_kernelIDF16_DF16_LN4vllm18Fp8KVCacheDataTypeE0EhLi32ELi64ELi256ELb1ELi4EEvPKT_PKT0_S7_ifPKiS9_S9_iPKfiiiPfSC_PS2_PT2_iSB_SB_.numbered_sgpr, max(33, .L__assert_fail.numbered_sgpr)
	.set _Z38paged_attention_ll4mi_QKV_mfma4_kernelIDF16_DF16_LN4vllm18Fp8KVCacheDataTypeE0EhLi32ELi64ELi256ELb1ELi4EEvPKT_PKT0_S7_ifPKiS9_S9_iPKfiiiPfSC_PS2_PT2_iSB_SB_.num_named_barrier, max(0, .L__assert_fail.num_named_barrier)
	.set _Z38paged_attention_ll4mi_QKV_mfma4_kernelIDF16_DF16_LN4vllm18Fp8KVCacheDataTypeE0EhLi32ELi64ELi256ELb1ELi4EEvPKT_PKT0_S7_ifPKiS9_S9_iPKfiiiPfSC_PS2_PT2_iSB_SB_.private_seg_size, 0+max(.L__assert_fail.private_seg_size)
	.set _Z38paged_attention_ll4mi_QKV_mfma4_kernelIDF16_DF16_LN4vllm18Fp8KVCacheDataTypeE0EhLi32ELi64ELi256ELb1ELi4EEvPKT_PKT0_S7_ifPKiS9_S9_iPKfiiiPfSC_PS2_PT2_iSB_SB_.uses_vcc, or(1, .L__assert_fail.uses_vcc)
	.set _Z38paged_attention_ll4mi_QKV_mfma4_kernelIDF16_DF16_LN4vllm18Fp8KVCacheDataTypeE0EhLi32ELi64ELi256ELb1ELi4EEvPKT_PKT0_S7_ifPKiS9_S9_iPKfiiiPfSC_PS2_PT2_iSB_SB_.uses_flat_scratch, or(0, .L__assert_fail.uses_flat_scratch)
	.set _Z38paged_attention_ll4mi_QKV_mfma4_kernelIDF16_DF16_LN4vllm18Fp8KVCacheDataTypeE0EhLi32ELi64ELi256ELb1ELi4EEvPKT_PKT0_S7_ifPKiS9_S9_iPKfiiiPfSC_PS2_PT2_iSB_SB_.has_dyn_sized_stack, or(0, .L__assert_fail.has_dyn_sized_stack)
	.set _Z38paged_attention_ll4mi_QKV_mfma4_kernelIDF16_DF16_LN4vllm18Fp8KVCacheDataTypeE0EhLi32ELi64ELi256ELb1ELi4EEvPKT_PKT0_S7_ifPKiS9_S9_iPKfiiiPfSC_PS2_PT2_iSB_SB_.has_recursion, or(0, .L__assert_fail.has_recursion)
	.set _Z38paged_attention_ll4mi_QKV_mfma4_kernelIDF16_DF16_LN4vllm18Fp8KVCacheDataTypeE0EhLi32ELi64ELi256ELb1ELi4EEvPKT_PKT0_S7_ifPKiS9_S9_iPKfiiiPfSC_PS2_PT2_iSB_SB_.has_indirect_call, or(0, .L__assert_fail.has_indirect_call)
	.section	.AMDGPU.csdata,"",@progbits
; Kernel info:
; codeLenInByte = 68
; TotalNumSgprs: 36
; NumVgprs: 51
; ScratchSize: 64
; MemoryBound: 0
; FloatMode: 240
; IeeeMode: 1
; LDSByteSize: 0 bytes/workgroup (compile time only)
; SGPRBlocks: 0
; VGPRBlocks: 3
; NumSGPRsForWavesPerEU: 36
; NumVGPRsForWavesPerEU: 51
; NamedBarCnt: 0
; Occupancy: 16
; WaveLimiterHint : 1
; COMPUTE_PGM_RSRC2:SCRATCH_EN: 1
; COMPUTE_PGM_RSRC2:USER_SGPR: 2
; COMPUTE_PGM_RSRC2:TRAP_HANDLER: 0
; COMPUTE_PGM_RSRC2:TGID_X_EN: 1
; COMPUTE_PGM_RSRC2:TGID_Y_EN: 0
; COMPUTE_PGM_RSRC2:TGID_Z_EN: 0
; COMPUTE_PGM_RSRC2:TIDIG_COMP_CNT: 0
	.section	.text._Z39paged_attention_ll4mi_QKV_mfma16_kernelIDF16_DF16_LN4vllm18Fp8KVCacheDataTypeE0EhLi32ELi64ELi256ELb1ELi5EEvPKT_PKT0_S7_ifPKiS9_S9_iPKfiiiPfSC_PS2_PT2_iSB_SB_,"axG",@progbits,_Z39paged_attention_ll4mi_QKV_mfma16_kernelIDF16_DF16_LN4vllm18Fp8KVCacheDataTypeE0EhLi32ELi64ELi256ELb1ELi5EEvPKT_PKT0_S7_ifPKiS9_S9_iPKfiiiPfSC_PS2_PT2_iSB_SB_,comdat
	.protected	_Z39paged_attention_ll4mi_QKV_mfma16_kernelIDF16_DF16_LN4vllm18Fp8KVCacheDataTypeE0EhLi32ELi64ELi256ELb1ELi5EEvPKT_PKT0_S7_ifPKiS9_S9_iPKfiiiPfSC_PS2_PT2_iSB_SB_ ; -- Begin function _Z39paged_attention_ll4mi_QKV_mfma16_kernelIDF16_DF16_LN4vllm18Fp8KVCacheDataTypeE0EhLi32ELi64ELi256ELb1ELi5EEvPKT_PKT0_S7_ifPKiS9_S9_iPKfiiiPfSC_PS2_PT2_iSB_SB_
	.globl	_Z39paged_attention_ll4mi_QKV_mfma16_kernelIDF16_DF16_LN4vllm18Fp8KVCacheDataTypeE0EhLi32ELi64ELi256ELb1ELi5EEvPKT_PKT0_S7_ifPKiS9_S9_iPKfiiiPfSC_PS2_PT2_iSB_SB_
	.p2align	8
	.type	_Z39paged_attention_ll4mi_QKV_mfma16_kernelIDF16_DF16_LN4vllm18Fp8KVCacheDataTypeE0EhLi32ELi64ELi256ELb1ELi5EEvPKT_PKT0_S7_ifPKiS9_S9_iPKfiiiPfSC_PS2_PT2_iSB_SB_,@function
_Z39paged_attention_ll4mi_QKV_mfma16_kernelIDF16_DF16_LN4vllm18Fp8KVCacheDataTypeE0EhLi32ELi64ELi256ELb1ELi5EEvPKT_PKT0_S7_ifPKiS9_S9_iPKfiiiPfSC_PS2_PT2_iSB_SB_: ; @_Z39paged_attention_ll4mi_QKV_mfma16_kernelIDF16_DF16_LN4vllm18Fp8KVCacheDataTypeE0EhLi32ELi64ELi256ELb1ELi5EEvPKT_PKT0_S7_ifPKiS9_S9_iPKfiiiPfSC_PS2_PT2_iSB_SB_
; %bb.0:
	s_get_pc_i64 s[2:3]
	s_add_nc_u64 s[2:3], s[2:3], __PRETTY_FUNCTION__._Z39paged_attention_ll4mi_QKV_mfma16_kernelIDF16_DF16_LN4vllm18Fp8KVCacheDataTypeE0EhLi32ELi64ELi256ELb1ELi5EEvPKT_PKT0_S7_ifPKiS9_S9_iPKfiiiPfSC_PS2_PT2_iSB_SB_@rel64+4
	s_delay_alu instid0(SALU_CYCLE_1)
	v_dual_mov_b32 v0, 0xbb3 :: v_dual_mov_b32 v1, s2
	v_mov_b32_e32 v2, s3
	s_add_nc_u64 s[8:9], s[0:1], 0x90
	s_get_pc_i64 s[0:1]
	s_add_nc_u64 s[0:1], s[0:1], __assert_fail@rel64+4
	s_mov_b32 s32, 0
	s_swap_pc_i64 s[30:31], s[0:1]
	.section	.rodata,"a",@progbits
	.p2align	6, 0x0
	.amdhsa_kernel _Z39paged_attention_ll4mi_QKV_mfma16_kernelIDF16_DF16_LN4vllm18Fp8KVCacheDataTypeE0EhLi32ELi64ELi256ELb1ELi5EEvPKT_PKT0_S7_ifPKiS9_S9_iPKfiiiPfSC_PS2_PT2_iSB_SB_
		.amdhsa_group_segment_fixed_size 0
		.amdhsa_private_segment_fixed_size 64
		.amdhsa_kernarg_size 400
		.amdhsa_user_sgpr_count 2
		.amdhsa_user_sgpr_dispatch_ptr 0
		.amdhsa_user_sgpr_queue_ptr 0
		.amdhsa_user_sgpr_kernarg_segment_ptr 1
		.amdhsa_user_sgpr_dispatch_id 0
		.amdhsa_user_sgpr_kernarg_preload_length 0
		.amdhsa_user_sgpr_kernarg_preload_offset 0
		.amdhsa_user_sgpr_private_segment_size 0
		.amdhsa_wavefront_size32 1
		.amdhsa_uses_dynamic_stack 0
		.amdhsa_enable_private_segment 1
		.amdhsa_system_sgpr_workgroup_id_x 1
		.amdhsa_system_sgpr_workgroup_id_y 0
		.amdhsa_system_sgpr_workgroup_id_z 0
		.amdhsa_system_sgpr_workgroup_info 0
		.amdhsa_system_vgpr_workitem_id 0
		.amdhsa_next_free_vgpr 51
		.amdhsa_next_free_sgpr 34
		.amdhsa_named_barrier_count 0
		.amdhsa_reserve_vcc 1
		.amdhsa_float_round_mode_32 0
		.amdhsa_float_round_mode_16_64 0
		.amdhsa_float_denorm_mode_32 3
		.amdhsa_float_denorm_mode_16_64 3
		.amdhsa_fp16_overflow 0
		.amdhsa_memory_ordered 1
		.amdhsa_forward_progress 1
		.amdhsa_inst_pref_size 1
		.amdhsa_round_robin_scheduling 0
		.amdhsa_exception_fp_ieee_invalid_op 0
		.amdhsa_exception_fp_denorm_src 0
		.amdhsa_exception_fp_ieee_div_zero 0
		.amdhsa_exception_fp_ieee_overflow 0
		.amdhsa_exception_fp_ieee_underflow 0
		.amdhsa_exception_fp_ieee_inexact 0
		.amdhsa_exception_int_div_zero 0
	.end_amdhsa_kernel
	.section	.text._Z39paged_attention_ll4mi_QKV_mfma16_kernelIDF16_DF16_LN4vllm18Fp8KVCacheDataTypeE0EhLi32ELi64ELi256ELb1ELi5EEvPKT_PKT0_S7_ifPKiS9_S9_iPKfiiiPfSC_PS2_PT2_iSB_SB_,"axG",@progbits,_Z39paged_attention_ll4mi_QKV_mfma16_kernelIDF16_DF16_LN4vllm18Fp8KVCacheDataTypeE0EhLi32ELi64ELi256ELb1ELi5EEvPKT_PKT0_S7_ifPKiS9_S9_iPKfiiiPfSC_PS2_PT2_iSB_SB_,comdat
.Lfunc_end118:
	.size	_Z39paged_attention_ll4mi_QKV_mfma16_kernelIDF16_DF16_LN4vllm18Fp8KVCacheDataTypeE0EhLi32ELi64ELi256ELb1ELi5EEvPKT_PKT0_S7_ifPKiS9_S9_iPKfiiiPfSC_PS2_PT2_iSB_SB_, .Lfunc_end118-_Z39paged_attention_ll4mi_QKV_mfma16_kernelIDF16_DF16_LN4vllm18Fp8KVCacheDataTypeE0EhLi32ELi64ELi256ELb1ELi5EEvPKT_PKT0_S7_ifPKiS9_S9_iPKfiiiPfSC_PS2_PT2_iSB_SB_
                                        ; -- End function
	.set _Z39paged_attention_ll4mi_QKV_mfma16_kernelIDF16_DF16_LN4vllm18Fp8KVCacheDataTypeE0EhLi32ELi64ELi256ELb1ELi5EEvPKT_PKT0_S7_ifPKiS9_S9_iPKfiiiPfSC_PS2_PT2_iSB_SB_.num_vgpr, max(3, .L__assert_fail.num_vgpr)
	.set _Z39paged_attention_ll4mi_QKV_mfma16_kernelIDF16_DF16_LN4vllm18Fp8KVCacheDataTypeE0EhLi32ELi64ELi256ELb1ELi5EEvPKT_PKT0_S7_ifPKiS9_S9_iPKfiiiPfSC_PS2_PT2_iSB_SB_.num_agpr, max(0, .L__assert_fail.num_agpr)
	.set _Z39paged_attention_ll4mi_QKV_mfma16_kernelIDF16_DF16_LN4vllm18Fp8KVCacheDataTypeE0EhLi32ELi64ELi256ELb1ELi5EEvPKT_PKT0_S7_ifPKiS9_S9_iPKfiiiPfSC_PS2_PT2_iSB_SB_.numbered_sgpr, max(33, .L__assert_fail.numbered_sgpr)
	.set _Z39paged_attention_ll4mi_QKV_mfma16_kernelIDF16_DF16_LN4vllm18Fp8KVCacheDataTypeE0EhLi32ELi64ELi256ELb1ELi5EEvPKT_PKT0_S7_ifPKiS9_S9_iPKfiiiPfSC_PS2_PT2_iSB_SB_.num_named_barrier, max(0, .L__assert_fail.num_named_barrier)
	.set _Z39paged_attention_ll4mi_QKV_mfma16_kernelIDF16_DF16_LN4vllm18Fp8KVCacheDataTypeE0EhLi32ELi64ELi256ELb1ELi5EEvPKT_PKT0_S7_ifPKiS9_S9_iPKfiiiPfSC_PS2_PT2_iSB_SB_.private_seg_size, 0+max(.L__assert_fail.private_seg_size)
	.set _Z39paged_attention_ll4mi_QKV_mfma16_kernelIDF16_DF16_LN4vllm18Fp8KVCacheDataTypeE0EhLi32ELi64ELi256ELb1ELi5EEvPKT_PKT0_S7_ifPKiS9_S9_iPKfiiiPfSC_PS2_PT2_iSB_SB_.uses_vcc, or(1, .L__assert_fail.uses_vcc)
	.set _Z39paged_attention_ll4mi_QKV_mfma16_kernelIDF16_DF16_LN4vllm18Fp8KVCacheDataTypeE0EhLi32ELi64ELi256ELb1ELi5EEvPKT_PKT0_S7_ifPKiS9_S9_iPKfiiiPfSC_PS2_PT2_iSB_SB_.uses_flat_scratch, or(0, .L__assert_fail.uses_flat_scratch)
	.set _Z39paged_attention_ll4mi_QKV_mfma16_kernelIDF16_DF16_LN4vllm18Fp8KVCacheDataTypeE0EhLi32ELi64ELi256ELb1ELi5EEvPKT_PKT0_S7_ifPKiS9_S9_iPKfiiiPfSC_PS2_PT2_iSB_SB_.has_dyn_sized_stack, or(0, .L__assert_fail.has_dyn_sized_stack)
	.set _Z39paged_attention_ll4mi_QKV_mfma16_kernelIDF16_DF16_LN4vllm18Fp8KVCacheDataTypeE0EhLi32ELi64ELi256ELb1ELi5EEvPKT_PKT0_S7_ifPKiS9_S9_iPKfiiiPfSC_PS2_PT2_iSB_SB_.has_recursion, or(0, .L__assert_fail.has_recursion)
	.set _Z39paged_attention_ll4mi_QKV_mfma16_kernelIDF16_DF16_LN4vllm18Fp8KVCacheDataTypeE0EhLi32ELi64ELi256ELb1ELi5EEvPKT_PKT0_S7_ifPKiS9_S9_iPKfiiiPfSC_PS2_PT2_iSB_SB_.has_indirect_call, or(0, .L__assert_fail.has_indirect_call)
	.section	.AMDGPU.csdata,"",@progbits
; Kernel info:
; codeLenInByte = 68
; TotalNumSgprs: 36
; NumVgprs: 51
; ScratchSize: 64
; MemoryBound: 0
; FloatMode: 240
; IeeeMode: 1
; LDSByteSize: 0 bytes/workgroup (compile time only)
; SGPRBlocks: 0
; VGPRBlocks: 3
; NumSGPRsForWavesPerEU: 36
; NumVGPRsForWavesPerEU: 51
; NamedBarCnt: 0
; Occupancy: 16
; WaveLimiterHint : 1
; COMPUTE_PGM_RSRC2:SCRATCH_EN: 1
; COMPUTE_PGM_RSRC2:USER_SGPR: 2
; COMPUTE_PGM_RSRC2:TRAP_HANDLER: 0
; COMPUTE_PGM_RSRC2:TGID_X_EN: 1
; COMPUTE_PGM_RSRC2:TGID_Y_EN: 0
; COMPUTE_PGM_RSRC2:TGID_Z_EN: 0
; COMPUTE_PGM_RSRC2:TIDIG_COMP_CNT: 0
	.section	.text._Z39paged_attention_ll4mi_QKV_mfma16_kernelIDF16_DF16_LN4vllm18Fp8KVCacheDataTypeE0EhLi32ELi64ELi256ELb1ELi6EEvPKT_PKT0_S7_ifPKiS9_S9_iPKfiiiPfSC_PS2_PT2_iSB_SB_,"axG",@progbits,_Z39paged_attention_ll4mi_QKV_mfma16_kernelIDF16_DF16_LN4vllm18Fp8KVCacheDataTypeE0EhLi32ELi64ELi256ELb1ELi6EEvPKT_PKT0_S7_ifPKiS9_S9_iPKfiiiPfSC_PS2_PT2_iSB_SB_,comdat
	.protected	_Z39paged_attention_ll4mi_QKV_mfma16_kernelIDF16_DF16_LN4vllm18Fp8KVCacheDataTypeE0EhLi32ELi64ELi256ELb1ELi6EEvPKT_PKT0_S7_ifPKiS9_S9_iPKfiiiPfSC_PS2_PT2_iSB_SB_ ; -- Begin function _Z39paged_attention_ll4mi_QKV_mfma16_kernelIDF16_DF16_LN4vllm18Fp8KVCacheDataTypeE0EhLi32ELi64ELi256ELb1ELi6EEvPKT_PKT0_S7_ifPKiS9_S9_iPKfiiiPfSC_PS2_PT2_iSB_SB_
	.globl	_Z39paged_attention_ll4mi_QKV_mfma16_kernelIDF16_DF16_LN4vllm18Fp8KVCacheDataTypeE0EhLi32ELi64ELi256ELb1ELi6EEvPKT_PKT0_S7_ifPKiS9_S9_iPKfiiiPfSC_PS2_PT2_iSB_SB_
	.p2align	8
	.type	_Z39paged_attention_ll4mi_QKV_mfma16_kernelIDF16_DF16_LN4vllm18Fp8KVCacheDataTypeE0EhLi32ELi64ELi256ELb1ELi6EEvPKT_PKT0_S7_ifPKiS9_S9_iPKfiiiPfSC_PS2_PT2_iSB_SB_,@function
_Z39paged_attention_ll4mi_QKV_mfma16_kernelIDF16_DF16_LN4vllm18Fp8KVCacheDataTypeE0EhLi32ELi64ELi256ELb1ELi6EEvPKT_PKT0_S7_ifPKiS9_S9_iPKfiiiPfSC_PS2_PT2_iSB_SB_: ; @_Z39paged_attention_ll4mi_QKV_mfma16_kernelIDF16_DF16_LN4vllm18Fp8KVCacheDataTypeE0EhLi32ELi64ELi256ELb1ELi6EEvPKT_PKT0_S7_ifPKiS9_S9_iPKfiiiPfSC_PS2_PT2_iSB_SB_
; %bb.0:
	s_get_pc_i64 s[2:3]
	s_add_nc_u64 s[2:3], s[2:3], __PRETTY_FUNCTION__._Z39paged_attention_ll4mi_QKV_mfma16_kernelIDF16_DF16_LN4vllm18Fp8KVCacheDataTypeE0EhLi32ELi64ELi256ELb1ELi6EEvPKT_PKT0_S7_ifPKiS9_S9_iPKfiiiPfSC_PS2_PT2_iSB_SB_@rel64+4
	s_delay_alu instid0(SALU_CYCLE_1)
	v_dual_mov_b32 v0, 0xbb3 :: v_dual_mov_b32 v1, s2
	v_mov_b32_e32 v2, s3
	s_add_nc_u64 s[8:9], s[0:1], 0x90
	s_get_pc_i64 s[0:1]
	s_add_nc_u64 s[0:1], s[0:1], __assert_fail@rel64+4
	s_mov_b32 s32, 0
	s_swap_pc_i64 s[30:31], s[0:1]
	.section	.rodata,"a",@progbits
	.p2align	6, 0x0
	.amdhsa_kernel _Z39paged_attention_ll4mi_QKV_mfma16_kernelIDF16_DF16_LN4vllm18Fp8KVCacheDataTypeE0EhLi32ELi64ELi256ELb1ELi6EEvPKT_PKT0_S7_ifPKiS9_S9_iPKfiiiPfSC_PS2_PT2_iSB_SB_
		.amdhsa_group_segment_fixed_size 0
		.amdhsa_private_segment_fixed_size 64
		.amdhsa_kernarg_size 400
		.amdhsa_user_sgpr_count 2
		.amdhsa_user_sgpr_dispatch_ptr 0
		.amdhsa_user_sgpr_queue_ptr 0
		.amdhsa_user_sgpr_kernarg_segment_ptr 1
		.amdhsa_user_sgpr_dispatch_id 0
		.amdhsa_user_sgpr_kernarg_preload_length 0
		.amdhsa_user_sgpr_kernarg_preload_offset 0
		.amdhsa_user_sgpr_private_segment_size 0
		.amdhsa_wavefront_size32 1
		.amdhsa_uses_dynamic_stack 0
		.amdhsa_enable_private_segment 1
		.amdhsa_system_sgpr_workgroup_id_x 1
		.amdhsa_system_sgpr_workgroup_id_y 0
		.amdhsa_system_sgpr_workgroup_id_z 0
		.amdhsa_system_sgpr_workgroup_info 0
		.amdhsa_system_vgpr_workitem_id 0
		.amdhsa_next_free_vgpr 51
		.amdhsa_next_free_sgpr 34
		.amdhsa_named_barrier_count 0
		.amdhsa_reserve_vcc 1
		.amdhsa_float_round_mode_32 0
		.amdhsa_float_round_mode_16_64 0
		.amdhsa_float_denorm_mode_32 3
		.amdhsa_float_denorm_mode_16_64 3
		.amdhsa_fp16_overflow 0
		.amdhsa_memory_ordered 1
		.amdhsa_forward_progress 1
		.amdhsa_inst_pref_size 1
		.amdhsa_round_robin_scheduling 0
		.amdhsa_exception_fp_ieee_invalid_op 0
		.amdhsa_exception_fp_denorm_src 0
		.amdhsa_exception_fp_ieee_div_zero 0
		.amdhsa_exception_fp_ieee_overflow 0
		.amdhsa_exception_fp_ieee_underflow 0
		.amdhsa_exception_fp_ieee_inexact 0
		.amdhsa_exception_int_div_zero 0
	.end_amdhsa_kernel
	.section	.text._Z39paged_attention_ll4mi_QKV_mfma16_kernelIDF16_DF16_LN4vllm18Fp8KVCacheDataTypeE0EhLi32ELi64ELi256ELb1ELi6EEvPKT_PKT0_S7_ifPKiS9_S9_iPKfiiiPfSC_PS2_PT2_iSB_SB_,"axG",@progbits,_Z39paged_attention_ll4mi_QKV_mfma16_kernelIDF16_DF16_LN4vllm18Fp8KVCacheDataTypeE0EhLi32ELi64ELi256ELb1ELi6EEvPKT_PKT0_S7_ifPKiS9_S9_iPKfiiiPfSC_PS2_PT2_iSB_SB_,comdat
.Lfunc_end119:
	.size	_Z39paged_attention_ll4mi_QKV_mfma16_kernelIDF16_DF16_LN4vllm18Fp8KVCacheDataTypeE0EhLi32ELi64ELi256ELb1ELi6EEvPKT_PKT0_S7_ifPKiS9_S9_iPKfiiiPfSC_PS2_PT2_iSB_SB_, .Lfunc_end119-_Z39paged_attention_ll4mi_QKV_mfma16_kernelIDF16_DF16_LN4vllm18Fp8KVCacheDataTypeE0EhLi32ELi64ELi256ELb1ELi6EEvPKT_PKT0_S7_ifPKiS9_S9_iPKfiiiPfSC_PS2_PT2_iSB_SB_
                                        ; -- End function
	.set _Z39paged_attention_ll4mi_QKV_mfma16_kernelIDF16_DF16_LN4vllm18Fp8KVCacheDataTypeE0EhLi32ELi64ELi256ELb1ELi6EEvPKT_PKT0_S7_ifPKiS9_S9_iPKfiiiPfSC_PS2_PT2_iSB_SB_.num_vgpr, max(3, .L__assert_fail.num_vgpr)
	.set _Z39paged_attention_ll4mi_QKV_mfma16_kernelIDF16_DF16_LN4vllm18Fp8KVCacheDataTypeE0EhLi32ELi64ELi256ELb1ELi6EEvPKT_PKT0_S7_ifPKiS9_S9_iPKfiiiPfSC_PS2_PT2_iSB_SB_.num_agpr, max(0, .L__assert_fail.num_agpr)
	.set _Z39paged_attention_ll4mi_QKV_mfma16_kernelIDF16_DF16_LN4vllm18Fp8KVCacheDataTypeE0EhLi32ELi64ELi256ELb1ELi6EEvPKT_PKT0_S7_ifPKiS9_S9_iPKfiiiPfSC_PS2_PT2_iSB_SB_.numbered_sgpr, max(33, .L__assert_fail.numbered_sgpr)
	.set _Z39paged_attention_ll4mi_QKV_mfma16_kernelIDF16_DF16_LN4vllm18Fp8KVCacheDataTypeE0EhLi32ELi64ELi256ELb1ELi6EEvPKT_PKT0_S7_ifPKiS9_S9_iPKfiiiPfSC_PS2_PT2_iSB_SB_.num_named_barrier, max(0, .L__assert_fail.num_named_barrier)
	.set _Z39paged_attention_ll4mi_QKV_mfma16_kernelIDF16_DF16_LN4vllm18Fp8KVCacheDataTypeE0EhLi32ELi64ELi256ELb1ELi6EEvPKT_PKT0_S7_ifPKiS9_S9_iPKfiiiPfSC_PS2_PT2_iSB_SB_.private_seg_size, 0+max(.L__assert_fail.private_seg_size)
	.set _Z39paged_attention_ll4mi_QKV_mfma16_kernelIDF16_DF16_LN4vllm18Fp8KVCacheDataTypeE0EhLi32ELi64ELi256ELb1ELi6EEvPKT_PKT0_S7_ifPKiS9_S9_iPKfiiiPfSC_PS2_PT2_iSB_SB_.uses_vcc, or(1, .L__assert_fail.uses_vcc)
	.set _Z39paged_attention_ll4mi_QKV_mfma16_kernelIDF16_DF16_LN4vllm18Fp8KVCacheDataTypeE0EhLi32ELi64ELi256ELb1ELi6EEvPKT_PKT0_S7_ifPKiS9_S9_iPKfiiiPfSC_PS2_PT2_iSB_SB_.uses_flat_scratch, or(0, .L__assert_fail.uses_flat_scratch)
	.set _Z39paged_attention_ll4mi_QKV_mfma16_kernelIDF16_DF16_LN4vllm18Fp8KVCacheDataTypeE0EhLi32ELi64ELi256ELb1ELi6EEvPKT_PKT0_S7_ifPKiS9_S9_iPKfiiiPfSC_PS2_PT2_iSB_SB_.has_dyn_sized_stack, or(0, .L__assert_fail.has_dyn_sized_stack)
	.set _Z39paged_attention_ll4mi_QKV_mfma16_kernelIDF16_DF16_LN4vllm18Fp8KVCacheDataTypeE0EhLi32ELi64ELi256ELb1ELi6EEvPKT_PKT0_S7_ifPKiS9_S9_iPKfiiiPfSC_PS2_PT2_iSB_SB_.has_recursion, or(0, .L__assert_fail.has_recursion)
	.set _Z39paged_attention_ll4mi_QKV_mfma16_kernelIDF16_DF16_LN4vllm18Fp8KVCacheDataTypeE0EhLi32ELi64ELi256ELb1ELi6EEvPKT_PKT0_S7_ifPKiS9_S9_iPKfiiiPfSC_PS2_PT2_iSB_SB_.has_indirect_call, or(0, .L__assert_fail.has_indirect_call)
	.section	.AMDGPU.csdata,"",@progbits
; Kernel info:
; codeLenInByte = 68
; TotalNumSgprs: 36
; NumVgprs: 51
; ScratchSize: 64
; MemoryBound: 0
; FloatMode: 240
; IeeeMode: 1
; LDSByteSize: 0 bytes/workgroup (compile time only)
; SGPRBlocks: 0
; VGPRBlocks: 3
; NumSGPRsForWavesPerEU: 36
; NumVGPRsForWavesPerEU: 51
; NamedBarCnt: 0
; Occupancy: 16
; WaveLimiterHint : 1
; COMPUTE_PGM_RSRC2:SCRATCH_EN: 1
; COMPUTE_PGM_RSRC2:USER_SGPR: 2
; COMPUTE_PGM_RSRC2:TRAP_HANDLER: 0
; COMPUTE_PGM_RSRC2:TGID_X_EN: 1
; COMPUTE_PGM_RSRC2:TGID_Y_EN: 0
; COMPUTE_PGM_RSRC2:TGID_Z_EN: 0
; COMPUTE_PGM_RSRC2:TIDIG_COMP_CNT: 0
	.section	.text._Z39paged_attention_ll4mi_QKV_mfma16_kernelIDF16_DF16_LN4vllm18Fp8KVCacheDataTypeE0EhLi32ELi64ELi256ELb1ELi7EEvPKT_PKT0_S7_ifPKiS9_S9_iPKfiiiPfSC_PS2_PT2_iSB_SB_,"axG",@progbits,_Z39paged_attention_ll4mi_QKV_mfma16_kernelIDF16_DF16_LN4vllm18Fp8KVCacheDataTypeE0EhLi32ELi64ELi256ELb1ELi7EEvPKT_PKT0_S7_ifPKiS9_S9_iPKfiiiPfSC_PS2_PT2_iSB_SB_,comdat
	.protected	_Z39paged_attention_ll4mi_QKV_mfma16_kernelIDF16_DF16_LN4vllm18Fp8KVCacheDataTypeE0EhLi32ELi64ELi256ELb1ELi7EEvPKT_PKT0_S7_ifPKiS9_S9_iPKfiiiPfSC_PS2_PT2_iSB_SB_ ; -- Begin function _Z39paged_attention_ll4mi_QKV_mfma16_kernelIDF16_DF16_LN4vllm18Fp8KVCacheDataTypeE0EhLi32ELi64ELi256ELb1ELi7EEvPKT_PKT0_S7_ifPKiS9_S9_iPKfiiiPfSC_PS2_PT2_iSB_SB_
	.globl	_Z39paged_attention_ll4mi_QKV_mfma16_kernelIDF16_DF16_LN4vllm18Fp8KVCacheDataTypeE0EhLi32ELi64ELi256ELb1ELi7EEvPKT_PKT0_S7_ifPKiS9_S9_iPKfiiiPfSC_PS2_PT2_iSB_SB_
	.p2align	8
	.type	_Z39paged_attention_ll4mi_QKV_mfma16_kernelIDF16_DF16_LN4vllm18Fp8KVCacheDataTypeE0EhLi32ELi64ELi256ELb1ELi7EEvPKT_PKT0_S7_ifPKiS9_S9_iPKfiiiPfSC_PS2_PT2_iSB_SB_,@function
_Z39paged_attention_ll4mi_QKV_mfma16_kernelIDF16_DF16_LN4vllm18Fp8KVCacheDataTypeE0EhLi32ELi64ELi256ELb1ELi7EEvPKT_PKT0_S7_ifPKiS9_S9_iPKfiiiPfSC_PS2_PT2_iSB_SB_: ; @_Z39paged_attention_ll4mi_QKV_mfma16_kernelIDF16_DF16_LN4vllm18Fp8KVCacheDataTypeE0EhLi32ELi64ELi256ELb1ELi7EEvPKT_PKT0_S7_ifPKiS9_S9_iPKfiiiPfSC_PS2_PT2_iSB_SB_
; %bb.0:
	s_get_pc_i64 s[2:3]
	s_add_nc_u64 s[2:3], s[2:3], __PRETTY_FUNCTION__._Z39paged_attention_ll4mi_QKV_mfma16_kernelIDF16_DF16_LN4vllm18Fp8KVCacheDataTypeE0EhLi32ELi64ELi256ELb1ELi7EEvPKT_PKT0_S7_ifPKiS9_S9_iPKfiiiPfSC_PS2_PT2_iSB_SB_@rel64+4
	s_delay_alu instid0(SALU_CYCLE_1)
	v_dual_mov_b32 v0, 0xbb3 :: v_dual_mov_b32 v1, s2
	v_mov_b32_e32 v2, s3
	s_add_nc_u64 s[8:9], s[0:1], 0x90
	s_get_pc_i64 s[0:1]
	s_add_nc_u64 s[0:1], s[0:1], __assert_fail@rel64+4
	s_mov_b32 s32, 0
	s_swap_pc_i64 s[30:31], s[0:1]
	.section	.rodata,"a",@progbits
	.p2align	6, 0x0
	.amdhsa_kernel _Z39paged_attention_ll4mi_QKV_mfma16_kernelIDF16_DF16_LN4vllm18Fp8KVCacheDataTypeE0EhLi32ELi64ELi256ELb1ELi7EEvPKT_PKT0_S7_ifPKiS9_S9_iPKfiiiPfSC_PS2_PT2_iSB_SB_
		.amdhsa_group_segment_fixed_size 0
		.amdhsa_private_segment_fixed_size 64
		.amdhsa_kernarg_size 400
		.amdhsa_user_sgpr_count 2
		.amdhsa_user_sgpr_dispatch_ptr 0
		.amdhsa_user_sgpr_queue_ptr 0
		.amdhsa_user_sgpr_kernarg_segment_ptr 1
		.amdhsa_user_sgpr_dispatch_id 0
		.amdhsa_user_sgpr_kernarg_preload_length 0
		.amdhsa_user_sgpr_kernarg_preload_offset 0
		.amdhsa_user_sgpr_private_segment_size 0
		.amdhsa_wavefront_size32 1
		.amdhsa_uses_dynamic_stack 0
		.amdhsa_enable_private_segment 1
		.amdhsa_system_sgpr_workgroup_id_x 1
		.amdhsa_system_sgpr_workgroup_id_y 0
		.amdhsa_system_sgpr_workgroup_id_z 0
		.amdhsa_system_sgpr_workgroup_info 0
		.amdhsa_system_vgpr_workitem_id 0
		.amdhsa_next_free_vgpr 51
		.amdhsa_next_free_sgpr 34
		.amdhsa_named_barrier_count 0
		.amdhsa_reserve_vcc 1
		.amdhsa_float_round_mode_32 0
		.amdhsa_float_round_mode_16_64 0
		.amdhsa_float_denorm_mode_32 3
		.amdhsa_float_denorm_mode_16_64 3
		.amdhsa_fp16_overflow 0
		.amdhsa_memory_ordered 1
		.amdhsa_forward_progress 1
		.amdhsa_inst_pref_size 1
		.amdhsa_round_robin_scheduling 0
		.amdhsa_exception_fp_ieee_invalid_op 0
		.amdhsa_exception_fp_denorm_src 0
		.amdhsa_exception_fp_ieee_div_zero 0
		.amdhsa_exception_fp_ieee_overflow 0
		.amdhsa_exception_fp_ieee_underflow 0
		.amdhsa_exception_fp_ieee_inexact 0
		.amdhsa_exception_int_div_zero 0
	.end_amdhsa_kernel
	.section	.text._Z39paged_attention_ll4mi_QKV_mfma16_kernelIDF16_DF16_LN4vllm18Fp8KVCacheDataTypeE0EhLi32ELi64ELi256ELb1ELi7EEvPKT_PKT0_S7_ifPKiS9_S9_iPKfiiiPfSC_PS2_PT2_iSB_SB_,"axG",@progbits,_Z39paged_attention_ll4mi_QKV_mfma16_kernelIDF16_DF16_LN4vllm18Fp8KVCacheDataTypeE0EhLi32ELi64ELi256ELb1ELi7EEvPKT_PKT0_S7_ifPKiS9_S9_iPKfiiiPfSC_PS2_PT2_iSB_SB_,comdat
.Lfunc_end120:
	.size	_Z39paged_attention_ll4mi_QKV_mfma16_kernelIDF16_DF16_LN4vllm18Fp8KVCacheDataTypeE0EhLi32ELi64ELi256ELb1ELi7EEvPKT_PKT0_S7_ifPKiS9_S9_iPKfiiiPfSC_PS2_PT2_iSB_SB_, .Lfunc_end120-_Z39paged_attention_ll4mi_QKV_mfma16_kernelIDF16_DF16_LN4vllm18Fp8KVCacheDataTypeE0EhLi32ELi64ELi256ELb1ELi7EEvPKT_PKT0_S7_ifPKiS9_S9_iPKfiiiPfSC_PS2_PT2_iSB_SB_
                                        ; -- End function
	.set _Z39paged_attention_ll4mi_QKV_mfma16_kernelIDF16_DF16_LN4vllm18Fp8KVCacheDataTypeE0EhLi32ELi64ELi256ELb1ELi7EEvPKT_PKT0_S7_ifPKiS9_S9_iPKfiiiPfSC_PS2_PT2_iSB_SB_.num_vgpr, max(3, .L__assert_fail.num_vgpr)
	.set _Z39paged_attention_ll4mi_QKV_mfma16_kernelIDF16_DF16_LN4vllm18Fp8KVCacheDataTypeE0EhLi32ELi64ELi256ELb1ELi7EEvPKT_PKT0_S7_ifPKiS9_S9_iPKfiiiPfSC_PS2_PT2_iSB_SB_.num_agpr, max(0, .L__assert_fail.num_agpr)
	.set _Z39paged_attention_ll4mi_QKV_mfma16_kernelIDF16_DF16_LN4vllm18Fp8KVCacheDataTypeE0EhLi32ELi64ELi256ELb1ELi7EEvPKT_PKT0_S7_ifPKiS9_S9_iPKfiiiPfSC_PS2_PT2_iSB_SB_.numbered_sgpr, max(33, .L__assert_fail.numbered_sgpr)
	.set _Z39paged_attention_ll4mi_QKV_mfma16_kernelIDF16_DF16_LN4vllm18Fp8KVCacheDataTypeE0EhLi32ELi64ELi256ELb1ELi7EEvPKT_PKT0_S7_ifPKiS9_S9_iPKfiiiPfSC_PS2_PT2_iSB_SB_.num_named_barrier, max(0, .L__assert_fail.num_named_barrier)
	.set _Z39paged_attention_ll4mi_QKV_mfma16_kernelIDF16_DF16_LN4vllm18Fp8KVCacheDataTypeE0EhLi32ELi64ELi256ELb1ELi7EEvPKT_PKT0_S7_ifPKiS9_S9_iPKfiiiPfSC_PS2_PT2_iSB_SB_.private_seg_size, 0+max(.L__assert_fail.private_seg_size)
	.set _Z39paged_attention_ll4mi_QKV_mfma16_kernelIDF16_DF16_LN4vllm18Fp8KVCacheDataTypeE0EhLi32ELi64ELi256ELb1ELi7EEvPKT_PKT0_S7_ifPKiS9_S9_iPKfiiiPfSC_PS2_PT2_iSB_SB_.uses_vcc, or(1, .L__assert_fail.uses_vcc)
	.set _Z39paged_attention_ll4mi_QKV_mfma16_kernelIDF16_DF16_LN4vllm18Fp8KVCacheDataTypeE0EhLi32ELi64ELi256ELb1ELi7EEvPKT_PKT0_S7_ifPKiS9_S9_iPKfiiiPfSC_PS2_PT2_iSB_SB_.uses_flat_scratch, or(0, .L__assert_fail.uses_flat_scratch)
	.set _Z39paged_attention_ll4mi_QKV_mfma16_kernelIDF16_DF16_LN4vllm18Fp8KVCacheDataTypeE0EhLi32ELi64ELi256ELb1ELi7EEvPKT_PKT0_S7_ifPKiS9_S9_iPKfiiiPfSC_PS2_PT2_iSB_SB_.has_dyn_sized_stack, or(0, .L__assert_fail.has_dyn_sized_stack)
	.set _Z39paged_attention_ll4mi_QKV_mfma16_kernelIDF16_DF16_LN4vllm18Fp8KVCacheDataTypeE0EhLi32ELi64ELi256ELb1ELi7EEvPKT_PKT0_S7_ifPKiS9_S9_iPKfiiiPfSC_PS2_PT2_iSB_SB_.has_recursion, or(0, .L__assert_fail.has_recursion)
	.set _Z39paged_attention_ll4mi_QKV_mfma16_kernelIDF16_DF16_LN4vllm18Fp8KVCacheDataTypeE0EhLi32ELi64ELi256ELb1ELi7EEvPKT_PKT0_S7_ifPKiS9_S9_iPKfiiiPfSC_PS2_PT2_iSB_SB_.has_indirect_call, or(0, .L__assert_fail.has_indirect_call)
	.section	.AMDGPU.csdata,"",@progbits
; Kernel info:
; codeLenInByte = 68
; TotalNumSgprs: 36
; NumVgprs: 51
; ScratchSize: 64
; MemoryBound: 0
; FloatMode: 240
; IeeeMode: 1
; LDSByteSize: 0 bytes/workgroup (compile time only)
; SGPRBlocks: 0
; VGPRBlocks: 3
; NumSGPRsForWavesPerEU: 36
; NumVGPRsForWavesPerEU: 51
; NamedBarCnt: 0
; Occupancy: 16
; WaveLimiterHint : 1
; COMPUTE_PGM_RSRC2:SCRATCH_EN: 1
; COMPUTE_PGM_RSRC2:USER_SGPR: 2
; COMPUTE_PGM_RSRC2:TRAP_HANDLER: 0
; COMPUTE_PGM_RSRC2:TGID_X_EN: 1
; COMPUTE_PGM_RSRC2:TGID_Y_EN: 0
; COMPUTE_PGM_RSRC2:TGID_Z_EN: 0
; COMPUTE_PGM_RSRC2:TIDIG_COMP_CNT: 0
	.section	.text._Z39paged_attention_ll4mi_QKV_mfma16_kernelIDF16_DF16_LN4vllm18Fp8KVCacheDataTypeE0EhLi32ELi64ELi256ELb1ELi8EEvPKT_PKT0_S7_ifPKiS9_S9_iPKfiiiPfSC_PS2_PT2_iSB_SB_,"axG",@progbits,_Z39paged_attention_ll4mi_QKV_mfma16_kernelIDF16_DF16_LN4vllm18Fp8KVCacheDataTypeE0EhLi32ELi64ELi256ELb1ELi8EEvPKT_PKT0_S7_ifPKiS9_S9_iPKfiiiPfSC_PS2_PT2_iSB_SB_,comdat
	.protected	_Z39paged_attention_ll4mi_QKV_mfma16_kernelIDF16_DF16_LN4vllm18Fp8KVCacheDataTypeE0EhLi32ELi64ELi256ELb1ELi8EEvPKT_PKT0_S7_ifPKiS9_S9_iPKfiiiPfSC_PS2_PT2_iSB_SB_ ; -- Begin function _Z39paged_attention_ll4mi_QKV_mfma16_kernelIDF16_DF16_LN4vllm18Fp8KVCacheDataTypeE0EhLi32ELi64ELi256ELb1ELi8EEvPKT_PKT0_S7_ifPKiS9_S9_iPKfiiiPfSC_PS2_PT2_iSB_SB_
	.globl	_Z39paged_attention_ll4mi_QKV_mfma16_kernelIDF16_DF16_LN4vllm18Fp8KVCacheDataTypeE0EhLi32ELi64ELi256ELb1ELi8EEvPKT_PKT0_S7_ifPKiS9_S9_iPKfiiiPfSC_PS2_PT2_iSB_SB_
	.p2align	8
	.type	_Z39paged_attention_ll4mi_QKV_mfma16_kernelIDF16_DF16_LN4vllm18Fp8KVCacheDataTypeE0EhLi32ELi64ELi256ELb1ELi8EEvPKT_PKT0_S7_ifPKiS9_S9_iPKfiiiPfSC_PS2_PT2_iSB_SB_,@function
_Z39paged_attention_ll4mi_QKV_mfma16_kernelIDF16_DF16_LN4vllm18Fp8KVCacheDataTypeE0EhLi32ELi64ELi256ELb1ELi8EEvPKT_PKT0_S7_ifPKiS9_S9_iPKfiiiPfSC_PS2_PT2_iSB_SB_: ; @_Z39paged_attention_ll4mi_QKV_mfma16_kernelIDF16_DF16_LN4vllm18Fp8KVCacheDataTypeE0EhLi32ELi64ELi256ELb1ELi8EEvPKT_PKT0_S7_ifPKiS9_S9_iPKfiiiPfSC_PS2_PT2_iSB_SB_
; %bb.0:
	s_get_pc_i64 s[2:3]
	s_add_nc_u64 s[2:3], s[2:3], __PRETTY_FUNCTION__._Z39paged_attention_ll4mi_QKV_mfma16_kernelIDF16_DF16_LN4vllm18Fp8KVCacheDataTypeE0EhLi32ELi64ELi256ELb1ELi8EEvPKT_PKT0_S7_ifPKiS9_S9_iPKfiiiPfSC_PS2_PT2_iSB_SB_@rel64+4
	s_delay_alu instid0(SALU_CYCLE_1)
	v_dual_mov_b32 v0, 0xbb3 :: v_dual_mov_b32 v1, s2
	v_mov_b32_e32 v2, s3
	s_add_nc_u64 s[8:9], s[0:1], 0x90
	s_get_pc_i64 s[0:1]
	s_add_nc_u64 s[0:1], s[0:1], __assert_fail@rel64+4
	s_mov_b32 s32, 0
	s_swap_pc_i64 s[30:31], s[0:1]
	.section	.rodata,"a",@progbits
	.p2align	6, 0x0
	.amdhsa_kernel _Z39paged_attention_ll4mi_QKV_mfma16_kernelIDF16_DF16_LN4vllm18Fp8KVCacheDataTypeE0EhLi32ELi64ELi256ELb1ELi8EEvPKT_PKT0_S7_ifPKiS9_S9_iPKfiiiPfSC_PS2_PT2_iSB_SB_
		.amdhsa_group_segment_fixed_size 0
		.amdhsa_private_segment_fixed_size 64
		.amdhsa_kernarg_size 400
		.amdhsa_user_sgpr_count 2
		.amdhsa_user_sgpr_dispatch_ptr 0
		.amdhsa_user_sgpr_queue_ptr 0
		.amdhsa_user_sgpr_kernarg_segment_ptr 1
		.amdhsa_user_sgpr_dispatch_id 0
		.amdhsa_user_sgpr_kernarg_preload_length 0
		.amdhsa_user_sgpr_kernarg_preload_offset 0
		.amdhsa_user_sgpr_private_segment_size 0
		.amdhsa_wavefront_size32 1
		.amdhsa_uses_dynamic_stack 0
		.amdhsa_enable_private_segment 1
		.amdhsa_system_sgpr_workgroup_id_x 1
		.amdhsa_system_sgpr_workgroup_id_y 0
		.amdhsa_system_sgpr_workgroup_id_z 0
		.amdhsa_system_sgpr_workgroup_info 0
		.amdhsa_system_vgpr_workitem_id 0
		.amdhsa_next_free_vgpr 51
		.amdhsa_next_free_sgpr 34
		.amdhsa_named_barrier_count 0
		.amdhsa_reserve_vcc 1
		.amdhsa_float_round_mode_32 0
		.amdhsa_float_round_mode_16_64 0
		.amdhsa_float_denorm_mode_32 3
		.amdhsa_float_denorm_mode_16_64 3
		.amdhsa_fp16_overflow 0
		.amdhsa_memory_ordered 1
		.amdhsa_forward_progress 1
		.amdhsa_inst_pref_size 1
		.amdhsa_round_robin_scheduling 0
		.amdhsa_exception_fp_ieee_invalid_op 0
		.amdhsa_exception_fp_denorm_src 0
		.amdhsa_exception_fp_ieee_div_zero 0
		.amdhsa_exception_fp_ieee_overflow 0
		.amdhsa_exception_fp_ieee_underflow 0
		.amdhsa_exception_fp_ieee_inexact 0
		.amdhsa_exception_int_div_zero 0
	.end_amdhsa_kernel
	.section	.text._Z39paged_attention_ll4mi_QKV_mfma16_kernelIDF16_DF16_LN4vllm18Fp8KVCacheDataTypeE0EhLi32ELi64ELi256ELb1ELi8EEvPKT_PKT0_S7_ifPKiS9_S9_iPKfiiiPfSC_PS2_PT2_iSB_SB_,"axG",@progbits,_Z39paged_attention_ll4mi_QKV_mfma16_kernelIDF16_DF16_LN4vllm18Fp8KVCacheDataTypeE0EhLi32ELi64ELi256ELb1ELi8EEvPKT_PKT0_S7_ifPKiS9_S9_iPKfiiiPfSC_PS2_PT2_iSB_SB_,comdat
.Lfunc_end121:
	.size	_Z39paged_attention_ll4mi_QKV_mfma16_kernelIDF16_DF16_LN4vllm18Fp8KVCacheDataTypeE0EhLi32ELi64ELi256ELb1ELi8EEvPKT_PKT0_S7_ifPKiS9_S9_iPKfiiiPfSC_PS2_PT2_iSB_SB_, .Lfunc_end121-_Z39paged_attention_ll4mi_QKV_mfma16_kernelIDF16_DF16_LN4vllm18Fp8KVCacheDataTypeE0EhLi32ELi64ELi256ELb1ELi8EEvPKT_PKT0_S7_ifPKiS9_S9_iPKfiiiPfSC_PS2_PT2_iSB_SB_
                                        ; -- End function
	.set _Z39paged_attention_ll4mi_QKV_mfma16_kernelIDF16_DF16_LN4vllm18Fp8KVCacheDataTypeE0EhLi32ELi64ELi256ELb1ELi8EEvPKT_PKT0_S7_ifPKiS9_S9_iPKfiiiPfSC_PS2_PT2_iSB_SB_.num_vgpr, max(3, .L__assert_fail.num_vgpr)
	.set _Z39paged_attention_ll4mi_QKV_mfma16_kernelIDF16_DF16_LN4vllm18Fp8KVCacheDataTypeE0EhLi32ELi64ELi256ELb1ELi8EEvPKT_PKT0_S7_ifPKiS9_S9_iPKfiiiPfSC_PS2_PT2_iSB_SB_.num_agpr, max(0, .L__assert_fail.num_agpr)
	.set _Z39paged_attention_ll4mi_QKV_mfma16_kernelIDF16_DF16_LN4vllm18Fp8KVCacheDataTypeE0EhLi32ELi64ELi256ELb1ELi8EEvPKT_PKT0_S7_ifPKiS9_S9_iPKfiiiPfSC_PS2_PT2_iSB_SB_.numbered_sgpr, max(33, .L__assert_fail.numbered_sgpr)
	.set _Z39paged_attention_ll4mi_QKV_mfma16_kernelIDF16_DF16_LN4vllm18Fp8KVCacheDataTypeE0EhLi32ELi64ELi256ELb1ELi8EEvPKT_PKT0_S7_ifPKiS9_S9_iPKfiiiPfSC_PS2_PT2_iSB_SB_.num_named_barrier, max(0, .L__assert_fail.num_named_barrier)
	.set _Z39paged_attention_ll4mi_QKV_mfma16_kernelIDF16_DF16_LN4vllm18Fp8KVCacheDataTypeE0EhLi32ELi64ELi256ELb1ELi8EEvPKT_PKT0_S7_ifPKiS9_S9_iPKfiiiPfSC_PS2_PT2_iSB_SB_.private_seg_size, 0+max(.L__assert_fail.private_seg_size)
	.set _Z39paged_attention_ll4mi_QKV_mfma16_kernelIDF16_DF16_LN4vllm18Fp8KVCacheDataTypeE0EhLi32ELi64ELi256ELb1ELi8EEvPKT_PKT0_S7_ifPKiS9_S9_iPKfiiiPfSC_PS2_PT2_iSB_SB_.uses_vcc, or(1, .L__assert_fail.uses_vcc)
	.set _Z39paged_attention_ll4mi_QKV_mfma16_kernelIDF16_DF16_LN4vllm18Fp8KVCacheDataTypeE0EhLi32ELi64ELi256ELb1ELi8EEvPKT_PKT0_S7_ifPKiS9_S9_iPKfiiiPfSC_PS2_PT2_iSB_SB_.uses_flat_scratch, or(0, .L__assert_fail.uses_flat_scratch)
	.set _Z39paged_attention_ll4mi_QKV_mfma16_kernelIDF16_DF16_LN4vllm18Fp8KVCacheDataTypeE0EhLi32ELi64ELi256ELb1ELi8EEvPKT_PKT0_S7_ifPKiS9_S9_iPKfiiiPfSC_PS2_PT2_iSB_SB_.has_dyn_sized_stack, or(0, .L__assert_fail.has_dyn_sized_stack)
	.set _Z39paged_attention_ll4mi_QKV_mfma16_kernelIDF16_DF16_LN4vllm18Fp8KVCacheDataTypeE0EhLi32ELi64ELi256ELb1ELi8EEvPKT_PKT0_S7_ifPKiS9_S9_iPKfiiiPfSC_PS2_PT2_iSB_SB_.has_recursion, or(0, .L__assert_fail.has_recursion)
	.set _Z39paged_attention_ll4mi_QKV_mfma16_kernelIDF16_DF16_LN4vllm18Fp8KVCacheDataTypeE0EhLi32ELi64ELi256ELb1ELi8EEvPKT_PKT0_S7_ifPKiS9_S9_iPKfiiiPfSC_PS2_PT2_iSB_SB_.has_indirect_call, or(0, .L__assert_fail.has_indirect_call)
	.section	.AMDGPU.csdata,"",@progbits
; Kernel info:
; codeLenInByte = 68
; TotalNumSgprs: 36
; NumVgprs: 51
; ScratchSize: 64
; MemoryBound: 0
; FloatMode: 240
; IeeeMode: 1
; LDSByteSize: 0 bytes/workgroup (compile time only)
; SGPRBlocks: 0
; VGPRBlocks: 3
; NumSGPRsForWavesPerEU: 36
; NumVGPRsForWavesPerEU: 51
; NamedBarCnt: 0
; Occupancy: 16
; WaveLimiterHint : 1
; COMPUTE_PGM_RSRC2:SCRATCH_EN: 1
; COMPUTE_PGM_RSRC2:USER_SGPR: 2
; COMPUTE_PGM_RSRC2:TRAP_HANDLER: 0
; COMPUTE_PGM_RSRC2:TGID_X_EN: 1
; COMPUTE_PGM_RSRC2:TGID_Y_EN: 0
; COMPUTE_PGM_RSRC2:TGID_Z_EN: 0
; COMPUTE_PGM_RSRC2:TIDIG_COMP_CNT: 0
	.section	.text._Z39paged_attention_ll4mi_QKV_mfma16_kernelIDF16_DF16_LN4vllm18Fp8KVCacheDataTypeE0EhLi32ELi64ELi256ELb1ELi9EEvPKT_PKT0_S7_ifPKiS9_S9_iPKfiiiPfSC_PS2_PT2_iSB_SB_,"axG",@progbits,_Z39paged_attention_ll4mi_QKV_mfma16_kernelIDF16_DF16_LN4vllm18Fp8KVCacheDataTypeE0EhLi32ELi64ELi256ELb1ELi9EEvPKT_PKT0_S7_ifPKiS9_S9_iPKfiiiPfSC_PS2_PT2_iSB_SB_,comdat
	.protected	_Z39paged_attention_ll4mi_QKV_mfma16_kernelIDF16_DF16_LN4vllm18Fp8KVCacheDataTypeE0EhLi32ELi64ELi256ELb1ELi9EEvPKT_PKT0_S7_ifPKiS9_S9_iPKfiiiPfSC_PS2_PT2_iSB_SB_ ; -- Begin function _Z39paged_attention_ll4mi_QKV_mfma16_kernelIDF16_DF16_LN4vllm18Fp8KVCacheDataTypeE0EhLi32ELi64ELi256ELb1ELi9EEvPKT_PKT0_S7_ifPKiS9_S9_iPKfiiiPfSC_PS2_PT2_iSB_SB_
	.globl	_Z39paged_attention_ll4mi_QKV_mfma16_kernelIDF16_DF16_LN4vllm18Fp8KVCacheDataTypeE0EhLi32ELi64ELi256ELb1ELi9EEvPKT_PKT0_S7_ifPKiS9_S9_iPKfiiiPfSC_PS2_PT2_iSB_SB_
	.p2align	8
	.type	_Z39paged_attention_ll4mi_QKV_mfma16_kernelIDF16_DF16_LN4vllm18Fp8KVCacheDataTypeE0EhLi32ELi64ELi256ELb1ELi9EEvPKT_PKT0_S7_ifPKiS9_S9_iPKfiiiPfSC_PS2_PT2_iSB_SB_,@function
_Z39paged_attention_ll4mi_QKV_mfma16_kernelIDF16_DF16_LN4vllm18Fp8KVCacheDataTypeE0EhLi32ELi64ELi256ELb1ELi9EEvPKT_PKT0_S7_ifPKiS9_S9_iPKfiiiPfSC_PS2_PT2_iSB_SB_: ; @_Z39paged_attention_ll4mi_QKV_mfma16_kernelIDF16_DF16_LN4vllm18Fp8KVCacheDataTypeE0EhLi32ELi64ELi256ELb1ELi9EEvPKT_PKT0_S7_ifPKiS9_S9_iPKfiiiPfSC_PS2_PT2_iSB_SB_
; %bb.0:
	s_get_pc_i64 s[2:3]
	s_add_nc_u64 s[2:3], s[2:3], __PRETTY_FUNCTION__._Z39paged_attention_ll4mi_QKV_mfma16_kernelIDF16_DF16_LN4vllm18Fp8KVCacheDataTypeE0EhLi32ELi64ELi256ELb1ELi9EEvPKT_PKT0_S7_ifPKiS9_S9_iPKfiiiPfSC_PS2_PT2_iSB_SB_@rel64+4
	s_delay_alu instid0(SALU_CYCLE_1)
	v_dual_mov_b32 v0, 0xbb3 :: v_dual_mov_b32 v1, s2
	v_mov_b32_e32 v2, s3
	s_add_nc_u64 s[8:9], s[0:1], 0x90
	s_get_pc_i64 s[0:1]
	s_add_nc_u64 s[0:1], s[0:1], __assert_fail@rel64+4
	s_mov_b32 s32, 0
	s_swap_pc_i64 s[30:31], s[0:1]
	.section	.rodata,"a",@progbits
	.p2align	6, 0x0
	.amdhsa_kernel _Z39paged_attention_ll4mi_QKV_mfma16_kernelIDF16_DF16_LN4vllm18Fp8KVCacheDataTypeE0EhLi32ELi64ELi256ELb1ELi9EEvPKT_PKT0_S7_ifPKiS9_S9_iPKfiiiPfSC_PS2_PT2_iSB_SB_
		.amdhsa_group_segment_fixed_size 0
		.amdhsa_private_segment_fixed_size 64
		.amdhsa_kernarg_size 400
		.amdhsa_user_sgpr_count 2
		.amdhsa_user_sgpr_dispatch_ptr 0
		.amdhsa_user_sgpr_queue_ptr 0
		.amdhsa_user_sgpr_kernarg_segment_ptr 1
		.amdhsa_user_sgpr_dispatch_id 0
		.amdhsa_user_sgpr_kernarg_preload_length 0
		.amdhsa_user_sgpr_kernarg_preload_offset 0
		.amdhsa_user_sgpr_private_segment_size 0
		.amdhsa_wavefront_size32 1
		.amdhsa_uses_dynamic_stack 0
		.amdhsa_enable_private_segment 1
		.amdhsa_system_sgpr_workgroup_id_x 1
		.amdhsa_system_sgpr_workgroup_id_y 0
		.amdhsa_system_sgpr_workgroup_id_z 0
		.amdhsa_system_sgpr_workgroup_info 0
		.amdhsa_system_vgpr_workitem_id 0
		.amdhsa_next_free_vgpr 51
		.amdhsa_next_free_sgpr 34
		.amdhsa_named_barrier_count 0
		.amdhsa_reserve_vcc 1
		.amdhsa_float_round_mode_32 0
		.amdhsa_float_round_mode_16_64 0
		.amdhsa_float_denorm_mode_32 3
		.amdhsa_float_denorm_mode_16_64 3
		.amdhsa_fp16_overflow 0
		.amdhsa_memory_ordered 1
		.amdhsa_forward_progress 1
		.amdhsa_inst_pref_size 1
		.amdhsa_round_robin_scheduling 0
		.amdhsa_exception_fp_ieee_invalid_op 0
		.amdhsa_exception_fp_denorm_src 0
		.amdhsa_exception_fp_ieee_div_zero 0
		.amdhsa_exception_fp_ieee_overflow 0
		.amdhsa_exception_fp_ieee_underflow 0
		.amdhsa_exception_fp_ieee_inexact 0
		.amdhsa_exception_int_div_zero 0
	.end_amdhsa_kernel
	.section	.text._Z39paged_attention_ll4mi_QKV_mfma16_kernelIDF16_DF16_LN4vllm18Fp8KVCacheDataTypeE0EhLi32ELi64ELi256ELb1ELi9EEvPKT_PKT0_S7_ifPKiS9_S9_iPKfiiiPfSC_PS2_PT2_iSB_SB_,"axG",@progbits,_Z39paged_attention_ll4mi_QKV_mfma16_kernelIDF16_DF16_LN4vllm18Fp8KVCacheDataTypeE0EhLi32ELi64ELi256ELb1ELi9EEvPKT_PKT0_S7_ifPKiS9_S9_iPKfiiiPfSC_PS2_PT2_iSB_SB_,comdat
.Lfunc_end122:
	.size	_Z39paged_attention_ll4mi_QKV_mfma16_kernelIDF16_DF16_LN4vllm18Fp8KVCacheDataTypeE0EhLi32ELi64ELi256ELb1ELi9EEvPKT_PKT0_S7_ifPKiS9_S9_iPKfiiiPfSC_PS2_PT2_iSB_SB_, .Lfunc_end122-_Z39paged_attention_ll4mi_QKV_mfma16_kernelIDF16_DF16_LN4vllm18Fp8KVCacheDataTypeE0EhLi32ELi64ELi256ELb1ELi9EEvPKT_PKT0_S7_ifPKiS9_S9_iPKfiiiPfSC_PS2_PT2_iSB_SB_
                                        ; -- End function
	.set _Z39paged_attention_ll4mi_QKV_mfma16_kernelIDF16_DF16_LN4vllm18Fp8KVCacheDataTypeE0EhLi32ELi64ELi256ELb1ELi9EEvPKT_PKT0_S7_ifPKiS9_S9_iPKfiiiPfSC_PS2_PT2_iSB_SB_.num_vgpr, max(3, .L__assert_fail.num_vgpr)
	.set _Z39paged_attention_ll4mi_QKV_mfma16_kernelIDF16_DF16_LN4vllm18Fp8KVCacheDataTypeE0EhLi32ELi64ELi256ELb1ELi9EEvPKT_PKT0_S7_ifPKiS9_S9_iPKfiiiPfSC_PS2_PT2_iSB_SB_.num_agpr, max(0, .L__assert_fail.num_agpr)
	.set _Z39paged_attention_ll4mi_QKV_mfma16_kernelIDF16_DF16_LN4vllm18Fp8KVCacheDataTypeE0EhLi32ELi64ELi256ELb1ELi9EEvPKT_PKT0_S7_ifPKiS9_S9_iPKfiiiPfSC_PS2_PT2_iSB_SB_.numbered_sgpr, max(33, .L__assert_fail.numbered_sgpr)
	.set _Z39paged_attention_ll4mi_QKV_mfma16_kernelIDF16_DF16_LN4vllm18Fp8KVCacheDataTypeE0EhLi32ELi64ELi256ELb1ELi9EEvPKT_PKT0_S7_ifPKiS9_S9_iPKfiiiPfSC_PS2_PT2_iSB_SB_.num_named_barrier, max(0, .L__assert_fail.num_named_barrier)
	.set _Z39paged_attention_ll4mi_QKV_mfma16_kernelIDF16_DF16_LN4vllm18Fp8KVCacheDataTypeE0EhLi32ELi64ELi256ELb1ELi9EEvPKT_PKT0_S7_ifPKiS9_S9_iPKfiiiPfSC_PS2_PT2_iSB_SB_.private_seg_size, 0+max(.L__assert_fail.private_seg_size)
	.set _Z39paged_attention_ll4mi_QKV_mfma16_kernelIDF16_DF16_LN4vllm18Fp8KVCacheDataTypeE0EhLi32ELi64ELi256ELb1ELi9EEvPKT_PKT0_S7_ifPKiS9_S9_iPKfiiiPfSC_PS2_PT2_iSB_SB_.uses_vcc, or(1, .L__assert_fail.uses_vcc)
	.set _Z39paged_attention_ll4mi_QKV_mfma16_kernelIDF16_DF16_LN4vllm18Fp8KVCacheDataTypeE0EhLi32ELi64ELi256ELb1ELi9EEvPKT_PKT0_S7_ifPKiS9_S9_iPKfiiiPfSC_PS2_PT2_iSB_SB_.uses_flat_scratch, or(0, .L__assert_fail.uses_flat_scratch)
	.set _Z39paged_attention_ll4mi_QKV_mfma16_kernelIDF16_DF16_LN4vllm18Fp8KVCacheDataTypeE0EhLi32ELi64ELi256ELb1ELi9EEvPKT_PKT0_S7_ifPKiS9_S9_iPKfiiiPfSC_PS2_PT2_iSB_SB_.has_dyn_sized_stack, or(0, .L__assert_fail.has_dyn_sized_stack)
	.set _Z39paged_attention_ll4mi_QKV_mfma16_kernelIDF16_DF16_LN4vllm18Fp8KVCacheDataTypeE0EhLi32ELi64ELi256ELb1ELi9EEvPKT_PKT0_S7_ifPKiS9_S9_iPKfiiiPfSC_PS2_PT2_iSB_SB_.has_recursion, or(0, .L__assert_fail.has_recursion)
	.set _Z39paged_attention_ll4mi_QKV_mfma16_kernelIDF16_DF16_LN4vllm18Fp8KVCacheDataTypeE0EhLi32ELi64ELi256ELb1ELi9EEvPKT_PKT0_S7_ifPKiS9_S9_iPKfiiiPfSC_PS2_PT2_iSB_SB_.has_indirect_call, or(0, .L__assert_fail.has_indirect_call)
	.section	.AMDGPU.csdata,"",@progbits
; Kernel info:
; codeLenInByte = 68
; TotalNumSgprs: 36
; NumVgprs: 51
; ScratchSize: 64
; MemoryBound: 0
; FloatMode: 240
; IeeeMode: 1
; LDSByteSize: 0 bytes/workgroup (compile time only)
; SGPRBlocks: 0
; VGPRBlocks: 3
; NumSGPRsForWavesPerEU: 36
; NumVGPRsForWavesPerEU: 51
; NamedBarCnt: 0
; Occupancy: 16
; WaveLimiterHint : 1
; COMPUTE_PGM_RSRC2:SCRATCH_EN: 1
; COMPUTE_PGM_RSRC2:USER_SGPR: 2
; COMPUTE_PGM_RSRC2:TRAP_HANDLER: 0
; COMPUTE_PGM_RSRC2:TGID_X_EN: 1
; COMPUTE_PGM_RSRC2:TGID_Y_EN: 0
; COMPUTE_PGM_RSRC2:TGID_Z_EN: 0
; COMPUTE_PGM_RSRC2:TIDIG_COMP_CNT: 0
	.section	.text._Z39paged_attention_ll4mi_QKV_mfma16_kernelIDF16_DF16_LN4vllm18Fp8KVCacheDataTypeE0EhLi32ELi64ELi256ELb1ELi10EEvPKT_PKT0_S7_ifPKiS9_S9_iPKfiiiPfSC_PS2_PT2_iSB_SB_,"axG",@progbits,_Z39paged_attention_ll4mi_QKV_mfma16_kernelIDF16_DF16_LN4vllm18Fp8KVCacheDataTypeE0EhLi32ELi64ELi256ELb1ELi10EEvPKT_PKT0_S7_ifPKiS9_S9_iPKfiiiPfSC_PS2_PT2_iSB_SB_,comdat
	.protected	_Z39paged_attention_ll4mi_QKV_mfma16_kernelIDF16_DF16_LN4vllm18Fp8KVCacheDataTypeE0EhLi32ELi64ELi256ELb1ELi10EEvPKT_PKT0_S7_ifPKiS9_S9_iPKfiiiPfSC_PS2_PT2_iSB_SB_ ; -- Begin function _Z39paged_attention_ll4mi_QKV_mfma16_kernelIDF16_DF16_LN4vllm18Fp8KVCacheDataTypeE0EhLi32ELi64ELi256ELb1ELi10EEvPKT_PKT0_S7_ifPKiS9_S9_iPKfiiiPfSC_PS2_PT2_iSB_SB_
	.globl	_Z39paged_attention_ll4mi_QKV_mfma16_kernelIDF16_DF16_LN4vllm18Fp8KVCacheDataTypeE0EhLi32ELi64ELi256ELb1ELi10EEvPKT_PKT0_S7_ifPKiS9_S9_iPKfiiiPfSC_PS2_PT2_iSB_SB_
	.p2align	8
	.type	_Z39paged_attention_ll4mi_QKV_mfma16_kernelIDF16_DF16_LN4vllm18Fp8KVCacheDataTypeE0EhLi32ELi64ELi256ELb1ELi10EEvPKT_PKT0_S7_ifPKiS9_S9_iPKfiiiPfSC_PS2_PT2_iSB_SB_,@function
_Z39paged_attention_ll4mi_QKV_mfma16_kernelIDF16_DF16_LN4vllm18Fp8KVCacheDataTypeE0EhLi32ELi64ELi256ELb1ELi10EEvPKT_PKT0_S7_ifPKiS9_S9_iPKfiiiPfSC_PS2_PT2_iSB_SB_: ; @_Z39paged_attention_ll4mi_QKV_mfma16_kernelIDF16_DF16_LN4vllm18Fp8KVCacheDataTypeE0EhLi32ELi64ELi256ELb1ELi10EEvPKT_PKT0_S7_ifPKiS9_S9_iPKfiiiPfSC_PS2_PT2_iSB_SB_
; %bb.0:
	s_get_pc_i64 s[2:3]
	s_add_nc_u64 s[2:3], s[2:3], __PRETTY_FUNCTION__._Z39paged_attention_ll4mi_QKV_mfma16_kernelIDF16_DF16_LN4vllm18Fp8KVCacheDataTypeE0EhLi32ELi64ELi256ELb1ELi10EEvPKT_PKT0_S7_ifPKiS9_S9_iPKfiiiPfSC_PS2_PT2_iSB_SB_@rel64+4
	s_delay_alu instid0(SALU_CYCLE_1)
	v_dual_mov_b32 v0, 0xbb3 :: v_dual_mov_b32 v1, s2
	v_mov_b32_e32 v2, s3
	s_add_nc_u64 s[8:9], s[0:1], 0x90
	s_get_pc_i64 s[0:1]
	s_add_nc_u64 s[0:1], s[0:1], __assert_fail@rel64+4
	s_mov_b32 s32, 0
	s_swap_pc_i64 s[30:31], s[0:1]
	.section	.rodata,"a",@progbits
	.p2align	6, 0x0
	.amdhsa_kernel _Z39paged_attention_ll4mi_QKV_mfma16_kernelIDF16_DF16_LN4vllm18Fp8KVCacheDataTypeE0EhLi32ELi64ELi256ELb1ELi10EEvPKT_PKT0_S7_ifPKiS9_S9_iPKfiiiPfSC_PS2_PT2_iSB_SB_
		.amdhsa_group_segment_fixed_size 0
		.amdhsa_private_segment_fixed_size 64
		.amdhsa_kernarg_size 400
		.amdhsa_user_sgpr_count 2
		.amdhsa_user_sgpr_dispatch_ptr 0
		.amdhsa_user_sgpr_queue_ptr 0
		.amdhsa_user_sgpr_kernarg_segment_ptr 1
		.amdhsa_user_sgpr_dispatch_id 0
		.amdhsa_user_sgpr_kernarg_preload_length 0
		.amdhsa_user_sgpr_kernarg_preload_offset 0
		.amdhsa_user_sgpr_private_segment_size 0
		.amdhsa_wavefront_size32 1
		.amdhsa_uses_dynamic_stack 0
		.amdhsa_enable_private_segment 1
		.amdhsa_system_sgpr_workgroup_id_x 1
		.amdhsa_system_sgpr_workgroup_id_y 0
		.amdhsa_system_sgpr_workgroup_id_z 0
		.amdhsa_system_sgpr_workgroup_info 0
		.amdhsa_system_vgpr_workitem_id 0
		.amdhsa_next_free_vgpr 51
		.amdhsa_next_free_sgpr 34
		.amdhsa_named_barrier_count 0
		.amdhsa_reserve_vcc 1
		.amdhsa_float_round_mode_32 0
		.amdhsa_float_round_mode_16_64 0
		.amdhsa_float_denorm_mode_32 3
		.amdhsa_float_denorm_mode_16_64 3
		.amdhsa_fp16_overflow 0
		.amdhsa_memory_ordered 1
		.amdhsa_forward_progress 1
		.amdhsa_inst_pref_size 1
		.amdhsa_round_robin_scheduling 0
		.amdhsa_exception_fp_ieee_invalid_op 0
		.amdhsa_exception_fp_denorm_src 0
		.amdhsa_exception_fp_ieee_div_zero 0
		.amdhsa_exception_fp_ieee_overflow 0
		.amdhsa_exception_fp_ieee_underflow 0
		.amdhsa_exception_fp_ieee_inexact 0
		.amdhsa_exception_int_div_zero 0
	.end_amdhsa_kernel
	.section	.text._Z39paged_attention_ll4mi_QKV_mfma16_kernelIDF16_DF16_LN4vllm18Fp8KVCacheDataTypeE0EhLi32ELi64ELi256ELb1ELi10EEvPKT_PKT0_S7_ifPKiS9_S9_iPKfiiiPfSC_PS2_PT2_iSB_SB_,"axG",@progbits,_Z39paged_attention_ll4mi_QKV_mfma16_kernelIDF16_DF16_LN4vllm18Fp8KVCacheDataTypeE0EhLi32ELi64ELi256ELb1ELi10EEvPKT_PKT0_S7_ifPKiS9_S9_iPKfiiiPfSC_PS2_PT2_iSB_SB_,comdat
.Lfunc_end123:
	.size	_Z39paged_attention_ll4mi_QKV_mfma16_kernelIDF16_DF16_LN4vllm18Fp8KVCacheDataTypeE0EhLi32ELi64ELi256ELb1ELi10EEvPKT_PKT0_S7_ifPKiS9_S9_iPKfiiiPfSC_PS2_PT2_iSB_SB_, .Lfunc_end123-_Z39paged_attention_ll4mi_QKV_mfma16_kernelIDF16_DF16_LN4vllm18Fp8KVCacheDataTypeE0EhLi32ELi64ELi256ELb1ELi10EEvPKT_PKT0_S7_ifPKiS9_S9_iPKfiiiPfSC_PS2_PT2_iSB_SB_
                                        ; -- End function
	.set _Z39paged_attention_ll4mi_QKV_mfma16_kernelIDF16_DF16_LN4vllm18Fp8KVCacheDataTypeE0EhLi32ELi64ELi256ELb1ELi10EEvPKT_PKT0_S7_ifPKiS9_S9_iPKfiiiPfSC_PS2_PT2_iSB_SB_.num_vgpr, max(3, .L__assert_fail.num_vgpr)
	.set _Z39paged_attention_ll4mi_QKV_mfma16_kernelIDF16_DF16_LN4vllm18Fp8KVCacheDataTypeE0EhLi32ELi64ELi256ELb1ELi10EEvPKT_PKT0_S7_ifPKiS9_S9_iPKfiiiPfSC_PS2_PT2_iSB_SB_.num_agpr, max(0, .L__assert_fail.num_agpr)
	.set _Z39paged_attention_ll4mi_QKV_mfma16_kernelIDF16_DF16_LN4vllm18Fp8KVCacheDataTypeE0EhLi32ELi64ELi256ELb1ELi10EEvPKT_PKT0_S7_ifPKiS9_S9_iPKfiiiPfSC_PS2_PT2_iSB_SB_.numbered_sgpr, max(33, .L__assert_fail.numbered_sgpr)
	.set _Z39paged_attention_ll4mi_QKV_mfma16_kernelIDF16_DF16_LN4vllm18Fp8KVCacheDataTypeE0EhLi32ELi64ELi256ELb1ELi10EEvPKT_PKT0_S7_ifPKiS9_S9_iPKfiiiPfSC_PS2_PT2_iSB_SB_.num_named_barrier, max(0, .L__assert_fail.num_named_barrier)
	.set _Z39paged_attention_ll4mi_QKV_mfma16_kernelIDF16_DF16_LN4vllm18Fp8KVCacheDataTypeE0EhLi32ELi64ELi256ELb1ELi10EEvPKT_PKT0_S7_ifPKiS9_S9_iPKfiiiPfSC_PS2_PT2_iSB_SB_.private_seg_size, 0+max(.L__assert_fail.private_seg_size)
	.set _Z39paged_attention_ll4mi_QKV_mfma16_kernelIDF16_DF16_LN4vllm18Fp8KVCacheDataTypeE0EhLi32ELi64ELi256ELb1ELi10EEvPKT_PKT0_S7_ifPKiS9_S9_iPKfiiiPfSC_PS2_PT2_iSB_SB_.uses_vcc, or(1, .L__assert_fail.uses_vcc)
	.set _Z39paged_attention_ll4mi_QKV_mfma16_kernelIDF16_DF16_LN4vllm18Fp8KVCacheDataTypeE0EhLi32ELi64ELi256ELb1ELi10EEvPKT_PKT0_S7_ifPKiS9_S9_iPKfiiiPfSC_PS2_PT2_iSB_SB_.uses_flat_scratch, or(0, .L__assert_fail.uses_flat_scratch)
	.set _Z39paged_attention_ll4mi_QKV_mfma16_kernelIDF16_DF16_LN4vllm18Fp8KVCacheDataTypeE0EhLi32ELi64ELi256ELb1ELi10EEvPKT_PKT0_S7_ifPKiS9_S9_iPKfiiiPfSC_PS2_PT2_iSB_SB_.has_dyn_sized_stack, or(0, .L__assert_fail.has_dyn_sized_stack)
	.set _Z39paged_attention_ll4mi_QKV_mfma16_kernelIDF16_DF16_LN4vllm18Fp8KVCacheDataTypeE0EhLi32ELi64ELi256ELb1ELi10EEvPKT_PKT0_S7_ifPKiS9_S9_iPKfiiiPfSC_PS2_PT2_iSB_SB_.has_recursion, or(0, .L__assert_fail.has_recursion)
	.set _Z39paged_attention_ll4mi_QKV_mfma16_kernelIDF16_DF16_LN4vllm18Fp8KVCacheDataTypeE0EhLi32ELi64ELi256ELb1ELi10EEvPKT_PKT0_S7_ifPKiS9_S9_iPKfiiiPfSC_PS2_PT2_iSB_SB_.has_indirect_call, or(0, .L__assert_fail.has_indirect_call)
	.section	.AMDGPU.csdata,"",@progbits
; Kernel info:
; codeLenInByte = 68
; TotalNumSgprs: 36
; NumVgprs: 51
; ScratchSize: 64
; MemoryBound: 0
; FloatMode: 240
; IeeeMode: 1
; LDSByteSize: 0 bytes/workgroup (compile time only)
; SGPRBlocks: 0
; VGPRBlocks: 3
; NumSGPRsForWavesPerEU: 36
; NumVGPRsForWavesPerEU: 51
; NamedBarCnt: 0
; Occupancy: 16
; WaveLimiterHint : 1
; COMPUTE_PGM_RSRC2:SCRATCH_EN: 1
; COMPUTE_PGM_RSRC2:USER_SGPR: 2
; COMPUTE_PGM_RSRC2:TRAP_HANDLER: 0
; COMPUTE_PGM_RSRC2:TGID_X_EN: 1
; COMPUTE_PGM_RSRC2:TGID_Y_EN: 0
; COMPUTE_PGM_RSRC2:TGID_Z_EN: 0
; COMPUTE_PGM_RSRC2:TIDIG_COMP_CNT: 0
	.section	.text._Z39paged_attention_ll4mi_QKV_mfma16_kernelIDF16_DF16_LN4vllm18Fp8KVCacheDataTypeE0EhLi32ELi64ELi256ELb1ELi11EEvPKT_PKT0_S7_ifPKiS9_S9_iPKfiiiPfSC_PS2_PT2_iSB_SB_,"axG",@progbits,_Z39paged_attention_ll4mi_QKV_mfma16_kernelIDF16_DF16_LN4vllm18Fp8KVCacheDataTypeE0EhLi32ELi64ELi256ELb1ELi11EEvPKT_PKT0_S7_ifPKiS9_S9_iPKfiiiPfSC_PS2_PT2_iSB_SB_,comdat
	.protected	_Z39paged_attention_ll4mi_QKV_mfma16_kernelIDF16_DF16_LN4vllm18Fp8KVCacheDataTypeE0EhLi32ELi64ELi256ELb1ELi11EEvPKT_PKT0_S7_ifPKiS9_S9_iPKfiiiPfSC_PS2_PT2_iSB_SB_ ; -- Begin function _Z39paged_attention_ll4mi_QKV_mfma16_kernelIDF16_DF16_LN4vllm18Fp8KVCacheDataTypeE0EhLi32ELi64ELi256ELb1ELi11EEvPKT_PKT0_S7_ifPKiS9_S9_iPKfiiiPfSC_PS2_PT2_iSB_SB_
	.globl	_Z39paged_attention_ll4mi_QKV_mfma16_kernelIDF16_DF16_LN4vllm18Fp8KVCacheDataTypeE0EhLi32ELi64ELi256ELb1ELi11EEvPKT_PKT0_S7_ifPKiS9_S9_iPKfiiiPfSC_PS2_PT2_iSB_SB_
	.p2align	8
	.type	_Z39paged_attention_ll4mi_QKV_mfma16_kernelIDF16_DF16_LN4vllm18Fp8KVCacheDataTypeE0EhLi32ELi64ELi256ELb1ELi11EEvPKT_PKT0_S7_ifPKiS9_S9_iPKfiiiPfSC_PS2_PT2_iSB_SB_,@function
_Z39paged_attention_ll4mi_QKV_mfma16_kernelIDF16_DF16_LN4vllm18Fp8KVCacheDataTypeE0EhLi32ELi64ELi256ELb1ELi11EEvPKT_PKT0_S7_ifPKiS9_S9_iPKfiiiPfSC_PS2_PT2_iSB_SB_: ; @_Z39paged_attention_ll4mi_QKV_mfma16_kernelIDF16_DF16_LN4vllm18Fp8KVCacheDataTypeE0EhLi32ELi64ELi256ELb1ELi11EEvPKT_PKT0_S7_ifPKiS9_S9_iPKfiiiPfSC_PS2_PT2_iSB_SB_
; %bb.0:
	s_get_pc_i64 s[2:3]
	s_add_nc_u64 s[2:3], s[2:3], __PRETTY_FUNCTION__._Z39paged_attention_ll4mi_QKV_mfma16_kernelIDF16_DF16_LN4vllm18Fp8KVCacheDataTypeE0EhLi32ELi64ELi256ELb1ELi11EEvPKT_PKT0_S7_ifPKiS9_S9_iPKfiiiPfSC_PS2_PT2_iSB_SB_@rel64+4
	s_delay_alu instid0(SALU_CYCLE_1)
	v_dual_mov_b32 v0, 0xbb3 :: v_dual_mov_b32 v1, s2
	v_mov_b32_e32 v2, s3
	s_add_nc_u64 s[8:9], s[0:1], 0x90
	s_get_pc_i64 s[0:1]
	s_add_nc_u64 s[0:1], s[0:1], __assert_fail@rel64+4
	s_mov_b32 s32, 0
	s_swap_pc_i64 s[30:31], s[0:1]
	.section	.rodata,"a",@progbits
	.p2align	6, 0x0
	.amdhsa_kernel _Z39paged_attention_ll4mi_QKV_mfma16_kernelIDF16_DF16_LN4vllm18Fp8KVCacheDataTypeE0EhLi32ELi64ELi256ELb1ELi11EEvPKT_PKT0_S7_ifPKiS9_S9_iPKfiiiPfSC_PS2_PT2_iSB_SB_
		.amdhsa_group_segment_fixed_size 0
		.amdhsa_private_segment_fixed_size 64
		.amdhsa_kernarg_size 400
		.amdhsa_user_sgpr_count 2
		.amdhsa_user_sgpr_dispatch_ptr 0
		.amdhsa_user_sgpr_queue_ptr 0
		.amdhsa_user_sgpr_kernarg_segment_ptr 1
		.amdhsa_user_sgpr_dispatch_id 0
		.amdhsa_user_sgpr_kernarg_preload_length 0
		.amdhsa_user_sgpr_kernarg_preload_offset 0
		.amdhsa_user_sgpr_private_segment_size 0
		.amdhsa_wavefront_size32 1
		.amdhsa_uses_dynamic_stack 0
		.amdhsa_enable_private_segment 1
		.amdhsa_system_sgpr_workgroup_id_x 1
		.amdhsa_system_sgpr_workgroup_id_y 0
		.amdhsa_system_sgpr_workgroup_id_z 0
		.amdhsa_system_sgpr_workgroup_info 0
		.amdhsa_system_vgpr_workitem_id 0
		.amdhsa_next_free_vgpr 51
		.amdhsa_next_free_sgpr 34
		.amdhsa_named_barrier_count 0
		.amdhsa_reserve_vcc 1
		.amdhsa_float_round_mode_32 0
		.amdhsa_float_round_mode_16_64 0
		.amdhsa_float_denorm_mode_32 3
		.amdhsa_float_denorm_mode_16_64 3
		.amdhsa_fp16_overflow 0
		.amdhsa_memory_ordered 1
		.amdhsa_forward_progress 1
		.amdhsa_inst_pref_size 1
		.amdhsa_round_robin_scheduling 0
		.amdhsa_exception_fp_ieee_invalid_op 0
		.amdhsa_exception_fp_denorm_src 0
		.amdhsa_exception_fp_ieee_div_zero 0
		.amdhsa_exception_fp_ieee_overflow 0
		.amdhsa_exception_fp_ieee_underflow 0
		.amdhsa_exception_fp_ieee_inexact 0
		.amdhsa_exception_int_div_zero 0
	.end_amdhsa_kernel
	.section	.text._Z39paged_attention_ll4mi_QKV_mfma16_kernelIDF16_DF16_LN4vllm18Fp8KVCacheDataTypeE0EhLi32ELi64ELi256ELb1ELi11EEvPKT_PKT0_S7_ifPKiS9_S9_iPKfiiiPfSC_PS2_PT2_iSB_SB_,"axG",@progbits,_Z39paged_attention_ll4mi_QKV_mfma16_kernelIDF16_DF16_LN4vllm18Fp8KVCacheDataTypeE0EhLi32ELi64ELi256ELb1ELi11EEvPKT_PKT0_S7_ifPKiS9_S9_iPKfiiiPfSC_PS2_PT2_iSB_SB_,comdat
.Lfunc_end124:
	.size	_Z39paged_attention_ll4mi_QKV_mfma16_kernelIDF16_DF16_LN4vllm18Fp8KVCacheDataTypeE0EhLi32ELi64ELi256ELb1ELi11EEvPKT_PKT0_S7_ifPKiS9_S9_iPKfiiiPfSC_PS2_PT2_iSB_SB_, .Lfunc_end124-_Z39paged_attention_ll4mi_QKV_mfma16_kernelIDF16_DF16_LN4vllm18Fp8KVCacheDataTypeE0EhLi32ELi64ELi256ELb1ELi11EEvPKT_PKT0_S7_ifPKiS9_S9_iPKfiiiPfSC_PS2_PT2_iSB_SB_
                                        ; -- End function
	.set _Z39paged_attention_ll4mi_QKV_mfma16_kernelIDF16_DF16_LN4vllm18Fp8KVCacheDataTypeE0EhLi32ELi64ELi256ELb1ELi11EEvPKT_PKT0_S7_ifPKiS9_S9_iPKfiiiPfSC_PS2_PT2_iSB_SB_.num_vgpr, max(3, .L__assert_fail.num_vgpr)
	.set _Z39paged_attention_ll4mi_QKV_mfma16_kernelIDF16_DF16_LN4vllm18Fp8KVCacheDataTypeE0EhLi32ELi64ELi256ELb1ELi11EEvPKT_PKT0_S7_ifPKiS9_S9_iPKfiiiPfSC_PS2_PT2_iSB_SB_.num_agpr, max(0, .L__assert_fail.num_agpr)
	.set _Z39paged_attention_ll4mi_QKV_mfma16_kernelIDF16_DF16_LN4vllm18Fp8KVCacheDataTypeE0EhLi32ELi64ELi256ELb1ELi11EEvPKT_PKT0_S7_ifPKiS9_S9_iPKfiiiPfSC_PS2_PT2_iSB_SB_.numbered_sgpr, max(33, .L__assert_fail.numbered_sgpr)
	.set _Z39paged_attention_ll4mi_QKV_mfma16_kernelIDF16_DF16_LN4vllm18Fp8KVCacheDataTypeE0EhLi32ELi64ELi256ELb1ELi11EEvPKT_PKT0_S7_ifPKiS9_S9_iPKfiiiPfSC_PS2_PT2_iSB_SB_.num_named_barrier, max(0, .L__assert_fail.num_named_barrier)
	.set _Z39paged_attention_ll4mi_QKV_mfma16_kernelIDF16_DF16_LN4vllm18Fp8KVCacheDataTypeE0EhLi32ELi64ELi256ELb1ELi11EEvPKT_PKT0_S7_ifPKiS9_S9_iPKfiiiPfSC_PS2_PT2_iSB_SB_.private_seg_size, 0+max(.L__assert_fail.private_seg_size)
	.set _Z39paged_attention_ll4mi_QKV_mfma16_kernelIDF16_DF16_LN4vllm18Fp8KVCacheDataTypeE0EhLi32ELi64ELi256ELb1ELi11EEvPKT_PKT0_S7_ifPKiS9_S9_iPKfiiiPfSC_PS2_PT2_iSB_SB_.uses_vcc, or(1, .L__assert_fail.uses_vcc)
	.set _Z39paged_attention_ll4mi_QKV_mfma16_kernelIDF16_DF16_LN4vllm18Fp8KVCacheDataTypeE0EhLi32ELi64ELi256ELb1ELi11EEvPKT_PKT0_S7_ifPKiS9_S9_iPKfiiiPfSC_PS2_PT2_iSB_SB_.uses_flat_scratch, or(0, .L__assert_fail.uses_flat_scratch)
	.set _Z39paged_attention_ll4mi_QKV_mfma16_kernelIDF16_DF16_LN4vllm18Fp8KVCacheDataTypeE0EhLi32ELi64ELi256ELb1ELi11EEvPKT_PKT0_S7_ifPKiS9_S9_iPKfiiiPfSC_PS2_PT2_iSB_SB_.has_dyn_sized_stack, or(0, .L__assert_fail.has_dyn_sized_stack)
	.set _Z39paged_attention_ll4mi_QKV_mfma16_kernelIDF16_DF16_LN4vllm18Fp8KVCacheDataTypeE0EhLi32ELi64ELi256ELb1ELi11EEvPKT_PKT0_S7_ifPKiS9_S9_iPKfiiiPfSC_PS2_PT2_iSB_SB_.has_recursion, or(0, .L__assert_fail.has_recursion)
	.set _Z39paged_attention_ll4mi_QKV_mfma16_kernelIDF16_DF16_LN4vllm18Fp8KVCacheDataTypeE0EhLi32ELi64ELi256ELb1ELi11EEvPKT_PKT0_S7_ifPKiS9_S9_iPKfiiiPfSC_PS2_PT2_iSB_SB_.has_indirect_call, or(0, .L__assert_fail.has_indirect_call)
	.section	.AMDGPU.csdata,"",@progbits
; Kernel info:
; codeLenInByte = 68
; TotalNumSgprs: 36
; NumVgprs: 51
; ScratchSize: 64
; MemoryBound: 0
; FloatMode: 240
; IeeeMode: 1
; LDSByteSize: 0 bytes/workgroup (compile time only)
; SGPRBlocks: 0
; VGPRBlocks: 3
; NumSGPRsForWavesPerEU: 36
; NumVGPRsForWavesPerEU: 51
; NamedBarCnt: 0
; Occupancy: 16
; WaveLimiterHint : 1
; COMPUTE_PGM_RSRC2:SCRATCH_EN: 1
; COMPUTE_PGM_RSRC2:USER_SGPR: 2
; COMPUTE_PGM_RSRC2:TRAP_HANDLER: 0
; COMPUTE_PGM_RSRC2:TGID_X_EN: 1
; COMPUTE_PGM_RSRC2:TGID_Y_EN: 0
; COMPUTE_PGM_RSRC2:TGID_Z_EN: 0
; COMPUTE_PGM_RSRC2:TIDIG_COMP_CNT: 0
	.section	.text._Z39paged_attention_ll4mi_QKV_mfma16_kernelIDF16_DF16_LN4vllm18Fp8KVCacheDataTypeE0EhLi32ELi64ELi256ELb1ELi12EEvPKT_PKT0_S7_ifPKiS9_S9_iPKfiiiPfSC_PS2_PT2_iSB_SB_,"axG",@progbits,_Z39paged_attention_ll4mi_QKV_mfma16_kernelIDF16_DF16_LN4vllm18Fp8KVCacheDataTypeE0EhLi32ELi64ELi256ELb1ELi12EEvPKT_PKT0_S7_ifPKiS9_S9_iPKfiiiPfSC_PS2_PT2_iSB_SB_,comdat
	.protected	_Z39paged_attention_ll4mi_QKV_mfma16_kernelIDF16_DF16_LN4vllm18Fp8KVCacheDataTypeE0EhLi32ELi64ELi256ELb1ELi12EEvPKT_PKT0_S7_ifPKiS9_S9_iPKfiiiPfSC_PS2_PT2_iSB_SB_ ; -- Begin function _Z39paged_attention_ll4mi_QKV_mfma16_kernelIDF16_DF16_LN4vllm18Fp8KVCacheDataTypeE0EhLi32ELi64ELi256ELb1ELi12EEvPKT_PKT0_S7_ifPKiS9_S9_iPKfiiiPfSC_PS2_PT2_iSB_SB_
	.globl	_Z39paged_attention_ll4mi_QKV_mfma16_kernelIDF16_DF16_LN4vllm18Fp8KVCacheDataTypeE0EhLi32ELi64ELi256ELb1ELi12EEvPKT_PKT0_S7_ifPKiS9_S9_iPKfiiiPfSC_PS2_PT2_iSB_SB_
	.p2align	8
	.type	_Z39paged_attention_ll4mi_QKV_mfma16_kernelIDF16_DF16_LN4vllm18Fp8KVCacheDataTypeE0EhLi32ELi64ELi256ELb1ELi12EEvPKT_PKT0_S7_ifPKiS9_S9_iPKfiiiPfSC_PS2_PT2_iSB_SB_,@function
_Z39paged_attention_ll4mi_QKV_mfma16_kernelIDF16_DF16_LN4vllm18Fp8KVCacheDataTypeE0EhLi32ELi64ELi256ELb1ELi12EEvPKT_PKT0_S7_ifPKiS9_S9_iPKfiiiPfSC_PS2_PT2_iSB_SB_: ; @_Z39paged_attention_ll4mi_QKV_mfma16_kernelIDF16_DF16_LN4vllm18Fp8KVCacheDataTypeE0EhLi32ELi64ELi256ELb1ELi12EEvPKT_PKT0_S7_ifPKiS9_S9_iPKfiiiPfSC_PS2_PT2_iSB_SB_
; %bb.0:
	s_get_pc_i64 s[2:3]
	s_add_nc_u64 s[2:3], s[2:3], __PRETTY_FUNCTION__._Z39paged_attention_ll4mi_QKV_mfma16_kernelIDF16_DF16_LN4vllm18Fp8KVCacheDataTypeE0EhLi32ELi64ELi256ELb1ELi12EEvPKT_PKT0_S7_ifPKiS9_S9_iPKfiiiPfSC_PS2_PT2_iSB_SB_@rel64+4
	s_delay_alu instid0(SALU_CYCLE_1)
	v_dual_mov_b32 v0, 0xbb3 :: v_dual_mov_b32 v1, s2
	v_mov_b32_e32 v2, s3
	s_add_nc_u64 s[8:9], s[0:1], 0x90
	s_get_pc_i64 s[0:1]
	s_add_nc_u64 s[0:1], s[0:1], __assert_fail@rel64+4
	s_mov_b32 s32, 0
	s_swap_pc_i64 s[30:31], s[0:1]
	.section	.rodata,"a",@progbits
	.p2align	6, 0x0
	.amdhsa_kernel _Z39paged_attention_ll4mi_QKV_mfma16_kernelIDF16_DF16_LN4vllm18Fp8KVCacheDataTypeE0EhLi32ELi64ELi256ELb1ELi12EEvPKT_PKT0_S7_ifPKiS9_S9_iPKfiiiPfSC_PS2_PT2_iSB_SB_
		.amdhsa_group_segment_fixed_size 0
		.amdhsa_private_segment_fixed_size 64
		.amdhsa_kernarg_size 400
		.amdhsa_user_sgpr_count 2
		.amdhsa_user_sgpr_dispatch_ptr 0
		.amdhsa_user_sgpr_queue_ptr 0
		.amdhsa_user_sgpr_kernarg_segment_ptr 1
		.amdhsa_user_sgpr_dispatch_id 0
		.amdhsa_user_sgpr_kernarg_preload_length 0
		.amdhsa_user_sgpr_kernarg_preload_offset 0
		.amdhsa_user_sgpr_private_segment_size 0
		.amdhsa_wavefront_size32 1
		.amdhsa_uses_dynamic_stack 0
		.amdhsa_enable_private_segment 1
		.amdhsa_system_sgpr_workgroup_id_x 1
		.amdhsa_system_sgpr_workgroup_id_y 0
		.amdhsa_system_sgpr_workgroup_id_z 0
		.amdhsa_system_sgpr_workgroup_info 0
		.amdhsa_system_vgpr_workitem_id 0
		.amdhsa_next_free_vgpr 51
		.amdhsa_next_free_sgpr 34
		.amdhsa_named_barrier_count 0
		.amdhsa_reserve_vcc 1
		.amdhsa_float_round_mode_32 0
		.amdhsa_float_round_mode_16_64 0
		.amdhsa_float_denorm_mode_32 3
		.amdhsa_float_denorm_mode_16_64 3
		.amdhsa_fp16_overflow 0
		.amdhsa_memory_ordered 1
		.amdhsa_forward_progress 1
		.amdhsa_inst_pref_size 1
		.amdhsa_round_robin_scheduling 0
		.amdhsa_exception_fp_ieee_invalid_op 0
		.amdhsa_exception_fp_denorm_src 0
		.amdhsa_exception_fp_ieee_div_zero 0
		.amdhsa_exception_fp_ieee_overflow 0
		.amdhsa_exception_fp_ieee_underflow 0
		.amdhsa_exception_fp_ieee_inexact 0
		.amdhsa_exception_int_div_zero 0
	.end_amdhsa_kernel
	.section	.text._Z39paged_attention_ll4mi_QKV_mfma16_kernelIDF16_DF16_LN4vllm18Fp8KVCacheDataTypeE0EhLi32ELi64ELi256ELb1ELi12EEvPKT_PKT0_S7_ifPKiS9_S9_iPKfiiiPfSC_PS2_PT2_iSB_SB_,"axG",@progbits,_Z39paged_attention_ll4mi_QKV_mfma16_kernelIDF16_DF16_LN4vllm18Fp8KVCacheDataTypeE0EhLi32ELi64ELi256ELb1ELi12EEvPKT_PKT0_S7_ifPKiS9_S9_iPKfiiiPfSC_PS2_PT2_iSB_SB_,comdat
.Lfunc_end125:
	.size	_Z39paged_attention_ll4mi_QKV_mfma16_kernelIDF16_DF16_LN4vllm18Fp8KVCacheDataTypeE0EhLi32ELi64ELi256ELb1ELi12EEvPKT_PKT0_S7_ifPKiS9_S9_iPKfiiiPfSC_PS2_PT2_iSB_SB_, .Lfunc_end125-_Z39paged_attention_ll4mi_QKV_mfma16_kernelIDF16_DF16_LN4vllm18Fp8KVCacheDataTypeE0EhLi32ELi64ELi256ELb1ELi12EEvPKT_PKT0_S7_ifPKiS9_S9_iPKfiiiPfSC_PS2_PT2_iSB_SB_
                                        ; -- End function
	.set _Z39paged_attention_ll4mi_QKV_mfma16_kernelIDF16_DF16_LN4vllm18Fp8KVCacheDataTypeE0EhLi32ELi64ELi256ELb1ELi12EEvPKT_PKT0_S7_ifPKiS9_S9_iPKfiiiPfSC_PS2_PT2_iSB_SB_.num_vgpr, max(3, .L__assert_fail.num_vgpr)
	.set _Z39paged_attention_ll4mi_QKV_mfma16_kernelIDF16_DF16_LN4vllm18Fp8KVCacheDataTypeE0EhLi32ELi64ELi256ELb1ELi12EEvPKT_PKT0_S7_ifPKiS9_S9_iPKfiiiPfSC_PS2_PT2_iSB_SB_.num_agpr, max(0, .L__assert_fail.num_agpr)
	.set _Z39paged_attention_ll4mi_QKV_mfma16_kernelIDF16_DF16_LN4vllm18Fp8KVCacheDataTypeE0EhLi32ELi64ELi256ELb1ELi12EEvPKT_PKT0_S7_ifPKiS9_S9_iPKfiiiPfSC_PS2_PT2_iSB_SB_.numbered_sgpr, max(33, .L__assert_fail.numbered_sgpr)
	.set _Z39paged_attention_ll4mi_QKV_mfma16_kernelIDF16_DF16_LN4vllm18Fp8KVCacheDataTypeE0EhLi32ELi64ELi256ELb1ELi12EEvPKT_PKT0_S7_ifPKiS9_S9_iPKfiiiPfSC_PS2_PT2_iSB_SB_.num_named_barrier, max(0, .L__assert_fail.num_named_barrier)
	.set _Z39paged_attention_ll4mi_QKV_mfma16_kernelIDF16_DF16_LN4vllm18Fp8KVCacheDataTypeE0EhLi32ELi64ELi256ELb1ELi12EEvPKT_PKT0_S7_ifPKiS9_S9_iPKfiiiPfSC_PS2_PT2_iSB_SB_.private_seg_size, 0+max(.L__assert_fail.private_seg_size)
	.set _Z39paged_attention_ll4mi_QKV_mfma16_kernelIDF16_DF16_LN4vllm18Fp8KVCacheDataTypeE0EhLi32ELi64ELi256ELb1ELi12EEvPKT_PKT0_S7_ifPKiS9_S9_iPKfiiiPfSC_PS2_PT2_iSB_SB_.uses_vcc, or(1, .L__assert_fail.uses_vcc)
	.set _Z39paged_attention_ll4mi_QKV_mfma16_kernelIDF16_DF16_LN4vllm18Fp8KVCacheDataTypeE0EhLi32ELi64ELi256ELb1ELi12EEvPKT_PKT0_S7_ifPKiS9_S9_iPKfiiiPfSC_PS2_PT2_iSB_SB_.uses_flat_scratch, or(0, .L__assert_fail.uses_flat_scratch)
	.set _Z39paged_attention_ll4mi_QKV_mfma16_kernelIDF16_DF16_LN4vllm18Fp8KVCacheDataTypeE0EhLi32ELi64ELi256ELb1ELi12EEvPKT_PKT0_S7_ifPKiS9_S9_iPKfiiiPfSC_PS2_PT2_iSB_SB_.has_dyn_sized_stack, or(0, .L__assert_fail.has_dyn_sized_stack)
	.set _Z39paged_attention_ll4mi_QKV_mfma16_kernelIDF16_DF16_LN4vllm18Fp8KVCacheDataTypeE0EhLi32ELi64ELi256ELb1ELi12EEvPKT_PKT0_S7_ifPKiS9_S9_iPKfiiiPfSC_PS2_PT2_iSB_SB_.has_recursion, or(0, .L__assert_fail.has_recursion)
	.set _Z39paged_attention_ll4mi_QKV_mfma16_kernelIDF16_DF16_LN4vllm18Fp8KVCacheDataTypeE0EhLi32ELi64ELi256ELb1ELi12EEvPKT_PKT0_S7_ifPKiS9_S9_iPKfiiiPfSC_PS2_PT2_iSB_SB_.has_indirect_call, or(0, .L__assert_fail.has_indirect_call)
	.section	.AMDGPU.csdata,"",@progbits
; Kernel info:
; codeLenInByte = 68
; TotalNumSgprs: 36
; NumVgprs: 51
; ScratchSize: 64
; MemoryBound: 0
; FloatMode: 240
; IeeeMode: 1
; LDSByteSize: 0 bytes/workgroup (compile time only)
; SGPRBlocks: 0
; VGPRBlocks: 3
; NumSGPRsForWavesPerEU: 36
; NumVGPRsForWavesPerEU: 51
; NamedBarCnt: 0
; Occupancy: 16
; WaveLimiterHint : 1
; COMPUTE_PGM_RSRC2:SCRATCH_EN: 1
; COMPUTE_PGM_RSRC2:USER_SGPR: 2
; COMPUTE_PGM_RSRC2:TRAP_HANDLER: 0
; COMPUTE_PGM_RSRC2:TGID_X_EN: 1
; COMPUTE_PGM_RSRC2:TGID_Y_EN: 0
; COMPUTE_PGM_RSRC2:TGID_Z_EN: 0
; COMPUTE_PGM_RSRC2:TIDIG_COMP_CNT: 0
	.section	.text._Z39paged_attention_ll4mi_QKV_mfma16_kernelIDF16_DF16_LN4vllm18Fp8KVCacheDataTypeE0EhLi32ELi64ELi256ELb1ELi13EEvPKT_PKT0_S7_ifPKiS9_S9_iPKfiiiPfSC_PS2_PT2_iSB_SB_,"axG",@progbits,_Z39paged_attention_ll4mi_QKV_mfma16_kernelIDF16_DF16_LN4vllm18Fp8KVCacheDataTypeE0EhLi32ELi64ELi256ELb1ELi13EEvPKT_PKT0_S7_ifPKiS9_S9_iPKfiiiPfSC_PS2_PT2_iSB_SB_,comdat
	.protected	_Z39paged_attention_ll4mi_QKV_mfma16_kernelIDF16_DF16_LN4vllm18Fp8KVCacheDataTypeE0EhLi32ELi64ELi256ELb1ELi13EEvPKT_PKT0_S7_ifPKiS9_S9_iPKfiiiPfSC_PS2_PT2_iSB_SB_ ; -- Begin function _Z39paged_attention_ll4mi_QKV_mfma16_kernelIDF16_DF16_LN4vllm18Fp8KVCacheDataTypeE0EhLi32ELi64ELi256ELb1ELi13EEvPKT_PKT0_S7_ifPKiS9_S9_iPKfiiiPfSC_PS2_PT2_iSB_SB_
	.globl	_Z39paged_attention_ll4mi_QKV_mfma16_kernelIDF16_DF16_LN4vllm18Fp8KVCacheDataTypeE0EhLi32ELi64ELi256ELb1ELi13EEvPKT_PKT0_S7_ifPKiS9_S9_iPKfiiiPfSC_PS2_PT2_iSB_SB_
	.p2align	8
	.type	_Z39paged_attention_ll4mi_QKV_mfma16_kernelIDF16_DF16_LN4vllm18Fp8KVCacheDataTypeE0EhLi32ELi64ELi256ELb1ELi13EEvPKT_PKT0_S7_ifPKiS9_S9_iPKfiiiPfSC_PS2_PT2_iSB_SB_,@function
_Z39paged_attention_ll4mi_QKV_mfma16_kernelIDF16_DF16_LN4vllm18Fp8KVCacheDataTypeE0EhLi32ELi64ELi256ELb1ELi13EEvPKT_PKT0_S7_ifPKiS9_S9_iPKfiiiPfSC_PS2_PT2_iSB_SB_: ; @_Z39paged_attention_ll4mi_QKV_mfma16_kernelIDF16_DF16_LN4vllm18Fp8KVCacheDataTypeE0EhLi32ELi64ELi256ELb1ELi13EEvPKT_PKT0_S7_ifPKiS9_S9_iPKfiiiPfSC_PS2_PT2_iSB_SB_
; %bb.0:
	s_get_pc_i64 s[2:3]
	s_add_nc_u64 s[2:3], s[2:3], __PRETTY_FUNCTION__._Z39paged_attention_ll4mi_QKV_mfma16_kernelIDF16_DF16_LN4vllm18Fp8KVCacheDataTypeE0EhLi32ELi64ELi256ELb1ELi13EEvPKT_PKT0_S7_ifPKiS9_S9_iPKfiiiPfSC_PS2_PT2_iSB_SB_@rel64+4
	s_delay_alu instid0(SALU_CYCLE_1)
	v_dual_mov_b32 v0, 0xbb3 :: v_dual_mov_b32 v1, s2
	v_mov_b32_e32 v2, s3
	s_add_nc_u64 s[8:9], s[0:1], 0x90
	s_get_pc_i64 s[0:1]
	s_add_nc_u64 s[0:1], s[0:1], __assert_fail@rel64+4
	s_mov_b32 s32, 0
	s_swap_pc_i64 s[30:31], s[0:1]
	.section	.rodata,"a",@progbits
	.p2align	6, 0x0
	.amdhsa_kernel _Z39paged_attention_ll4mi_QKV_mfma16_kernelIDF16_DF16_LN4vllm18Fp8KVCacheDataTypeE0EhLi32ELi64ELi256ELb1ELi13EEvPKT_PKT0_S7_ifPKiS9_S9_iPKfiiiPfSC_PS2_PT2_iSB_SB_
		.amdhsa_group_segment_fixed_size 0
		.amdhsa_private_segment_fixed_size 64
		.amdhsa_kernarg_size 400
		.amdhsa_user_sgpr_count 2
		.amdhsa_user_sgpr_dispatch_ptr 0
		.amdhsa_user_sgpr_queue_ptr 0
		.amdhsa_user_sgpr_kernarg_segment_ptr 1
		.amdhsa_user_sgpr_dispatch_id 0
		.amdhsa_user_sgpr_kernarg_preload_length 0
		.amdhsa_user_sgpr_kernarg_preload_offset 0
		.amdhsa_user_sgpr_private_segment_size 0
		.amdhsa_wavefront_size32 1
		.amdhsa_uses_dynamic_stack 0
		.amdhsa_enable_private_segment 1
		.amdhsa_system_sgpr_workgroup_id_x 1
		.amdhsa_system_sgpr_workgroup_id_y 0
		.amdhsa_system_sgpr_workgroup_id_z 0
		.amdhsa_system_sgpr_workgroup_info 0
		.amdhsa_system_vgpr_workitem_id 0
		.amdhsa_next_free_vgpr 51
		.amdhsa_next_free_sgpr 34
		.amdhsa_named_barrier_count 0
		.amdhsa_reserve_vcc 1
		.amdhsa_float_round_mode_32 0
		.amdhsa_float_round_mode_16_64 0
		.amdhsa_float_denorm_mode_32 3
		.amdhsa_float_denorm_mode_16_64 3
		.amdhsa_fp16_overflow 0
		.amdhsa_memory_ordered 1
		.amdhsa_forward_progress 1
		.amdhsa_inst_pref_size 1
		.amdhsa_round_robin_scheduling 0
		.amdhsa_exception_fp_ieee_invalid_op 0
		.amdhsa_exception_fp_denorm_src 0
		.amdhsa_exception_fp_ieee_div_zero 0
		.amdhsa_exception_fp_ieee_overflow 0
		.amdhsa_exception_fp_ieee_underflow 0
		.amdhsa_exception_fp_ieee_inexact 0
		.amdhsa_exception_int_div_zero 0
	.end_amdhsa_kernel
	.section	.text._Z39paged_attention_ll4mi_QKV_mfma16_kernelIDF16_DF16_LN4vllm18Fp8KVCacheDataTypeE0EhLi32ELi64ELi256ELb1ELi13EEvPKT_PKT0_S7_ifPKiS9_S9_iPKfiiiPfSC_PS2_PT2_iSB_SB_,"axG",@progbits,_Z39paged_attention_ll4mi_QKV_mfma16_kernelIDF16_DF16_LN4vllm18Fp8KVCacheDataTypeE0EhLi32ELi64ELi256ELb1ELi13EEvPKT_PKT0_S7_ifPKiS9_S9_iPKfiiiPfSC_PS2_PT2_iSB_SB_,comdat
.Lfunc_end126:
	.size	_Z39paged_attention_ll4mi_QKV_mfma16_kernelIDF16_DF16_LN4vllm18Fp8KVCacheDataTypeE0EhLi32ELi64ELi256ELb1ELi13EEvPKT_PKT0_S7_ifPKiS9_S9_iPKfiiiPfSC_PS2_PT2_iSB_SB_, .Lfunc_end126-_Z39paged_attention_ll4mi_QKV_mfma16_kernelIDF16_DF16_LN4vllm18Fp8KVCacheDataTypeE0EhLi32ELi64ELi256ELb1ELi13EEvPKT_PKT0_S7_ifPKiS9_S9_iPKfiiiPfSC_PS2_PT2_iSB_SB_
                                        ; -- End function
	.set _Z39paged_attention_ll4mi_QKV_mfma16_kernelIDF16_DF16_LN4vllm18Fp8KVCacheDataTypeE0EhLi32ELi64ELi256ELb1ELi13EEvPKT_PKT0_S7_ifPKiS9_S9_iPKfiiiPfSC_PS2_PT2_iSB_SB_.num_vgpr, max(3, .L__assert_fail.num_vgpr)
	.set _Z39paged_attention_ll4mi_QKV_mfma16_kernelIDF16_DF16_LN4vllm18Fp8KVCacheDataTypeE0EhLi32ELi64ELi256ELb1ELi13EEvPKT_PKT0_S7_ifPKiS9_S9_iPKfiiiPfSC_PS2_PT2_iSB_SB_.num_agpr, max(0, .L__assert_fail.num_agpr)
	.set _Z39paged_attention_ll4mi_QKV_mfma16_kernelIDF16_DF16_LN4vllm18Fp8KVCacheDataTypeE0EhLi32ELi64ELi256ELb1ELi13EEvPKT_PKT0_S7_ifPKiS9_S9_iPKfiiiPfSC_PS2_PT2_iSB_SB_.numbered_sgpr, max(33, .L__assert_fail.numbered_sgpr)
	.set _Z39paged_attention_ll4mi_QKV_mfma16_kernelIDF16_DF16_LN4vllm18Fp8KVCacheDataTypeE0EhLi32ELi64ELi256ELb1ELi13EEvPKT_PKT0_S7_ifPKiS9_S9_iPKfiiiPfSC_PS2_PT2_iSB_SB_.num_named_barrier, max(0, .L__assert_fail.num_named_barrier)
	.set _Z39paged_attention_ll4mi_QKV_mfma16_kernelIDF16_DF16_LN4vllm18Fp8KVCacheDataTypeE0EhLi32ELi64ELi256ELb1ELi13EEvPKT_PKT0_S7_ifPKiS9_S9_iPKfiiiPfSC_PS2_PT2_iSB_SB_.private_seg_size, 0+max(.L__assert_fail.private_seg_size)
	.set _Z39paged_attention_ll4mi_QKV_mfma16_kernelIDF16_DF16_LN4vllm18Fp8KVCacheDataTypeE0EhLi32ELi64ELi256ELb1ELi13EEvPKT_PKT0_S7_ifPKiS9_S9_iPKfiiiPfSC_PS2_PT2_iSB_SB_.uses_vcc, or(1, .L__assert_fail.uses_vcc)
	.set _Z39paged_attention_ll4mi_QKV_mfma16_kernelIDF16_DF16_LN4vllm18Fp8KVCacheDataTypeE0EhLi32ELi64ELi256ELb1ELi13EEvPKT_PKT0_S7_ifPKiS9_S9_iPKfiiiPfSC_PS2_PT2_iSB_SB_.uses_flat_scratch, or(0, .L__assert_fail.uses_flat_scratch)
	.set _Z39paged_attention_ll4mi_QKV_mfma16_kernelIDF16_DF16_LN4vllm18Fp8KVCacheDataTypeE0EhLi32ELi64ELi256ELb1ELi13EEvPKT_PKT0_S7_ifPKiS9_S9_iPKfiiiPfSC_PS2_PT2_iSB_SB_.has_dyn_sized_stack, or(0, .L__assert_fail.has_dyn_sized_stack)
	.set _Z39paged_attention_ll4mi_QKV_mfma16_kernelIDF16_DF16_LN4vllm18Fp8KVCacheDataTypeE0EhLi32ELi64ELi256ELb1ELi13EEvPKT_PKT0_S7_ifPKiS9_S9_iPKfiiiPfSC_PS2_PT2_iSB_SB_.has_recursion, or(0, .L__assert_fail.has_recursion)
	.set _Z39paged_attention_ll4mi_QKV_mfma16_kernelIDF16_DF16_LN4vllm18Fp8KVCacheDataTypeE0EhLi32ELi64ELi256ELb1ELi13EEvPKT_PKT0_S7_ifPKiS9_S9_iPKfiiiPfSC_PS2_PT2_iSB_SB_.has_indirect_call, or(0, .L__assert_fail.has_indirect_call)
	.section	.AMDGPU.csdata,"",@progbits
; Kernel info:
; codeLenInByte = 68
; TotalNumSgprs: 36
; NumVgprs: 51
; ScratchSize: 64
; MemoryBound: 0
; FloatMode: 240
; IeeeMode: 1
; LDSByteSize: 0 bytes/workgroup (compile time only)
; SGPRBlocks: 0
; VGPRBlocks: 3
; NumSGPRsForWavesPerEU: 36
; NumVGPRsForWavesPerEU: 51
; NamedBarCnt: 0
; Occupancy: 16
; WaveLimiterHint : 1
; COMPUTE_PGM_RSRC2:SCRATCH_EN: 1
; COMPUTE_PGM_RSRC2:USER_SGPR: 2
; COMPUTE_PGM_RSRC2:TRAP_HANDLER: 0
; COMPUTE_PGM_RSRC2:TGID_X_EN: 1
; COMPUTE_PGM_RSRC2:TGID_Y_EN: 0
; COMPUTE_PGM_RSRC2:TGID_Z_EN: 0
; COMPUTE_PGM_RSRC2:TIDIG_COMP_CNT: 0
	.section	.text._Z39paged_attention_ll4mi_QKV_mfma16_kernelIDF16_DF16_LN4vllm18Fp8KVCacheDataTypeE0EhLi32ELi64ELi256ELb1ELi14EEvPKT_PKT0_S7_ifPKiS9_S9_iPKfiiiPfSC_PS2_PT2_iSB_SB_,"axG",@progbits,_Z39paged_attention_ll4mi_QKV_mfma16_kernelIDF16_DF16_LN4vllm18Fp8KVCacheDataTypeE0EhLi32ELi64ELi256ELb1ELi14EEvPKT_PKT0_S7_ifPKiS9_S9_iPKfiiiPfSC_PS2_PT2_iSB_SB_,comdat
	.protected	_Z39paged_attention_ll4mi_QKV_mfma16_kernelIDF16_DF16_LN4vllm18Fp8KVCacheDataTypeE0EhLi32ELi64ELi256ELb1ELi14EEvPKT_PKT0_S7_ifPKiS9_S9_iPKfiiiPfSC_PS2_PT2_iSB_SB_ ; -- Begin function _Z39paged_attention_ll4mi_QKV_mfma16_kernelIDF16_DF16_LN4vllm18Fp8KVCacheDataTypeE0EhLi32ELi64ELi256ELb1ELi14EEvPKT_PKT0_S7_ifPKiS9_S9_iPKfiiiPfSC_PS2_PT2_iSB_SB_
	.globl	_Z39paged_attention_ll4mi_QKV_mfma16_kernelIDF16_DF16_LN4vllm18Fp8KVCacheDataTypeE0EhLi32ELi64ELi256ELb1ELi14EEvPKT_PKT0_S7_ifPKiS9_S9_iPKfiiiPfSC_PS2_PT2_iSB_SB_
	.p2align	8
	.type	_Z39paged_attention_ll4mi_QKV_mfma16_kernelIDF16_DF16_LN4vllm18Fp8KVCacheDataTypeE0EhLi32ELi64ELi256ELb1ELi14EEvPKT_PKT0_S7_ifPKiS9_S9_iPKfiiiPfSC_PS2_PT2_iSB_SB_,@function
_Z39paged_attention_ll4mi_QKV_mfma16_kernelIDF16_DF16_LN4vllm18Fp8KVCacheDataTypeE0EhLi32ELi64ELi256ELb1ELi14EEvPKT_PKT0_S7_ifPKiS9_S9_iPKfiiiPfSC_PS2_PT2_iSB_SB_: ; @_Z39paged_attention_ll4mi_QKV_mfma16_kernelIDF16_DF16_LN4vllm18Fp8KVCacheDataTypeE0EhLi32ELi64ELi256ELb1ELi14EEvPKT_PKT0_S7_ifPKiS9_S9_iPKfiiiPfSC_PS2_PT2_iSB_SB_
; %bb.0:
	s_get_pc_i64 s[2:3]
	s_add_nc_u64 s[2:3], s[2:3], __PRETTY_FUNCTION__._Z39paged_attention_ll4mi_QKV_mfma16_kernelIDF16_DF16_LN4vllm18Fp8KVCacheDataTypeE0EhLi32ELi64ELi256ELb1ELi14EEvPKT_PKT0_S7_ifPKiS9_S9_iPKfiiiPfSC_PS2_PT2_iSB_SB_@rel64+4
	s_delay_alu instid0(SALU_CYCLE_1)
	v_dual_mov_b32 v0, 0xbb3 :: v_dual_mov_b32 v1, s2
	v_mov_b32_e32 v2, s3
	s_add_nc_u64 s[8:9], s[0:1], 0x90
	s_get_pc_i64 s[0:1]
	s_add_nc_u64 s[0:1], s[0:1], __assert_fail@rel64+4
	s_mov_b32 s32, 0
	s_swap_pc_i64 s[30:31], s[0:1]
	.section	.rodata,"a",@progbits
	.p2align	6, 0x0
	.amdhsa_kernel _Z39paged_attention_ll4mi_QKV_mfma16_kernelIDF16_DF16_LN4vllm18Fp8KVCacheDataTypeE0EhLi32ELi64ELi256ELb1ELi14EEvPKT_PKT0_S7_ifPKiS9_S9_iPKfiiiPfSC_PS2_PT2_iSB_SB_
		.amdhsa_group_segment_fixed_size 0
		.amdhsa_private_segment_fixed_size 64
		.amdhsa_kernarg_size 400
		.amdhsa_user_sgpr_count 2
		.amdhsa_user_sgpr_dispatch_ptr 0
		.amdhsa_user_sgpr_queue_ptr 0
		.amdhsa_user_sgpr_kernarg_segment_ptr 1
		.amdhsa_user_sgpr_dispatch_id 0
		.amdhsa_user_sgpr_kernarg_preload_length 0
		.amdhsa_user_sgpr_kernarg_preload_offset 0
		.amdhsa_user_sgpr_private_segment_size 0
		.amdhsa_wavefront_size32 1
		.amdhsa_uses_dynamic_stack 0
		.amdhsa_enable_private_segment 1
		.amdhsa_system_sgpr_workgroup_id_x 1
		.amdhsa_system_sgpr_workgroup_id_y 0
		.amdhsa_system_sgpr_workgroup_id_z 0
		.amdhsa_system_sgpr_workgroup_info 0
		.amdhsa_system_vgpr_workitem_id 0
		.amdhsa_next_free_vgpr 51
		.amdhsa_next_free_sgpr 34
		.amdhsa_named_barrier_count 0
		.amdhsa_reserve_vcc 1
		.amdhsa_float_round_mode_32 0
		.amdhsa_float_round_mode_16_64 0
		.amdhsa_float_denorm_mode_32 3
		.amdhsa_float_denorm_mode_16_64 3
		.amdhsa_fp16_overflow 0
		.amdhsa_memory_ordered 1
		.amdhsa_forward_progress 1
		.amdhsa_inst_pref_size 1
		.amdhsa_round_robin_scheduling 0
		.amdhsa_exception_fp_ieee_invalid_op 0
		.amdhsa_exception_fp_denorm_src 0
		.amdhsa_exception_fp_ieee_div_zero 0
		.amdhsa_exception_fp_ieee_overflow 0
		.amdhsa_exception_fp_ieee_underflow 0
		.amdhsa_exception_fp_ieee_inexact 0
		.amdhsa_exception_int_div_zero 0
	.end_amdhsa_kernel
	.section	.text._Z39paged_attention_ll4mi_QKV_mfma16_kernelIDF16_DF16_LN4vllm18Fp8KVCacheDataTypeE0EhLi32ELi64ELi256ELb1ELi14EEvPKT_PKT0_S7_ifPKiS9_S9_iPKfiiiPfSC_PS2_PT2_iSB_SB_,"axG",@progbits,_Z39paged_attention_ll4mi_QKV_mfma16_kernelIDF16_DF16_LN4vllm18Fp8KVCacheDataTypeE0EhLi32ELi64ELi256ELb1ELi14EEvPKT_PKT0_S7_ifPKiS9_S9_iPKfiiiPfSC_PS2_PT2_iSB_SB_,comdat
.Lfunc_end127:
	.size	_Z39paged_attention_ll4mi_QKV_mfma16_kernelIDF16_DF16_LN4vllm18Fp8KVCacheDataTypeE0EhLi32ELi64ELi256ELb1ELi14EEvPKT_PKT0_S7_ifPKiS9_S9_iPKfiiiPfSC_PS2_PT2_iSB_SB_, .Lfunc_end127-_Z39paged_attention_ll4mi_QKV_mfma16_kernelIDF16_DF16_LN4vllm18Fp8KVCacheDataTypeE0EhLi32ELi64ELi256ELb1ELi14EEvPKT_PKT0_S7_ifPKiS9_S9_iPKfiiiPfSC_PS2_PT2_iSB_SB_
                                        ; -- End function
	.set _Z39paged_attention_ll4mi_QKV_mfma16_kernelIDF16_DF16_LN4vllm18Fp8KVCacheDataTypeE0EhLi32ELi64ELi256ELb1ELi14EEvPKT_PKT0_S7_ifPKiS9_S9_iPKfiiiPfSC_PS2_PT2_iSB_SB_.num_vgpr, max(3, .L__assert_fail.num_vgpr)
	.set _Z39paged_attention_ll4mi_QKV_mfma16_kernelIDF16_DF16_LN4vllm18Fp8KVCacheDataTypeE0EhLi32ELi64ELi256ELb1ELi14EEvPKT_PKT0_S7_ifPKiS9_S9_iPKfiiiPfSC_PS2_PT2_iSB_SB_.num_agpr, max(0, .L__assert_fail.num_agpr)
	.set _Z39paged_attention_ll4mi_QKV_mfma16_kernelIDF16_DF16_LN4vllm18Fp8KVCacheDataTypeE0EhLi32ELi64ELi256ELb1ELi14EEvPKT_PKT0_S7_ifPKiS9_S9_iPKfiiiPfSC_PS2_PT2_iSB_SB_.numbered_sgpr, max(33, .L__assert_fail.numbered_sgpr)
	.set _Z39paged_attention_ll4mi_QKV_mfma16_kernelIDF16_DF16_LN4vllm18Fp8KVCacheDataTypeE0EhLi32ELi64ELi256ELb1ELi14EEvPKT_PKT0_S7_ifPKiS9_S9_iPKfiiiPfSC_PS2_PT2_iSB_SB_.num_named_barrier, max(0, .L__assert_fail.num_named_barrier)
	.set _Z39paged_attention_ll4mi_QKV_mfma16_kernelIDF16_DF16_LN4vllm18Fp8KVCacheDataTypeE0EhLi32ELi64ELi256ELb1ELi14EEvPKT_PKT0_S7_ifPKiS9_S9_iPKfiiiPfSC_PS2_PT2_iSB_SB_.private_seg_size, 0+max(.L__assert_fail.private_seg_size)
	.set _Z39paged_attention_ll4mi_QKV_mfma16_kernelIDF16_DF16_LN4vllm18Fp8KVCacheDataTypeE0EhLi32ELi64ELi256ELb1ELi14EEvPKT_PKT0_S7_ifPKiS9_S9_iPKfiiiPfSC_PS2_PT2_iSB_SB_.uses_vcc, or(1, .L__assert_fail.uses_vcc)
	.set _Z39paged_attention_ll4mi_QKV_mfma16_kernelIDF16_DF16_LN4vllm18Fp8KVCacheDataTypeE0EhLi32ELi64ELi256ELb1ELi14EEvPKT_PKT0_S7_ifPKiS9_S9_iPKfiiiPfSC_PS2_PT2_iSB_SB_.uses_flat_scratch, or(0, .L__assert_fail.uses_flat_scratch)
	.set _Z39paged_attention_ll4mi_QKV_mfma16_kernelIDF16_DF16_LN4vllm18Fp8KVCacheDataTypeE0EhLi32ELi64ELi256ELb1ELi14EEvPKT_PKT0_S7_ifPKiS9_S9_iPKfiiiPfSC_PS2_PT2_iSB_SB_.has_dyn_sized_stack, or(0, .L__assert_fail.has_dyn_sized_stack)
	.set _Z39paged_attention_ll4mi_QKV_mfma16_kernelIDF16_DF16_LN4vllm18Fp8KVCacheDataTypeE0EhLi32ELi64ELi256ELb1ELi14EEvPKT_PKT0_S7_ifPKiS9_S9_iPKfiiiPfSC_PS2_PT2_iSB_SB_.has_recursion, or(0, .L__assert_fail.has_recursion)
	.set _Z39paged_attention_ll4mi_QKV_mfma16_kernelIDF16_DF16_LN4vllm18Fp8KVCacheDataTypeE0EhLi32ELi64ELi256ELb1ELi14EEvPKT_PKT0_S7_ifPKiS9_S9_iPKfiiiPfSC_PS2_PT2_iSB_SB_.has_indirect_call, or(0, .L__assert_fail.has_indirect_call)
	.section	.AMDGPU.csdata,"",@progbits
; Kernel info:
; codeLenInByte = 68
; TotalNumSgprs: 36
; NumVgprs: 51
; ScratchSize: 64
; MemoryBound: 0
; FloatMode: 240
; IeeeMode: 1
; LDSByteSize: 0 bytes/workgroup (compile time only)
; SGPRBlocks: 0
; VGPRBlocks: 3
; NumSGPRsForWavesPerEU: 36
; NumVGPRsForWavesPerEU: 51
; NamedBarCnt: 0
; Occupancy: 16
; WaveLimiterHint : 1
; COMPUTE_PGM_RSRC2:SCRATCH_EN: 1
; COMPUTE_PGM_RSRC2:USER_SGPR: 2
; COMPUTE_PGM_RSRC2:TRAP_HANDLER: 0
; COMPUTE_PGM_RSRC2:TGID_X_EN: 1
; COMPUTE_PGM_RSRC2:TGID_Y_EN: 0
; COMPUTE_PGM_RSRC2:TGID_Z_EN: 0
; COMPUTE_PGM_RSRC2:TIDIG_COMP_CNT: 0
	.section	.text._Z39paged_attention_ll4mi_QKV_mfma16_kernelIDF16_DF16_LN4vllm18Fp8KVCacheDataTypeE0EhLi32ELi64ELi256ELb1ELi15EEvPKT_PKT0_S7_ifPKiS9_S9_iPKfiiiPfSC_PS2_PT2_iSB_SB_,"axG",@progbits,_Z39paged_attention_ll4mi_QKV_mfma16_kernelIDF16_DF16_LN4vllm18Fp8KVCacheDataTypeE0EhLi32ELi64ELi256ELb1ELi15EEvPKT_PKT0_S7_ifPKiS9_S9_iPKfiiiPfSC_PS2_PT2_iSB_SB_,comdat
	.protected	_Z39paged_attention_ll4mi_QKV_mfma16_kernelIDF16_DF16_LN4vllm18Fp8KVCacheDataTypeE0EhLi32ELi64ELi256ELb1ELi15EEvPKT_PKT0_S7_ifPKiS9_S9_iPKfiiiPfSC_PS2_PT2_iSB_SB_ ; -- Begin function _Z39paged_attention_ll4mi_QKV_mfma16_kernelIDF16_DF16_LN4vllm18Fp8KVCacheDataTypeE0EhLi32ELi64ELi256ELb1ELi15EEvPKT_PKT0_S7_ifPKiS9_S9_iPKfiiiPfSC_PS2_PT2_iSB_SB_
	.globl	_Z39paged_attention_ll4mi_QKV_mfma16_kernelIDF16_DF16_LN4vllm18Fp8KVCacheDataTypeE0EhLi32ELi64ELi256ELb1ELi15EEvPKT_PKT0_S7_ifPKiS9_S9_iPKfiiiPfSC_PS2_PT2_iSB_SB_
	.p2align	8
	.type	_Z39paged_attention_ll4mi_QKV_mfma16_kernelIDF16_DF16_LN4vllm18Fp8KVCacheDataTypeE0EhLi32ELi64ELi256ELb1ELi15EEvPKT_PKT0_S7_ifPKiS9_S9_iPKfiiiPfSC_PS2_PT2_iSB_SB_,@function
_Z39paged_attention_ll4mi_QKV_mfma16_kernelIDF16_DF16_LN4vllm18Fp8KVCacheDataTypeE0EhLi32ELi64ELi256ELb1ELi15EEvPKT_PKT0_S7_ifPKiS9_S9_iPKfiiiPfSC_PS2_PT2_iSB_SB_: ; @_Z39paged_attention_ll4mi_QKV_mfma16_kernelIDF16_DF16_LN4vllm18Fp8KVCacheDataTypeE0EhLi32ELi64ELi256ELb1ELi15EEvPKT_PKT0_S7_ifPKiS9_S9_iPKfiiiPfSC_PS2_PT2_iSB_SB_
; %bb.0:
	s_get_pc_i64 s[2:3]
	s_add_nc_u64 s[2:3], s[2:3], __PRETTY_FUNCTION__._Z39paged_attention_ll4mi_QKV_mfma16_kernelIDF16_DF16_LN4vllm18Fp8KVCacheDataTypeE0EhLi32ELi64ELi256ELb1ELi15EEvPKT_PKT0_S7_ifPKiS9_S9_iPKfiiiPfSC_PS2_PT2_iSB_SB_@rel64+4
	s_delay_alu instid0(SALU_CYCLE_1)
	v_dual_mov_b32 v0, 0xbb3 :: v_dual_mov_b32 v1, s2
	v_mov_b32_e32 v2, s3
	s_add_nc_u64 s[8:9], s[0:1], 0x90
	s_get_pc_i64 s[0:1]
	s_add_nc_u64 s[0:1], s[0:1], __assert_fail@rel64+4
	s_mov_b32 s32, 0
	s_swap_pc_i64 s[30:31], s[0:1]
	.section	.rodata,"a",@progbits
	.p2align	6, 0x0
	.amdhsa_kernel _Z39paged_attention_ll4mi_QKV_mfma16_kernelIDF16_DF16_LN4vllm18Fp8KVCacheDataTypeE0EhLi32ELi64ELi256ELb1ELi15EEvPKT_PKT0_S7_ifPKiS9_S9_iPKfiiiPfSC_PS2_PT2_iSB_SB_
		.amdhsa_group_segment_fixed_size 0
		.amdhsa_private_segment_fixed_size 64
		.amdhsa_kernarg_size 400
		.amdhsa_user_sgpr_count 2
		.amdhsa_user_sgpr_dispatch_ptr 0
		.amdhsa_user_sgpr_queue_ptr 0
		.amdhsa_user_sgpr_kernarg_segment_ptr 1
		.amdhsa_user_sgpr_dispatch_id 0
		.amdhsa_user_sgpr_kernarg_preload_length 0
		.amdhsa_user_sgpr_kernarg_preload_offset 0
		.amdhsa_user_sgpr_private_segment_size 0
		.amdhsa_wavefront_size32 1
		.amdhsa_uses_dynamic_stack 0
		.amdhsa_enable_private_segment 1
		.amdhsa_system_sgpr_workgroup_id_x 1
		.amdhsa_system_sgpr_workgroup_id_y 0
		.amdhsa_system_sgpr_workgroup_id_z 0
		.amdhsa_system_sgpr_workgroup_info 0
		.amdhsa_system_vgpr_workitem_id 0
		.amdhsa_next_free_vgpr 51
		.amdhsa_next_free_sgpr 34
		.amdhsa_named_barrier_count 0
		.amdhsa_reserve_vcc 1
		.amdhsa_float_round_mode_32 0
		.amdhsa_float_round_mode_16_64 0
		.amdhsa_float_denorm_mode_32 3
		.amdhsa_float_denorm_mode_16_64 3
		.amdhsa_fp16_overflow 0
		.amdhsa_memory_ordered 1
		.amdhsa_forward_progress 1
		.amdhsa_inst_pref_size 1
		.amdhsa_round_robin_scheduling 0
		.amdhsa_exception_fp_ieee_invalid_op 0
		.amdhsa_exception_fp_denorm_src 0
		.amdhsa_exception_fp_ieee_div_zero 0
		.amdhsa_exception_fp_ieee_overflow 0
		.amdhsa_exception_fp_ieee_underflow 0
		.amdhsa_exception_fp_ieee_inexact 0
		.amdhsa_exception_int_div_zero 0
	.end_amdhsa_kernel
	.section	.text._Z39paged_attention_ll4mi_QKV_mfma16_kernelIDF16_DF16_LN4vllm18Fp8KVCacheDataTypeE0EhLi32ELi64ELi256ELb1ELi15EEvPKT_PKT0_S7_ifPKiS9_S9_iPKfiiiPfSC_PS2_PT2_iSB_SB_,"axG",@progbits,_Z39paged_attention_ll4mi_QKV_mfma16_kernelIDF16_DF16_LN4vllm18Fp8KVCacheDataTypeE0EhLi32ELi64ELi256ELb1ELi15EEvPKT_PKT0_S7_ifPKiS9_S9_iPKfiiiPfSC_PS2_PT2_iSB_SB_,comdat
.Lfunc_end128:
	.size	_Z39paged_attention_ll4mi_QKV_mfma16_kernelIDF16_DF16_LN4vllm18Fp8KVCacheDataTypeE0EhLi32ELi64ELi256ELb1ELi15EEvPKT_PKT0_S7_ifPKiS9_S9_iPKfiiiPfSC_PS2_PT2_iSB_SB_, .Lfunc_end128-_Z39paged_attention_ll4mi_QKV_mfma16_kernelIDF16_DF16_LN4vllm18Fp8KVCacheDataTypeE0EhLi32ELi64ELi256ELb1ELi15EEvPKT_PKT0_S7_ifPKiS9_S9_iPKfiiiPfSC_PS2_PT2_iSB_SB_
                                        ; -- End function
	.set _Z39paged_attention_ll4mi_QKV_mfma16_kernelIDF16_DF16_LN4vllm18Fp8KVCacheDataTypeE0EhLi32ELi64ELi256ELb1ELi15EEvPKT_PKT0_S7_ifPKiS9_S9_iPKfiiiPfSC_PS2_PT2_iSB_SB_.num_vgpr, max(3, .L__assert_fail.num_vgpr)
	.set _Z39paged_attention_ll4mi_QKV_mfma16_kernelIDF16_DF16_LN4vllm18Fp8KVCacheDataTypeE0EhLi32ELi64ELi256ELb1ELi15EEvPKT_PKT0_S7_ifPKiS9_S9_iPKfiiiPfSC_PS2_PT2_iSB_SB_.num_agpr, max(0, .L__assert_fail.num_agpr)
	.set _Z39paged_attention_ll4mi_QKV_mfma16_kernelIDF16_DF16_LN4vllm18Fp8KVCacheDataTypeE0EhLi32ELi64ELi256ELb1ELi15EEvPKT_PKT0_S7_ifPKiS9_S9_iPKfiiiPfSC_PS2_PT2_iSB_SB_.numbered_sgpr, max(33, .L__assert_fail.numbered_sgpr)
	.set _Z39paged_attention_ll4mi_QKV_mfma16_kernelIDF16_DF16_LN4vllm18Fp8KVCacheDataTypeE0EhLi32ELi64ELi256ELb1ELi15EEvPKT_PKT0_S7_ifPKiS9_S9_iPKfiiiPfSC_PS2_PT2_iSB_SB_.num_named_barrier, max(0, .L__assert_fail.num_named_barrier)
	.set _Z39paged_attention_ll4mi_QKV_mfma16_kernelIDF16_DF16_LN4vllm18Fp8KVCacheDataTypeE0EhLi32ELi64ELi256ELb1ELi15EEvPKT_PKT0_S7_ifPKiS9_S9_iPKfiiiPfSC_PS2_PT2_iSB_SB_.private_seg_size, 0+max(.L__assert_fail.private_seg_size)
	.set _Z39paged_attention_ll4mi_QKV_mfma16_kernelIDF16_DF16_LN4vllm18Fp8KVCacheDataTypeE0EhLi32ELi64ELi256ELb1ELi15EEvPKT_PKT0_S7_ifPKiS9_S9_iPKfiiiPfSC_PS2_PT2_iSB_SB_.uses_vcc, or(1, .L__assert_fail.uses_vcc)
	.set _Z39paged_attention_ll4mi_QKV_mfma16_kernelIDF16_DF16_LN4vllm18Fp8KVCacheDataTypeE0EhLi32ELi64ELi256ELb1ELi15EEvPKT_PKT0_S7_ifPKiS9_S9_iPKfiiiPfSC_PS2_PT2_iSB_SB_.uses_flat_scratch, or(0, .L__assert_fail.uses_flat_scratch)
	.set _Z39paged_attention_ll4mi_QKV_mfma16_kernelIDF16_DF16_LN4vllm18Fp8KVCacheDataTypeE0EhLi32ELi64ELi256ELb1ELi15EEvPKT_PKT0_S7_ifPKiS9_S9_iPKfiiiPfSC_PS2_PT2_iSB_SB_.has_dyn_sized_stack, or(0, .L__assert_fail.has_dyn_sized_stack)
	.set _Z39paged_attention_ll4mi_QKV_mfma16_kernelIDF16_DF16_LN4vllm18Fp8KVCacheDataTypeE0EhLi32ELi64ELi256ELb1ELi15EEvPKT_PKT0_S7_ifPKiS9_S9_iPKfiiiPfSC_PS2_PT2_iSB_SB_.has_recursion, or(0, .L__assert_fail.has_recursion)
	.set _Z39paged_attention_ll4mi_QKV_mfma16_kernelIDF16_DF16_LN4vllm18Fp8KVCacheDataTypeE0EhLi32ELi64ELi256ELb1ELi15EEvPKT_PKT0_S7_ifPKiS9_S9_iPKfiiiPfSC_PS2_PT2_iSB_SB_.has_indirect_call, or(0, .L__assert_fail.has_indirect_call)
	.section	.AMDGPU.csdata,"",@progbits
; Kernel info:
; codeLenInByte = 68
; TotalNumSgprs: 36
; NumVgprs: 51
; ScratchSize: 64
; MemoryBound: 0
; FloatMode: 240
; IeeeMode: 1
; LDSByteSize: 0 bytes/workgroup (compile time only)
; SGPRBlocks: 0
; VGPRBlocks: 3
; NumSGPRsForWavesPerEU: 36
; NumVGPRsForWavesPerEU: 51
; NamedBarCnt: 0
; Occupancy: 16
; WaveLimiterHint : 1
; COMPUTE_PGM_RSRC2:SCRATCH_EN: 1
; COMPUTE_PGM_RSRC2:USER_SGPR: 2
; COMPUTE_PGM_RSRC2:TRAP_HANDLER: 0
; COMPUTE_PGM_RSRC2:TGID_X_EN: 1
; COMPUTE_PGM_RSRC2:TGID_Y_EN: 0
; COMPUTE_PGM_RSRC2:TGID_Z_EN: 0
; COMPUTE_PGM_RSRC2:TIDIG_COMP_CNT: 0
	.section	.text._Z39paged_attention_ll4mi_QKV_mfma16_kernelIDF16_DF16_LN4vllm18Fp8KVCacheDataTypeE0EhLi32ELi64ELi256ELb1ELi16EEvPKT_PKT0_S7_ifPKiS9_S9_iPKfiiiPfSC_PS2_PT2_iSB_SB_,"axG",@progbits,_Z39paged_attention_ll4mi_QKV_mfma16_kernelIDF16_DF16_LN4vllm18Fp8KVCacheDataTypeE0EhLi32ELi64ELi256ELb1ELi16EEvPKT_PKT0_S7_ifPKiS9_S9_iPKfiiiPfSC_PS2_PT2_iSB_SB_,comdat
	.protected	_Z39paged_attention_ll4mi_QKV_mfma16_kernelIDF16_DF16_LN4vllm18Fp8KVCacheDataTypeE0EhLi32ELi64ELi256ELb1ELi16EEvPKT_PKT0_S7_ifPKiS9_S9_iPKfiiiPfSC_PS2_PT2_iSB_SB_ ; -- Begin function _Z39paged_attention_ll4mi_QKV_mfma16_kernelIDF16_DF16_LN4vllm18Fp8KVCacheDataTypeE0EhLi32ELi64ELi256ELb1ELi16EEvPKT_PKT0_S7_ifPKiS9_S9_iPKfiiiPfSC_PS2_PT2_iSB_SB_
	.globl	_Z39paged_attention_ll4mi_QKV_mfma16_kernelIDF16_DF16_LN4vllm18Fp8KVCacheDataTypeE0EhLi32ELi64ELi256ELb1ELi16EEvPKT_PKT0_S7_ifPKiS9_S9_iPKfiiiPfSC_PS2_PT2_iSB_SB_
	.p2align	8
	.type	_Z39paged_attention_ll4mi_QKV_mfma16_kernelIDF16_DF16_LN4vllm18Fp8KVCacheDataTypeE0EhLi32ELi64ELi256ELb1ELi16EEvPKT_PKT0_S7_ifPKiS9_S9_iPKfiiiPfSC_PS2_PT2_iSB_SB_,@function
_Z39paged_attention_ll4mi_QKV_mfma16_kernelIDF16_DF16_LN4vllm18Fp8KVCacheDataTypeE0EhLi32ELi64ELi256ELb1ELi16EEvPKT_PKT0_S7_ifPKiS9_S9_iPKfiiiPfSC_PS2_PT2_iSB_SB_: ; @_Z39paged_attention_ll4mi_QKV_mfma16_kernelIDF16_DF16_LN4vllm18Fp8KVCacheDataTypeE0EhLi32ELi64ELi256ELb1ELi16EEvPKT_PKT0_S7_ifPKiS9_S9_iPKfiiiPfSC_PS2_PT2_iSB_SB_
; %bb.0:
	s_get_pc_i64 s[2:3]
	s_add_nc_u64 s[2:3], s[2:3], __PRETTY_FUNCTION__._Z39paged_attention_ll4mi_QKV_mfma16_kernelIDF16_DF16_LN4vllm18Fp8KVCacheDataTypeE0EhLi32ELi64ELi256ELb1ELi16EEvPKT_PKT0_S7_ifPKiS9_S9_iPKfiiiPfSC_PS2_PT2_iSB_SB_@rel64+4
	s_delay_alu instid0(SALU_CYCLE_1)
	v_dual_mov_b32 v0, 0xbb3 :: v_dual_mov_b32 v1, s2
	v_mov_b32_e32 v2, s3
	s_add_nc_u64 s[8:9], s[0:1], 0x90
	s_get_pc_i64 s[0:1]
	s_add_nc_u64 s[0:1], s[0:1], __assert_fail@rel64+4
	s_mov_b32 s32, 0
	s_swap_pc_i64 s[30:31], s[0:1]
	.section	.rodata,"a",@progbits
	.p2align	6, 0x0
	.amdhsa_kernel _Z39paged_attention_ll4mi_QKV_mfma16_kernelIDF16_DF16_LN4vllm18Fp8KVCacheDataTypeE0EhLi32ELi64ELi256ELb1ELi16EEvPKT_PKT0_S7_ifPKiS9_S9_iPKfiiiPfSC_PS2_PT2_iSB_SB_
		.amdhsa_group_segment_fixed_size 0
		.amdhsa_private_segment_fixed_size 64
		.amdhsa_kernarg_size 400
		.amdhsa_user_sgpr_count 2
		.amdhsa_user_sgpr_dispatch_ptr 0
		.amdhsa_user_sgpr_queue_ptr 0
		.amdhsa_user_sgpr_kernarg_segment_ptr 1
		.amdhsa_user_sgpr_dispatch_id 0
		.amdhsa_user_sgpr_kernarg_preload_length 0
		.amdhsa_user_sgpr_kernarg_preload_offset 0
		.amdhsa_user_sgpr_private_segment_size 0
		.amdhsa_wavefront_size32 1
		.amdhsa_uses_dynamic_stack 0
		.amdhsa_enable_private_segment 1
		.amdhsa_system_sgpr_workgroup_id_x 1
		.amdhsa_system_sgpr_workgroup_id_y 0
		.amdhsa_system_sgpr_workgroup_id_z 0
		.amdhsa_system_sgpr_workgroup_info 0
		.amdhsa_system_vgpr_workitem_id 0
		.amdhsa_next_free_vgpr 51
		.amdhsa_next_free_sgpr 34
		.amdhsa_named_barrier_count 0
		.amdhsa_reserve_vcc 1
		.amdhsa_float_round_mode_32 0
		.amdhsa_float_round_mode_16_64 0
		.amdhsa_float_denorm_mode_32 3
		.amdhsa_float_denorm_mode_16_64 3
		.amdhsa_fp16_overflow 0
		.amdhsa_memory_ordered 1
		.amdhsa_forward_progress 1
		.amdhsa_inst_pref_size 1
		.amdhsa_round_robin_scheduling 0
		.amdhsa_exception_fp_ieee_invalid_op 0
		.amdhsa_exception_fp_denorm_src 0
		.amdhsa_exception_fp_ieee_div_zero 0
		.amdhsa_exception_fp_ieee_overflow 0
		.amdhsa_exception_fp_ieee_underflow 0
		.amdhsa_exception_fp_ieee_inexact 0
		.amdhsa_exception_int_div_zero 0
	.end_amdhsa_kernel
	.section	.text._Z39paged_attention_ll4mi_QKV_mfma16_kernelIDF16_DF16_LN4vllm18Fp8KVCacheDataTypeE0EhLi32ELi64ELi256ELb1ELi16EEvPKT_PKT0_S7_ifPKiS9_S9_iPKfiiiPfSC_PS2_PT2_iSB_SB_,"axG",@progbits,_Z39paged_attention_ll4mi_QKV_mfma16_kernelIDF16_DF16_LN4vllm18Fp8KVCacheDataTypeE0EhLi32ELi64ELi256ELb1ELi16EEvPKT_PKT0_S7_ifPKiS9_S9_iPKfiiiPfSC_PS2_PT2_iSB_SB_,comdat
.Lfunc_end129:
	.size	_Z39paged_attention_ll4mi_QKV_mfma16_kernelIDF16_DF16_LN4vllm18Fp8KVCacheDataTypeE0EhLi32ELi64ELi256ELb1ELi16EEvPKT_PKT0_S7_ifPKiS9_S9_iPKfiiiPfSC_PS2_PT2_iSB_SB_, .Lfunc_end129-_Z39paged_attention_ll4mi_QKV_mfma16_kernelIDF16_DF16_LN4vllm18Fp8KVCacheDataTypeE0EhLi32ELi64ELi256ELb1ELi16EEvPKT_PKT0_S7_ifPKiS9_S9_iPKfiiiPfSC_PS2_PT2_iSB_SB_
                                        ; -- End function
	.set _Z39paged_attention_ll4mi_QKV_mfma16_kernelIDF16_DF16_LN4vllm18Fp8KVCacheDataTypeE0EhLi32ELi64ELi256ELb1ELi16EEvPKT_PKT0_S7_ifPKiS9_S9_iPKfiiiPfSC_PS2_PT2_iSB_SB_.num_vgpr, max(3, .L__assert_fail.num_vgpr)
	.set _Z39paged_attention_ll4mi_QKV_mfma16_kernelIDF16_DF16_LN4vllm18Fp8KVCacheDataTypeE0EhLi32ELi64ELi256ELb1ELi16EEvPKT_PKT0_S7_ifPKiS9_S9_iPKfiiiPfSC_PS2_PT2_iSB_SB_.num_agpr, max(0, .L__assert_fail.num_agpr)
	.set _Z39paged_attention_ll4mi_QKV_mfma16_kernelIDF16_DF16_LN4vllm18Fp8KVCacheDataTypeE0EhLi32ELi64ELi256ELb1ELi16EEvPKT_PKT0_S7_ifPKiS9_S9_iPKfiiiPfSC_PS2_PT2_iSB_SB_.numbered_sgpr, max(33, .L__assert_fail.numbered_sgpr)
	.set _Z39paged_attention_ll4mi_QKV_mfma16_kernelIDF16_DF16_LN4vllm18Fp8KVCacheDataTypeE0EhLi32ELi64ELi256ELb1ELi16EEvPKT_PKT0_S7_ifPKiS9_S9_iPKfiiiPfSC_PS2_PT2_iSB_SB_.num_named_barrier, max(0, .L__assert_fail.num_named_barrier)
	.set _Z39paged_attention_ll4mi_QKV_mfma16_kernelIDF16_DF16_LN4vllm18Fp8KVCacheDataTypeE0EhLi32ELi64ELi256ELb1ELi16EEvPKT_PKT0_S7_ifPKiS9_S9_iPKfiiiPfSC_PS2_PT2_iSB_SB_.private_seg_size, 0+max(.L__assert_fail.private_seg_size)
	.set _Z39paged_attention_ll4mi_QKV_mfma16_kernelIDF16_DF16_LN4vllm18Fp8KVCacheDataTypeE0EhLi32ELi64ELi256ELb1ELi16EEvPKT_PKT0_S7_ifPKiS9_S9_iPKfiiiPfSC_PS2_PT2_iSB_SB_.uses_vcc, or(1, .L__assert_fail.uses_vcc)
	.set _Z39paged_attention_ll4mi_QKV_mfma16_kernelIDF16_DF16_LN4vllm18Fp8KVCacheDataTypeE0EhLi32ELi64ELi256ELb1ELi16EEvPKT_PKT0_S7_ifPKiS9_S9_iPKfiiiPfSC_PS2_PT2_iSB_SB_.uses_flat_scratch, or(0, .L__assert_fail.uses_flat_scratch)
	.set _Z39paged_attention_ll4mi_QKV_mfma16_kernelIDF16_DF16_LN4vllm18Fp8KVCacheDataTypeE0EhLi32ELi64ELi256ELb1ELi16EEvPKT_PKT0_S7_ifPKiS9_S9_iPKfiiiPfSC_PS2_PT2_iSB_SB_.has_dyn_sized_stack, or(0, .L__assert_fail.has_dyn_sized_stack)
	.set _Z39paged_attention_ll4mi_QKV_mfma16_kernelIDF16_DF16_LN4vllm18Fp8KVCacheDataTypeE0EhLi32ELi64ELi256ELb1ELi16EEvPKT_PKT0_S7_ifPKiS9_S9_iPKfiiiPfSC_PS2_PT2_iSB_SB_.has_recursion, or(0, .L__assert_fail.has_recursion)
	.set _Z39paged_attention_ll4mi_QKV_mfma16_kernelIDF16_DF16_LN4vllm18Fp8KVCacheDataTypeE0EhLi32ELi64ELi256ELb1ELi16EEvPKT_PKT0_S7_ifPKiS9_S9_iPKfiiiPfSC_PS2_PT2_iSB_SB_.has_indirect_call, or(0, .L__assert_fail.has_indirect_call)
	.section	.AMDGPU.csdata,"",@progbits
; Kernel info:
; codeLenInByte = 68
; TotalNumSgprs: 36
; NumVgprs: 51
; ScratchSize: 64
; MemoryBound: 0
; FloatMode: 240
; IeeeMode: 1
; LDSByteSize: 0 bytes/workgroup (compile time only)
; SGPRBlocks: 0
; VGPRBlocks: 3
; NumSGPRsForWavesPerEU: 36
; NumVGPRsForWavesPerEU: 51
; NamedBarCnt: 0
; Occupancy: 16
; WaveLimiterHint : 1
; COMPUTE_PGM_RSRC2:SCRATCH_EN: 1
; COMPUTE_PGM_RSRC2:USER_SGPR: 2
; COMPUTE_PGM_RSRC2:TRAP_HANDLER: 0
; COMPUTE_PGM_RSRC2:TGID_X_EN: 1
; COMPUTE_PGM_RSRC2:TGID_Y_EN: 0
; COMPUTE_PGM_RSRC2:TGID_Z_EN: 0
; COMPUTE_PGM_RSRC2:TIDIG_COMP_CNT: 0
	.section	.text._Z39paged_attention_ll4mi_QKV_mfma16_kernelIDF16_DF16_LN4vllm18Fp8KVCacheDataTypeE0EhLi32ELi64ELi256ELb1ELi1EEvPKT_PKT0_S7_ifPKiS9_S9_iPKfiiiPfSC_PS2_PT2_iSB_SB_,"axG",@progbits,_Z39paged_attention_ll4mi_QKV_mfma16_kernelIDF16_DF16_LN4vllm18Fp8KVCacheDataTypeE0EhLi32ELi64ELi256ELb1ELi1EEvPKT_PKT0_S7_ifPKiS9_S9_iPKfiiiPfSC_PS2_PT2_iSB_SB_,comdat
	.protected	_Z39paged_attention_ll4mi_QKV_mfma16_kernelIDF16_DF16_LN4vllm18Fp8KVCacheDataTypeE0EhLi32ELi64ELi256ELb1ELi1EEvPKT_PKT0_S7_ifPKiS9_S9_iPKfiiiPfSC_PS2_PT2_iSB_SB_ ; -- Begin function _Z39paged_attention_ll4mi_QKV_mfma16_kernelIDF16_DF16_LN4vllm18Fp8KVCacheDataTypeE0EhLi32ELi64ELi256ELb1ELi1EEvPKT_PKT0_S7_ifPKiS9_S9_iPKfiiiPfSC_PS2_PT2_iSB_SB_
	.globl	_Z39paged_attention_ll4mi_QKV_mfma16_kernelIDF16_DF16_LN4vllm18Fp8KVCacheDataTypeE0EhLi32ELi64ELi256ELb1ELi1EEvPKT_PKT0_S7_ifPKiS9_S9_iPKfiiiPfSC_PS2_PT2_iSB_SB_
	.p2align	8
	.type	_Z39paged_attention_ll4mi_QKV_mfma16_kernelIDF16_DF16_LN4vllm18Fp8KVCacheDataTypeE0EhLi32ELi64ELi256ELb1ELi1EEvPKT_PKT0_S7_ifPKiS9_S9_iPKfiiiPfSC_PS2_PT2_iSB_SB_,@function
_Z39paged_attention_ll4mi_QKV_mfma16_kernelIDF16_DF16_LN4vllm18Fp8KVCacheDataTypeE0EhLi32ELi64ELi256ELb1ELi1EEvPKT_PKT0_S7_ifPKiS9_S9_iPKfiiiPfSC_PS2_PT2_iSB_SB_: ; @_Z39paged_attention_ll4mi_QKV_mfma16_kernelIDF16_DF16_LN4vllm18Fp8KVCacheDataTypeE0EhLi32ELi64ELi256ELb1ELi1EEvPKT_PKT0_S7_ifPKiS9_S9_iPKfiiiPfSC_PS2_PT2_iSB_SB_
; %bb.0:
	s_get_pc_i64 s[2:3]
	s_add_nc_u64 s[2:3], s[2:3], __PRETTY_FUNCTION__._Z39paged_attention_ll4mi_QKV_mfma16_kernelIDF16_DF16_LN4vllm18Fp8KVCacheDataTypeE0EhLi32ELi64ELi256ELb1ELi1EEvPKT_PKT0_S7_ifPKiS9_S9_iPKfiiiPfSC_PS2_PT2_iSB_SB_@rel64+4
	s_delay_alu instid0(SALU_CYCLE_1)
	v_dual_mov_b32 v0, 0xbb3 :: v_dual_mov_b32 v1, s2
	v_mov_b32_e32 v2, s3
	s_add_nc_u64 s[8:9], s[0:1], 0x90
	s_get_pc_i64 s[0:1]
	s_add_nc_u64 s[0:1], s[0:1], __assert_fail@rel64+4
	s_mov_b32 s32, 0
	s_swap_pc_i64 s[30:31], s[0:1]
	.section	.rodata,"a",@progbits
	.p2align	6, 0x0
	.amdhsa_kernel _Z39paged_attention_ll4mi_QKV_mfma16_kernelIDF16_DF16_LN4vllm18Fp8KVCacheDataTypeE0EhLi32ELi64ELi256ELb1ELi1EEvPKT_PKT0_S7_ifPKiS9_S9_iPKfiiiPfSC_PS2_PT2_iSB_SB_
		.amdhsa_group_segment_fixed_size 0
		.amdhsa_private_segment_fixed_size 64
		.amdhsa_kernarg_size 400
		.amdhsa_user_sgpr_count 2
		.amdhsa_user_sgpr_dispatch_ptr 0
		.amdhsa_user_sgpr_queue_ptr 0
		.amdhsa_user_sgpr_kernarg_segment_ptr 1
		.amdhsa_user_sgpr_dispatch_id 0
		.amdhsa_user_sgpr_kernarg_preload_length 0
		.amdhsa_user_sgpr_kernarg_preload_offset 0
		.amdhsa_user_sgpr_private_segment_size 0
		.amdhsa_wavefront_size32 1
		.amdhsa_uses_dynamic_stack 0
		.amdhsa_enable_private_segment 1
		.amdhsa_system_sgpr_workgroup_id_x 1
		.amdhsa_system_sgpr_workgroup_id_y 0
		.amdhsa_system_sgpr_workgroup_id_z 0
		.amdhsa_system_sgpr_workgroup_info 0
		.amdhsa_system_vgpr_workitem_id 0
		.amdhsa_next_free_vgpr 51
		.amdhsa_next_free_sgpr 34
		.amdhsa_named_barrier_count 0
		.amdhsa_reserve_vcc 1
		.amdhsa_float_round_mode_32 0
		.amdhsa_float_round_mode_16_64 0
		.amdhsa_float_denorm_mode_32 3
		.amdhsa_float_denorm_mode_16_64 3
		.amdhsa_fp16_overflow 0
		.amdhsa_memory_ordered 1
		.amdhsa_forward_progress 1
		.amdhsa_inst_pref_size 1
		.amdhsa_round_robin_scheduling 0
		.amdhsa_exception_fp_ieee_invalid_op 0
		.amdhsa_exception_fp_denorm_src 0
		.amdhsa_exception_fp_ieee_div_zero 0
		.amdhsa_exception_fp_ieee_overflow 0
		.amdhsa_exception_fp_ieee_underflow 0
		.amdhsa_exception_fp_ieee_inexact 0
		.amdhsa_exception_int_div_zero 0
	.end_amdhsa_kernel
	.section	.text._Z39paged_attention_ll4mi_QKV_mfma16_kernelIDF16_DF16_LN4vllm18Fp8KVCacheDataTypeE0EhLi32ELi64ELi256ELb1ELi1EEvPKT_PKT0_S7_ifPKiS9_S9_iPKfiiiPfSC_PS2_PT2_iSB_SB_,"axG",@progbits,_Z39paged_attention_ll4mi_QKV_mfma16_kernelIDF16_DF16_LN4vllm18Fp8KVCacheDataTypeE0EhLi32ELi64ELi256ELb1ELi1EEvPKT_PKT0_S7_ifPKiS9_S9_iPKfiiiPfSC_PS2_PT2_iSB_SB_,comdat
.Lfunc_end130:
	.size	_Z39paged_attention_ll4mi_QKV_mfma16_kernelIDF16_DF16_LN4vllm18Fp8KVCacheDataTypeE0EhLi32ELi64ELi256ELb1ELi1EEvPKT_PKT0_S7_ifPKiS9_S9_iPKfiiiPfSC_PS2_PT2_iSB_SB_, .Lfunc_end130-_Z39paged_attention_ll4mi_QKV_mfma16_kernelIDF16_DF16_LN4vllm18Fp8KVCacheDataTypeE0EhLi32ELi64ELi256ELb1ELi1EEvPKT_PKT0_S7_ifPKiS9_S9_iPKfiiiPfSC_PS2_PT2_iSB_SB_
                                        ; -- End function
	.set _Z39paged_attention_ll4mi_QKV_mfma16_kernelIDF16_DF16_LN4vllm18Fp8KVCacheDataTypeE0EhLi32ELi64ELi256ELb1ELi1EEvPKT_PKT0_S7_ifPKiS9_S9_iPKfiiiPfSC_PS2_PT2_iSB_SB_.num_vgpr, max(3, .L__assert_fail.num_vgpr)
	.set _Z39paged_attention_ll4mi_QKV_mfma16_kernelIDF16_DF16_LN4vllm18Fp8KVCacheDataTypeE0EhLi32ELi64ELi256ELb1ELi1EEvPKT_PKT0_S7_ifPKiS9_S9_iPKfiiiPfSC_PS2_PT2_iSB_SB_.num_agpr, max(0, .L__assert_fail.num_agpr)
	.set _Z39paged_attention_ll4mi_QKV_mfma16_kernelIDF16_DF16_LN4vllm18Fp8KVCacheDataTypeE0EhLi32ELi64ELi256ELb1ELi1EEvPKT_PKT0_S7_ifPKiS9_S9_iPKfiiiPfSC_PS2_PT2_iSB_SB_.numbered_sgpr, max(33, .L__assert_fail.numbered_sgpr)
	.set _Z39paged_attention_ll4mi_QKV_mfma16_kernelIDF16_DF16_LN4vllm18Fp8KVCacheDataTypeE0EhLi32ELi64ELi256ELb1ELi1EEvPKT_PKT0_S7_ifPKiS9_S9_iPKfiiiPfSC_PS2_PT2_iSB_SB_.num_named_barrier, max(0, .L__assert_fail.num_named_barrier)
	.set _Z39paged_attention_ll4mi_QKV_mfma16_kernelIDF16_DF16_LN4vllm18Fp8KVCacheDataTypeE0EhLi32ELi64ELi256ELb1ELi1EEvPKT_PKT0_S7_ifPKiS9_S9_iPKfiiiPfSC_PS2_PT2_iSB_SB_.private_seg_size, 0+max(.L__assert_fail.private_seg_size)
	.set _Z39paged_attention_ll4mi_QKV_mfma16_kernelIDF16_DF16_LN4vllm18Fp8KVCacheDataTypeE0EhLi32ELi64ELi256ELb1ELi1EEvPKT_PKT0_S7_ifPKiS9_S9_iPKfiiiPfSC_PS2_PT2_iSB_SB_.uses_vcc, or(1, .L__assert_fail.uses_vcc)
	.set _Z39paged_attention_ll4mi_QKV_mfma16_kernelIDF16_DF16_LN4vllm18Fp8KVCacheDataTypeE0EhLi32ELi64ELi256ELb1ELi1EEvPKT_PKT0_S7_ifPKiS9_S9_iPKfiiiPfSC_PS2_PT2_iSB_SB_.uses_flat_scratch, or(0, .L__assert_fail.uses_flat_scratch)
	.set _Z39paged_attention_ll4mi_QKV_mfma16_kernelIDF16_DF16_LN4vllm18Fp8KVCacheDataTypeE0EhLi32ELi64ELi256ELb1ELi1EEvPKT_PKT0_S7_ifPKiS9_S9_iPKfiiiPfSC_PS2_PT2_iSB_SB_.has_dyn_sized_stack, or(0, .L__assert_fail.has_dyn_sized_stack)
	.set _Z39paged_attention_ll4mi_QKV_mfma16_kernelIDF16_DF16_LN4vllm18Fp8KVCacheDataTypeE0EhLi32ELi64ELi256ELb1ELi1EEvPKT_PKT0_S7_ifPKiS9_S9_iPKfiiiPfSC_PS2_PT2_iSB_SB_.has_recursion, or(0, .L__assert_fail.has_recursion)
	.set _Z39paged_attention_ll4mi_QKV_mfma16_kernelIDF16_DF16_LN4vllm18Fp8KVCacheDataTypeE0EhLi32ELi64ELi256ELb1ELi1EEvPKT_PKT0_S7_ifPKiS9_S9_iPKfiiiPfSC_PS2_PT2_iSB_SB_.has_indirect_call, or(0, .L__assert_fail.has_indirect_call)
	.section	.AMDGPU.csdata,"",@progbits
; Kernel info:
; codeLenInByte = 68
; TotalNumSgprs: 36
; NumVgprs: 51
; ScratchSize: 64
; MemoryBound: 0
; FloatMode: 240
; IeeeMode: 1
; LDSByteSize: 0 bytes/workgroup (compile time only)
; SGPRBlocks: 0
; VGPRBlocks: 3
; NumSGPRsForWavesPerEU: 36
; NumVGPRsForWavesPerEU: 51
; NamedBarCnt: 0
; Occupancy: 16
; WaveLimiterHint : 1
; COMPUTE_PGM_RSRC2:SCRATCH_EN: 1
; COMPUTE_PGM_RSRC2:USER_SGPR: 2
; COMPUTE_PGM_RSRC2:TRAP_HANDLER: 0
; COMPUTE_PGM_RSRC2:TGID_X_EN: 1
; COMPUTE_PGM_RSRC2:TGID_Y_EN: 0
; COMPUTE_PGM_RSRC2:TGID_Z_EN: 0
; COMPUTE_PGM_RSRC2:TIDIG_COMP_CNT: 0
	.section	.text._Z39paged_attention_ll4mi_QKV_mfma16_kernelIDF16_DF16_LN4vllm18Fp8KVCacheDataTypeE0EhLi32ELi64ELi256ELb1ELi2EEvPKT_PKT0_S7_ifPKiS9_S9_iPKfiiiPfSC_PS2_PT2_iSB_SB_,"axG",@progbits,_Z39paged_attention_ll4mi_QKV_mfma16_kernelIDF16_DF16_LN4vllm18Fp8KVCacheDataTypeE0EhLi32ELi64ELi256ELb1ELi2EEvPKT_PKT0_S7_ifPKiS9_S9_iPKfiiiPfSC_PS2_PT2_iSB_SB_,comdat
	.protected	_Z39paged_attention_ll4mi_QKV_mfma16_kernelIDF16_DF16_LN4vllm18Fp8KVCacheDataTypeE0EhLi32ELi64ELi256ELb1ELi2EEvPKT_PKT0_S7_ifPKiS9_S9_iPKfiiiPfSC_PS2_PT2_iSB_SB_ ; -- Begin function _Z39paged_attention_ll4mi_QKV_mfma16_kernelIDF16_DF16_LN4vllm18Fp8KVCacheDataTypeE0EhLi32ELi64ELi256ELb1ELi2EEvPKT_PKT0_S7_ifPKiS9_S9_iPKfiiiPfSC_PS2_PT2_iSB_SB_
	.globl	_Z39paged_attention_ll4mi_QKV_mfma16_kernelIDF16_DF16_LN4vllm18Fp8KVCacheDataTypeE0EhLi32ELi64ELi256ELb1ELi2EEvPKT_PKT0_S7_ifPKiS9_S9_iPKfiiiPfSC_PS2_PT2_iSB_SB_
	.p2align	8
	.type	_Z39paged_attention_ll4mi_QKV_mfma16_kernelIDF16_DF16_LN4vllm18Fp8KVCacheDataTypeE0EhLi32ELi64ELi256ELb1ELi2EEvPKT_PKT0_S7_ifPKiS9_S9_iPKfiiiPfSC_PS2_PT2_iSB_SB_,@function
_Z39paged_attention_ll4mi_QKV_mfma16_kernelIDF16_DF16_LN4vllm18Fp8KVCacheDataTypeE0EhLi32ELi64ELi256ELb1ELi2EEvPKT_PKT0_S7_ifPKiS9_S9_iPKfiiiPfSC_PS2_PT2_iSB_SB_: ; @_Z39paged_attention_ll4mi_QKV_mfma16_kernelIDF16_DF16_LN4vllm18Fp8KVCacheDataTypeE0EhLi32ELi64ELi256ELb1ELi2EEvPKT_PKT0_S7_ifPKiS9_S9_iPKfiiiPfSC_PS2_PT2_iSB_SB_
; %bb.0:
	s_get_pc_i64 s[2:3]
	s_add_nc_u64 s[2:3], s[2:3], __PRETTY_FUNCTION__._Z39paged_attention_ll4mi_QKV_mfma16_kernelIDF16_DF16_LN4vllm18Fp8KVCacheDataTypeE0EhLi32ELi64ELi256ELb1ELi2EEvPKT_PKT0_S7_ifPKiS9_S9_iPKfiiiPfSC_PS2_PT2_iSB_SB_@rel64+4
	s_delay_alu instid0(SALU_CYCLE_1)
	v_dual_mov_b32 v0, 0xbb3 :: v_dual_mov_b32 v1, s2
	v_mov_b32_e32 v2, s3
	s_add_nc_u64 s[8:9], s[0:1], 0x90
	s_get_pc_i64 s[0:1]
	s_add_nc_u64 s[0:1], s[0:1], __assert_fail@rel64+4
	s_mov_b32 s32, 0
	s_swap_pc_i64 s[30:31], s[0:1]
	.section	.rodata,"a",@progbits
	.p2align	6, 0x0
	.amdhsa_kernel _Z39paged_attention_ll4mi_QKV_mfma16_kernelIDF16_DF16_LN4vllm18Fp8KVCacheDataTypeE0EhLi32ELi64ELi256ELb1ELi2EEvPKT_PKT0_S7_ifPKiS9_S9_iPKfiiiPfSC_PS2_PT2_iSB_SB_
		.amdhsa_group_segment_fixed_size 0
		.amdhsa_private_segment_fixed_size 64
		.amdhsa_kernarg_size 400
		.amdhsa_user_sgpr_count 2
		.amdhsa_user_sgpr_dispatch_ptr 0
		.amdhsa_user_sgpr_queue_ptr 0
		.amdhsa_user_sgpr_kernarg_segment_ptr 1
		.amdhsa_user_sgpr_dispatch_id 0
		.amdhsa_user_sgpr_kernarg_preload_length 0
		.amdhsa_user_sgpr_kernarg_preload_offset 0
		.amdhsa_user_sgpr_private_segment_size 0
		.amdhsa_wavefront_size32 1
		.amdhsa_uses_dynamic_stack 0
		.amdhsa_enable_private_segment 1
		.amdhsa_system_sgpr_workgroup_id_x 1
		.amdhsa_system_sgpr_workgroup_id_y 0
		.amdhsa_system_sgpr_workgroup_id_z 0
		.amdhsa_system_sgpr_workgroup_info 0
		.amdhsa_system_vgpr_workitem_id 0
		.amdhsa_next_free_vgpr 51
		.amdhsa_next_free_sgpr 34
		.amdhsa_named_barrier_count 0
		.amdhsa_reserve_vcc 1
		.amdhsa_float_round_mode_32 0
		.amdhsa_float_round_mode_16_64 0
		.amdhsa_float_denorm_mode_32 3
		.amdhsa_float_denorm_mode_16_64 3
		.amdhsa_fp16_overflow 0
		.amdhsa_memory_ordered 1
		.amdhsa_forward_progress 1
		.amdhsa_inst_pref_size 1
		.amdhsa_round_robin_scheduling 0
		.amdhsa_exception_fp_ieee_invalid_op 0
		.amdhsa_exception_fp_denorm_src 0
		.amdhsa_exception_fp_ieee_div_zero 0
		.amdhsa_exception_fp_ieee_overflow 0
		.amdhsa_exception_fp_ieee_underflow 0
		.amdhsa_exception_fp_ieee_inexact 0
		.amdhsa_exception_int_div_zero 0
	.end_amdhsa_kernel
	.section	.text._Z39paged_attention_ll4mi_QKV_mfma16_kernelIDF16_DF16_LN4vllm18Fp8KVCacheDataTypeE0EhLi32ELi64ELi256ELb1ELi2EEvPKT_PKT0_S7_ifPKiS9_S9_iPKfiiiPfSC_PS2_PT2_iSB_SB_,"axG",@progbits,_Z39paged_attention_ll4mi_QKV_mfma16_kernelIDF16_DF16_LN4vllm18Fp8KVCacheDataTypeE0EhLi32ELi64ELi256ELb1ELi2EEvPKT_PKT0_S7_ifPKiS9_S9_iPKfiiiPfSC_PS2_PT2_iSB_SB_,comdat
.Lfunc_end131:
	.size	_Z39paged_attention_ll4mi_QKV_mfma16_kernelIDF16_DF16_LN4vllm18Fp8KVCacheDataTypeE0EhLi32ELi64ELi256ELb1ELi2EEvPKT_PKT0_S7_ifPKiS9_S9_iPKfiiiPfSC_PS2_PT2_iSB_SB_, .Lfunc_end131-_Z39paged_attention_ll4mi_QKV_mfma16_kernelIDF16_DF16_LN4vllm18Fp8KVCacheDataTypeE0EhLi32ELi64ELi256ELb1ELi2EEvPKT_PKT0_S7_ifPKiS9_S9_iPKfiiiPfSC_PS2_PT2_iSB_SB_
                                        ; -- End function
	.set _Z39paged_attention_ll4mi_QKV_mfma16_kernelIDF16_DF16_LN4vllm18Fp8KVCacheDataTypeE0EhLi32ELi64ELi256ELb1ELi2EEvPKT_PKT0_S7_ifPKiS9_S9_iPKfiiiPfSC_PS2_PT2_iSB_SB_.num_vgpr, max(3, .L__assert_fail.num_vgpr)
	.set _Z39paged_attention_ll4mi_QKV_mfma16_kernelIDF16_DF16_LN4vllm18Fp8KVCacheDataTypeE0EhLi32ELi64ELi256ELb1ELi2EEvPKT_PKT0_S7_ifPKiS9_S9_iPKfiiiPfSC_PS2_PT2_iSB_SB_.num_agpr, max(0, .L__assert_fail.num_agpr)
	.set _Z39paged_attention_ll4mi_QKV_mfma16_kernelIDF16_DF16_LN4vllm18Fp8KVCacheDataTypeE0EhLi32ELi64ELi256ELb1ELi2EEvPKT_PKT0_S7_ifPKiS9_S9_iPKfiiiPfSC_PS2_PT2_iSB_SB_.numbered_sgpr, max(33, .L__assert_fail.numbered_sgpr)
	.set _Z39paged_attention_ll4mi_QKV_mfma16_kernelIDF16_DF16_LN4vllm18Fp8KVCacheDataTypeE0EhLi32ELi64ELi256ELb1ELi2EEvPKT_PKT0_S7_ifPKiS9_S9_iPKfiiiPfSC_PS2_PT2_iSB_SB_.num_named_barrier, max(0, .L__assert_fail.num_named_barrier)
	.set _Z39paged_attention_ll4mi_QKV_mfma16_kernelIDF16_DF16_LN4vllm18Fp8KVCacheDataTypeE0EhLi32ELi64ELi256ELb1ELi2EEvPKT_PKT0_S7_ifPKiS9_S9_iPKfiiiPfSC_PS2_PT2_iSB_SB_.private_seg_size, 0+max(.L__assert_fail.private_seg_size)
	.set _Z39paged_attention_ll4mi_QKV_mfma16_kernelIDF16_DF16_LN4vllm18Fp8KVCacheDataTypeE0EhLi32ELi64ELi256ELb1ELi2EEvPKT_PKT0_S7_ifPKiS9_S9_iPKfiiiPfSC_PS2_PT2_iSB_SB_.uses_vcc, or(1, .L__assert_fail.uses_vcc)
	.set _Z39paged_attention_ll4mi_QKV_mfma16_kernelIDF16_DF16_LN4vllm18Fp8KVCacheDataTypeE0EhLi32ELi64ELi256ELb1ELi2EEvPKT_PKT0_S7_ifPKiS9_S9_iPKfiiiPfSC_PS2_PT2_iSB_SB_.uses_flat_scratch, or(0, .L__assert_fail.uses_flat_scratch)
	.set _Z39paged_attention_ll4mi_QKV_mfma16_kernelIDF16_DF16_LN4vllm18Fp8KVCacheDataTypeE0EhLi32ELi64ELi256ELb1ELi2EEvPKT_PKT0_S7_ifPKiS9_S9_iPKfiiiPfSC_PS2_PT2_iSB_SB_.has_dyn_sized_stack, or(0, .L__assert_fail.has_dyn_sized_stack)
	.set _Z39paged_attention_ll4mi_QKV_mfma16_kernelIDF16_DF16_LN4vllm18Fp8KVCacheDataTypeE0EhLi32ELi64ELi256ELb1ELi2EEvPKT_PKT0_S7_ifPKiS9_S9_iPKfiiiPfSC_PS2_PT2_iSB_SB_.has_recursion, or(0, .L__assert_fail.has_recursion)
	.set _Z39paged_attention_ll4mi_QKV_mfma16_kernelIDF16_DF16_LN4vllm18Fp8KVCacheDataTypeE0EhLi32ELi64ELi256ELb1ELi2EEvPKT_PKT0_S7_ifPKiS9_S9_iPKfiiiPfSC_PS2_PT2_iSB_SB_.has_indirect_call, or(0, .L__assert_fail.has_indirect_call)
	.section	.AMDGPU.csdata,"",@progbits
; Kernel info:
; codeLenInByte = 68
; TotalNumSgprs: 36
; NumVgprs: 51
; ScratchSize: 64
; MemoryBound: 0
; FloatMode: 240
; IeeeMode: 1
; LDSByteSize: 0 bytes/workgroup (compile time only)
; SGPRBlocks: 0
; VGPRBlocks: 3
; NumSGPRsForWavesPerEU: 36
; NumVGPRsForWavesPerEU: 51
; NamedBarCnt: 0
; Occupancy: 16
; WaveLimiterHint : 1
; COMPUTE_PGM_RSRC2:SCRATCH_EN: 1
; COMPUTE_PGM_RSRC2:USER_SGPR: 2
; COMPUTE_PGM_RSRC2:TRAP_HANDLER: 0
; COMPUTE_PGM_RSRC2:TGID_X_EN: 1
; COMPUTE_PGM_RSRC2:TGID_Y_EN: 0
; COMPUTE_PGM_RSRC2:TGID_Z_EN: 0
; COMPUTE_PGM_RSRC2:TIDIG_COMP_CNT: 0
	.section	.text._Z39paged_attention_ll4mi_QKV_mfma16_kernelIDF16_DF16_LN4vllm18Fp8KVCacheDataTypeE0EhLi32ELi64ELi256ELb1ELi3EEvPKT_PKT0_S7_ifPKiS9_S9_iPKfiiiPfSC_PS2_PT2_iSB_SB_,"axG",@progbits,_Z39paged_attention_ll4mi_QKV_mfma16_kernelIDF16_DF16_LN4vllm18Fp8KVCacheDataTypeE0EhLi32ELi64ELi256ELb1ELi3EEvPKT_PKT0_S7_ifPKiS9_S9_iPKfiiiPfSC_PS2_PT2_iSB_SB_,comdat
	.protected	_Z39paged_attention_ll4mi_QKV_mfma16_kernelIDF16_DF16_LN4vllm18Fp8KVCacheDataTypeE0EhLi32ELi64ELi256ELb1ELi3EEvPKT_PKT0_S7_ifPKiS9_S9_iPKfiiiPfSC_PS2_PT2_iSB_SB_ ; -- Begin function _Z39paged_attention_ll4mi_QKV_mfma16_kernelIDF16_DF16_LN4vllm18Fp8KVCacheDataTypeE0EhLi32ELi64ELi256ELb1ELi3EEvPKT_PKT0_S7_ifPKiS9_S9_iPKfiiiPfSC_PS2_PT2_iSB_SB_
	.globl	_Z39paged_attention_ll4mi_QKV_mfma16_kernelIDF16_DF16_LN4vllm18Fp8KVCacheDataTypeE0EhLi32ELi64ELi256ELb1ELi3EEvPKT_PKT0_S7_ifPKiS9_S9_iPKfiiiPfSC_PS2_PT2_iSB_SB_
	.p2align	8
	.type	_Z39paged_attention_ll4mi_QKV_mfma16_kernelIDF16_DF16_LN4vllm18Fp8KVCacheDataTypeE0EhLi32ELi64ELi256ELb1ELi3EEvPKT_PKT0_S7_ifPKiS9_S9_iPKfiiiPfSC_PS2_PT2_iSB_SB_,@function
_Z39paged_attention_ll4mi_QKV_mfma16_kernelIDF16_DF16_LN4vllm18Fp8KVCacheDataTypeE0EhLi32ELi64ELi256ELb1ELi3EEvPKT_PKT0_S7_ifPKiS9_S9_iPKfiiiPfSC_PS2_PT2_iSB_SB_: ; @_Z39paged_attention_ll4mi_QKV_mfma16_kernelIDF16_DF16_LN4vllm18Fp8KVCacheDataTypeE0EhLi32ELi64ELi256ELb1ELi3EEvPKT_PKT0_S7_ifPKiS9_S9_iPKfiiiPfSC_PS2_PT2_iSB_SB_
; %bb.0:
	s_get_pc_i64 s[2:3]
	s_add_nc_u64 s[2:3], s[2:3], __PRETTY_FUNCTION__._Z39paged_attention_ll4mi_QKV_mfma16_kernelIDF16_DF16_LN4vllm18Fp8KVCacheDataTypeE0EhLi32ELi64ELi256ELb1ELi3EEvPKT_PKT0_S7_ifPKiS9_S9_iPKfiiiPfSC_PS2_PT2_iSB_SB_@rel64+4
	s_delay_alu instid0(SALU_CYCLE_1)
	v_dual_mov_b32 v0, 0xbb3 :: v_dual_mov_b32 v1, s2
	v_mov_b32_e32 v2, s3
	s_add_nc_u64 s[8:9], s[0:1], 0x90
	s_get_pc_i64 s[0:1]
	s_add_nc_u64 s[0:1], s[0:1], __assert_fail@rel64+4
	s_mov_b32 s32, 0
	s_swap_pc_i64 s[30:31], s[0:1]
	.section	.rodata,"a",@progbits
	.p2align	6, 0x0
	.amdhsa_kernel _Z39paged_attention_ll4mi_QKV_mfma16_kernelIDF16_DF16_LN4vllm18Fp8KVCacheDataTypeE0EhLi32ELi64ELi256ELb1ELi3EEvPKT_PKT0_S7_ifPKiS9_S9_iPKfiiiPfSC_PS2_PT2_iSB_SB_
		.amdhsa_group_segment_fixed_size 0
		.amdhsa_private_segment_fixed_size 64
		.amdhsa_kernarg_size 400
		.amdhsa_user_sgpr_count 2
		.amdhsa_user_sgpr_dispatch_ptr 0
		.amdhsa_user_sgpr_queue_ptr 0
		.amdhsa_user_sgpr_kernarg_segment_ptr 1
		.amdhsa_user_sgpr_dispatch_id 0
		.amdhsa_user_sgpr_kernarg_preload_length 0
		.amdhsa_user_sgpr_kernarg_preload_offset 0
		.amdhsa_user_sgpr_private_segment_size 0
		.amdhsa_wavefront_size32 1
		.amdhsa_uses_dynamic_stack 0
		.amdhsa_enable_private_segment 1
		.amdhsa_system_sgpr_workgroup_id_x 1
		.amdhsa_system_sgpr_workgroup_id_y 0
		.amdhsa_system_sgpr_workgroup_id_z 0
		.amdhsa_system_sgpr_workgroup_info 0
		.amdhsa_system_vgpr_workitem_id 0
		.amdhsa_next_free_vgpr 51
		.amdhsa_next_free_sgpr 34
		.amdhsa_named_barrier_count 0
		.amdhsa_reserve_vcc 1
		.amdhsa_float_round_mode_32 0
		.amdhsa_float_round_mode_16_64 0
		.amdhsa_float_denorm_mode_32 3
		.amdhsa_float_denorm_mode_16_64 3
		.amdhsa_fp16_overflow 0
		.amdhsa_memory_ordered 1
		.amdhsa_forward_progress 1
		.amdhsa_inst_pref_size 1
		.amdhsa_round_robin_scheduling 0
		.amdhsa_exception_fp_ieee_invalid_op 0
		.amdhsa_exception_fp_denorm_src 0
		.amdhsa_exception_fp_ieee_div_zero 0
		.amdhsa_exception_fp_ieee_overflow 0
		.amdhsa_exception_fp_ieee_underflow 0
		.amdhsa_exception_fp_ieee_inexact 0
		.amdhsa_exception_int_div_zero 0
	.end_amdhsa_kernel
	.section	.text._Z39paged_attention_ll4mi_QKV_mfma16_kernelIDF16_DF16_LN4vllm18Fp8KVCacheDataTypeE0EhLi32ELi64ELi256ELb1ELi3EEvPKT_PKT0_S7_ifPKiS9_S9_iPKfiiiPfSC_PS2_PT2_iSB_SB_,"axG",@progbits,_Z39paged_attention_ll4mi_QKV_mfma16_kernelIDF16_DF16_LN4vllm18Fp8KVCacheDataTypeE0EhLi32ELi64ELi256ELb1ELi3EEvPKT_PKT0_S7_ifPKiS9_S9_iPKfiiiPfSC_PS2_PT2_iSB_SB_,comdat
.Lfunc_end132:
	.size	_Z39paged_attention_ll4mi_QKV_mfma16_kernelIDF16_DF16_LN4vllm18Fp8KVCacheDataTypeE0EhLi32ELi64ELi256ELb1ELi3EEvPKT_PKT0_S7_ifPKiS9_S9_iPKfiiiPfSC_PS2_PT2_iSB_SB_, .Lfunc_end132-_Z39paged_attention_ll4mi_QKV_mfma16_kernelIDF16_DF16_LN4vllm18Fp8KVCacheDataTypeE0EhLi32ELi64ELi256ELb1ELi3EEvPKT_PKT0_S7_ifPKiS9_S9_iPKfiiiPfSC_PS2_PT2_iSB_SB_
                                        ; -- End function
	.set _Z39paged_attention_ll4mi_QKV_mfma16_kernelIDF16_DF16_LN4vllm18Fp8KVCacheDataTypeE0EhLi32ELi64ELi256ELb1ELi3EEvPKT_PKT0_S7_ifPKiS9_S9_iPKfiiiPfSC_PS2_PT2_iSB_SB_.num_vgpr, max(3, .L__assert_fail.num_vgpr)
	.set _Z39paged_attention_ll4mi_QKV_mfma16_kernelIDF16_DF16_LN4vllm18Fp8KVCacheDataTypeE0EhLi32ELi64ELi256ELb1ELi3EEvPKT_PKT0_S7_ifPKiS9_S9_iPKfiiiPfSC_PS2_PT2_iSB_SB_.num_agpr, max(0, .L__assert_fail.num_agpr)
	.set _Z39paged_attention_ll4mi_QKV_mfma16_kernelIDF16_DF16_LN4vllm18Fp8KVCacheDataTypeE0EhLi32ELi64ELi256ELb1ELi3EEvPKT_PKT0_S7_ifPKiS9_S9_iPKfiiiPfSC_PS2_PT2_iSB_SB_.numbered_sgpr, max(33, .L__assert_fail.numbered_sgpr)
	.set _Z39paged_attention_ll4mi_QKV_mfma16_kernelIDF16_DF16_LN4vllm18Fp8KVCacheDataTypeE0EhLi32ELi64ELi256ELb1ELi3EEvPKT_PKT0_S7_ifPKiS9_S9_iPKfiiiPfSC_PS2_PT2_iSB_SB_.num_named_barrier, max(0, .L__assert_fail.num_named_barrier)
	.set _Z39paged_attention_ll4mi_QKV_mfma16_kernelIDF16_DF16_LN4vllm18Fp8KVCacheDataTypeE0EhLi32ELi64ELi256ELb1ELi3EEvPKT_PKT0_S7_ifPKiS9_S9_iPKfiiiPfSC_PS2_PT2_iSB_SB_.private_seg_size, 0+max(.L__assert_fail.private_seg_size)
	.set _Z39paged_attention_ll4mi_QKV_mfma16_kernelIDF16_DF16_LN4vllm18Fp8KVCacheDataTypeE0EhLi32ELi64ELi256ELb1ELi3EEvPKT_PKT0_S7_ifPKiS9_S9_iPKfiiiPfSC_PS2_PT2_iSB_SB_.uses_vcc, or(1, .L__assert_fail.uses_vcc)
	.set _Z39paged_attention_ll4mi_QKV_mfma16_kernelIDF16_DF16_LN4vllm18Fp8KVCacheDataTypeE0EhLi32ELi64ELi256ELb1ELi3EEvPKT_PKT0_S7_ifPKiS9_S9_iPKfiiiPfSC_PS2_PT2_iSB_SB_.uses_flat_scratch, or(0, .L__assert_fail.uses_flat_scratch)
	.set _Z39paged_attention_ll4mi_QKV_mfma16_kernelIDF16_DF16_LN4vllm18Fp8KVCacheDataTypeE0EhLi32ELi64ELi256ELb1ELi3EEvPKT_PKT0_S7_ifPKiS9_S9_iPKfiiiPfSC_PS2_PT2_iSB_SB_.has_dyn_sized_stack, or(0, .L__assert_fail.has_dyn_sized_stack)
	.set _Z39paged_attention_ll4mi_QKV_mfma16_kernelIDF16_DF16_LN4vllm18Fp8KVCacheDataTypeE0EhLi32ELi64ELi256ELb1ELi3EEvPKT_PKT0_S7_ifPKiS9_S9_iPKfiiiPfSC_PS2_PT2_iSB_SB_.has_recursion, or(0, .L__assert_fail.has_recursion)
	.set _Z39paged_attention_ll4mi_QKV_mfma16_kernelIDF16_DF16_LN4vllm18Fp8KVCacheDataTypeE0EhLi32ELi64ELi256ELb1ELi3EEvPKT_PKT0_S7_ifPKiS9_S9_iPKfiiiPfSC_PS2_PT2_iSB_SB_.has_indirect_call, or(0, .L__assert_fail.has_indirect_call)
	.section	.AMDGPU.csdata,"",@progbits
; Kernel info:
; codeLenInByte = 68
; TotalNumSgprs: 36
; NumVgprs: 51
; ScratchSize: 64
; MemoryBound: 0
; FloatMode: 240
; IeeeMode: 1
; LDSByteSize: 0 bytes/workgroup (compile time only)
; SGPRBlocks: 0
; VGPRBlocks: 3
; NumSGPRsForWavesPerEU: 36
; NumVGPRsForWavesPerEU: 51
; NamedBarCnt: 0
; Occupancy: 16
; WaveLimiterHint : 1
; COMPUTE_PGM_RSRC2:SCRATCH_EN: 1
; COMPUTE_PGM_RSRC2:USER_SGPR: 2
; COMPUTE_PGM_RSRC2:TRAP_HANDLER: 0
; COMPUTE_PGM_RSRC2:TGID_X_EN: 1
; COMPUTE_PGM_RSRC2:TGID_Y_EN: 0
; COMPUTE_PGM_RSRC2:TGID_Z_EN: 0
; COMPUTE_PGM_RSRC2:TIDIG_COMP_CNT: 0
	.section	.text._Z39paged_attention_ll4mi_QKV_mfma16_kernelIDF16_DF16_LN4vllm18Fp8KVCacheDataTypeE0EhLi32ELi64ELi256ELb1ELi4EEvPKT_PKT0_S7_ifPKiS9_S9_iPKfiiiPfSC_PS2_PT2_iSB_SB_,"axG",@progbits,_Z39paged_attention_ll4mi_QKV_mfma16_kernelIDF16_DF16_LN4vllm18Fp8KVCacheDataTypeE0EhLi32ELi64ELi256ELb1ELi4EEvPKT_PKT0_S7_ifPKiS9_S9_iPKfiiiPfSC_PS2_PT2_iSB_SB_,comdat
	.protected	_Z39paged_attention_ll4mi_QKV_mfma16_kernelIDF16_DF16_LN4vllm18Fp8KVCacheDataTypeE0EhLi32ELi64ELi256ELb1ELi4EEvPKT_PKT0_S7_ifPKiS9_S9_iPKfiiiPfSC_PS2_PT2_iSB_SB_ ; -- Begin function _Z39paged_attention_ll4mi_QKV_mfma16_kernelIDF16_DF16_LN4vllm18Fp8KVCacheDataTypeE0EhLi32ELi64ELi256ELb1ELi4EEvPKT_PKT0_S7_ifPKiS9_S9_iPKfiiiPfSC_PS2_PT2_iSB_SB_
	.globl	_Z39paged_attention_ll4mi_QKV_mfma16_kernelIDF16_DF16_LN4vllm18Fp8KVCacheDataTypeE0EhLi32ELi64ELi256ELb1ELi4EEvPKT_PKT0_S7_ifPKiS9_S9_iPKfiiiPfSC_PS2_PT2_iSB_SB_
	.p2align	8
	.type	_Z39paged_attention_ll4mi_QKV_mfma16_kernelIDF16_DF16_LN4vllm18Fp8KVCacheDataTypeE0EhLi32ELi64ELi256ELb1ELi4EEvPKT_PKT0_S7_ifPKiS9_S9_iPKfiiiPfSC_PS2_PT2_iSB_SB_,@function
_Z39paged_attention_ll4mi_QKV_mfma16_kernelIDF16_DF16_LN4vllm18Fp8KVCacheDataTypeE0EhLi32ELi64ELi256ELb1ELi4EEvPKT_PKT0_S7_ifPKiS9_S9_iPKfiiiPfSC_PS2_PT2_iSB_SB_: ; @_Z39paged_attention_ll4mi_QKV_mfma16_kernelIDF16_DF16_LN4vllm18Fp8KVCacheDataTypeE0EhLi32ELi64ELi256ELb1ELi4EEvPKT_PKT0_S7_ifPKiS9_S9_iPKfiiiPfSC_PS2_PT2_iSB_SB_
; %bb.0:
	s_get_pc_i64 s[2:3]
	s_add_nc_u64 s[2:3], s[2:3], __PRETTY_FUNCTION__._Z39paged_attention_ll4mi_QKV_mfma16_kernelIDF16_DF16_LN4vllm18Fp8KVCacheDataTypeE0EhLi32ELi64ELi256ELb1ELi4EEvPKT_PKT0_S7_ifPKiS9_S9_iPKfiiiPfSC_PS2_PT2_iSB_SB_@rel64+4
	s_delay_alu instid0(SALU_CYCLE_1)
	v_dual_mov_b32 v0, 0xbb3 :: v_dual_mov_b32 v1, s2
	v_mov_b32_e32 v2, s3
	s_add_nc_u64 s[8:9], s[0:1], 0x90
	s_get_pc_i64 s[0:1]
	s_add_nc_u64 s[0:1], s[0:1], __assert_fail@rel64+4
	s_mov_b32 s32, 0
	s_swap_pc_i64 s[30:31], s[0:1]
	.section	.rodata,"a",@progbits
	.p2align	6, 0x0
	.amdhsa_kernel _Z39paged_attention_ll4mi_QKV_mfma16_kernelIDF16_DF16_LN4vllm18Fp8KVCacheDataTypeE0EhLi32ELi64ELi256ELb1ELi4EEvPKT_PKT0_S7_ifPKiS9_S9_iPKfiiiPfSC_PS2_PT2_iSB_SB_
		.amdhsa_group_segment_fixed_size 0
		.amdhsa_private_segment_fixed_size 64
		.amdhsa_kernarg_size 400
		.amdhsa_user_sgpr_count 2
		.amdhsa_user_sgpr_dispatch_ptr 0
		.amdhsa_user_sgpr_queue_ptr 0
		.amdhsa_user_sgpr_kernarg_segment_ptr 1
		.amdhsa_user_sgpr_dispatch_id 0
		.amdhsa_user_sgpr_kernarg_preload_length 0
		.amdhsa_user_sgpr_kernarg_preload_offset 0
		.amdhsa_user_sgpr_private_segment_size 0
		.amdhsa_wavefront_size32 1
		.amdhsa_uses_dynamic_stack 0
		.amdhsa_enable_private_segment 1
		.amdhsa_system_sgpr_workgroup_id_x 1
		.amdhsa_system_sgpr_workgroup_id_y 0
		.amdhsa_system_sgpr_workgroup_id_z 0
		.amdhsa_system_sgpr_workgroup_info 0
		.amdhsa_system_vgpr_workitem_id 0
		.amdhsa_next_free_vgpr 51
		.amdhsa_next_free_sgpr 34
		.amdhsa_named_barrier_count 0
		.amdhsa_reserve_vcc 1
		.amdhsa_float_round_mode_32 0
		.amdhsa_float_round_mode_16_64 0
		.amdhsa_float_denorm_mode_32 3
		.amdhsa_float_denorm_mode_16_64 3
		.amdhsa_fp16_overflow 0
		.amdhsa_memory_ordered 1
		.amdhsa_forward_progress 1
		.amdhsa_inst_pref_size 1
		.amdhsa_round_robin_scheduling 0
		.amdhsa_exception_fp_ieee_invalid_op 0
		.amdhsa_exception_fp_denorm_src 0
		.amdhsa_exception_fp_ieee_div_zero 0
		.amdhsa_exception_fp_ieee_overflow 0
		.amdhsa_exception_fp_ieee_underflow 0
		.amdhsa_exception_fp_ieee_inexact 0
		.amdhsa_exception_int_div_zero 0
	.end_amdhsa_kernel
	.section	.text._Z39paged_attention_ll4mi_QKV_mfma16_kernelIDF16_DF16_LN4vllm18Fp8KVCacheDataTypeE0EhLi32ELi64ELi256ELb1ELi4EEvPKT_PKT0_S7_ifPKiS9_S9_iPKfiiiPfSC_PS2_PT2_iSB_SB_,"axG",@progbits,_Z39paged_attention_ll4mi_QKV_mfma16_kernelIDF16_DF16_LN4vllm18Fp8KVCacheDataTypeE0EhLi32ELi64ELi256ELb1ELi4EEvPKT_PKT0_S7_ifPKiS9_S9_iPKfiiiPfSC_PS2_PT2_iSB_SB_,comdat
.Lfunc_end133:
	.size	_Z39paged_attention_ll4mi_QKV_mfma16_kernelIDF16_DF16_LN4vllm18Fp8KVCacheDataTypeE0EhLi32ELi64ELi256ELb1ELi4EEvPKT_PKT0_S7_ifPKiS9_S9_iPKfiiiPfSC_PS2_PT2_iSB_SB_, .Lfunc_end133-_Z39paged_attention_ll4mi_QKV_mfma16_kernelIDF16_DF16_LN4vllm18Fp8KVCacheDataTypeE0EhLi32ELi64ELi256ELb1ELi4EEvPKT_PKT0_S7_ifPKiS9_S9_iPKfiiiPfSC_PS2_PT2_iSB_SB_
                                        ; -- End function
	.set _Z39paged_attention_ll4mi_QKV_mfma16_kernelIDF16_DF16_LN4vllm18Fp8KVCacheDataTypeE0EhLi32ELi64ELi256ELb1ELi4EEvPKT_PKT0_S7_ifPKiS9_S9_iPKfiiiPfSC_PS2_PT2_iSB_SB_.num_vgpr, max(3, .L__assert_fail.num_vgpr)
	.set _Z39paged_attention_ll4mi_QKV_mfma16_kernelIDF16_DF16_LN4vllm18Fp8KVCacheDataTypeE0EhLi32ELi64ELi256ELb1ELi4EEvPKT_PKT0_S7_ifPKiS9_S9_iPKfiiiPfSC_PS2_PT2_iSB_SB_.num_agpr, max(0, .L__assert_fail.num_agpr)
	.set _Z39paged_attention_ll4mi_QKV_mfma16_kernelIDF16_DF16_LN4vllm18Fp8KVCacheDataTypeE0EhLi32ELi64ELi256ELb1ELi4EEvPKT_PKT0_S7_ifPKiS9_S9_iPKfiiiPfSC_PS2_PT2_iSB_SB_.numbered_sgpr, max(33, .L__assert_fail.numbered_sgpr)
	.set _Z39paged_attention_ll4mi_QKV_mfma16_kernelIDF16_DF16_LN4vllm18Fp8KVCacheDataTypeE0EhLi32ELi64ELi256ELb1ELi4EEvPKT_PKT0_S7_ifPKiS9_S9_iPKfiiiPfSC_PS2_PT2_iSB_SB_.num_named_barrier, max(0, .L__assert_fail.num_named_barrier)
	.set _Z39paged_attention_ll4mi_QKV_mfma16_kernelIDF16_DF16_LN4vllm18Fp8KVCacheDataTypeE0EhLi32ELi64ELi256ELb1ELi4EEvPKT_PKT0_S7_ifPKiS9_S9_iPKfiiiPfSC_PS2_PT2_iSB_SB_.private_seg_size, 0+max(.L__assert_fail.private_seg_size)
	.set _Z39paged_attention_ll4mi_QKV_mfma16_kernelIDF16_DF16_LN4vllm18Fp8KVCacheDataTypeE0EhLi32ELi64ELi256ELb1ELi4EEvPKT_PKT0_S7_ifPKiS9_S9_iPKfiiiPfSC_PS2_PT2_iSB_SB_.uses_vcc, or(1, .L__assert_fail.uses_vcc)
	.set _Z39paged_attention_ll4mi_QKV_mfma16_kernelIDF16_DF16_LN4vllm18Fp8KVCacheDataTypeE0EhLi32ELi64ELi256ELb1ELi4EEvPKT_PKT0_S7_ifPKiS9_S9_iPKfiiiPfSC_PS2_PT2_iSB_SB_.uses_flat_scratch, or(0, .L__assert_fail.uses_flat_scratch)
	.set _Z39paged_attention_ll4mi_QKV_mfma16_kernelIDF16_DF16_LN4vllm18Fp8KVCacheDataTypeE0EhLi32ELi64ELi256ELb1ELi4EEvPKT_PKT0_S7_ifPKiS9_S9_iPKfiiiPfSC_PS2_PT2_iSB_SB_.has_dyn_sized_stack, or(0, .L__assert_fail.has_dyn_sized_stack)
	.set _Z39paged_attention_ll4mi_QKV_mfma16_kernelIDF16_DF16_LN4vllm18Fp8KVCacheDataTypeE0EhLi32ELi64ELi256ELb1ELi4EEvPKT_PKT0_S7_ifPKiS9_S9_iPKfiiiPfSC_PS2_PT2_iSB_SB_.has_recursion, or(0, .L__assert_fail.has_recursion)
	.set _Z39paged_attention_ll4mi_QKV_mfma16_kernelIDF16_DF16_LN4vllm18Fp8KVCacheDataTypeE0EhLi32ELi64ELi256ELb1ELi4EEvPKT_PKT0_S7_ifPKiS9_S9_iPKfiiiPfSC_PS2_PT2_iSB_SB_.has_indirect_call, or(0, .L__assert_fail.has_indirect_call)
	.section	.AMDGPU.csdata,"",@progbits
; Kernel info:
; codeLenInByte = 68
; TotalNumSgprs: 36
; NumVgprs: 51
; ScratchSize: 64
; MemoryBound: 0
; FloatMode: 240
; IeeeMode: 1
; LDSByteSize: 0 bytes/workgroup (compile time only)
; SGPRBlocks: 0
; VGPRBlocks: 3
; NumSGPRsForWavesPerEU: 36
; NumVGPRsForWavesPerEU: 51
; NamedBarCnt: 0
; Occupancy: 16
; WaveLimiterHint : 1
; COMPUTE_PGM_RSRC2:SCRATCH_EN: 1
; COMPUTE_PGM_RSRC2:USER_SGPR: 2
; COMPUTE_PGM_RSRC2:TRAP_HANDLER: 0
; COMPUTE_PGM_RSRC2:TGID_X_EN: 1
; COMPUTE_PGM_RSRC2:TGID_Y_EN: 0
; COMPUTE_PGM_RSRC2:TGID_Z_EN: 0
; COMPUTE_PGM_RSRC2:TIDIG_COMP_CNT: 0
	.section	.text._Z38paged_attention_ll4mi_QKV_mfma4_kernelIDF16_DF16_LN4vllm18Fp8KVCacheDataTypeE0EhLi32ELi64ELi256ELb0ELi1EEvPKT_PKT0_S7_ifPKiS9_S9_iPKfiiiPfSC_PS2_PT2_iSB_SB_,"axG",@progbits,_Z38paged_attention_ll4mi_QKV_mfma4_kernelIDF16_DF16_LN4vllm18Fp8KVCacheDataTypeE0EhLi32ELi64ELi256ELb0ELi1EEvPKT_PKT0_S7_ifPKiS9_S9_iPKfiiiPfSC_PS2_PT2_iSB_SB_,comdat
	.protected	_Z38paged_attention_ll4mi_QKV_mfma4_kernelIDF16_DF16_LN4vllm18Fp8KVCacheDataTypeE0EhLi32ELi64ELi256ELb0ELi1EEvPKT_PKT0_S7_ifPKiS9_S9_iPKfiiiPfSC_PS2_PT2_iSB_SB_ ; -- Begin function _Z38paged_attention_ll4mi_QKV_mfma4_kernelIDF16_DF16_LN4vllm18Fp8KVCacheDataTypeE0EhLi32ELi64ELi256ELb0ELi1EEvPKT_PKT0_S7_ifPKiS9_S9_iPKfiiiPfSC_PS2_PT2_iSB_SB_
	.globl	_Z38paged_attention_ll4mi_QKV_mfma4_kernelIDF16_DF16_LN4vllm18Fp8KVCacheDataTypeE0EhLi32ELi64ELi256ELb0ELi1EEvPKT_PKT0_S7_ifPKiS9_S9_iPKfiiiPfSC_PS2_PT2_iSB_SB_
	.p2align	8
	.type	_Z38paged_attention_ll4mi_QKV_mfma4_kernelIDF16_DF16_LN4vllm18Fp8KVCacheDataTypeE0EhLi32ELi64ELi256ELb0ELi1EEvPKT_PKT0_S7_ifPKiS9_S9_iPKfiiiPfSC_PS2_PT2_iSB_SB_,@function
_Z38paged_attention_ll4mi_QKV_mfma4_kernelIDF16_DF16_LN4vllm18Fp8KVCacheDataTypeE0EhLi32ELi64ELi256ELb0ELi1EEvPKT_PKT0_S7_ifPKiS9_S9_iPKfiiiPfSC_PS2_PT2_iSB_SB_: ; @_Z38paged_attention_ll4mi_QKV_mfma4_kernelIDF16_DF16_LN4vllm18Fp8KVCacheDataTypeE0EhLi32ELi64ELi256ELb0ELi1EEvPKT_PKT0_S7_ifPKiS9_S9_iPKfiiiPfSC_PS2_PT2_iSB_SB_
; %bb.0:
	s_get_pc_i64 s[2:3]
	s_add_nc_u64 s[2:3], s[2:3], __PRETTY_FUNCTION__._Z38paged_attention_ll4mi_QKV_mfma4_kernelIDF16_DF16_LN4vllm18Fp8KVCacheDataTypeE0EhLi32ELi64ELi256ELb0ELi1EEvPKT_PKT0_S7_ifPKiS9_S9_iPKfiiiPfSC_PS2_PT2_iSB_SB_@rel64+4
	s_delay_alu instid0(SALU_CYCLE_1)
	v_dual_mov_b32 v0, 0xbce :: v_dual_mov_b32 v1, s2
	v_mov_b32_e32 v2, s3
	s_add_nc_u64 s[8:9], s[0:1], 0x90
	s_get_pc_i64 s[0:1]
	s_add_nc_u64 s[0:1], s[0:1], __assert_fail@rel64+4
	s_mov_b32 s32, 0
	s_swap_pc_i64 s[30:31], s[0:1]
	.section	.rodata,"a",@progbits
	.p2align	6, 0x0
	.amdhsa_kernel _Z38paged_attention_ll4mi_QKV_mfma4_kernelIDF16_DF16_LN4vllm18Fp8KVCacheDataTypeE0EhLi32ELi64ELi256ELb0ELi1EEvPKT_PKT0_S7_ifPKiS9_S9_iPKfiiiPfSC_PS2_PT2_iSB_SB_
		.amdhsa_group_segment_fixed_size 0
		.amdhsa_private_segment_fixed_size 64
		.amdhsa_kernarg_size 400
		.amdhsa_user_sgpr_count 2
		.amdhsa_user_sgpr_dispatch_ptr 0
		.amdhsa_user_sgpr_queue_ptr 0
		.amdhsa_user_sgpr_kernarg_segment_ptr 1
		.amdhsa_user_sgpr_dispatch_id 0
		.amdhsa_user_sgpr_kernarg_preload_length 0
		.amdhsa_user_sgpr_kernarg_preload_offset 0
		.amdhsa_user_sgpr_private_segment_size 0
		.amdhsa_wavefront_size32 1
		.amdhsa_uses_dynamic_stack 0
		.amdhsa_enable_private_segment 1
		.amdhsa_system_sgpr_workgroup_id_x 1
		.amdhsa_system_sgpr_workgroup_id_y 0
		.amdhsa_system_sgpr_workgroup_id_z 0
		.amdhsa_system_sgpr_workgroup_info 0
		.amdhsa_system_vgpr_workitem_id 0
		.amdhsa_next_free_vgpr 51
		.amdhsa_next_free_sgpr 34
		.amdhsa_named_barrier_count 0
		.amdhsa_reserve_vcc 1
		.amdhsa_float_round_mode_32 0
		.amdhsa_float_round_mode_16_64 0
		.amdhsa_float_denorm_mode_32 3
		.amdhsa_float_denorm_mode_16_64 3
		.amdhsa_fp16_overflow 0
		.amdhsa_memory_ordered 1
		.amdhsa_forward_progress 1
		.amdhsa_inst_pref_size 1
		.amdhsa_round_robin_scheduling 0
		.amdhsa_exception_fp_ieee_invalid_op 0
		.amdhsa_exception_fp_denorm_src 0
		.amdhsa_exception_fp_ieee_div_zero 0
		.amdhsa_exception_fp_ieee_overflow 0
		.amdhsa_exception_fp_ieee_underflow 0
		.amdhsa_exception_fp_ieee_inexact 0
		.amdhsa_exception_int_div_zero 0
	.end_amdhsa_kernel
	.section	.text._Z38paged_attention_ll4mi_QKV_mfma4_kernelIDF16_DF16_LN4vllm18Fp8KVCacheDataTypeE0EhLi32ELi64ELi256ELb0ELi1EEvPKT_PKT0_S7_ifPKiS9_S9_iPKfiiiPfSC_PS2_PT2_iSB_SB_,"axG",@progbits,_Z38paged_attention_ll4mi_QKV_mfma4_kernelIDF16_DF16_LN4vllm18Fp8KVCacheDataTypeE0EhLi32ELi64ELi256ELb0ELi1EEvPKT_PKT0_S7_ifPKiS9_S9_iPKfiiiPfSC_PS2_PT2_iSB_SB_,comdat
.Lfunc_end134:
	.size	_Z38paged_attention_ll4mi_QKV_mfma4_kernelIDF16_DF16_LN4vllm18Fp8KVCacheDataTypeE0EhLi32ELi64ELi256ELb0ELi1EEvPKT_PKT0_S7_ifPKiS9_S9_iPKfiiiPfSC_PS2_PT2_iSB_SB_, .Lfunc_end134-_Z38paged_attention_ll4mi_QKV_mfma4_kernelIDF16_DF16_LN4vllm18Fp8KVCacheDataTypeE0EhLi32ELi64ELi256ELb0ELi1EEvPKT_PKT0_S7_ifPKiS9_S9_iPKfiiiPfSC_PS2_PT2_iSB_SB_
                                        ; -- End function
	.set _Z38paged_attention_ll4mi_QKV_mfma4_kernelIDF16_DF16_LN4vllm18Fp8KVCacheDataTypeE0EhLi32ELi64ELi256ELb0ELi1EEvPKT_PKT0_S7_ifPKiS9_S9_iPKfiiiPfSC_PS2_PT2_iSB_SB_.num_vgpr, max(3, .L__assert_fail.num_vgpr)
	.set _Z38paged_attention_ll4mi_QKV_mfma4_kernelIDF16_DF16_LN4vllm18Fp8KVCacheDataTypeE0EhLi32ELi64ELi256ELb0ELi1EEvPKT_PKT0_S7_ifPKiS9_S9_iPKfiiiPfSC_PS2_PT2_iSB_SB_.num_agpr, max(0, .L__assert_fail.num_agpr)
	.set _Z38paged_attention_ll4mi_QKV_mfma4_kernelIDF16_DF16_LN4vllm18Fp8KVCacheDataTypeE0EhLi32ELi64ELi256ELb0ELi1EEvPKT_PKT0_S7_ifPKiS9_S9_iPKfiiiPfSC_PS2_PT2_iSB_SB_.numbered_sgpr, max(33, .L__assert_fail.numbered_sgpr)
	.set _Z38paged_attention_ll4mi_QKV_mfma4_kernelIDF16_DF16_LN4vllm18Fp8KVCacheDataTypeE0EhLi32ELi64ELi256ELb0ELi1EEvPKT_PKT0_S7_ifPKiS9_S9_iPKfiiiPfSC_PS2_PT2_iSB_SB_.num_named_barrier, max(0, .L__assert_fail.num_named_barrier)
	.set _Z38paged_attention_ll4mi_QKV_mfma4_kernelIDF16_DF16_LN4vllm18Fp8KVCacheDataTypeE0EhLi32ELi64ELi256ELb0ELi1EEvPKT_PKT0_S7_ifPKiS9_S9_iPKfiiiPfSC_PS2_PT2_iSB_SB_.private_seg_size, 0+max(.L__assert_fail.private_seg_size)
	.set _Z38paged_attention_ll4mi_QKV_mfma4_kernelIDF16_DF16_LN4vllm18Fp8KVCacheDataTypeE0EhLi32ELi64ELi256ELb0ELi1EEvPKT_PKT0_S7_ifPKiS9_S9_iPKfiiiPfSC_PS2_PT2_iSB_SB_.uses_vcc, or(1, .L__assert_fail.uses_vcc)
	.set _Z38paged_attention_ll4mi_QKV_mfma4_kernelIDF16_DF16_LN4vllm18Fp8KVCacheDataTypeE0EhLi32ELi64ELi256ELb0ELi1EEvPKT_PKT0_S7_ifPKiS9_S9_iPKfiiiPfSC_PS2_PT2_iSB_SB_.uses_flat_scratch, or(0, .L__assert_fail.uses_flat_scratch)
	.set _Z38paged_attention_ll4mi_QKV_mfma4_kernelIDF16_DF16_LN4vllm18Fp8KVCacheDataTypeE0EhLi32ELi64ELi256ELb0ELi1EEvPKT_PKT0_S7_ifPKiS9_S9_iPKfiiiPfSC_PS2_PT2_iSB_SB_.has_dyn_sized_stack, or(0, .L__assert_fail.has_dyn_sized_stack)
	.set _Z38paged_attention_ll4mi_QKV_mfma4_kernelIDF16_DF16_LN4vllm18Fp8KVCacheDataTypeE0EhLi32ELi64ELi256ELb0ELi1EEvPKT_PKT0_S7_ifPKiS9_S9_iPKfiiiPfSC_PS2_PT2_iSB_SB_.has_recursion, or(0, .L__assert_fail.has_recursion)
	.set _Z38paged_attention_ll4mi_QKV_mfma4_kernelIDF16_DF16_LN4vllm18Fp8KVCacheDataTypeE0EhLi32ELi64ELi256ELb0ELi1EEvPKT_PKT0_S7_ifPKiS9_S9_iPKfiiiPfSC_PS2_PT2_iSB_SB_.has_indirect_call, or(0, .L__assert_fail.has_indirect_call)
	.section	.AMDGPU.csdata,"",@progbits
; Kernel info:
; codeLenInByte = 68
; TotalNumSgprs: 36
; NumVgprs: 51
; ScratchSize: 64
; MemoryBound: 0
; FloatMode: 240
; IeeeMode: 1
; LDSByteSize: 0 bytes/workgroup (compile time only)
; SGPRBlocks: 0
; VGPRBlocks: 3
; NumSGPRsForWavesPerEU: 36
; NumVGPRsForWavesPerEU: 51
; NamedBarCnt: 0
; Occupancy: 16
; WaveLimiterHint : 1
; COMPUTE_PGM_RSRC2:SCRATCH_EN: 1
; COMPUTE_PGM_RSRC2:USER_SGPR: 2
; COMPUTE_PGM_RSRC2:TRAP_HANDLER: 0
; COMPUTE_PGM_RSRC2:TGID_X_EN: 1
; COMPUTE_PGM_RSRC2:TGID_Y_EN: 0
; COMPUTE_PGM_RSRC2:TGID_Z_EN: 0
; COMPUTE_PGM_RSRC2:TIDIG_COMP_CNT: 0
	.section	.text._Z38paged_attention_ll4mi_QKV_mfma4_kernelIDF16_DF16_LN4vllm18Fp8KVCacheDataTypeE0EhLi32ELi64ELi256ELb0ELi2EEvPKT_PKT0_S7_ifPKiS9_S9_iPKfiiiPfSC_PS2_PT2_iSB_SB_,"axG",@progbits,_Z38paged_attention_ll4mi_QKV_mfma4_kernelIDF16_DF16_LN4vllm18Fp8KVCacheDataTypeE0EhLi32ELi64ELi256ELb0ELi2EEvPKT_PKT0_S7_ifPKiS9_S9_iPKfiiiPfSC_PS2_PT2_iSB_SB_,comdat
	.protected	_Z38paged_attention_ll4mi_QKV_mfma4_kernelIDF16_DF16_LN4vllm18Fp8KVCacheDataTypeE0EhLi32ELi64ELi256ELb0ELi2EEvPKT_PKT0_S7_ifPKiS9_S9_iPKfiiiPfSC_PS2_PT2_iSB_SB_ ; -- Begin function _Z38paged_attention_ll4mi_QKV_mfma4_kernelIDF16_DF16_LN4vllm18Fp8KVCacheDataTypeE0EhLi32ELi64ELi256ELb0ELi2EEvPKT_PKT0_S7_ifPKiS9_S9_iPKfiiiPfSC_PS2_PT2_iSB_SB_
	.globl	_Z38paged_attention_ll4mi_QKV_mfma4_kernelIDF16_DF16_LN4vllm18Fp8KVCacheDataTypeE0EhLi32ELi64ELi256ELb0ELi2EEvPKT_PKT0_S7_ifPKiS9_S9_iPKfiiiPfSC_PS2_PT2_iSB_SB_
	.p2align	8
	.type	_Z38paged_attention_ll4mi_QKV_mfma4_kernelIDF16_DF16_LN4vllm18Fp8KVCacheDataTypeE0EhLi32ELi64ELi256ELb0ELi2EEvPKT_PKT0_S7_ifPKiS9_S9_iPKfiiiPfSC_PS2_PT2_iSB_SB_,@function
_Z38paged_attention_ll4mi_QKV_mfma4_kernelIDF16_DF16_LN4vllm18Fp8KVCacheDataTypeE0EhLi32ELi64ELi256ELb0ELi2EEvPKT_PKT0_S7_ifPKiS9_S9_iPKfiiiPfSC_PS2_PT2_iSB_SB_: ; @_Z38paged_attention_ll4mi_QKV_mfma4_kernelIDF16_DF16_LN4vllm18Fp8KVCacheDataTypeE0EhLi32ELi64ELi256ELb0ELi2EEvPKT_PKT0_S7_ifPKiS9_S9_iPKfiiiPfSC_PS2_PT2_iSB_SB_
; %bb.0:
	s_get_pc_i64 s[2:3]
	s_add_nc_u64 s[2:3], s[2:3], __PRETTY_FUNCTION__._Z38paged_attention_ll4mi_QKV_mfma4_kernelIDF16_DF16_LN4vllm18Fp8KVCacheDataTypeE0EhLi32ELi64ELi256ELb0ELi2EEvPKT_PKT0_S7_ifPKiS9_S9_iPKfiiiPfSC_PS2_PT2_iSB_SB_@rel64+4
	s_delay_alu instid0(SALU_CYCLE_1)
	v_dual_mov_b32 v0, 0xbce :: v_dual_mov_b32 v1, s2
	v_mov_b32_e32 v2, s3
	s_add_nc_u64 s[8:9], s[0:1], 0x90
	s_get_pc_i64 s[0:1]
	s_add_nc_u64 s[0:1], s[0:1], __assert_fail@rel64+4
	s_mov_b32 s32, 0
	s_swap_pc_i64 s[30:31], s[0:1]
	.section	.rodata,"a",@progbits
	.p2align	6, 0x0
	.amdhsa_kernel _Z38paged_attention_ll4mi_QKV_mfma4_kernelIDF16_DF16_LN4vllm18Fp8KVCacheDataTypeE0EhLi32ELi64ELi256ELb0ELi2EEvPKT_PKT0_S7_ifPKiS9_S9_iPKfiiiPfSC_PS2_PT2_iSB_SB_
		.amdhsa_group_segment_fixed_size 0
		.amdhsa_private_segment_fixed_size 64
		.amdhsa_kernarg_size 400
		.amdhsa_user_sgpr_count 2
		.amdhsa_user_sgpr_dispatch_ptr 0
		.amdhsa_user_sgpr_queue_ptr 0
		.amdhsa_user_sgpr_kernarg_segment_ptr 1
		.amdhsa_user_sgpr_dispatch_id 0
		.amdhsa_user_sgpr_kernarg_preload_length 0
		.amdhsa_user_sgpr_kernarg_preload_offset 0
		.amdhsa_user_sgpr_private_segment_size 0
		.amdhsa_wavefront_size32 1
		.amdhsa_uses_dynamic_stack 0
		.amdhsa_enable_private_segment 1
		.amdhsa_system_sgpr_workgroup_id_x 1
		.amdhsa_system_sgpr_workgroup_id_y 0
		.amdhsa_system_sgpr_workgroup_id_z 0
		.amdhsa_system_sgpr_workgroup_info 0
		.amdhsa_system_vgpr_workitem_id 0
		.amdhsa_next_free_vgpr 51
		.amdhsa_next_free_sgpr 34
		.amdhsa_named_barrier_count 0
		.amdhsa_reserve_vcc 1
		.amdhsa_float_round_mode_32 0
		.amdhsa_float_round_mode_16_64 0
		.amdhsa_float_denorm_mode_32 3
		.amdhsa_float_denorm_mode_16_64 3
		.amdhsa_fp16_overflow 0
		.amdhsa_memory_ordered 1
		.amdhsa_forward_progress 1
		.amdhsa_inst_pref_size 1
		.amdhsa_round_robin_scheduling 0
		.amdhsa_exception_fp_ieee_invalid_op 0
		.amdhsa_exception_fp_denorm_src 0
		.amdhsa_exception_fp_ieee_div_zero 0
		.amdhsa_exception_fp_ieee_overflow 0
		.amdhsa_exception_fp_ieee_underflow 0
		.amdhsa_exception_fp_ieee_inexact 0
		.amdhsa_exception_int_div_zero 0
	.end_amdhsa_kernel
	.section	.text._Z38paged_attention_ll4mi_QKV_mfma4_kernelIDF16_DF16_LN4vllm18Fp8KVCacheDataTypeE0EhLi32ELi64ELi256ELb0ELi2EEvPKT_PKT0_S7_ifPKiS9_S9_iPKfiiiPfSC_PS2_PT2_iSB_SB_,"axG",@progbits,_Z38paged_attention_ll4mi_QKV_mfma4_kernelIDF16_DF16_LN4vllm18Fp8KVCacheDataTypeE0EhLi32ELi64ELi256ELb0ELi2EEvPKT_PKT0_S7_ifPKiS9_S9_iPKfiiiPfSC_PS2_PT2_iSB_SB_,comdat
.Lfunc_end135:
	.size	_Z38paged_attention_ll4mi_QKV_mfma4_kernelIDF16_DF16_LN4vllm18Fp8KVCacheDataTypeE0EhLi32ELi64ELi256ELb0ELi2EEvPKT_PKT0_S7_ifPKiS9_S9_iPKfiiiPfSC_PS2_PT2_iSB_SB_, .Lfunc_end135-_Z38paged_attention_ll4mi_QKV_mfma4_kernelIDF16_DF16_LN4vllm18Fp8KVCacheDataTypeE0EhLi32ELi64ELi256ELb0ELi2EEvPKT_PKT0_S7_ifPKiS9_S9_iPKfiiiPfSC_PS2_PT2_iSB_SB_
                                        ; -- End function
	.set _Z38paged_attention_ll4mi_QKV_mfma4_kernelIDF16_DF16_LN4vllm18Fp8KVCacheDataTypeE0EhLi32ELi64ELi256ELb0ELi2EEvPKT_PKT0_S7_ifPKiS9_S9_iPKfiiiPfSC_PS2_PT2_iSB_SB_.num_vgpr, max(3, .L__assert_fail.num_vgpr)
	.set _Z38paged_attention_ll4mi_QKV_mfma4_kernelIDF16_DF16_LN4vllm18Fp8KVCacheDataTypeE0EhLi32ELi64ELi256ELb0ELi2EEvPKT_PKT0_S7_ifPKiS9_S9_iPKfiiiPfSC_PS2_PT2_iSB_SB_.num_agpr, max(0, .L__assert_fail.num_agpr)
	.set _Z38paged_attention_ll4mi_QKV_mfma4_kernelIDF16_DF16_LN4vllm18Fp8KVCacheDataTypeE0EhLi32ELi64ELi256ELb0ELi2EEvPKT_PKT0_S7_ifPKiS9_S9_iPKfiiiPfSC_PS2_PT2_iSB_SB_.numbered_sgpr, max(33, .L__assert_fail.numbered_sgpr)
	.set _Z38paged_attention_ll4mi_QKV_mfma4_kernelIDF16_DF16_LN4vllm18Fp8KVCacheDataTypeE0EhLi32ELi64ELi256ELb0ELi2EEvPKT_PKT0_S7_ifPKiS9_S9_iPKfiiiPfSC_PS2_PT2_iSB_SB_.num_named_barrier, max(0, .L__assert_fail.num_named_barrier)
	.set _Z38paged_attention_ll4mi_QKV_mfma4_kernelIDF16_DF16_LN4vllm18Fp8KVCacheDataTypeE0EhLi32ELi64ELi256ELb0ELi2EEvPKT_PKT0_S7_ifPKiS9_S9_iPKfiiiPfSC_PS2_PT2_iSB_SB_.private_seg_size, 0+max(.L__assert_fail.private_seg_size)
	.set _Z38paged_attention_ll4mi_QKV_mfma4_kernelIDF16_DF16_LN4vllm18Fp8KVCacheDataTypeE0EhLi32ELi64ELi256ELb0ELi2EEvPKT_PKT0_S7_ifPKiS9_S9_iPKfiiiPfSC_PS2_PT2_iSB_SB_.uses_vcc, or(1, .L__assert_fail.uses_vcc)
	.set _Z38paged_attention_ll4mi_QKV_mfma4_kernelIDF16_DF16_LN4vllm18Fp8KVCacheDataTypeE0EhLi32ELi64ELi256ELb0ELi2EEvPKT_PKT0_S7_ifPKiS9_S9_iPKfiiiPfSC_PS2_PT2_iSB_SB_.uses_flat_scratch, or(0, .L__assert_fail.uses_flat_scratch)
	.set _Z38paged_attention_ll4mi_QKV_mfma4_kernelIDF16_DF16_LN4vllm18Fp8KVCacheDataTypeE0EhLi32ELi64ELi256ELb0ELi2EEvPKT_PKT0_S7_ifPKiS9_S9_iPKfiiiPfSC_PS2_PT2_iSB_SB_.has_dyn_sized_stack, or(0, .L__assert_fail.has_dyn_sized_stack)
	.set _Z38paged_attention_ll4mi_QKV_mfma4_kernelIDF16_DF16_LN4vllm18Fp8KVCacheDataTypeE0EhLi32ELi64ELi256ELb0ELi2EEvPKT_PKT0_S7_ifPKiS9_S9_iPKfiiiPfSC_PS2_PT2_iSB_SB_.has_recursion, or(0, .L__assert_fail.has_recursion)
	.set _Z38paged_attention_ll4mi_QKV_mfma4_kernelIDF16_DF16_LN4vllm18Fp8KVCacheDataTypeE0EhLi32ELi64ELi256ELb0ELi2EEvPKT_PKT0_S7_ifPKiS9_S9_iPKfiiiPfSC_PS2_PT2_iSB_SB_.has_indirect_call, or(0, .L__assert_fail.has_indirect_call)
	.section	.AMDGPU.csdata,"",@progbits
; Kernel info:
; codeLenInByte = 68
; TotalNumSgprs: 36
; NumVgprs: 51
; ScratchSize: 64
; MemoryBound: 0
; FloatMode: 240
; IeeeMode: 1
; LDSByteSize: 0 bytes/workgroup (compile time only)
; SGPRBlocks: 0
; VGPRBlocks: 3
; NumSGPRsForWavesPerEU: 36
; NumVGPRsForWavesPerEU: 51
; NamedBarCnt: 0
; Occupancy: 16
; WaveLimiterHint : 1
; COMPUTE_PGM_RSRC2:SCRATCH_EN: 1
; COMPUTE_PGM_RSRC2:USER_SGPR: 2
; COMPUTE_PGM_RSRC2:TRAP_HANDLER: 0
; COMPUTE_PGM_RSRC2:TGID_X_EN: 1
; COMPUTE_PGM_RSRC2:TGID_Y_EN: 0
; COMPUTE_PGM_RSRC2:TGID_Z_EN: 0
; COMPUTE_PGM_RSRC2:TIDIG_COMP_CNT: 0
	.section	.text._Z38paged_attention_ll4mi_QKV_mfma4_kernelIDF16_DF16_LN4vllm18Fp8KVCacheDataTypeE0EhLi32ELi64ELi256ELb0ELi3EEvPKT_PKT0_S7_ifPKiS9_S9_iPKfiiiPfSC_PS2_PT2_iSB_SB_,"axG",@progbits,_Z38paged_attention_ll4mi_QKV_mfma4_kernelIDF16_DF16_LN4vllm18Fp8KVCacheDataTypeE0EhLi32ELi64ELi256ELb0ELi3EEvPKT_PKT0_S7_ifPKiS9_S9_iPKfiiiPfSC_PS2_PT2_iSB_SB_,comdat
	.protected	_Z38paged_attention_ll4mi_QKV_mfma4_kernelIDF16_DF16_LN4vllm18Fp8KVCacheDataTypeE0EhLi32ELi64ELi256ELb0ELi3EEvPKT_PKT0_S7_ifPKiS9_S9_iPKfiiiPfSC_PS2_PT2_iSB_SB_ ; -- Begin function _Z38paged_attention_ll4mi_QKV_mfma4_kernelIDF16_DF16_LN4vllm18Fp8KVCacheDataTypeE0EhLi32ELi64ELi256ELb0ELi3EEvPKT_PKT0_S7_ifPKiS9_S9_iPKfiiiPfSC_PS2_PT2_iSB_SB_
	.globl	_Z38paged_attention_ll4mi_QKV_mfma4_kernelIDF16_DF16_LN4vllm18Fp8KVCacheDataTypeE0EhLi32ELi64ELi256ELb0ELi3EEvPKT_PKT0_S7_ifPKiS9_S9_iPKfiiiPfSC_PS2_PT2_iSB_SB_
	.p2align	8
	.type	_Z38paged_attention_ll4mi_QKV_mfma4_kernelIDF16_DF16_LN4vllm18Fp8KVCacheDataTypeE0EhLi32ELi64ELi256ELb0ELi3EEvPKT_PKT0_S7_ifPKiS9_S9_iPKfiiiPfSC_PS2_PT2_iSB_SB_,@function
_Z38paged_attention_ll4mi_QKV_mfma4_kernelIDF16_DF16_LN4vllm18Fp8KVCacheDataTypeE0EhLi32ELi64ELi256ELb0ELi3EEvPKT_PKT0_S7_ifPKiS9_S9_iPKfiiiPfSC_PS2_PT2_iSB_SB_: ; @_Z38paged_attention_ll4mi_QKV_mfma4_kernelIDF16_DF16_LN4vllm18Fp8KVCacheDataTypeE0EhLi32ELi64ELi256ELb0ELi3EEvPKT_PKT0_S7_ifPKiS9_S9_iPKfiiiPfSC_PS2_PT2_iSB_SB_
; %bb.0:
	s_get_pc_i64 s[2:3]
	s_add_nc_u64 s[2:3], s[2:3], __PRETTY_FUNCTION__._Z38paged_attention_ll4mi_QKV_mfma4_kernelIDF16_DF16_LN4vllm18Fp8KVCacheDataTypeE0EhLi32ELi64ELi256ELb0ELi3EEvPKT_PKT0_S7_ifPKiS9_S9_iPKfiiiPfSC_PS2_PT2_iSB_SB_@rel64+4
	s_delay_alu instid0(SALU_CYCLE_1)
	v_dual_mov_b32 v0, 0xbce :: v_dual_mov_b32 v1, s2
	v_mov_b32_e32 v2, s3
	s_add_nc_u64 s[8:9], s[0:1], 0x90
	s_get_pc_i64 s[0:1]
	s_add_nc_u64 s[0:1], s[0:1], __assert_fail@rel64+4
	s_mov_b32 s32, 0
	s_swap_pc_i64 s[30:31], s[0:1]
	.section	.rodata,"a",@progbits
	.p2align	6, 0x0
	.amdhsa_kernel _Z38paged_attention_ll4mi_QKV_mfma4_kernelIDF16_DF16_LN4vllm18Fp8KVCacheDataTypeE0EhLi32ELi64ELi256ELb0ELi3EEvPKT_PKT0_S7_ifPKiS9_S9_iPKfiiiPfSC_PS2_PT2_iSB_SB_
		.amdhsa_group_segment_fixed_size 0
		.amdhsa_private_segment_fixed_size 64
		.amdhsa_kernarg_size 400
		.amdhsa_user_sgpr_count 2
		.amdhsa_user_sgpr_dispatch_ptr 0
		.amdhsa_user_sgpr_queue_ptr 0
		.amdhsa_user_sgpr_kernarg_segment_ptr 1
		.amdhsa_user_sgpr_dispatch_id 0
		.amdhsa_user_sgpr_kernarg_preload_length 0
		.amdhsa_user_sgpr_kernarg_preload_offset 0
		.amdhsa_user_sgpr_private_segment_size 0
		.amdhsa_wavefront_size32 1
		.amdhsa_uses_dynamic_stack 0
		.amdhsa_enable_private_segment 1
		.amdhsa_system_sgpr_workgroup_id_x 1
		.amdhsa_system_sgpr_workgroup_id_y 0
		.amdhsa_system_sgpr_workgroup_id_z 0
		.amdhsa_system_sgpr_workgroup_info 0
		.amdhsa_system_vgpr_workitem_id 0
		.amdhsa_next_free_vgpr 51
		.amdhsa_next_free_sgpr 34
		.amdhsa_named_barrier_count 0
		.amdhsa_reserve_vcc 1
		.amdhsa_float_round_mode_32 0
		.amdhsa_float_round_mode_16_64 0
		.amdhsa_float_denorm_mode_32 3
		.amdhsa_float_denorm_mode_16_64 3
		.amdhsa_fp16_overflow 0
		.amdhsa_memory_ordered 1
		.amdhsa_forward_progress 1
		.amdhsa_inst_pref_size 1
		.amdhsa_round_robin_scheduling 0
		.amdhsa_exception_fp_ieee_invalid_op 0
		.amdhsa_exception_fp_denorm_src 0
		.amdhsa_exception_fp_ieee_div_zero 0
		.amdhsa_exception_fp_ieee_overflow 0
		.amdhsa_exception_fp_ieee_underflow 0
		.amdhsa_exception_fp_ieee_inexact 0
		.amdhsa_exception_int_div_zero 0
	.end_amdhsa_kernel
	.section	.text._Z38paged_attention_ll4mi_QKV_mfma4_kernelIDF16_DF16_LN4vllm18Fp8KVCacheDataTypeE0EhLi32ELi64ELi256ELb0ELi3EEvPKT_PKT0_S7_ifPKiS9_S9_iPKfiiiPfSC_PS2_PT2_iSB_SB_,"axG",@progbits,_Z38paged_attention_ll4mi_QKV_mfma4_kernelIDF16_DF16_LN4vllm18Fp8KVCacheDataTypeE0EhLi32ELi64ELi256ELb0ELi3EEvPKT_PKT0_S7_ifPKiS9_S9_iPKfiiiPfSC_PS2_PT2_iSB_SB_,comdat
.Lfunc_end136:
	.size	_Z38paged_attention_ll4mi_QKV_mfma4_kernelIDF16_DF16_LN4vllm18Fp8KVCacheDataTypeE0EhLi32ELi64ELi256ELb0ELi3EEvPKT_PKT0_S7_ifPKiS9_S9_iPKfiiiPfSC_PS2_PT2_iSB_SB_, .Lfunc_end136-_Z38paged_attention_ll4mi_QKV_mfma4_kernelIDF16_DF16_LN4vllm18Fp8KVCacheDataTypeE0EhLi32ELi64ELi256ELb0ELi3EEvPKT_PKT0_S7_ifPKiS9_S9_iPKfiiiPfSC_PS2_PT2_iSB_SB_
                                        ; -- End function
	.set _Z38paged_attention_ll4mi_QKV_mfma4_kernelIDF16_DF16_LN4vllm18Fp8KVCacheDataTypeE0EhLi32ELi64ELi256ELb0ELi3EEvPKT_PKT0_S7_ifPKiS9_S9_iPKfiiiPfSC_PS2_PT2_iSB_SB_.num_vgpr, max(3, .L__assert_fail.num_vgpr)
	.set _Z38paged_attention_ll4mi_QKV_mfma4_kernelIDF16_DF16_LN4vllm18Fp8KVCacheDataTypeE0EhLi32ELi64ELi256ELb0ELi3EEvPKT_PKT0_S7_ifPKiS9_S9_iPKfiiiPfSC_PS2_PT2_iSB_SB_.num_agpr, max(0, .L__assert_fail.num_agpr)
	.set _Z38paged_attention_ll4mi_QKV_mfma4_kernelIDF16_DF16_LN4vllm18Fp8KVCacheDataTypeE0EhLi32ELi64ELi256ELb0ELi3EEvPKT_PKT0_S7_ifPKiS9_S9_iPKfiiiPfSC_PS2_PT2_iSB_SB_.numbered_sgpr, max(33, .L__assert_fail.numbered_sgpr)
	.set _Z38paged_attention_ll4mi_QKV_mfma4_kernelIDF16_DF16_LN4vllm18Fp8KVCacheDataTypeE0EhLi32ELi64ELi256ELb0ELi3EEvPKT_PKT0_S7_ifPKiS9_S9_iPKfiiiPfSC_PS2_PT2_iSB_SB_.num_named_barrier, max(0, .L__assert_fail.num_named_barrier)
	.set _Z38paged_attention_ll4mi_QKV_mfma4_kernelIDF16_DF16_LN4vllm18Fp8KVCacheDataTypeE0EhLi32ELi64ELi256ELb0ELi3EEvPKT_PKT0_S7_ifPKiS9_S9_iPKfiiiPfSC_PS2_PT2_iSB_SB_.private_seg_size, 0+max(.L__assert_fail.private_seg_size)
	.set _Z38paged_attention_ll4mi_QKV_mfma4_kernelIDF16_DF16_LN4vllm18Fp8KVCacheDataTypeE0EhLi32ELi64ELi256ELb0ELi3EEvPKT_PKT0_S7_ifPKiS9_S9_iPKfiiiPfSC_PS2_PT2_iSB_SB_.uses_vcc, or(1, .L__assert_fail.uses_vcc)
	.set _Z38paged_attention_ll4mi_QKV_mfma4_kernelIDF16_DF16_LN4vllm18Fp8KVCacheDataTypeE0EhLi32ELi64ELi256ELb0ELi3EEvPKT_PKT0_S7_ifPKiS9_S9_iPKfiiiPfSC_PS2_PT2_iSB_SB_.uses_flat_scratch, or(0, .L__assert_fail.uses_flat_scratch)
	.set _Z38paged_attention_ll4mi_QKV_mfma4_kernelIDF16_DF16_LN4vllm18Fp8KVCacheDataTypeE0EhLi32ELi64ELi256ELb0ELi3EEvPKT_PKT0_S7_ifPKiS9_S9_iPKfiiiPfSC_PS2_PT2_iSB_SB_.has_dyn_sized_stack, or(0, .L__assert_fail.has_dyn_sized_stack)
	.set _Z38paged_attention_ll4mi_QKV_mfma4_kernelIDF16_DF16_LN4vllm18Fp8KVCacheDataTypeE0EhLi32ELi64ELi256ELb0ELi3EEvPKT_PKT0_S7_ifPKiS9_S9_iPKfiiiPfSC_PS2_PT2_iSB_SB_.has_recursion, or(0, .L__assert_fail.has_recursion)
	.set _Z38paged_attention_ll4mi_QKV_mfma4_kernelIDF16_DF16_LN4vllm18Fp8KVCacheDataTypeE0EhLi32ELi64ELi256ELb0ELi3EEvPKT_PKT0_S7_ifPKiS9_S9_iPKfiiiPfSC_PS2_PT2_iSB_SB_.has_indirect_call, or(0, .L__assert_fail.has_indirect_call)
	.section	.AMDGPU.csdata,"",@progbits
; Kernel info:
; codeLenInByte = 68
; TotalNumSgprs: 36
; NumVgprs: 51
; ScratchSize: 64
; MemoryBound: 0
; FloatMode: 240
; IeeeMode: 1
; LDSByteSize: 0 bytes/workgroup (compile time only)
; SGPRBlocks: 0
; VGPRBlocks: 3
; NumSGPRsForWavesPerEU: 36
; NumVGPRsForWavesPerEU: 51
; NamedBarCnt: 0
; Occupancy: 16
; WaveLimiterHint : 1
; COMPUTE_PGM_RSRC2:SCRATCH_EN: 1
; COMPUTE_PGM_RSRC2:USER_SGPR: 2
; COMPUTE_PGM_RSRC2:TRAP_HANDLER: 0
; COMPUTE_PGM_RSRC2:TGID_X_EN: 1
; COMPUTE_PGM_RSRC2:TGID_Y_EN: 0
; COMPUTE_PGM_RSRC2:TGID_Z_EN: 0
; COMPUTE_PGM_RSRC2:TIDIG_COMP_CNT: 0
	.section	.text._Z38paged_attention_ll4mi_QKV_mfma4_kernelIDF16_DF16_LN4vllm18Fp8KVCacheDataTypeE0EhLi32ELi64ELi256ELb0ELi4EEvPKT_PKT0_S7_ifPKiS9_S9_iPKfiiiPfSC_PS2_PT2_iSB_SB_,"axG",@progbits,_Z38paged_attention_ll4mi_QKV_mfma4_kernelIDF16_DF16_LN4vllm18Fp8KVCacheDataTypeE0EhLi32ELi64ELi256ELb0ELi4EEvPKT_PKT0_S7_ifPKiS9_S9_iPKfiiiPfSC_PS2_PT2_iSB_SB_,comdat
	.protected	_Z38paged_attention_ll4mi_QKV_mfma4_kernelIDF16_DF16_LN4vllm18Fp8KVCacheDataTypeE0EhLi32ELi64ELi256ELb0ELi4EEvPKT_PKT0_S7_ifPKiS9_S9_iPKfiiiPfSC_PS2_PT2_iSB_SB_ ; -- Begin function _Z38paged_attention_ll4mi_QKV_mfma4_kernelIDF16_DF16_LN4vllm18Fp8KVCacheDataTypeE0EhLi32ELi64ELi256ELb0ELi4EEvPKT_PKT0_S7_ifPKiS9_S9_iPKfiiiPfSC_PS2_PT2_iSB_SB_
	.globl	_Z38paged_attention_ll4mi_QKV_mfma4_kernelIDF16_DF16_LN4vllm18Fp8KVCacheDataTypeE0EhLi32ELi64ELi256ELb0ELi4EEvPKT_PKT0_S7_ifPKiS9_S9_iPKfiiiPfSC_PS2_PT2_iSB_SB_
	.p2align	8
	.type	_Z38paged_attention_ll4mi_QKV_mfma4_kernelIDF16_DF16_LN4vllm18Fp8KVCacheDataTypeE0EhLi32ELi64ELi256ELb0ELi4EEvPKT_PKT0_S7_ifPKiS9_S9_iPKfiiiPfSC_PS2_PT2_iSB_SB_,@function
_Z38paged_attention_ll4mi_QKV_mfma4_kernelIDF16_DF16_LN4vllm18Fp8KVCacheDataTypeE0EhLi32ELi64ELi256ELb0ELi4EEvPKT_PKT0_S7_ifPKiS9_S9_iPKfiiiPfSC_PS2_PT2_iSB_SB_: ; @_Z38paged_attention_ll4mi_QKV_mfma4_kernelIDF16_DF16_LN4vllm18Fp8KVCacheDataTypeE0EhLi32ELi64ELi256ELb0ELi4EEvPKT_PKT0_S7_ifPKiS9_S9_iPKfiiiPfSC_PS2_PT2_iSB_SB_
; %bb.0:
	s_get_pc_i64 s[2:3]
	s_add_nc_u64 s[2:3], s[2:3], __PRETTY_FUNCTION__._Z38paged_attention_ll4mi_QKV_mfma4_kernelIDF16_DF16_LN4vllm18Fp8KVCacheDataTypeE0EhLi32ELi64ELi256ELb0ELi4EEvPKT_PKT0_S7_ifPKiS9_S9_iPKfiiiPfSC_PS2_PT2_iSB_SB_@rel64+4
	s_delay_alu instid0(SALU_CYCLE_1)
	v_dual_mov_b32 v0, 0xbce :: v_dual_mov_b32 v1, s2
	v_mov_b32_e32 v2, s3
	s_add_nc_u64 s[8:9], s[0:1], 0x90
	s_get_pc_i64 s[0:1]
	s_add_nc_u64 s[0:1], s[0:1], __assert_fail@rel64+4
	s_mov_b32 s32, 0
	s_swap_pc_i64 s[30:31], s[0:1]
	.section	.rodata,"a",@progbits
	.p2align	6, 0x0
	.amdhsa_kernel _Z38paged_attention_ll4mi_QKV_mfma4_kernelIDF16_DF16_LN4vllm18Fp8KVCacheDataTypeE0EhLi32ELi64ELi256ELb0ELi4EEvPKT_PKT0_S7_ifPKiS9_S9_iPKfiiiPfSC_PS2_PT2_iSB_SB_
		.amdhsa_group_segment_fixed_size 0
		.amdhsa_private_segment_fixed_size 64
		.amdhsa_kernarg_size 400
		.amdhsa_user_sgpr_count 2
		.amdhsa_user_sgpr_dispatch_ptr 0
		.amdhsa_user_sgpr_queue_ptr 0
		.amdhsa_user_sgpr_kernarg_segment_ptr 1
		.amdhsa_user_sgpr_dispatch_id 0
		.amdhsa_user_sgpr_kernarg_preload_length 0
		.amdhsa_user_sgpr_kernarg_preload_offset 0
		.amdhsa_user_sgpr_private_segment_size 0
		.amdhsa_wavefront_size32 1
		.amdhsa_uses_dynamic_stack 0
		.amdhsa_enable_private_segment 1
		.amdhsa_system_sgpr_workgroup_id_x 1
		.amdhsa_system_sgpr_workgroup_id_y 0
		.amdhsa_system_sgpr_workgroup_id_z 0
		.amdhsa_system_sgpr_workgroup_info 0
		.amdhsa_system_vgpr_workitem_id 0
		.amdhsa_next_free_vgpr 51
		.amdhsa_next_free_sgpr 34
		.amdhsa_named_barrier_count 0
		.amdhsa_reserve_vcc 1
		.amdhsa_float_round_mode_32 0
		.amdhsa_float_round_mode_16_64 0
		.amdhsa_float_denorm_mode_32 3
		.amdhsa_float_denorm_mode_16_64 3
		.amdhsa_fp16_overflow 0
		.amdhsa_memory_ordered 1
		.amdhsa_forward_progress 1
		.amdhsa_inst_pref_size 1
		.amdhsa_round_robin_scheduling 0
		.amdhsa_exception_fp_ieee_invalid_op 0
		.amdhsa_exception_fp_denorm_src 0
		.amdhsa_exception_fp_ieee_div_zero 0
		.amdhsa_exception_fp_ieee_overflow 0
		.amdhsa_exception_fp_ieee_underflow 0
		.amdhsa_exception_fp_ieee_inexact 0
		.amdhsa_exception_int_div_zero 0
	.end_amdhsa_kernel
	.section	.text._Z38paged_attention_ll4mi_QKV_mfma4_kernelIDF16_DF16_LN4vllm18Fp8KVCacheDataTypeE0EhLi32ELi64ELi256ELb0ELi4EEvPKT_PKT0_S7_ifPKiS9_S9_iPKfiiiPfSC_PS2_PT2_iSB_SB_,"axG",@progbits,_Z38paged_attention_ll4mi_QKV_mfma4_kernelIDF16_DF16_LN4vllm18Fp8KVCacheDataTypeE0EhLi32ELi64ELi256ELb0ELi4EEvPKT_PKT0_S7_ifPKiS9_S9_iPKfiiiPfSC_PS2_PT2_iSB_SB_,comdat
.Lfunc_end137:
	.size	_Z38paged_attention_ll4mi_QKV_mfma4_kernelIDF16_DF16_LN4vllm18Fp8KVCacheDataTypeE0EhLi32ELi64ELi256ELb0ELi4EEvPKT_PKT0_S7_ifPKiS9_S9_iPKfiiiPfSC_PS2_PT2_iSB_SB_, .Lfunc_end137-_Z38paged_attention_ll4mi_QKV_mfma4_kernelIDF16_DF16_LN4vllm18Fp8KVCacheDataTypeE0EhLi32ELi64ELi256ELb0ELi4EEvPKT_PKT0_S7_ifPKiS9_S9_iPKfiiiPfSC_PS2_PT2_iSB_SB_
                                        ; -- End function
	.set _Z38paged_attention_ll4mi_QKV_mfma4_kernelIDF16_DF16_LN4vllm18Fp8KVCacheDataTypeE0EhLi32ELi64ELi256ELb0ELi4EEvPKT_PKT0_S7_ifPKiS9_S9_iPKfiiiPfSC_PS2_PT2_iSB_SB_.num_vgpr, max(3, .L__assert_fail.num_vgpr)
	.set _Z38paged_attention_ll4mi_QKV_mfma4_kernelIDF16_DF16_LN4vllm18Fp8KVCacheDataTypeE0EhLi32ELi64ELi256ELb0ELi4EEvPKT_PKT0_S7_ifPKiS9_S9_iPKfiiiPfSC_PS2_PT2_iSB_SB_.num_agpr, max(0, .L__assert_fail.num_agpr)
	.set _Z38paged_attention_ll4mi_QKV_mfma4_kernelIDF16_DF16_LN4vllm18Fp8KVCacheDataTypeE0EhLi32ELi64ELi256ELb0ELi4EEvPKT_PKT0_S7_ifPKiS9_S9_iPKfiiiPfSC_PS2_PT2_iSB_SB_.numbered_sgpr, max(33, .L__assert_fail.numbered_sgpr)
	.set _Z38paged_attention_ll4mi_QKV_mfma4_kernelIDF16_DF16_LN4vllm18Fp8KVCacheDataTypeE0EhLi32ELi64ELi256ELb0ELi4EEvPKT_PKT0_S7_ifPKiS9_S9_iPKfiiiPfSC_PS2_PT2_iSB_SB_.num_named_barrier, max(0, .L__assert_fail.num_named_barrier)
	.set _Z38paged_attention_ll4mi_QKV_mfma4_kernelIDF16_DF16_LN4vllm18Fp8KVCacheDataTypeE0EhLi32ELi64ELi256ELb0ELi4EEvPKT_PKT0_S7_ifPKiS9_S9_iPKfiiiPfSC_PS2_PT2_iSB_SB_.private_seg_size, 0+max(.L__assert_fail.private_seg_size)
	.set _Z38paged_attention_ll4mi_QKV_mfma4_kernelIDF16_DF16_LN4vllm18Fp8KVCacheDataTypeE0EhLi32ELi64ELi256ELb0ELi4EEvPKT_PKT0_S7_ifPKiS9_S9_iPKfiiiPfSC_PS2_PT2_iSB_SB_.uses_vcc, or(1, .L__assert_fail.uses_vcc)
	.set _Z38paged_attention_ll4mi_QKV_mfma4_kernelIDF16_DF16_LN4vllm18Fp8KVCacheDataTypeE0EhLi32ELi64ELi256ELb0ELi4EEvPKT_PKT0_S7_ifPKiS9_S9_iPKfiiiPfSC_PS2_PT2_iSB_SB_.uses_flat_scratch, or(0, .L__assert_fail.uses_flat_scratch)
	.set _Z38paged_attention_ll4mi_QKV_mfma4_kernelIDF16_DF16_LN4vllm18Fp8KVCacheDataTypeE0EhLi32ELi64ELi256ELb0ELi4EEvPKT_PKT0_S7_ifPKiS9_S9_iPKfiiiPfSC_PS2_PT2_iSB_SB_.has_dyn_sized_stack, or(0, .L__assert_fail.has_dyn_sized_stack)
	.set _Z38paged_attention_ll4mi_QKV_mfma4_kernelIDF16_DF16_LN4vllm18Fp8KVCacheDataTypeE0EhLi32ELi64ELi256ELb0ELi4EEvPKT_PKT0_S7_ifPKiS9_S9_iPKfiiiPfSC_PS2_PT2_iSB_SB_.has_recursion, or(0, .L__assert_fail.has_recursion)
	.set _Z38paged_attention_ll4mi_QKV_mfma4_kernelIDF16_DF16_LN4vllm18Fp8KVCacheDataTypeE0EhLi32ELi64ELi256ELb0ELi4EEvPKT_PKT0_S7_ifPKiS9_S9_iPKfiiiPfSC_PS2_PT2_iSB_SB_.has_indirect_call, or(0, .L__assert_fail.has_indirect_call)
	.section	.AMDGPU.csdata,"",@progbits
; Kernel info:
; codeLenInByte = 68
; TotalNumSgprs: 36
; NumVgprs: 51
; ScratchSize: 64
; MemoryBound: 0
; FloatMode: 240
; IeeeMode: 1
; LDSByteSize: 0 bytes/workgroup (compile time only)
; SGPRBlocks: 0
; VGPRBlocks: 3
; NumSGPRsForWavesPerEU: 36
; NumVGPRsForWavesPerEU: 51
; NamedBarCnt: 0
; Occupancy: 16
; WaveLimiterHint : 1
; COMPUTE_PGM_RSRC2:SCRATCH_EN: 1
; COMPUTE_PGM_RSRC2:USER_SGPR: 2
; COMPUTE_PGM_RSRC2:TRAP_HANDLER: 0
; COMPUTE_PGM_RSRC2:TGID_X_EN: 1
; COMPUTE_PGM_RSRC2:TGID_Y_EN: 0
; COMPUTE_PGM_RSRC2:TGID_Z_EN: 0
; COMPUTE_PGM_RSRC2:TIDIG_COMP_CNT: 0
	.section	.text._Z39paged_attention_ll4mi_QKV_mfma16_kernelIDF16_DF16_LN4vllm18Fp8KVCacheDataTypeE0EhLi32ELi64ELi256ELb0ELi5EEvPKT_PKT0_S7_ifPKiS9_S9_iPKfiiiPfSC_PS2_PT2_iSB_SB_,"axG",@progbits,_Z39paged_attention_ll4mi_QKV_mfma16_kernelIDF16_DF16_LN4vllm18Fp8KVCacheDataTypeE0EhLi32ELi64ELi256ELb0ELi5EEvPKT_PKT0_S7_ifPKiS9_S9_iPKfiiiPfSC_PS2_PT2_iSB_SB_,comdat
	.protected	_Z39paged_attention_ll4mi_QKV_mfma16_kernelIDF16_DF16_LN4vllm18Fp8KVCacheDataTypeE0EhLi32ELi64ELi256ELb0ELi5EEvPKT_PKT0_S7_ifPKiS9_S9_iPKfiiiPfSC_PS2_PT2_iSB_SB_ ; -- Begin function _Z39paged_attention_ll4mi_QKV_mfma16_kernelIDF16_DF16_LN4vllm18Fp8KVCacheDataTypeE0EhLi32ELi64ELi256ELb0ELi5EEvPKT_PKT0_S7_ifPKiS9_S9_iPKfiiiPfSC_PS2_PT2_iSB_SB_
	.globl	_Z39paged_attention_ll4mi_QKV_mfma16_kernelIDF16_DF16_LN4vllm18Fp8KVCacheDataTypeE0EhLi32ELi64ELi256ELb0ELi5EEvPKT_PKT0_S7_ifPKiS9_S9_iPKfiiiPfSC_PS2_PT2_iSB_SB_
	.p2align	8
	.type	_Z39paged_attention_ll4mi_QKV_mfma16_kernelIDF16_DF16_LN4vllm18Fp8KVCacheDataTypeE0EhLi32ELi64ELi256ELb0ELi5EEvPKT_PKT0_S7_ifPKiS9_S9_iPKfiiiPfSC_PS2_PT2_iSB_SB_,@function
_Z39paged_attention_ll4mi_QKV_mfma16_kernelIDF16_DF16_LN4vllm18Fp8KVCacheDataTypeE0EhLi32ELi64ELi256ELb0ELi5EEvPKT_PKT0_S7_ifPKiS9_S9_iPKfiiiPfSC_PS2_PT2_iSB_SB_: ; @_Z39paged_attention_ll4mi_QKV_mfma16_kernelIDF16_DF16_LN4vllm18Fp8KVCacheDataTypeE0EhLi32ELi64ELi256ELb0ELi5EEvPKT_PKT0_S7_ifPKiS9_S9_iPKfiiiPfSC_PS2_PT2_iSB_SB_
; %bb.0:
	s_get_pc_i64 s[2:3]
	s_add_nc_u64 s[2:3], s[2:3], __PRETTY_FUNCTION__._Z39paged_attention_ll4mi_QKV_mfma16_kernelIDF16_DF16_LN4vllm18Fp8KVCacheDataTypeE0EhLi32ELi64ELi256ELb0ELi5EEvPKT_PKT0_S7_ifPKiS9_S9_iPKfiiiPfSC_PS2_PT2_iSB_SB_@rel64+4
	s_delay_alu instid0(SALU_CYCLE_1)
	v_dual_mov_b32 v0, 0xbb3 :: v_dual_mov_b32 v1, s2
	v_mov_b32_e32 v2, s3
	s_add_nc_u64 s[8:9], s[0:1], 0x90
	s_get_pc_i64 s[0:1]
	s_add_nc_u64 s[0:1], s[0:1], __assert_fail@rel64+4
	s_mov_b32 s32, 0
	s_swap_pc_i64 s[30:31], s[0:1]
	.section	.rodata,"a",@progbits
	.p2align	6, 0x0
	.amdhsa_kernel _Z39paged_attention_ll4mi_QKV_mfma16_kernelIDF16_DF16_LN4vllm18Fp8KVCacheDataTypeE0EhLi32ELi64ELi256ELb0ELi5EEvPKT_PKT0_S7_ifPKiS9_S9_iPKfiiiPfSC_PS2_PT2_iSB_SB_
		.amdhsa_group_segment_fixed_size 0
		.amdhsa_private_segment_fixed_size 64
		.amdhsa_kernarg_size 400
		.amdhsa_user_sgpr_count 2
		.amdhsa_user_sgpr_dispatch_ptr 0
		.amdhsa_user_sgpr_queue_ptr 0
		.amdhsa_user_sgpr_kernarg_segment_ptr 1
		.amdhsa_user_sgpr_dispatch_id 0
		.amdhsa_user_sgpr_kernarg_preload_length 0
		.amdhsa_user_sgpr_kernarg_preload_offset 0
		.amdhsa_user_sgpr_private_segment_size 0
		.amdhsa_wavefront_size32 1
		.amdhsa_uses_dynamic_stack 0
		.amdhsa_enable_private_segment 1
		.amdhsa_system_sgpr_workgroup_id_x 1
		.amdhsa_system_sgpr_workgroup_id_y 0
		.amdhsa_system_sgpr_workgroup_id_z 0
		.amdhsa_system_sgpr_workgroup_info 0
		.amdhsa_system_vgpr_workitem_id 0
		.amdhsa_next_free_vgpr 51
		.amdhsa_next_free_sgpr 34
		.amdhsa_named_barrier_count 0
		.amdhsa_reserve_vcc 1
		.amdhsa_float_round_mode_32 0
		.amdhsa_float_round_mode_16_64 0
		.amdhsa_float_denorm_mode_32 3
		.amdhsa_float_denorm_mode_16_64 3
		.amdhsa_fp16_overflow 0
		.amdhsa_memory_ordered 1
		.amdhsa_forward_progress 1
		.amdhsa_inst_pref_size 1
		.amdhsa_round_robin_scheduling 0
		.amdhsa_exception_fp_ieee_invalid_op 0
		.amdhsa_exception_fp_denorm_src 0
		.amdhsa_exception_fp_ieee_div_zero 0
		.amdhsa_exception_fp_ieee_overflow 0
		.amdhsa_exception_fp_ieee_underflow 0
		.amdhsa_exception_fp_ieee_inexact 0
		.amdhsa_exception_int_div_zero 0
	.end_amdhsa_kernel
	.section	.text._Z39paged_attention_ll4mi_QKV_mfma16_kernelIDF16_DF16_LN4vllm18Fp8KVCacheDataTypeE0EhLi32ELi64ELi256ELb0ELi5EEvPKT_PKT0_S7_ifPKiS9_S9_iPKfiiiPfSC_PS2_PT2_iSB_SB_,"axG",@progbits,_Z39paged_attention_ll4mi_QKV_mfma16_kernelIDF16_DF16_LN4vllm18Fp8KVCacheDataTypeE0EhLi32ELi64ELi256ELb0ELi5EEvPKT_PKT0_S7_ifPKiS9_S9_iPKfiiiPfSC_PS2_PT2_iSB_SB_,comdat
.Lfunc_end138:
	.size	_Z39paged_attention_ll4mi_QKV_mfma16_kernelIDF16_DF16_LN4vllm18Fp8KVCacheDataTypeE0EhLi32ELi64ELi256ELb0ELi5EEvPKT_PKT0_S7_ifPKiS9_S9_iPKfiiiPfSC_PS2_PT2_iSB_SB_, .Lfunc_end138-_Z39paged_attention_ll4mi_QKV_mfma16_kernelIDF16_DF16_LN4vllm18Fp8KVCacheDataTypeE0EhLi32ELi64ELi256ELb0ELi5EEvPKT_PKT0_S7_ifPKiS9_S9_iPKfiiiPfSC_PS2_PT2_iSB_SB_
                                        ; -- End function
	.set _Z39paged_attention_ll4mi_QKV_mfma16_kernelIDF16_DF16_LN4vllm18Fp8KVCacheDataTypeE0EhLi32ELi64ELi256ELb0ELi5EEvPKT_PKT0_S7_ifPKiS9_S9_iPKfiiiPfSC_PS2_PT2_iSB_SB_.num_vgpr, max(3, .L__assert_fail.num_vgpr)
	.set _Z39paged_attention_ll4mi_QKV_mfma16_kernelIDF16_DF16_LN4vllm18Fp8KVCacheDataTypeE0EhLi32ELi64ELi256ELb0ELi5EEvPKT_PKT0_S7_ifPKiS9_S9_iPKfiiiPfSC_PS2_PT2_iSB_SB_.num_agpr, max(0, .L__assert_fail.num_agpr)
	.set _Z39paged_attention_ll4mi_QKV_mfma16_kernelIDF16_DF16_LN4vllm18Fp8KVCacheDataTypeE0EhLi32ELi64ELi256ELb0ELi5EEvPKT_PKT0_S7_ifPKiS9_S9_iPKfiiiPfSC_PS2_PT2_iSB_SB_.numbered_sgpr, max(33, .L__assert_fail.numbered_sgpr)
	.set _Z39paged_attention_ll4mi_QKV_mfma16_kernelIDF16_DF16_LN4vllm18Fp8KVCacheDataTypeE0EhLi32ELi64ELi256ELb0ELi5EEvPKT_PKT0_S7_ifPKiS9_S9_iPKfiiiPfSC_PS2_PT2_iSB_SB_.num_named_barrier, max(0, .L__assert_fail.num_named_barrier)
	.set _Z39paged_attention_ll4mi_QKV_mfma16_kernelIDF16_DF16_LN4vllm18Fp8KVCacheDataTypeE0EhLi32ELi64ELi256ELb0ELi5EEvPKT_PKT0_S7_ifPKiS9_S9_iPKfiiiPfSC_PS2_PT2_iSB_SB_.private_seg_size, 0+max(.L__assert_fail.private_seg_size)
	.set _Z39paged_attention_ll4mi_QKV_mfma16_kernelIDF16_DF16_LN4vllm18Fp8KVCacheDataTypeE0EhLi32ELi64ELi256ELb0ELi5EEvPKT_PKT0_S7_ifPKiS9_S9_iPKfiiiPfSC_PS2_PT2_iSB_SB_.uses_vcc, or(1, .L__assert_fail.uses_vcc)
	.set _Z39paged_attention_ll4mi_QKV_mfma16_kernelIDF16_DF16_LN4vllm18Fp8KVCacheDataTypeE0EhLi32ELi64ELi256ELb0ELi5EEvPKT_PKT0_S7_ifPKiS9_S9_iPKfiiiPfSC_PS2_PT2_iSB_SB_.uses_flat_scratch, or(0, .L__assert_fail.uses_flat_scratch)
	.set _Z39paged_attention_ll4mi_QKV_mfma16_kernelIDF16_DF16_LN4vllm18Fp8KVCacheDataTypeE0EhLi32ELi64ELi256ELb0ELi5EEvPKT_PKT0_S7_ifPKiS9_S9_iPKfiiiPfSC_PS2_PT2_iSB_SB_.has_dyn_sized_stack, or(0, .L__assert_fail.has_dyn_sized_stack)
	.set _Z39paged_attention_ll4mi_QKV_mfma16_kernelIDF16_DF16_LN4vllm18Fp8KVCacheDataTypeE0EhLi32ELi64ELi256ELb0ELi5EEvPKT_PKT0_S7_ifPKiS9_S9_iPKfiiiPfSC_PS2_PT2_iSB_SB_.has_recursion, or(0, .L__assert_fail.has_recursion)
	.set _Z39paged_attention_ll4mi_QKV_mfma16_kernelIDF16_DF16_LN4vllm18Fp8KVCacheDataTypeE0EhLi32ELi64ELi256ELb0ELi5EEvPKT_PKT0_S7_ifPKiS9_S9_iPKfiiiPfSC_PS2_PT2_iSB_SB_.has_indirect_call, or(0, .L__assert_fail.has_indirect_call)
	.section	.AMDGPU.csdata,"",@progbits
; Kernel info:
; codeLenInByte = 68
; TotalNumSgprs: 36
; NumVgprs: 51
; ScratchSize: 64
; MemoryBound: 0
; FloatMode: 240
; IeeeMode: 1
; LDSByteSize: 0 bytes/workgroup (compile time only)
; SGPRBlocks: 0
; VGPRBlocks: 3
; NumSGPRsForWavesPerEU: 36
; NumVGPRsForWavesPerEU: 51
; NamedBarCnt: 0
; Occupancy: 16
; WaveLimiterHint : 1
; COMPUTE_PGM_RSRC2:SCRATCH_EN: 1
; COMPUTE_PGM_RSRC2:USER_SGPR: 2
; COMPUTE_PGM_RSRC2:TRAP_HANDLER: 0
; COMPUTE_PGM_RSRC2:TGID_X_EN: 1
; COMPUTE_PGM_RSRC2:TGID_Y_EN: 0
; COMPUTE_PGM_RSRC2:TGID_Z_EN: 0
; COMPUTE_PGM_RSRC2:TIDIG_COMP_CNT: 0
	.section	.text._Z39paged_attention_ll4mi_QKV_mfma16_kernelIDF16_DF16_LN4vllm18Fp8KVCacheDataTypeE0EhLi32ELi64ELi256ELb0ELi6EEvPKT_PKT0_S7_ifPKiS9_S9_iPKfiiiPfSC_PS2_PT2_iSB_SB_,"axG",@progbits,_Z39paged_attention_ll4mi_QKV_mfma16_kernelIDF16_DF16_LN4vllm18Fp8KVCacheDataTypeE0EhLi32ELi64ELi256ELb0ELi6EEvPKT_PKT0_S7_ifPKiS9_S9_iPKfiiiPfSC_PS2_PT2_iSB_SB_,comdat
	.protected	_Z39paged_attention_ll4mi_QKV_mfma16_kernelIDF16_DF16_LN4vllm18Fp8KVCacheDataTypeE0EhLi32ELi64ELi256ELb0ELi6EEvPKT_PKT0_S7_ifPKiS9_S9_iPKfiiiPfSC_PS2_PT2_iSB_SB_ ; -- Begin function _Z39paged_attention_ll4mi_QKV_mfma16_kernelIDF16_DF16_LN4vllm18Fp8KVCacheDataTypeE0EhLi32ELi64ELi256ELb0ELi6EEvPKT_PKT0_S7_ifPKiS9_S9_iPKfiiiPfSC_PS2_PT2_iSB_SB_
	.globl	_Z39paged_attention_ll4mi_QKV_mfma16_kernelIDF16_DF16_LN4vllm18Fp8KVCacheDataTypeE0EhLi32ELi64ELi256ELb0ELi6EEvPKT_PKT0_S7_ifPKiS9_S9_iPKfiiiPfSC_PS2_PT2_iSB_SB_
	.p2align	8
	.type	_Z39paged_attention_ll4mi_QKV_mfma16_kernelIDF16_DF16_LN4vllm18Fp8KVCacheDataTypeE0EhLi32ELi64ELi256ELb0ELi6EEvPKT_PKT0_S7_ifPKiS9_S9_iPKfiiiPfSC_PS2_PT2_iSB_SB_,@function
_Z39paged_attention_ll4mi_QKV_mfma16_kernelIDF16_DF16_LN4vllm18Fp8KVCacheDataTypeE0EhLi32ELi64ELi256ELb0ELi6EEvPKT_PKT0_S7_ifPKiS9_S9_iPKfiiiPfSC_PS2_PT2_iSB_SB_: ; @_Z39paged_attention_ll4mi_QKV_mfma16_kernelIDF16_DF16_LN4vllm18Fp8KVCacheDataTypeE0EhLi32ELi64ELi256ELb0ELi6EEvPKT_PKT0_S7_ifPKiS9_S9_iPKfiiiPfSC_PS2_PT2_iSB_SB_
; %bb.0:
	s_get_pc_i64 s[2:3]
	s_add_nc_u64 s[2:3], s[2:3], __PRETTY_FUNCTION__._Z39paged_attention_ll4mi_QKV_mfma16_kernelIDF16_DF16_LN4vllm18Fp8KVCacheDataTypeE0EhLi32ELi64ELi256ELb0ELi6EEvPKT_PKT0_S7_ifPKiS9_S9_iPKfiiiPfSC_PS2_PT2_iSB_SB_@rel64+4
	s_delay_alu instid0(SALU_CYCLE_1)
	v_dual_mov_b32 v0, 0xbb3 :: v_dual_mov_b32 v1, s2
	v_mov_b32_e32 v2, s3
	s_add_nc_u64 s[8:9], s[0:1], 0x90
	s_get_pc_i64 s[0:1]
	s_add_nc_u64 s[0:1], s[0:1], __assert_fail@rel64+4
	s_mov_b32 s32, 0
	s_swap_pc_i64 s[30:31], s[0:1]
	.section	.rodata,"a",@progbits
	.p2align	6, 0x0
	.amdhsa_kernel _Z39paged_attention_ll4mi_QKV_mfma16_kernelIDF16_DF16_LN4vllm18Fp8KVCacheDataTypeE0EhLi32ELi64ELi256ELb0ELi6EEvPKT_PKT0_S7_ifPKiS9_S9_iPKfiiiPfSC_PS2_PT2_iSB_SB_
		.amdhsa_group_segment_fixed_size 0
		.amdhsa_private_segment_fixed_size 64
		.amdhsa_kernarg_size 400
		.amdhsa_user_sgpr_count 2
		.amdhsa_user_sgpr_dispatch_ptr 0
		.amdhsa_user_sgpr_queue_ptr 0
		.amdhsa_user_sgpr_kernarg_segment_ptr 1
		.amdhsa_user_sgpr_dispatch_id 0
		.amdhsa_user_sgpr_kernarg_preload_length 0
		.amdhsa_user_sgpr_kernarg_preload_offset 0
		.amdhsa_user_sgpr_private_segment_size 0
		.amdhsa_wavefront_size32 1
		.amdhsa_uses_dynamic_stack 0
		.amdhsa_enable_private_segment 1
		.amdhsa_system_sgpr_workgroup_id_x 1
		.amdhsa_system_sgpr_workgroup_id_y 0
		.amdhsa_system_sgpr_workgroup_id_z 0
		.amdhsa_system_sgpr_workgroup_info 0
		.amdhsa_system_vgpr_workitem_id 0
		.amdhsa_next_free_vgpr 51
		.amdhsa_next_free_sgpr 34
		.amdhsa_named_barrier_count 0
		.amdhsa_reserve_vcc 1
		.amdhsa_float_round_mode_32 0
		.amdhsa_float_round_mode_16_64 0
		.amdhsa_float_denorm_mode_32 3
		.amdhsa_float_denorm_mode_16_64 3
		.amdhsa_fp16_overflow 0
		.amdhsa_memory_ordered 1
		.amdhsa_forward_progress 1
		.amdhsa_inst_pref_size 1
		.amdhsa_round_robin_scheduling 0
		.amdhsa_exception_fp_ieee_invalid_op 0
		.amdhsa_exception_fp_denorm_src 0
		.amdhsa_exception_fp_ieee_div_zero 0
		.amdhsa_exception_fp_ieee_overflow 0
		.amdhsa_exception_fp_ieee_underflow 0
		.amdhsa_exception_fp_ieee_inexact 0
		.amdhsa_exception_int_div_zero 0
	.end_amdhsa_kernel
	.section	.text._Z39paged_attention_ll4mi_QKV_mfma16_kernelIDF16_DF16_LN4vllm18Fp8KVCacheDataTypeE0EhLi32ELi64ELi256ELb0ELi6EEvPKT_PKT0_S7_ifPKiS9_S9_iPKfiiiPfSC_PS2_PT2_iSB_SB_,"axG",@progbits,_Z39paged_attention_ll4mi_QKV_mfma16_kernelIDF16_DF16_LN4vllm18Fp8KVCacheDataTypeE0EhLi32ELi64ELi256ELb0ELi6EEvPKT_PKT0_S7_ifPKiS9_S9_iPKfiiiPfSC_PS2_PT2_iSB_SB_,comdat
.Lfunc_end139:
	.size	_Z39paged_attention_ll4mi_QKV_mfma16_kernelIDF16_DF16_LN4vllm18Fp8KVCacheDataTypeE0EhLi32ELi64ELi256ELb0ELi6EEvPKT_PKT0_S7_ifPKiS9_S9_iPKfiiiPfSC_PS2_PT2_iSB_SB_, .Lfunc_end139-_Z39paged_attention_ll4mi_QKV_mfma16_kernelIDF16_DF16_LN4vllm18Fp8KVCacheDataTypeE0EhLi32ELi64ELi256ELb0ELi6EEvPKT_PKT0_S7_ifPKiS9_S9_iPKfiiiPfSC_PS2_PT2_iSB_SB_
                                        ; -- End function
	.set _Z39paged_attention_ll4mi_QKV_mfma16_kernelIDF16_DF16_LN4vllm18Fp8KVCacheDataTypeE0EhLi32ELi64ELi256ELb0ELi6EEvPKT_PKT0_S7_ifPKiS9_S9_iPKfiiiPfSC_PS2_PT2_iSB_SB_.num_vgpr, max(3, .L__assert_fail.num_vgpr)
	.set _Z39paged_attention_ll4mi_QKV_mfma16_kernelIDF16_DF16_LN4vllm18Fp8KVCacheDataTypeE0EhLi32ELi64ELi256ELb0ELi6EEvPKT_PKT0_S7_ifPKiS9_S9_iPKfiiiPfSC_PS2_PT2_iSB_SB_.num_agpr, max(0, .L__assert_fail.num_agpr)
	.set _Z39paged_attention_ll4mi_QKV_mfma16_kernelIDF16_DF16_LN4vllm18Fp8KVCacheDataTypeE0EhLi32ELi64ELi256ELb0ELi6EEvPKT_PKT0_S7_ifPKiS9_S9_iPKfiiiPfSC_PS2_PT2_iSB_SB_.numbered_sgpr, max(33, .L__assert_fail.numbered_sgpr)
	.set _Z39paged_attention_ll4mi_QKV_mfma16_kernelIDF16_DF16_LN4vllm18Fp8KVCacheDataTypeE0EhLi32ELi64ELi256ELb0ELi6EEvPKT_PKT0_S7_ifPKiS9_S9_iPKfiiiPfSC_PS2_PT2_iSB_SB_.num_named_barrier, max(0, .L__assert_fail.num_named_barrier)
	.set _Z39paged_attention_ll4mi_QKV_mfma16_kernelIDF16_DF16_LN4vllm18Fp8KVCacheDataTypeE0EhLi32ELi64ELi256ELb0ELi6EEvPKT_PKT0_S7_ifPKiS9_S9_iPKfiiiPfSC_PS2_PT2_iSB_SB_.private_seg_size, 0+max(.L__assert_fail.private_seg_size)
	.set _Z39paged_attention_ll4mi_QKV_mfma16_kernelIDF16_DF16_LN4vllm18Fp8KVCacheDataTypeE0EhLi32ELi64ELi256ELb0ELi6EEvPKT_PKT0_S7_ifPKiS9_S9_iPKfiiiPfSC_PS2_PT2_iSB_SB_.uses_vcc, or(1, .L__assert_fail.uses_vcc)
	.set _Z39paged_attention_ll4mi_QKV_mfma16_kernelIDF16_DF16_LN4vllm18Fp8KVCacheDataTypeE0EhLi32ELi64ELi256ELb0ELi6EEvPKT_PKT0_S7_ifPKiS9_S9_iPKfiiiPfSC_PS2_PT2_iSB_SB_.uses_flat_scratch, or(0, .L__assert_fail.uses_flat_scratch)
	.set _Z39paged_attention_ll4mi_QKV_mfma16_kernelIDF16_DF16_LN4vllm18Fp8KVCacheDataTypeE0EhLi32ELi64ELi256ELb0ELi6EEvPKT_PKT0_S7_ifPKiS9_S9_iPKfiiiPfSC_PS2_PT2_iSB_SB_.has_dyn_sized_stack, or(0, .L__assert_fail.has_dyn_sized_stack)
	.set _Z39paged_attention_ll4mi_QKV_mfma16_kernelIDF16_DF16_LN4vllm18Fp8KVCacheDataTypeE0EhLi32ELi64ELi256ELb0ELi6EEvPKT_PKT0_S7_ifPKiS9_S9_iPKfiiiPfSC_PS2_PT2_iSB_SB_.has_recursion, or(0, .L__assert_fail.has_recursion)
	.set _Z39paged_attention_ll4mi_QKV_mfma16_kernelIDF16_DF16_LN4vllm18Fp8KVCacheDataTypeE0EhLi32ELi64ELi256ELb0ELi6EEvPKT_PKT0_S7_ifPKiS9_S9_iPKfiiiPfSC_PS2_PT2_iSB_SB_.has_indirect_call, or(0, .L__assert_fail.has_indirect_call)
	.section	.AMDGPU.csdata,"",@progbits
; Kernel info:
; codeLenInByte = 68
; TotalNumSgprs: 36
; NumVgprs: 51
; ScratchSize: 64
; MemoryBound: 0
; FloatMode: 240
; IeeeMode: 1
; LDSByteSize: 0 bytes/workgroup (compile time only)
; SGPRBlocks: 0
; VGPRBlocks: 3
; NumSGPRsForWavesPerEU: 36
; NumVGPRsForWavesPerEU: 51
; NamedBarCnt: 0
; Occupancy: 16
; WaveLimiterHint : 1
; COMPUTE_PGM_RSRC2:SCRATCH_EN: 1
; COMPUTE_PGM_RSRC2:USER_SGPR: 2
; COMPUTE_PGM_RSRC2:TRAP_HANDLER: 0
; COMPUTE_PGM_RSRC2:TGID_X_EN: 1
; COMPUTE_PGM_RSRC2:TGID_Y_EN: 0
; COMPUTE_PGM_RSRC2:TGID_Z_EN: 0
; COMPUTE_PGM_RSRC2:TIDIG_COMP_CNT: 0
	.section	.text._Z39paged_attention_ll4mi_QKV_mfma16_kernelIDF16_DF16_LN4vllm18Fp8KVCacheDataTypeE0EhLi32ELi64ELi256ELb0ELi7EEvPKT_PKT0_S7_ifPKiS9_S9_iPKfiiiPfSC_PS2_PT2_iSB_SB_,"axG",@progbits,_Z39paged_attention_ll4mi_QKV_mfma16_kernelIDF16_DF16_LN4vllm18Fp8KVCacheDataTypeE0EhLi32ELi64ELi256ELb0ELi7EEvPKT_PKT0_S7_ifPKiS9_S9_iPKfiiiPfSC_PS2_PT2_iSB_SB_,comdat
	.protected	_Z39paged_attention_ll4mi_QKV_mfma16_kernelIDF16_DF16_LN4vllm18Fp8KVCacheDataTypeE0EhLi32ELi64ELi256ELb0ELi7EEvPKT_PKT0_S7_ifPKiS9_S9_iPKfiiiPfSC_PS2_PT2_iSB_SB_ ; -- Begin function _Z39paged_attention_ll4mi_QKV_mfma16_kernelIDF16_DF16_LN4vllm18Fp8KVCacheDataTypeE0EhLi32ELi64ELi256ELb0ELi7EEvPKT_PKT0_S7_ifPKiS9_S9_iPKfiiiPfSC_PS2_PT2_iSB_SB_
	.globl	_Z39paged_attention_ll4mi_QKV_mfma16_kernelIDF16_DF16_LN4vllm18Fp8KVCacheDataTypeE0EhLi32ELi64ELi256ELb0ELi7EEvPKT_PKT0_S7_ifPKiS9_S9_iPKfiiiPfSC_PS2_PT2_iSB_SB_
	.p2align	8
	.type	_Z39paged_attention_ll4mi_QKV_mfma16_kernelIDF16_DF16_LN4vllm18Fp8KVCacheDataTypeE0EhLi32ELi64ELi256ELb0ELi7EEvPKT_PKT0_S7_ifPKiS9_S9_iPKfiiiPfSC_PS2_PT2_iSB_SB_,@function
_Z39paged_attention_ll4mi_QKV_mfma16_kernelIDF16_DF16_LN4vllm18Fp8KVCacheDataTypeE0EhLi32ELi64ELi256ELb0ELi7EEvPKT_PKT0_S7_ifPKiS9_S9_iPKfiiiPfSC_PS2_PT2_iSB_SB_: ; @_Z39paged_attention_ll4mi_QKV_mfma16_kernelIDF16_DF16_LN4vllm18Fp8KVCacheDataTypeE0EhLi32ELi64ELi256ELb0ELi7EEvPKT_PKT0_S7_ifPKiS9_S9_iPKfiiiPfSC_PS2_PT2_iSB_SB_
; %bb.0:
	s_get_pc_i64 s[2:3]
	s_add_nc_u64 s[2:3], s[2:3], __PRETTY_FUNCTION__._Z39paged_attention_ll4mi_QKV_mfma16_kernelIDF16_DF16_LN4vllm18Fp8KVCacheDataTypeE0EhLi32ELi64ELi256ELb0ELi7EEvPKT_PKT0_S7_ifPKiS9_S9_iPKfiiiPfSC_PS2_PT2_iSB_SB_@rel64+4
	s_delay_alu instid0(SALU_CYCLE_1)
	v_dual_mov_b32 v0, 0xbb3 :: v_dual_mov_b32 v1, s2
	v_mov_b32_e32 v2, s3
	s_add_nc_u64 s[8:9], s[0:1], 0x90
	s_get_pc_i64 s[0:1]
	s_add_nc_u64 s[0:1], s[0:1], __assert_fail@rel64+4
	s_mov_b32 s32, 0
	s_swap_pc_i64 s[30:31], s[0:1]
	.section	.rodata,"a",@progbits
	.p2align	6, 0x0
	.amdhsa_kernel _Z39paged_attention_ll4mi_QKV_mfma16_kernelIDF16_DF16_LN4vllm18Fp8KVCacheDataTypeE0EhLi32ELi64ELi256ELb0ELi7EEvPKT_PKT0_S7_ifPKiS9_S9_iPKfiiiPfSC_PS2_PT2_iSB_SB_
		.amdhsa_group_segment_fixed_size 0
		.amdhsa_private_segment_fixed_size 64
		.amdhsa_kernarg_size 400
		.amdhsa_user_sgpr_count 2
		.amdhsa_user_sgpr_dispatch_ptr 0
		.amdhsa_user_sgpr_queue_ptr 0
		.amdhsa_user_sgpr_kernarg_segment_ptr 1
		.amdhsa_user_sgpr_dispatch_id 0
		.amdhsa_user_sgpr_kernarg_preload_length 0
		.amdhsa_user_sgpr_kernarg_preload_offset 0
		.amdhsa_user_sgpr_private_segment_size 0
		.amdhsa_wavefront_size32 1
		.amdhsa_uses_dynamic_stack 0
		.amdhsa_enable_private_segment 1
		.amdhsa_system_sgpr_workgroup_id_x 1
		.amdhsa_system_sgpr_workgroup_id_y 0
		.amdhsa_system_sgpr_workgroup_id_z 0
		.amdhsa_system_sgpr_workgroup_info 0
		.amdhsa_system_vgpr_workitem_id 0
		.amdhsa_next_free_vgpr 51
		.amdhsa_next_free_sgpr 34
		.amdhsa_named_barrier_count 0
		.amdhsa_reserve_vcc 1
		.amdhsa_float_round_mode_32 0
		.amdhsa_float_round_mode_16_64 0
		.amdhsa_float_denorm_mode_32 3
		.amdhsa_float_denorm_mode_16_64 3
		.amdhsa_fp16_overflow 0
		.amdhsa_memory_ordered 1
		.amdhsa_forward_progress 1
		.amdhsa_inst_pref_size 1
		.amdhsa_round_robin_scheduling 0
		.amdhsa_exception_fp_ieee_invalid_op 0
		.amdhsa_exception_fp_denorm_src 0
		.amdhsa_exception_fp_ieee_div_zero 0
		.amdhsa_exception_fp_ieee_overflow 0
		.amdhsa_exception_fp_ieee_underflow 0
		.amdhsa_exception_fp_ieee_inexact 0
		.amdhsa_exception_int_div_zero 0
	.end_amdhsa_kernel
	.section	.text._Z39paged_attention_ll4mi_QKV_mfma16_kernelIDF16_DF16_LN4vllm18Fp8KVCacheDataTypeE0EhLi32ELi64ELi256ELb0ELi7EEvPKT_PKT0_S7_ifPKiS9_S9_iPKfiiiPfSC_PS2_PT2_iSB_SB_,"axG",@progbits,_Z39paged_attention_ll4mi_QKV_mfma16_kernelIDF16_DF16_LN4vllm18Fp8KVCacheDataTypeE0EhLi32ELi64ELi256ELb0ELi7EEvPKT_PKT0_S7_ifPKiS9_S9_iPKfiiiPfSC_PS2_PT2_iSB_SB_,comdat
.Lfunc_end140:
	.size	_Z39paged_attention_ll4mi_QKV_mfma16_kernelIDF16_DF16_LN4vllm18Fp8KVCacheDataTypeE0EhLi32ELi64ELi256ELb0ELi7EEvPKT_PKT0_S7_ifPKiS9_S9_iPKfiiiPfSC_PS2_PT2_iSB_SB_, .Lfunc_end140-_Z39paged_attention_ll4mi_QKV_mfma16_kernelIDF16_DF16_LN4vllm18Fp8KVCacheDataTypeE0EhLi32ELi64ELi256ELb0ELi7EEvPKT_PKT0_S7_ifPKiS9_S9_iPKfiiiPfSC_PS2_PT2_iSB_SB_
                                        ; -- End function
	.set _Z39paged_attention_ll4mi_QKV_mfma16_kernelIDF16_DF16_LN4vllm18Fp8KVCacheDataTypeE0EhLi32ELi64ELi256ELb0ELi7EEvPKT_PKT0_S7_ifPKiS9_S9_iPKfiiiPfSC_PS2_PT2_iSB_SB_.num_vgpr, max(3, .L__assert_fail.num_vgpr)
	.set _Z39paged_attention_ll4mi_QKV_mfma16_kernelIDF16_DF16_LN4vllm18Fp8KVCacheDataTypeE0EhLi32ELi64ELi256ELb0ELi7EEvPKT_PKT0_S7_ifPKiS9_S9_iPKfiiiPfSC_PS2_PT2_iSB_SB_.num_agpr, max(0, .L__assert_fail.num_agpr)
	.set _Z39paged_attention_ll4mi_QKV_mfma16_kernelIDF16_DF16_LN4vllm18Fp8KVCacheDataTypeE0EhLi32ELi64ELi256ELb0ELi7EEvPKT_PKT0_S7_ifPKiS9_S9_iPKfiiiPfSC_PS2_PT2_iSB_SB_.numbered_sgpr, max(33, .L__assert_fail.numbered_sgpr)
	.set _Z39paged_attention_ll4mi_QKV_mfma16_kernelIDF16_DF16_LN4vllm18Fp8KVCacheDataTypeE0EhLi32ELi64ELi256ELb0ELi7EEvPKT_PKT0_S7_ifPKiS9_S9_iPKfiiiPfSC_PS2_PT2_iSB_SB_.num_named_barrier, max(0, .L__assert_fail.num_named_barrier)
	.set _Z39paged_attention_ll4mi_QKV_mfma16_kernelIDF16_DF16_LN4vllm18Fp8KVCacheDataTypeE0EhLi32ELi64ELi256ELb0ELi7EEvPKT_PKT0_S7_ifPKiS9_S9_iPKfiiiPfSC_PS2_PT2_iSB_SB_.private_seg_size, 0+max(.L__assert_fail.private_seg_size)
	.set _Z39paged_attention_ll4mi_QKV_mfma16_kernelIDF16_DF16_LN4vllm18Fp8KVCacheDataTypeE0EhLi32ELi64ELi256ELb0ELi7EEvPKT_PKT0_S7_ifPKiS9_S9_iPKfiiiPfSC_PS2_PT2_iSB_SB_.uses_vcc, or(1, .L__assert_fail.uses_vcc)
	.set _Z39paged_attention_ll4mi_QKV_mfma16_kernelIDF16_DF16_LN4vllm18Fp8KVCacheDataTypeE0EhLi32ELi64ELi256ELb0ELi7EEvPKT_PKT0_S7_ifPKiS9_S9_iPKfiiiPfSC_PS2_PT2_iSB_SB_.uses_flat_scratch, or(0, .L__assert_fail.uses_flat_scratch)
	.set _Z39paged_attention_ll4mi_QKV_mfma16_kernelIDF16_DF16_LN4vllm18Fp8KVCacheDataTypeE0EhLi32ELi64ELi256ELb0ELi7EEvPKT_PKT0_S7_ifPKiS9_S9_iPKfiiiPfSC_PS2_PT2_iSB_SB_.has_dyn_sized_stack, or(0, .L__assert_fail.has_dyn_sized_stack)
	.set _Z39paged_attention_ll4mi_QKV_mfma16_kernelIDF16_DF16_LN4vllm18Fp8KVCacheDataTypeE0EhLi32ELi64ELi256ELb0ELi7EEvPKT_PKT0_S7_ifPKiS9_S9_iPKfiiiPfSC_PS2_PT2_iSB_SB_.has_recursion, or(0, .L__assert_fail.has_recursion)
	.set _Z39paged_attention_ll4mi_QKV_mfma16_kernelIDF16_DF16_LN4vllm18Fp8KVCacheDataTypeE0EhLi32ELi64ELi256ELb0ELi7EEvPKT_PKT0_S7_ifPKiS9_S9_iPKfiiiPfSC_PS2_PT2_iSB_SB_.has_indirect_call, or(0, .L__assert_fail.has_indirect_call)
	.section	.AMDGPU.csdata,"",@progbits
; Kernel info:
; codeLenInByte = 68
; TotalNumSgprs: 36
; NumVgprs: 51
; ScratchSize: 64
; MemoryBound: 0
; FloatMode: 240
; IeeeMode: 1
; LDSByteSize: 0 bytes/workgroup (compile time only)
; SGPRBlocks: 0
; VGPRBlocks: 3
; NumSGPRsForWavesPerEU: 36
; NumVGPRsForWavesPerEU: 51
; NamedBarCnt: 0
; Occupancy: 16
; WaveLimiterHint : 1
; COMPUTE_PGM_RSRC2:SCRATCH_EN: 1
; COMPUTE_PGM_RSRC2:USER_SGPR: 2
; COMPUTE_PGM_RSRC2:TRAP_HANDLER: 0
; COMPUTE_PGM_RSRC2:TGID_X_EN: 1
; COMPUTE_PGM_RSRC2:TGID_Y_EN: 0
; COMPUTE_PGM_RSRC2:TGID_Z_EN: 0
; COMPUTE_PGM_RSRC2:TIDIG_COMP_CNT: 0
	.section	.text._Z39paged_attention_ll4mi_QKV_mfma16_kernelIDF16_DF16_LN4vllm18Fp8KVCacheDataTypeE0EhLi32ELi64ELi256ELb0ELi8EEvPKT_PKT0_S7_ifPKiS9_S9_iPKfiiiPfSC_PS2_PT2_iSB_SB_,"axG",@progbits,_Z39paged_attention_ll4mi_QKV_mfma16_kernelIDF16_DF16_LN4vllm18Fp8KVCacheDataTypeE0EhLi32ELi64ELi256ELb0ELi8EEvPKT_PKT0_S7_ifPKiS9_S9_iPKfiiiPfSC_PS2_PT2_iSB_SB_,comdat
	.protected	_Z39paged_attention_ll4mi_QKV_mfma16_kernelIDF16_DF16_LN4vllm18Fp8KVCacheDataTypeE0EhLi32ELi64ELi256ELb0ELi8EEvPKT_PKT0_S7_ifPKiS9_S9_iPKfiiiPfSC_PS2_PT2_iSB_SB_ ; -- Begin function _Z39paged_attention_ll4mi_QKV_mfma16_kernelIDF16_DF16_LN4vllm18Fp8KVCacheDataTypeE0EhLi32ELi64ELi256ELb0ELi8EEvPKT_PKT0_S7_ifPKiS9_S9_iPKfiiiPfSC_PS2_PT2_iSB_SB_
	.globl	_Z39paged_attention_ll4mi_QKV_mfma16_kernelIDF16_DF16_LN4vllm18Fp8KVCacheDataTypeE0EhLi32ELi64ELi256ELb0ELi8EEvPKT_PKT0_S7_ifPKiS9_S9_iPKfiiiPfSC_PS2_PT2_iSB_SB_
	.p2align	8
	.type	_Z39paged_attention_ll4mi_QKV_mfma16_kernelIDF16_DF16_LN4vllm18Fp8KVCacheDataTypeE0EhLi32ELi64ELi256ELb0ELi8EEvPKT_PKT0_S7_ifPKiS9_S9_iPKfiiiPfSC_PS2_PT2_iSB_SB_,@function
_Z39paged_attention_ll4mi_QKV_mfma16_kernelIDF16_DF16_LN4vllm18Fp8KVCacheDataTypeE0EhLi32ELi64ELi256ELb0ELi8EEvPKT_PKT0_S7_ifPKiS9_S9_iPKfiiiPfSC_PS2_PT2_iSB_SB_: ; @_Z39paged_attention_ll4mi_QKV_mfma16_kernelIDF16_DF16_LN4vllm18Fp8KVCacheDataTypeE0EhLi32ELi64ELi256ELb0ELi8EEvPKT_PKT0_S7_ifPKiS9_S9_iPKfiiiPfSC_PS2_PT2_iSB_SB_
; %bb.0:
	s_get_pc_i64 s[2:3]
	s_add_nc_u64 s[2:3], s[2:3], __PRETTY_FUNCTION__._Z39paged_attention_ll4mi_QKV_mfma16_kernelIDF16_DF16_LN4vllm18Fp8KVCacheDataTypeE0EhLi32ELi64ELi256ELb0ELi8EEvPKT_PKT0_S7_ifPKiS9_S9_iPKfiiiPfSC_PS2_PT2_iSB_SB_@rel64+4
	s_delay_alu instid0(SALU_CYCLE_1)
	v_dual_mov_b32 v0, 0xbb3 :: v_dual_mov_b32 v1, s2
	v_mov_b32_e32 v2, s3
	s_add_nc_u64 s[8:9], s[0:1], 0x90
	s_get_pc_i64 s[0:1]
	s_add_nc_u64 s[0:1], s[0:1], __assert_fail@rel64+4
	s_mov_b32 s32, 0
	s_swap_pc_i64 s[30:31], s[0:1]
	.section	.rodata,"a",@progbits
	.p2align	6, 0x0
	.amdhsa_kernel _Z39paged_attention_ll4mi_QKV_mfma16_kernelIDF16_DF16_LN4vllm18Fp8KVCacheDataTypeE0EhLi32ELi64ELi256ELb0ELi8EEvPKT_PKT0_S7_ifPKiS9_S9_iPKfiiiPfSC_PS2_PT2_iSB_SB_
		.amdhsa_group_segment_fixed_size 0
		.amdhsa_private_segment_fixed_size 64
		.amdhsa_kernarg_size 400
		.amdhsa_user_sgpr_count 2
		.amdhsa_user_sgpr_dispatch_ptr 0
		.amdhsa_user_sgpr_queue_ptr 0
		.amdhsa_user_sgpr_kernarg_segment_ptr 1
		.amdhsa_user_sgpr_dispatch_id 0
		.amdhsa_user_sgpr_kernarg_preload_length 0
		.amdhsa_user_sgpr_kernarg_preload_offset 0
		.amdhsa_user_sgpr_private_segment_size 0
		.amdhsa_wavefront_size32 1
		.amdhsa_uses_dynamic_stack 0
		.amdhsa_enable_private_segment 1
		.amdhsa_system_sgpr_workgroup_id_x 1
		.amdhsa_system_sgpr_workgroup_id_y 0
		.amdhsa_system_sgpr_workgroup_id_z 0
		.amdhsa_system_sgpr_workgroup_info 0
		.amdhsa_system_vgpr_workitem_id 0
		.amdhsa_next_free_vgpr 51
		.amdhsa_next_free_sgpr 34
		.amdhsa_named_barrier_count 0
		.amdhsa_reserve_vcc 1
		.amdhsa_float_round_mode_32 0
		.amdhsa_float_round_mode_16_64 0
		.amdhsa_float_denorm_mode_32 3
		.amdhsa_float_denorm_mode_16_64 3
		.amdhsa_fp16_overflow 0
		.amdhsa_memory_ordered 1
		.amdhsa_forward_progress 1
		.amdhsa_inst_pref_size 1
		.amdhsa_round_robin_scheduling 0
		.amdhsa_exception_fp_ieee_invalid_op 0
		.amdhsa_exception_fp_denorm_src 0
		.amdhsa_exception_fp_ieee_div_zero 0
		.amdhsa_exception_fp_ieee_overflow 0
		.amdhsa_exception_fp_ieee_underflow 0
		.amdhsa_exception_fp_ieee_inexact 0
		.amdhsa_exception_int_div_zero 0
	.end_amdhsa_kernel
	.section	.text._Z39paged_attention_ll4mi_QKV_mfma16_kernelIDF16_DF16_LN4vllm18Fp8KVCacheDataTypeE0EhLi32ELi64ELi256ELb0ELi8EEvPKT_PKT0_S7_ifPKiS9_S9_iPKfiiiPfSC_PS2_PT2_iSB_SB_,"axG",@progbits,_Z39paged_attention_ll4mi_QKV_mfma16_kernelIDF16_DF16_LN4vllm18Fp8KVCacheDataTypeE0EhLi32ELi64ELi256ELb0ELi8EEvPKT_PKT0_S7_ifPKiS9_S9_iPKfiiiPfSC_PS2_PT2_iSB_SB_,comdat
.Lfunc_end141:
	.size	_Z39paged_attention_ll4mi_QKV_mfma16_kernelIDF16_DF16_LN4vllm18Fp8KVCacheDataTypeE0EhLi32ELi64ELi256ELb0ELi8EEvPKT_PKT0_S7_ifPKiS9_S9_iPKfiiiPfSC_PS2_PT2_iSB_SB_, .Lfunc_end141-_Z39paged_attention_ll4mi_QKV_mfma16_kernelIDF16_DF16_LN4vllm18Fp8KVCacheDataTypeE0EhLi32ELi64ELi256ELb0ELi8EEvPKT_PKT0_S7_ifPKiS9_S9_iPKfiiiPfSC_PS2_PT2_iSB_SB_
                                        ; -- End function
	.set _Z39paged_attention_ll4mi_QKV_mfma16_kernelIDF16_DF16_LN4vllm18Fp8KVCacheDataTypeE0EhLi32ELi64ELi256ELb0ELi8EEvPKT_PKT0_S7_ifPKiS9_S9_iPKfiiiPfSC_PS2_PT2_iSB_SB_.num_vgpr, max(3, .L__assert_fail.num_vgpr)
	.set _Z39paged_attention_ll4mi_QKV_mfma16_kernelIDF16_DF16_LN4vllm18Fp8KVCacheDataTypeE0EhLi32ELi64ELi256ELb0ELi8EEvPKT_PKT0_S7_ifPKiS9_S9_iPKfiiiPfSC_PS2_PT2_iSB_SB_.num_agpr, max(0, .L__assert_fail.num_agpr)
	.set _Z39paged_attention_ll4mi_QKV_mfma16_kernelIDF16_DF16_LN4vllm18Fp8KVCacheDataTypeE0EhLi32ELi64ELi256ELb0ELi8EEvPKT_PKT0_S7_ifPKiS9_S9_iPKfiiiPfSC_PS2_PT2_iSB_SB_.numbered_sgpr, max(33, .L__assert_fail.numbered_sgpr)
	.set _Z39paged_attention_ll4mi_QKV_mfma16_kernelIDF16_DF16_LN4vllm18Fp8KVCacheDataTypeE0EhLi32ELi64ELi256ELb0ELi8EEvPKT_PKT0_S7_ifPKiS9_S9_iPKfiiiPfSC_PS2_PT2_iSB_SB_.num_named_barrier, max(0, .L__assert_fail.num_named_barrier)
	.set _Z39paged_attention_ll4mi_QKV_mfma16_kernelIDF16_DF16_LN4vllm18Fp8KVCacheDataTypeE0EhLi32ELi64ELi256ELb0ELi8EEvPKT_PKT0_S7_ifPKiS9_S9_iPKfiiiPfSC_PS2_PT2_iSB_SB_.private_seg_size, 0+max(.L__assert_fail.private_seg_size)
	.set _Z39paged_attention_ll4mi_QKV_mfma16_kernelIDF16_DF16_LN4vllm18Fp8KVCacheDataTypeE0EhLi32ELi64ELi256ELb0ELi8EEvPKT_PKT0_S7_ifPKiS9_S9_iPKfiiiPfSC_PS2_PT2_iSB_SB_.uses_vcc, or(1, .L__assert_fail.uses_vcc)
	.set _Z39paged_attention_ll4mi_QKV_mfma16_kernelIDF16_DF16_LN4vllm18Fp8KVCacheDataTypeE0EhLi32ELi64ELi256ELb0ELi8EEvPKT_PKT0_S7_ifPKiS9_S9_iPKfiiiPfSC_PS2_PT2_iSB_SB_.uses_flat_scratch, or(0, .L__assert_fail.uses_flat_scratch)
	.set _Z39paged_attention_ll4mi_QKV_mfma16_kernelIDF16_DF16_LN4vllm18Fp8KVCacheDataTypeE0EhLi32ELi64ELi256ELb0ELi8EEvPKT_PKT0_S7_ifPKiS9_S9_iPKfiiiPfSC_PS2_PT2_iSB_SB_.has_dyn_sized_stack, or(0, .L__assert_fail.has_dyn_sized_stack)
	.set _Z39paged_attention_ll4mi_QKV_mfma16_kernelIDF16_DF16_LN4vllm18Fp8KVCacheDataTypeE0EhLi32ELi64ELi256ELb0ELi8EEvPKT_PKT0_S7_ifPKiS9_S9_iPKfiiiPfSC_PS2_PT2_iSB_SB_.has_recursion, or(0, .L__assert_fail.has_recursion)
	.set _Z39paged_attention_ll4mi_QKV_mfma16_kernelIDF16_DF16_LN4vllm18Fp8KVCacheDataTypeE0EhLi32ELi64ELi256ELb0ELi8EEvPKT_PKT0_S7_ifPKiS9_S9_iPKfiiiPfSC_PS2_PT2_iSB_SB_.has_indirect_call, or(0, .L__assert_fail.has_indirect_call)
	.section	.AMDGPU.csdata,"",@progbits
; Kernel info:
; codeLenInByte = 68
; TotalNumSgprs: 36
; NumVgprs: 51
; ScratchSize: 64
; MemoryBound: 0
; FloatMode: 240
; IeeeMode: 1
; LDSByteSize: 0 bytes/workgroup (compile time only)
; SGPRBlocks: 0
; VGPRBlocks: 3
; NumSGPRsForWavesPerEU: 36
; NumVGPRsForWavesPerEU: 51
; NamedBarCnt: 0
; Occupancy: 16
; WaveLimiterHint : 1
; COMPUTE_PGM_RSRC2:SCRATCH_EN: 1
; COMPUTE_PGM_RSRC2:USER_SGPR: 2
; COMPUTE_PGM_RSRC2:TRAP_HANDLER: 0
; COMPUTE_PGM_RSRC2:TGID_X_EN: 1
; COMPUTE_PGM_RSRC2:TGID_Y_EN: 0
; COMPUTE_PGM_RSRC2:TGID_Z_EN: 0
; COMPUTE_PGM_RSRC2:TIDIG_COMP_CNT: 0
	.section	.text._Z39paged_attention_ll4mi_QKV_mfma16_kernelIDF16_DF16_LN4vllm18Fp8KVCacheDataTypeE0EhLi32ELi64ELi256ELb0ELi9EEvPKT_PKT0_S7_ifPKiS9_S9_iPKfiiiPfSC_PS2_PT2_iSB_SB_,"axG",@progbits,_Z39paged_attention_ll4mi_QKV_mfma16_kernelIDF16_DF16_LN4vllm18Fp8KVCacheDataTypeE0EhLi32ELi64ELi256ELb0ELi9EEvPKT_PKT0_S7_ifPKiS9_S9_iPKfiiiPfSC_PS2_PT2_iSB_SB_,comdat
	.protected	_Z39paged_attention_ll4mi_QKV_mfma16_kernelIDF16_DF16_LN4vllm18Fp8KVCacheDataTypeE0EhLi32ELi64ELi256ELb0ELi9EEvPKT_PKT0_S7_ifPKiS9_S9_iPKfiiiPfSC_PS2_PT2_iSB_SB_ ; -- Begin function _Z39paged_attention_ll4mi_QKV_mfma16_kernelIDF16_DF16_LN4vllm18Fp8KVCacheDataTypeE0EhLi32ELi64ELi256ELb0ELi9EEvPKT_PKT0_S7_ifPKiS9_S9_iPKfiiiPfSC_PS2_PT2_iSB_SB_
	.globl	_Z39paged_attention_ll4mi_QKV_mfma16_kernelIDF16_DF16_LN4vllm18Fp8KVCacheDataTypeE0EhLi32ELi64ELi256ELb0ELi9EEvPKT_PKT0_S7_ifPKiS9_S9_iPKfiiiPfSC_PS2_PT2_iSB_SB_
	.p2align	8
	.type	_Z39paged_attention_ll4mi_QKV_mfma16_kernelIDF16_DF16_LN4vllm18Fp8KVCacheDataTypeE0EhLi32ELi64ELi256ELb0ELi9EEvPKT_PKT0_S7_ifPKiS9_S9_iPKfiiiPfSC_PS2_PT2_iSB_SB_,@function
_Z39paged_attention_ll4mi_QKV_mfma16_kernelIDF16_DF16_LN4vllm18Fp8KVCacheDataTypeE0EhLi32ELi64ELi256ELb0ELi9EEvPKT_PKT0_S7_ifPKiS9_S9_iPKfiiiPfSC_PS2_PT2_iSB_SB_: ; @_Z39paged_attention_ll4mi_QKV_mfma16_kernelIDF16_DF16_LN4vllm18Fp8KVCacheDataTypeE0EhLi32ELi64ELi256ELb0ELi9EEvPKT_PKT0_S7_ifPKiS9_S9_iPKfiiiPfSC_PS2_PT2_iSB_SB_
; %bb.0:
	s_get_pc_i64 s[2:3]
	s_add_nc_u64 s[2:3], s[2:3], __PRETTY_FUNCTION__._Z39paged_attention_ll4mi_QKV_mfma16_kernelIDF16_DF16_LN4vllm18Fp8KVCacheDataTypeE0EhLi32ELi64ELi256ELb0ELi9EEvPKT_PKT0_S7_ifPKiS9_S9_iPKfiiiPfSC_PS2_PT2_iSB_SB_@rel64+4
	s_delay_alu instid0(SALU_CYCLE_1)
	v_dual_mov_b32 v0, 0xbb3 :: v_dual_mov_b32 v1, s2
	v_mov_b32_e32 v2, s3
	s_add_nc_u64 s[8:9], s[0:1], 0x90
	s_get_pc_i64 s[0:1]
	s_add_nc_u64 s[0:1], s[0:1], __assert_fail@rel64+4
	s_mov_b32 s32, 0
	s_swap_pc_i64 s[30:31], s[0:1]
	.section	.rodata,"a",@progbits
	.p2align	6, 0x0
	.amdhsa_kernel _Z39paged_attention_ll4mi_QKV_mfma16_kernelIDF16_DF16_LN4vllm18Fp8KVCacheDataTypeE0EhLi32ELi64ELi256ELb0ELi9EEvPKT_PKT0_S7_ifPKiS9_S9_iPKfiiiPfSC_PS2_PT2_iSB_SB_
		.amdhsa_group_segment_fixed_size 0
		.amdhsa_private_segment_fixed_size 64
		.amdhsa_kernarg_size 400
		.amdhsa_user_sgpr_count 2
		.amdhsa_user_sgpr_dispatch_ptr 0
		.amdhsa_user_sgpr_queue_ptr 0
		.amdhsa_user_sgpr_kernarg_segment_ptr 1
		.amdhsa_user_sgpr_dispatch_id 0
		.amdhsa_user_sgpr_kernarg_preload_length 0
		.amdhsa_user_sgpr_kernarg_preload_offset 0
		.amdhsa_user_sgpr_private_segment_size 0
		.amdhsa_wavefront_size32 1
		.amdhsa_uses_dynamic_stack 0
		.amdhsa_enable_private_segment 1
		.amdhsa_system_sgpr_workgroup_id_x 1
		.amdhsa_system_sgpr_workgroup_id_y 0
		.amdhsa_system_sgpr_workgroup_id_z 0
		.amdhsa_system_sgpr_workgroup_info 0
		.amdhsa_system_vgpr_workitem_id 0
		.amdhsa_next_free_vgpr 51
		.amdhsa_next_free_sgpr 34
		.amdhsa_named_barrier_count 0
		.amdhsa_reserve_vcc 1
		.amdhsa_float_round_mode_32 0
		.amdhsa_float_round_mode_16_64 0
		.amdhsa_float_denorm_mode_32 3
		.amdhsa_float_denorm_mode_16_64 3
		.amdhsa_fp16_overflow 0
		.amdhsa_memory_ordered 1
		.amdhsa_forward_progress 1
		.amdhsa_inst_pref_size 1
		.amdhsa_round_robin_scheduling 0
		.amdhsa_exception_fp_ieee_invalid_op 0
		.amdhsa_exception_fp_denorm_src 0
		.amdhsa_exception_fp_ieee_div_zero 0
		.amdhsa_exception_fp_ieee_overflow 0
		.amdhsa_exception_fp_ieee_underflow 0
		.amdhsa_exception_fp_ieee_inexact 0
		.amdhsa_exception_int_div_zero 0
	.end_amdhsa_kernel
	.section	.text._Z39paged_attention_ll4mi_QKV_mfma16_kernelIDF16_DF16_LN4vllm18Fp8KVCacheDataTypeE0EhLi32ELi64ELi256ELb0ELi9EEvPKT_PKT0_S7_ifPKiS9_S9_iPKfiiiPfSC_PS2_PT2_iSB_SB_,"axG",@progbits,_Z39paged_attention_ll4mi_QKV_mfma16_kernelIDF16_DF16_LN4vllm18Fp8KVCacheDataTypeE0EhLi32ELi64ELi256ELb0ELi9EEvPKT_PKT0_S7_ifPKiS9_S9_iPKfiiiPfSC_PS2_PT2_iSB_SB_,comdat
.Lfunc_end142:
	.size	_Z39paged_attention_ll4mi_QKV_mfma16_kernelIDF16_DF16_LN4vllm18Fp8KVCacheDataTypeE0EhLi32ELi64ELi256ELb0ELi9EEvPKT_PKT0_S7_ifPKiS9_S9_iPKfiiiPfSC_PS2_PT2_iSB_SB_, .Lfunc_end142-_Z39paged_attention_ll4mi_QKV_mfma16_kernelIDF16_DF16_LN4vllm18Fp8KVCacheDataTypeE0EhLi32ELi64ELi256ELb0ELi9EEvPKT_PKT0_S7_ifPKiS9_S9_iPKfiiiPfSC_PS2_PT2_iSB_SB_
                                        ; -- End function
	.set _Z39paged_attention_ll4mi_QKV_mfma16_kernelIDF16_DF16_LN4vllm18Fp8KVCacheDataTypeE0EhLi32ELi64ELi256ELb0ELi9EEvPKT_PKT0_S7_ifPKiS9_S9_iPKfiiiPfSC_PS2_PT2_iSB_SB_.num_vgpr, max(3, .L__assert_fail.num_vgpr)
	.set _Z39paged_attention_ll4mi_QKV_mfma16_kernelIDF16_DF16_LN4vllm18Fp8KVCacheDataTypeE0EhLi32ELi64ELi256ELb0ELi9EEvPKT_PKT0_S7_ifPKiS9_S9_iPKfiiiPfSC_PS2_PT2_iSB_SB_.num_agpr, max(0, .L__assert_fail.num_agpr)
	.set _Z39paged_attention_ll4mi_QKV_mfma16_kernelIDF16_DF16_LN4vllm18Fp8KVCacheDataTypeE0EhLi32ELi64ELi256ELb0ELi9EEvPKT_PKT0_S7_ifPKiS9_S9_iPKfiiiPfSC_PS2_PT2_iSB_SB_.numbered_sgpr, max(33, .L__assert_fail.numbered_sgpr)
	.set _Z39paged_attention_ll4mi_QKV_mfma16_kernelIDF16_DF16_LN4vllm18Fp8KVCacheDataTypeE0EhLi32ELi64ELi256ELb0ELi9EEvPKT_PKT0_S7_ifPKiS9_S9_iPKfiiiPfSC_PS2_PT2_iSB_SB_.num_named_barrier, max(0, .L__assert_fail.num_named_barrier)
	.set _Z39paged_attention_ll4mi_QKV_mfma16_kernelIDF16_DF16_LN4vllm18Fp8KVCacheDataTypeE0EhLi32ELi64ELi256ELb0ELi9EEvPKT_PKT0_S7_ifPKiS9_S9_iPKfiiiPfSC_PS2_PT2_iSB_SB_.private_seg_size, 0+max(.L__assert_fail.private_seg_size)
	.set _Z39paged_attention_ll4mi_QKV_mfma16_kernelIDF16_DF16_LN4vllm18Fp8KVCacheDataTypeE0EhLi32ELi64ELi256ELb0ELi9EEvPKT_PKT0_S7_ifPKiS9_S9_iPKfiiiPfSC_PS2_PT2_iSB_SB_.uses_vcc, or(1, .L__assert_fail.uses_vcc)
	.set _Z39paged_attention_ll4mi_QKV_mfma16_kernelIDF16_DF16_LN4vllm18Fp8KVCacheDataTypeE0EhLi32ELi64ELi256ELb0ELi9EEvPKT_PKT0_S7_ifPKiS9_S9_iPKfiiiPfSC_PS2_PT2_iSB_SB_.uses_flat_scratch, or(0, .L__assert_fail.uses_flat_scratch)
	.set _Z39paged_attention_ll4mi_QKV_mfma16_kernelIDF16_DF16_LN4vllm18Fp8KVCacheDataTypeE0EhLi32ELi64ELi256ELb0ELi9EEvPKT_PKT0_S7_ifPKiS9_S9_iPKfiiiPfSC_PS2_PT2_iSB_SB_.has_dyn_sized_stack, or(0, .L__assert_fail.has_dyn_sized_stack)
	.set _Z39paged_attention_ll4mi_QKV_mfma16_kernelIDF16_DF16_LN4vllm18Fp8KVCacheDataTypeE0EhLi32ELi64ELi256ELb0ELi9EEvPKT_PKT0_S7_ifPKiS9_S9_iPKfiiiPfSC_PS2_PT2_iSB_SB_.has_recursion, or(0, .L__assert_fail.has_recursion)
	.set _Z39paged_attention_ll4mi_QKV_mfma16_kernelIDF16_DF16_LN4vllm18Fp8KVCacheDataTypeE0EhLi32ELi64ELi256ELb0ELi9EEvPKT_PKT0_S7_ifPKiS9_S9_iPKfiiiPfSC_PS2_PT2_iSB_SB_.has_indirect_call, or(0, .L__assert_fail.has_indirect_call)
	.section	.AMDGPU.csdata,"",@progbits
; Kernel info:
; codeLenInByte = 68
; TotalNumSgprs: 36
; NumVgprs: 51
; ScratchSize: 64
; MemoryBound: 0
; FloatMode: 240
; IeeeMode: 1
; LDSByteSize: 0 bytes/workgroup (compile time only)
; SGPRBlocks: 0
; VGPRBlocks: 3
; NumSGPRsForWavesPerEU: 36
; NumVGPRsForWavesPerEU: 51
; NamedBarCnt: 0
; Occupancy: 16
; WaveLimiterHint : 1
; COMPUTE_PGM_RSRC2:SCRATCH_EN: 1
; COMPUTE_PGM_RSRC2:USER_SGPR: 2
; COMPUTE_PGM_RSRC2:TRAP_HANDLER: 0
; COMPUTE_PGM_RSRC2:TGID_X_EN: 1
; COMPUTE_PGM_RSRC2:TGID_Y_EN: 0
; COMPUTE_PGM_RSRC2:TGID_Z_EN: 0
; COMPUTE_PGM_RSRC2:TIDIG_COMP_CNT: 0
	.section	.text._Z39paged_attention_ll4mi_QKV_mfma16_kernelIDF16_DF16_LN4vllm18Fp8KVCacheDataTypeE0EhLi32ELi64ELi256ELb0ELi10EEvPKT_PKT0_S7_ifPKiS9_S9_iPKfiiiPfSC_PS2_PT2_iSB_SB_,"axG",@progbits,_Z39paged_attention_ll4mi_QKV_mfma16_kernelIDF16_DF16_LN4vllm18Fp8KVCacheDataTypeE0EhLi32ELi64ELi256ELb0ELi10EEvPKT_PKT0_S7_ifPKiS9_S9_iPKfiiiPfSC_PS2_PT2_iSB_SB_,comdat
	.protected	_Z39paged_attention_ll4mi_QKV_mfma16_kernelIDF16_DF16_LN4vllm18Fp8KVCacheDataTypeE0EhLi32ELi64ELi256ELb0ELi10EEvPKT_PKT0_S7_ifPKiS9_S9_iPKfiiiPfSC_PS2_PT2_iSB_SB_ ; -- Begin function _Z39paged_attention_ll4mi_QKV_mfma16_kernelIDF16_DF16_LN4vllm18Fp8KVCacheDataTypeE0EhLi32ELi64ELi256ELb0ELi10EEvPKT_PKT0_S7_ifPKiS9_S9_iPKfiiiPfSC_PS2_PT2_iSB_SB_
	.globl	_Z39paged_attention_ll4mi_QKV_mfma16_kernelIDF16_DF16_LN4vllm18Fp8KVCacheDataTypeE0EhLi32ELi64ELi256ELb0ELi10EEvPKT_PKT0_S7_ifPKiS9_S9_iPKfiiiPfSC_PS2_PT2_iSB_SB_
	.p2align	8
	.type	_Z39paged_attention_ll4mi_QKV_mfma16_kernelIDF16_DF16_LN4vllm18Fp8KVCacheDataTypeE0EhLi32ELi64ELi256ELb0ELi10EEvPKT_PKT0_S7_ifPKiS9_S9_iPKfiiiPfSC_PS2_PT2_iSB_SB_,@function
_Z39paged_attention_ll4mi_QKV_mfma16_kernelIDF16_DF16_LN4vllm18Fp8KVCacheDataTypeE0EhLi32ELi64ELi256ELb0ELi10EEvPKT_PKT0_S7_ifPKiS9_S9_iPKfiiiPfSC_PS2_PT2_iSB_SB_: ; @_Z39paged_attention_ll4mi_QKV_mfma16_kernelIDF16_DF16_LN4vllm18Fp8KVCacheDataTypeE0EhLi32ELi64ELi256ELb0ELi10EEvPKT_PKT0_S7_ifPKiS9_S9_iPKfiiiPfSC_PS2_PT2_iSB_SB_
; %bb.0:
	s_get_pc_i64 s[2:3]
	s_add_nc_u64 s[2:3], s[2:3], __PRETTY_FUNCTION__._Z39paged_attention_ll4mi_QKV_mfma16_kernelIDF16_DF16_LN4vllm18Fp8KVCacheDataTypeE0EhLi32ELi64ELi256ELb0ELi10EEvPKT_PKT0_S7_ifPKiS9_S9_iPKfiiiPfSC_PS2_PT2_iSB_SB_@rel64+4
	s_delay_alu instid0(SALU_CYCLE_1)
	v_dual_mov_b32 v0, 0xbb3 :: v_dual_mov_b32 v1, s2
	v_mov_b32_e32 v2, s3
	s_add_nc_u64 s[8:9], s[0:1], 0x90
	s_get_pc_i64 s[0:1]
	s_add_nc_u64 s[0:1], s[0:1], __assert_fail@rel64+4
	s_mov_b32 s32, 0
	s_swap_pc_i64 s[30:31], s[0:1]
	.section	.rodata,"a",@progbits
	.p2align	6, 0x0
	.amdhsa_kernel _Z39paged_attention_ll4mi_QKV_mfma16_kernelIDF16_DF16_LN4vllm18Fp8KVCacheDataTypeE0EhLi32ELi64ELi256ELb0ELi10EEvPKT_PKT0_S7_ifPKiS9_S9_iPKfiiiPfSC_PS2_PT2_iSB_SB_
		.amdhsa_group_segment_fixed_size 0
		.amdhsa_private_segment_fixed_size 64
		.amdhsa_kernarg_size 400
		.amdhsa_user_sgpr_count 2
		.amdhsa_user_sgpr_dispatch_ptr 0
		.amdhsa_user_sgpr_queue_ptr 0
		.amdhsa_user_sgpr_kernarg_segment_ptr 1
		.amdhsa_user_sgpr_dispatch_id 0
		.amdhsa_user_sgpr_kernarg_preload_length 0
		.amdhsa_user_sgpr_kernarg_preload_offset 0
		.amdhsa_user_sgpr_private_segment_size 0
		.amdhsa_wavefront_size32 1
		.amdhsa_uses_dynamic_stack 0
		.amdhsa_enable_private_segment 1
		.amdhsa_system_sgpr_workgroup_id_x 1
		.amdhsa_system_sgpr_workgroup_id_y 0
		.amdhsa_system_sgpr_workgroup_id_z 0
		.amdhsa_system_sgpr_workgroup_info 0
		.amdhsa_system_vgpr_workitem_id 0
		.amdhsa_next_free_vgpr 51
		.amdhsa_next_free_sgpr 34
		.amdhsa_named_barrier_count 0
		.amdhsa_reserve_vcc 1
		.amdhsa_float_round_mode_32 0
		.amdhsa_float_round_mode_16_64 0
		.amdhsa_float_denorm_mode_32 3
		.amdhsa_float_denorm_mode_16_64 3
		.amdhsa_fp16_overflow 0
		.amdhsa_memory_ordered 1
		.amdhsa_forward_progress 1
		.amdhsa_inst_pref_size 1
		.amdhsa_round_robin_scheduling 0
		.amdhsa_exception_fp_ieee_invalid_op 0
		.amdhsa_exception_fp_denorm_src 0
		.amdhsa_exception_fp_ieee_div_zero 0
		.amdhsa_exception_fp_ieee_overflow 0
		.amdhsa_exception_fp_ieee_underflow 0
		.amdhsa_exception_fp_ieee_inexact 0
		.amdhsa_exception_int_div_zero 0
	.end_amdhsa_kernel
	.section	.text._Z39paged_attention_ll4mi_QKV_mfma16_kernelIDF16_DF16_LN4vllm18Fp8KVCacheDataTypeE0EhLi32ELi64ELi256ELb0ELi10EEvPKT_PKT0_S7_ifPKiS9_S9_iPKfiiiPfSC_PS2_PT2_iSB_SB_,"axG",@progbits,_Z39paged_attention_ll4mi_QKV_mfma16_kernelIDF16_DF16_LN4vllm18Fp8KVCacheDataTypeE0EhLi32ELi64ELi256ELb0ELi10EEvPKT_PKT0_S7_ifPKiS9_S9_iPKfiiiPfSC_PS2_PT2_iSB_SB_,comdat
.Lfunc_end143:
	.size	_Z39paged_attention_ll4mi_QKV_mfma16_kernelIDF16_DF16_LN4vllm18Fp8KVCacheDataTypeE0EhLi32ELi64ELi256ELb0ELi10EEvPKT_PKT0_S7_ifPKiS9_S9_iPKfiiiPfSC_PS2_PT2_iSB_SB_, .Lfunc_end143-_Z39paged_attention_ll4mi_QKV_mfma16_kernelIDF16_DF16_LN4vllm18Fp8KVCacheDataTypeE0EhLi32ELi64ELi256ELb0ELi10EEvPKT_PKT0_S7_ifPKiS9_S9_iPKfiiiPfSC_PS2_PT2_iSB_SB_
                                        ; -- End function
	.set _Z39paged_attention_ll4mi_QKV_mfma16_kernelIDF16_DF16_LN4vllm18Fp8KVCacheDataTypeE0EhLi32ELi64ELi256ELb0ELi10EEvPKT_PKT0_S7_ifPKiS9_S9_iPKfiiiPfSC_PS2_PT2_iSB_SB_.num_vgpr, max(3, .L__assert_fail.num_vgpr)
	.set _Z39paged_attention_ll4mi_QKV_mfma16_kernelIDF16_DF16_LN4vllm18Fp8KVCacheDataTypeE0EhLi32ELi64ELi256ELb0ELi10EEvPKT_PKT0_S7_ifPKiS9_S9_iPKfiiiPfSC_PS2_PT2_iSB_SB_.num_agpr, max(0, .L__assert_fail.num_agpr)
	.set _Z39paged_attention_ll4mi_QKV_mfma16_kernelIDF16_DF16_LN4vllm18Fp8KVCacheDataTypeE0EhLi32ELi64ELi256ELb0ELi10EEvPKT_PKT0_S7_ifPKiS9_S9_iPKfiiiPfSC_PS2_PT2_iSB_SB_.numbered_sgpr, max(33, .L__assert_fail.numbered_sgpr)
	.set _Z39paged_attention_ll4mi_QKV_mfma16_kernelIDF16_DF16_LN4vllm18Fp8KVCacheDataTypeE0EhLi32ELi64ELi256ELb0ELi10EEvPKT_PKT0_S7_ifPKiS9_S9_iPKfiiiPfSC_PS2_PT2_iSB_SB_.num_named_barrier, max(0, .L__assert_fail.num_named_barrier)
	.set _Z39paged_attention_ll4mi_QKV_mfma16_kernelIDF16_DF16_LN4vllm18Fp8KVCacheDataTypeE0EhLi32ELi64ELi256ELb0ELi10EEvPKT_PKT0_S7_ifPKiS9_S9_iPKfiiiPfSC_PS2_PT2_iSB_SB_.private_seg_size, 0+max(.L__assert_fail.private_seg_size)
	.set _Z39paged_attention_ll4mi_QKV_mfma16_kernelIDF16_DF16_LN4vllm18Fp8KVCacheDataTypeE0EhLi32ELi64ELi256ELb0ELi10EEvPKT_PKT0_S7_ifPKiS9_S9_iPKfiiiPfSC_PS2_PT2_iSB_SB_.uses_vcc, or(1, .L__assert_fail.uses_vcc)
	.set _Z39paged_attention_ll4mi_QKV_mfma16_kernelIDF16_DF16_LN4vllm18Fp8KVCacheDataTypeE0EhLi32ELi64ELi256ELb0ELi10EEvPKT_PKT0_S7_ifPKiS9_S9_iPKfiiiPfSC_PS2_PT2_iSB_SB_.uses_flat_scratch, or(0, .L__assert_fail.uses_flat_scratch)
	.set _Z39paged_attention_ll4mi_QKV_mfma16_kernelIDF16_DF16_LN4vllm18Fp8KVCacheDataTypeE0EhLi32ELi64ELi256ELb0ELi10EEvPKT_PKT0_S7_ifPKiS9_S9_iPKfiiiPfSC_PS2_PT2_iSB_SB_.has_dyn_sized_stack, or(0, .L__assert_fail.has_dyn_sized_stack)
	.set _Z39paged_attention_ll4mi_QKV_mfma16_kernelIDF16_DF16_LN4vllm18Fp8KVCacheDataTypeE0EhLi32ELi64ELi256ELb0ELi10EEvPKT_PKT0_S7_ifPKiS9_S9_iPKfiiiPfSC_PS2_PT2_iSB_SB_.has_recursion, or(0, .L__assert_fail.has_recursion)
	.set _Z39paged_attention_ll4mi_QKV_mfma16_kernelIDF16_DF16_LN4vllm18Fp8KVCacheDataTypeE0EhLi32ELi64ELi256ELb0ELi10EEvPKT_PKT0_S7_ifPKiS9_S9_iPKfiiiPfSC_PS2_PT2_iSB_SB_.has_indirect_call, or(0, .L__assert_fail.has_indirect_call)
	.section	.AMDGPU.csdata,"",@progbits
; Kernel info:
; codeLenInByte = 68
; TotalNumSgprs: 36
; NumVgprs: 51
; ScratchSize: 64
; MemoryBound: 0
; FloatMode: 240
; IeeeMode: 1
; LDSByteSize: 0 bytes/workgroup (compile time only)
; SGPRBlocks: 0
; VGPRBlocks: 3
; NumSGPRsForWavesPerEU: 36
; NumVGPRsForWavesPerEU: 51
; NamedBarCnt: 0
; Occupancy: 16
; WaveLimiterHint : 1
; COMPUTE_PGM_RSRC2:SCRATCH_EN: 1
; COMPUTE_PGM_RSRC2:USER_SGPR: 2
; COMPUTE_PGM_RSRC2:TRAP_HANDLER: 0
; COMPUTE_PGM_RSRC2:TGID_X_EN: 1
; COMPUTE_PGM_RSRC2:TGID_Y_EN: 0
; COMPUTE_PGM_RSRC2:TGID_Z_EN: 0
; COMPUTE_PGM_RSRC2:TIDIG_COMP_CNT: 0
	.section	.text._Z39paged_attention_ll4mi_QKV_mfma16_kernelIDF16_DF16_LN4vllm18Fp8KVCacheDataTypeE0EhLi32ELi64ELi256ELb0ELi11EEvPKT_PKT0_S7_ifPKiS9_S9_iPKfiiiPfSC_PS2_PT2_iSB_SB_,"axG",@progbits,_Z39paged_attention_ll4mi_QKV_mfma16_kernelIDF16_DF16_LN4vllm18Fp8KVCacheDataTypeE0EhLi32ELi64ELi256ELb0ELi11EEvPKT_PKT0_S7_ifPKiS9_S9_iPKfiiiPfSC_PS2_PT2_iSB_SB_,comdat
	.protected	_Z39paged_attention_ll4mi_QKV_mfma16_kernelIDF16_DF16_LN4vllm18Fp8KVCacheDataTypeE0EhLi32ELi64ELi256ELb0ELi11EEvPKT_PKT0_S7_ifPKiS9_S9_iPKfiiiPfSC_PS2_PT2_iSB_SB_ ; -- Begin function _Z39paged_attention_ll4mi_QKV_mfma16_kernelIDF16_DF16_LN4vllm18Fp8KVCacheDataTypeE0EhLi32ELi64ELi256ELb0ELi11EEvPKT_PKT0_S7_ifPKiS9_S9_iPKfiiiPfSC_PS2_PT2_iSB_SB_
	.globl	_Z39paged_attention_ll4mi_QKV_mfma16_kernelIDF16_DF16_LN4vllm18Fp8KVCacheDataTypeE0EhLi32ELi64ELi256ELb0ELi11EEvPKT_PKT0_S7_ifPKiS9_S9_iPKfiiiPfSC_PS2_PT2_iSB_SB_
	.p2align	8
	.type	_Z39paged_attention_ll4mi_QKV_mfma16_kernelIDF16_DF16_LN4vllm18Fp8KVCacheDataTypeE0EhLi32ELi64ELi256ELb0ELi11EEvPKT_PKT0_S7_ifPKiS9_S9_iPKfiiiPfSC_PS2_PT2_iSB_SB_,@function
_Z39paged_attention_ll4mi_QKV_mfma16_kernelIDF16_DF16_LN4vllm18Fp8KVCacheDataTypeE0EhLi32ELi64ELi256ELb0ELi11EEvPKT_PKT0_S7_ifPKiS9_S9_iPKfiiiPfSC_PS2_PT2_iSB_SB_: ; @_Z39paged_attention_ll4mi_QKV_mfma16_kernelIDF16_DF16_LN4vllm18Fp8KVCacheDataTypeE0EhLi32ELi64ELi256ELb0ELi11EEvPKT_PKT0_S7_ifPKiS9_S9_iPKfiiiPfSC_PS2_PT2_iSB_SB_
; %bb.0:
	s_get_pc_i64 s[2:3]
	s_add_nc_u64 s[2:3], s[2:3], __PRETTY_FUNCTION__._Z39paged_attention_ll4mi_QKV_mfma16_kernelIDF16_DF16_LN4vllm18Fp8KVCacheDataTypeE0EhLi32ELi64ELi256ELb0ELi11EEvPKT_PKT0_S7_ifPKiS9_S9_iPKfiiiPfSC_PS2_PT2_iSB_SB_@rel64+4
	s_delay_alu instid0(SALU_CYCLE_1)
	v_dual_mov_b32 v0, 0xbb3 :: v_dual_mov_b32 v1, s2
	v_mov_b32_e32 v2, s3
	s_add_nc_u64 s[8:9], s[0:1], 0x90
	s_get_pc_i64 s[0:1]
	s_add_nc_u64 s[0:1], s[0:1], __assert_fail@rel64+4
	s_mov_b32 s32, 0
	s_swap_pc_i64 s[30:31], s[0:1]
	.section	.rodata,"a",@progbits
	.p2align	6, 0x0
	.amdhsa_kernel _Z39paged_attention_ll4mi_QKV_mfma16_kernelIDF16_DF16_LN4vllm18Fp8KVCacheDataTypeE0EhLi32ELi64ELi256ELb0ELi11EEvPKT_PKT0_S7_ifPKiS9_S9_iPKfiiiPfSC_PS2_PT2_iSB_SB_
		.amdhsa_group_segment_fixed_size 0
		.amdhsa_private_segment_fixed_size 64
		.amdhsa_kernarg_size 400
		.amdhsa_user_sgpr_count 2
		.amdhsa_user_sgpr_dispatch_ptr 0
		.amdhsa_user_sgpr_queue_ptr 0
		.amdhsa_user_sgpr_kernarg_segment_ptr 1
		.amdhsa_user_sgpr_dispatch_id 0
		.amdhsa_user_sgpr_kernarg_preload_length 0
		.amdhsa_user_sgpr_kernarg_preload_offset 0
		.amdhsa_user_sgpr_private_segment_size 0
		.amdhsa_wavefront_size32 1
		.amdhsa_uses_dynamic_stack 0
		.amdhsa_enable_private_segment 1
		.amdhsa_system_sgpr_workgroup_id_x 1
		.amdhsa_system_sgpr_workgroup_id_y 0
		.amdhsa_system_sgpr_workgroup_id_z 0
		.amdhsa_system_sgpr_workgroup_info 0
		.amdhsa_system_vgpr_workitem_id 0
		.amdhsa_next_free_vgpr 51
		.amdhsa_next_free_sgpr 34
		.amdhsa_named_barrier_count 0
		.amdhsa_reserve_vcc 1
		.amdhsa_float_round_mode_32 0
		.amdhsa_float_round_mode_16_64 0
		.amdhsa_float_denorm_mode_32 3
		.amdhsa_float_denorm_mode_16_64 3
		.amdhsa_fp16_overflow 0
		.amdhsa_memory_ordered 1
		.amdhsa_forward_progress 1
		.amdhsa_inst_pref_size 1
		.amdhsa_round_robin_scheduling 0
		.amdhsa_exception_fp_ieee_invalid_op 0
		.amdhsa_exception_fp_denorm_src 0
		.amdhsa_exception_fp_ieee_div_zero 0
		.amdhsa_exception_fp_ieee_overflow 0
		.amdhsa_exception_fp_ieee_underflow 0
		.amdhsa_exception_fp_ieee_inexact 0
		.amdhsa_exception_int_div_zero 0
	.end_amdhsa_kernel
	.section	.text._Z39paged_attention_ll4mi_QKV_mfma16_kernelIDF16_DF16_LN4vllm18Fp8KVCacheDataTypeE0EhLi32ELi64ELi256ELb0ELi11EEvPKT_PKT0_S7_ifPKiS9_S9_iPKfiiiPfSC_PS2_PT2_iSB_SB_,"axG",@progbits,_Z39paged_attention_ll4mi_QKV_mfma16_kernelIDF16_DF16_LN4vllm18Fp8KVCacheDataTypeE0EhLi32ELi64ELi256ELb0ELi11EEvPKT_PKT0_S7_ifPKiS9_S9_iPKfiiiPfSC_PS2_PT2_iSB_SB_,comdat
.Lfunc_end144:
	.size	_Z39paged_attention_ll4mi_QKV_mfma16_kernelIDF16_DF16_LN4vllm18Fp8KVCacheDataTypeE0EhLi32ELi64ELi256ELb0ELi11EEvPKT_PKT0_S7_ifPKiS9_S9_iPKfiiiPfSC_PS2_PT2_iSB_SB_, .Lfunc_end144-_Z39paged_attention_ll4mi_QKV_mfma16_kernelIDF16_DF16_LN4vllm18Fp8KVCacheDataTypeE0EhLi32ELi64ELi256ELb0ELi11EEvPKT_PKT0_S7_ifPKiS9_S9_iPKfiiiPfSC_PS2_PT2_iSB_SB_
                                        ; -- End function
	.set _Z39paged_attention_ll4mi_QKV_mfma16_kernelIDF16_DF16_LN4vllm18Fp8KVCacheDataTypeE0EhLi32ELi64ELi256ELb0ELi11EEvPKT_PKT0_S7_ifPKiS9_S9_iPKfiiiPfSC_PS2_PT2_iSB_SB_.num_vgpr, max(3, .L__assert_fail.num_vgpr)
	.set _Z39paged_attention_ll4mi_QKV_mfma16_kernelIDF16_DF16_LN4vllm18Fp8KVCacheDataTypeE0EhLi32ELi64ELi256ELb0ELi11EEvPKT_PKT0_S7_ifPKiS9_S9_iPKfiiiPfSC_PS2_PT2_iSB_SB_.num_agpr, max(0, .L__assert_fail.num_agpr)
	.set _Z39paged_attention_ll4mi_QKV_mfma16_kernelIDF16_DF16_LN4vllm18Fp8KVCacheDataTypeE0EhLi32ELi64ELi256ELb0ELi11EEvPKT_PKT0_S7_ifPKiS9_S9_iPKfiiiPfSC_PS2_PT2_iSB_SB_.numbered_sgpr, max(33, .L__assert_fail.numbered_sgpr)
	.set _Z39paged_attention_ll4mi_QKV_mfma16_kernelIDF16_DF16_LN4vllm18Fp8KVCacheDataTypeE0EhLi32ELi64ELi256ELb0ELi11EEvPKT_PKT0_S7_ifPKiS9_S9_iPKfiiiPfSC_PS2_PT2_iSB_SB_.num_named_barrier, max(0, .L__assert_fail.num_named_barrier)
	.set _Z39paged_attention_ll4mi_QKV_mfma16_kernelIDF16_DF16_LN4vllm18Fp8KVCacheDataTypeE0EhLi32ELi64ELi256ELb0ELi11EEvPKT_PKT0_S7_ifPKiS9_S9_iPKfiiiPfSC_PS2_PT2_iSB_SB_.private_seg_size, 0+max(.L__assert_fail.private_seg_size)
	.set _Z39paged_attention_ll4mi_QKV_mfma16_kernelIDF16_DF16_LN4vllm18Fp8KVCacheDataTypeE0EhLi32ELi64ELi256ELb0ELi11EEvPKT_PKT0_S7_ifPKiS9_S9_iPKfiiiPfSC_PS2_PT2_iSB_SB_.uses_vcc, or(1, .L__assert_fail.uses_vcc)
	.set _Z39paged_attention_ll4mi_QKV_mfma16_kernelIDF16_DF16_LN4vllm18Fp8KVCacheDataTypeE0EhLi32ELi64ELi256ELb0ELi11EEvPKT_PKT0_S7_ifPKiS9_S9_iPKfiiiPfSC_PS2_PT2_iSB_SB_.uses_flat_scratch, or(0, .L__assert_fail.uses_flat_scratch)
	.set _Z39paged_attention_ll4mi_QKV_mfma16_kernelIDF16_DF16_LN4vllm18Fp8KVCacheDataTypeE0EhLi32ELi64ELi256ELb0ELi11EEvPKT_PKT0_S7_ifPKiS9_S9_iPKfiiiPfSC_PS2_PT2_iSB_SB_.has_dyn_sized_stack, or(0, .L__assert_fail.has_dyn_sized_stack)
	.set _Z39paged_attention_ll4mi_QKV_mfma16_kernelIDF16_DF16_LN4vllm18Fp8KVCacheDataTypeE0EhLi32ELi64ELi256ELb0ELi11EEvPKT_PKT0_S7_ifPKiS9_S9_iPKfiiiPfSC_PS2_PT2_iSB_SB_.has_recursion, or(0, .L__assert_fail.has_recursion)
	.set _Z39paged_attention_ll4mi_QKV_mfma16_kernelIDF16_DF16_LN4vllm18Fp8KVCacheDataTypeE0EhLi32ELi64ELi256ELb0ELi11EEvPKT_PKT0_S7_ifPKiS9_S9_iPKfiiiPfSC_PS2_PT2_iSB_SB_.has_indirect_call, or(0, .L__assert_fail.has_indirect_call)
	.section	.AMDGPU.csdata,"",@progbits
; Kernel info:
; codeLenInByte = 68
; TotalNumSgprs: 36
; NumVgprs: 51
; ScratchSize: 64
; MemoryBound: 0
; FloatMode: 240
; IeeeMode: 1
; LDSByteSize: 0 bytes/workgroup (compile time only)
; SGPRBlocks: 0
; VGPRBlocks: 3
; NumSGPRsForWavesPerEU: 36
; NumVGPRsForWavesPerEU: 51
; NamedBarCnt: 0
; Occupancy: 16
; WaveLimiterHint : 1
; COMPUTE_PGM_RSRC2:SCRATCH_EN: 1
; COMPUTE_PGM_RSRC2:USER_SGPR: 2
; COMPUTE_PGM_RSRC2:TRAP_HANDLER: 0
; COMPUTE_PGM_RSRC2:TGID_X_EN: 1
; COMPUTE_PGM_RSRC2:TGID_Y_EN: 0
; COMPUTE_PGM_RSRC2:TGID_Z_EN: 0
; COMPUTE_PGM_RSRC2:TIDIG_COMP_CNT: 0
	.section	.text._Z39paged_attention_ll4mi_QKV_mfma16_kernelIDF16_DF16_LN4vllm18Fp8KVCacheDataTypeE0EhLi32ELi64ELi256ELb0ELi12EEvPKT_PKT0_S7_ifPKiS9_S9_iPKfiiiPfSC_PS2_PT2_iSB_SB_,"axG",@progbits,_Z39paged_attention_ll4mi_QKV_mfma16_kernelIDF16_DF16_LN4vllm18Fp8KVCacheDataTypeE0EhLi32ELi64ELi256ELb0ELi12EEvPKT_PKT0_S7_ifPKiS9_S9_iPKfiiiPfSC_PS2_PT2_iSB_SB_,comdat
	.protected	_Z39paged_attention_ll4mi_QKV_mfma16_kernelIDF16_DF16_LN4vllm18Fp8KVCacheDataTypeE0EhLi32ELi64ELi256ELb0ELi12EEvPKT_PKT0_S7_ifPKiS9_S9_iPKfiiiPfSC_PS2_PT2_iSB_SB_ ; -- Begin function _Z39paged_attention_ll4mi_QKV_mfma16_kernelIDF16_DF16_LN4vllm18Fp8KVCacheDataTypeE0EhLi32ELi64ELi256ELb0ELi12EEvPKT_PKT0_S7_ifPKiS9_S9_iPKfiiiPfSC_PS2_PT2_iSB_SB_
	.globl	_Z39paged_attention_ll4mi_QKV_mfma16_kernelIDF16_DF16_LN4vllm18Fp8KVCacheDataTypeE0EhLi32ELi64ELi256ELb0ELi12EEvPKT_PKT0_S7_ifPKiS9_S9_iPKfiiiPfSC_PS2_PT2_iSB_SB_
	.p2align	8
	.type	_Z39paged_attention_ll4mi_QKV_mfma16_kernelIDF16_DF16_LN4vllm18Fp8KVCacheDataTypeE0EhLi32ELi64ELi256ELb0ELi12EEvPKT_PKT0_S7_ifPKiS9_S9_iPKfiiiPfSC_PS2_PT2_iSB_SB_,@function
_Z39paged_attention_ll4mi_QKV_mfma16_kernelIDF16_DF16_LN4vllm18Fp8KVCacheDataTypeE0EhLi32ELi64ELi256ELb0ELi12EEvPKT_PKT0_S7_ifPKiS9_S9_iPKfiiiPfSC_PS2_PT2_iSB_SB_: ; @_Z39paged_attention_ll4mi_QKV_mfma16_kernelIDF16_DF16_LN4vllm18Fp8KVCacheDataTypeE0EhLi32ELi64ELi256ELb0ELi12EEvPKT_PKT0_S7_ifPKiS9_S9_iPKfiiiPfSC_PS2_PT2_iSB_SB_
; %bb.0:
	s_get_pc_i64 s[2:3]
	s_add_nc_u64 s[2:3], s[2:3], __PRETTY_FUNCTION__._Z39paged_attention_ll4mi_QKV_mfma16_kernelIDF16_DF16_LN4vllm18Fp8KVCacheDataTypeE0EhLi32ELi64ELi256ELb0ELi12EEvPKT_PKT0_S7_ifPKiS9_S9_iPKfiiiPfSC_PS2_PT2_iSB_SB_@rel64+4
	s_delay_alu instid0(SALU_CYCLE_1)
	v_dual_mov_b32 v0, 0xbb3 :: v_dual_mov_b32 v1, s2
	v_mov_b32_e32 v2, s3
	s_add_nc_u64 s[8:9], s[0:1], 0x90
	s_get_pc_i64 s[0:1]
	s_add_nc_u64 s[0:1], s[0:1], __assert_fail@rel64+4
	s_mov_b32 s32, 0
	s_swap_pc_i64 s[30:31], s[0:1]
	.section	.rodata,"a",@progbits
	.p2align	6, 0x0
	.amdhsa_kernel _Z39paged_attention_ll4mi_QKV_mfma16_kernelIDF16_DF16_LN4vllm18Fp8KVCacheDataTypeE0EhLi32ELi64ELi256ELb0ELi12EEvPKT_PKT0_S7_ifPKiS9_S9_iPKfiiiPfSC_PS2_PT2_iSB_SB_
		.amdhsa_group_segment_fixed_size 0
		.amdhsa_private_segment_fixed_size 64
		.amdhsa_kernarg_size 400
		.amdhsa_user_sgpr_count 2
		.amdhsa_user_sgpr_dispatch_ptr 0
		.amdhsa_user_sgpr_queue_ptr 0
		.amdhsa_user_sgpr_kernarg_segment_ptr 1
		.amdhsa_user_sgpr_dispatch_id 0
		.amdhsa_user_sgpr_kernarg_preload_length 0
		.amdhsa_user_sgpr_kernarg_preload_offset 0
		.amdhsa_user_sgpr_private_segment_size 0
		.amdhsa_wavefront_size32 1
		.amdhsa_uses_dynamic_stack 0
		.amdhsa_enable_private_segment 1
		.amdhsa_system_sgpr_workgroup_id_x 1
		.amdhsa_system_sgpr_workgroup_id_y 0
		.amdhsa_system_sgpr_workgroup_id_z 0
		.amdhsa_system_sgpr_workgroup_info 0
		.amdhsa_system_vgpr_workitem_id 0
		.amdhsa_next_free_vgpr 51
		.amdhsa_next_free_sgpr 34
		.amdhsa_named_barrier_count 0
		.amdhsa_reserve_vcc 1
		.amdhsa_float_round_mode_32 0
		.amdhsa_float_round_mode_16_64 0
		.amdhsa_float_denorm_mode_32 3
		.amdhsa_float_denorm_mode_16_64 3
		.amdhsa_fp16_overflow 0
		.amdhsa_memory_ordered 1
		.amdhsa_forward_progress 1
		.amdhsa_inst_pref_size 1
		.amdhsa_round_robin_scheduling 0
		.amdhsa_exception_fp_ieee_invalid_op 0
		.amdhsa_exception_fp_denorm_src 0
		.amdhsa_exception_fp_ieee_div_zero 0
		.amdhsa_exception_fp_ieee_overflow 0
		.amdhsa_exception_fp_ieee_underflow 0
		.amdhsa_exception_fp_ieee_inexact 0
		.amdhsa_exception_int_div_zero 0
	.end_amdhsa_kernel
	.section	.text._Z39paged_attention_ll4mi_QKV_mfma16_kernelIDF16_DF16_LN4vllm18Fp8KVCacheDataTypeE0EhLi32ELi64ELi256ELb0ELi12EEvPKT_PKT0_S7_ifPKiS9_S9_iPKfiiiPfSC_PS2_PT2_iSB_SB_,"axG",@progbits,_Z39paged_attention_ll4mi_QKV_mfma16_kernelIDF16_DF16_LN4vllm18Fp8KVCacheDataTypeE0EhLi32ELi64ELi256ELb0ELi12EEvPKT_PKT0_S7_ifPKiS9_S9_iPKfiiiPfSC_PS2_PT2_iSB_SB_,comdat
.Lfunc_end145:
	.size	_Z39paged_attention_ll4mi_QKV_mfma16_kernelIDF16_DF16_LN4vllm18Fp8KVCacheDataTypeE0EhLi32ELi64ELi256ELb0ELi12EEvPKT_PKT0_S7_ifPKiS9_S9_iPKfiiiPfSC_PS2_PT2_iSB_SB_, .Lfunc_end145-_Z39paged_attention_ll4mi_QKV_mfma16_kernelIDF16_DF16_LN4vllm18Fp8KVCacheDataTypeE0EhLi32ELi64ELi256ELb0ELi12EEvPKT_PKT0_S7_ifPKiS9_S9_iPKfiiiPfSC_PS2_PT2_iSB_SB_
                                        ; -- End function
	.set _Z39paged_attention_ll4mi_QKV_mfma16_kernelIDF16_DF16_LN4vllm18Fp8KVCacheDataTypeE0EhLi32ELi64ELi256ELb0ELi12EEvPKT_PKT0_S7_ifPKiS9_S9_iPKfiiiPfSC_PS2_PT2_iSB_SB_.num_vgpr, max(3, .L__assert_fail.num_vgpr)
	.set _Z39paged_attention_ll4mi_QKV_mfma16_kernelIDF16_DF16_LN4vllm18Fp8KVCacheDataTypeE0EhLi32ELi64ELi256ELb0ELi12EEvPKT_PKT0_S7_ifPKiS9_S9_iPKfiiiPfSC_PS2_PT2_iSB_SB_.num_agpr, max(0, .L__assert_fail.num_agpr)
	.set _Z39paged_attention_ll4mi_QKV_mfma16_kernelIDF16_DF16_LN4vllm18Fp8KVCacheDataTypeE0EhLi32ELi64ELi256ELb0ELi12EEvPKT_PKT0_S7_ifPKiS9_S9_iPKfiiiPfSC_PS2_PT2_iSB_SB_.numbered_sgpr, max(33, .L__assert_fail.numbered_sgpr)
	.set _Z39paged_attention_ll4mi_QKV_mfma16_kernelIDF16_DF16_LN4vllm18Fp8KVCacheDataTypeE0EhLi32ELi64ELi256ELb0ELi12EEvPKT_PKT0_S7_ifPKiS9_S9_iPKfiiiPfSC_PS2_PT2_iSB_SB_.num_named_barrier, max(0, .L__assert_fail.num_named_barrier)
	.set _Z39paged_attention_ll4mi_QKV_mfma16_kernelIDF16_DF16_LN4vllm18Fp8KVCacheDataTypeE0EhLi32ELi64ELi256ELb0ELi12EEvPKT_PKT0_S7_ifPKiS9_S9_iPKfiiiPfSC_PS2_PT2_iSB_SB_.private_seg_size, 0+max(.L__assert_fail.private_seg_size)
	.set _Z39paged_attention_ll4mi_QKV_mfma16_kernelIDF16_DF16_LN4vllm18Fp8KVCacheDataTypeE0EhLi32ELi64ELi256ELb0ELi12EEvPKT_PKT0_S7_ifPKiS9_S9_iPKfiiiPfSC_PS2_PT2_iSB_SB_.uses_vcc, or(1, .L__assert_fail.uses_vcc)
	.set _Z39paged_attention_ll4mi_QKV_mfma16_kernelIDF16_DF16_LN4vllm18Fp8KVCacheDataTypeE0EhLi32ELi64ELi256ELb0ELi12EEvPKT_PKT0_S7_ifPKiS9_S9_iPKfiiiPfSC_PS2_PT2_iSB_SB_.uses_flat_scratch, or(0, .L__assert_fail.uses_flat_scratch)
	.set _Z39paged_attention_ll4mi_QKV_mfma16_kernelIDF16_DF16_LN4vllm18Fp8KVCacheDataTypeE0EhLi32ELi64ELi256ELb0ELi12EEvPKT_PKT0_S7_ifPKiS9_S9_iPKfiiiPfSC_PS2_PT2_iSB_SB_.has_dyn_sized_stack, or(0, .L__assert_fail.has_dyn_sized_stack)
	.set _Z39paged_attention_ll4mi_QKV_mfma16_kernelIDF16_DF16_LN4vllm18Fp8KVCacheDataTypeE0EhLi32ELi64ELi256ELb0ELi12EEvPKT_PKT0_S7_ifPKiS9_S9_iPKfiiiPfSC_PS2_PT2_iSB_SB_.has_recursion, or(0, .L__assert_fail.has_recursion)
	.set _Z39paged_attention_ll4mi_QKV_mfma16_kernelIDF16_DF16_LN4vllm18Fp8KVCacheDataTypeE0EhLi32ELi64ELi256ELb0ELi12EEvPKT_PKT0_S7_ifPKiS9_S9_iPKfiiiPfSC_PS2_PT2_iSB_SB_.has_indirect_call, or(0, .L__assert_fail.has_indirect_call)
	.section	.AMDGPU.csdata,"",@progbits
; Kernel info:
; codeLenInByte = 68
; TotalNumSgprs: 36
; NumVgprs: 51
; ScratchSize: 64
; MemoryBound: 0
; FloatMode: 240
; IeeeMode: 1
; LDSByteSize: 0 bytes/workgroup (compile time only)
; SGPRBlocks: 0
; VGPRBlocks: 3
; NumSGPRsForWavesPerEU: 36
; NumVGPRsForWavesPerEU: 51
; NamedBarCnt: 0
; Occupancy: 16
; WaveLimiterHint : 1
; COMPUTE_PGM_RSRC2:SCRATCH_EN: 1
; COMPUTE_PGM_RSRC2:USER_SGPR: 2
; COMPUTE_PGM_RSRC2:TRAP_HANDLER: 0
; COMPUTE_PGM_RSRC2:TGID_X_EN: 1
; COMPUTE_PGM_RSRC2:TGID_Y_EN: 0
; COMPUTE_PGM_RSRC2:TGID_Z_EN: 0
; COMPUTE_PGM_RSRC2:TIDIG_COMP_CNT: 0
	.section	.text._Z39paged_attention_ll4mi_QKV_mfma16_kernelIDF16_DF16_LN4vllm18Fp8KVCacheDataTypeE0EhLi32ELi64ELi256ELb0ELi13EEvPKT_PKT0_S7_ifPKiS9_S9_iPKfiiiPfSC_PS2_PT2_iSB_SB_,"axG",@progbits,_Z39paged_attention_ll4mi_QKV_mfma16_kernelIDF16_DF16_LN4vllm18Fp8KVCacheDataTypeE0EhLi32ELi64ELi256ELb0ELi13EEvPKT_PKT0_S7_ifPKiS9_S9_iPKfiiiPfSC_PS2_PT2_iSB_SB_,comdat
	.protected	_Z39paged_attention_ll4mi_QKV_mfma16_kernelIDF16_DF16_LN4vllm18Fp8KVCacheDataTypeE0EhLi32ELi64ELi256ELb0ELi13EEvPKT_PKT0_S7_ifPKiS9_S9_iPKfiiiPfSC_PS2_PT2_iSB_SB_ ; -- Begin function _Z39paged_attention_ll4mi_QKV_mfma16_kernelIDF16_DF16_LN4vllm18Fp8KVCacheDataTypeE0EhLi32ELi64ELi256ELb0ELi13EEvPKT_PKT0_S7_ifPKiS9_S9_iPKfiiiPfSC_PS2_PT2_iSB_SB_
	.globl	_Z39paged_attention_ll4mi_QKV_mfma16_kernelIDF16_DF16_LN4vllm18Fp8KVCacheDataTypeE0EhLi32ELi64ELi256ELb0ELi13EEvPKT_PKT0_S7_ifPKiS9_S9_iPKfiiiPfSC_PS2_PT2_iSB_SB_
	.p2align	8
	.type	_Z39paged_attention_ll4mi_QKV_mfma16_kernelIDF16_DF16_LN4vllm18Fp8KVCacheDataTypeE0EhLi32ELi64ELi256ELb0ELi13EEvPKT_PKT0_S7_ifPKiS9_S9_iPKfiiiPfSC_PS2_PT2_iSB_SB_,@function
_Z39paged_attention_ll4mi_QKV_mfma16_kernelIDF16_DF16_LN4vllm18Fp8KVCacheDataTypeE0EhLi32ELi64ELi256ELb0ELi13EEvPKT_PKT0_S7_ifPKiS9_S9_iPKfiiiPfSC_PS2_PT2_iSB_SB_: ; @_Z39paged_attention_ll4mi_QKV_mfma16_kernelIDF16_DF16_LN4vllm18Fp8KVCacheDataTypeE0EhLi32ELi64ELi256ELb0ELi13EEvPKT_PKT0_S7_ifPKiS9_S9_iPKfiiiPfSC_PS2_PT2_iSB_SB_
; %bb.0:
	s_get_pc_i64 s[2:3]
	s_add_nc_u64 s[2:3], s[2:3], __PRETTY_FUNCTION__._Z39paged_attention_ll4mi_QKV_mfma16_kernelIDF16_DF16_LN4vllm18Fp8KVCacheDataTypeE0EhLi32ELi64ELi256ELb0ELi13EEvPKT_PKT0_S7_ifPKiS9_S9_iPKfiiiPfSC_PS2_PT2_iSB_SB_@rel64+4
	s_delay_alu instid0(SALU_CYCLE_1)
	v_dual_mov_b32 v0, 0xbb3 :: v_dual_mov_b32 v1, s2
	v_mov_b32_e32 v2, s3
	s_add_nc_u64 s[8:9], s[0:1], 0x90
	s_get_pc_i64 s[0:1]
	s_add_nc_u64 s[0:1], s[0:1], __assert_fail@rel64+4
	s_mov_b32 s32, 0
	s_swap_pc_i64 s[30:31], s[0:1]
	.section	.rodata,"a",@progbits
	.p2align	6, 0x0
	.amdhsa_kernel _Z39paged_attention_ll4mi_QKV_mfma16_kernelIDF16_DF16_LN4vllm18Fp8KVCacheDataTypeE0EhLi32ELi64ELi256ELb0ELi13EEvPKT_PKT0_S7_ifPKiS9_S9_iPKfiiiPfSC_PS2_PT2_iSB_SB_
		.amdhsa_group_segment_fixed_size 0
		.amdhsa_private_segment_fixed_size 64
		.amdhsa_kernarg_size 400
		.amdhsa_user_sgpr_count 2
		.amdhsa_user_sgpr_dispatch_ptr 0
		.amdhsa_user_sgpr_queue_ptr 0
		.amdhsa_user_sgpr_kernarg_segment_ptr 1
		.amdhsa_user_sgpr_dispatch_id 0
		.amdhsa_user_sgpr_kernarg_preload_length 0
		.amdhsa_user_sgpr_kernarg_preload_offset 0
		.amdhsa_user_sgpr_private_segment_size 0
		.amdhsa_wavefront_size32 1
		.amdhsa_uses_dynamic_stack 0
		.amdhsa_enable_private_segment 1
		.amdhsa_system_sgpr_workgroup_id_x 1
		.amdhsa_system_sgpr_workgroup_id_y 0
		.amdhsa_system_sgpr_workgroup_id_z 0
		.amdhsa_system_sgpr_workgroup_info 0
		.amdhsa_system_vgpr_workitem_id 0
		.amdhsa_next_free_vgpr 51
		.amdhsa_next_free_sgpr 34
		.amdhsa_named_barrier_count 0
		.amdhsa_reserve_vcc 1
		.amdhsa_float_round_mode_32 0
		.amdhsa_float_round_mode_16_64 0
		.amdhsa_float_denorm_mode_32 3
		.amdhsa_float_denorm_mode_16_64 3
		.amdhsa_fp16_overflow 0
		.amdhsa_memory_ordered 1
		.amdhsa_forward_progress 1
		.amdhsa_inst_pref_size 1
		.amdhsa_round_robin_scheduling 0
		.amdhsa_exception_fp_ieee_invalid_op 0
		.amdhsa_exception_fp_denorm_src 0
		.amdhsa_exception_fp_ieee_div_zero 0
		.amdhsa_exception_fp_ieee_overflow 0
		.amdhsa_exception_fp_ieee_underflow 0
		.amdhsa_exception_fp_ieee_inexact 0
		.amdhsa_exception_int_div_zero 0
	.end_amdhsa_kernel
	.section	.text._Z39paged_attention_ll4mi_QKV_mfma16_kernelIDF16_DF16_LN4vllm18Fp8KVCacheDataTypeE0EhLi32ELi64ELi256ELb0ELi13EEvPKT_PKT0_S7_ifPKiS9_S9_iPKfiiiPfSC_PS2_PT2_iSB_SB_,"axG",@progbits,_Z39paged_attention_ll4mi_QKV_mfma16_kernelIDF16_DF16_LN4vllm18Fp8KVCacheDataTypeE0EhLi32ELi64ELi256ELb0ELi13EEvPKT_PKT0_S7_ifPKiS9_S9_iPKfiiiPfSC_PS2_PT2_iSB_SB_,comdat
.Lfunc_end146:
	.size	_Z39paged_attention_ll4mi_QKV_mfma16_kernelIDF16_DF16_LN4vllm18Fp8KVCacheDataTypeE0EhLi32ELi64ELi256ELb0ELi13EEvPKT_PKT0_S7_ifPKiS9_S9_iPKfiiiPfSC_PS2_PT2_iSB_SB_, .Lfunc_end146-_Z39paged_attention_ll4mi_QKV_mfma16_kernelIDF16_DF16_LN4vllm18Fp8KVCacheDataTypeE0EhLi32ELi64ELi256ELb0ELi13EEvPKT_PKT0_S7_ifPKiS9_S9_iPKfiiiPfSC_PS2_PT2_iSB_SB_
                                        ; -- End function
	.set _Z39paged_attention_ll4mi_QKV_mfma16_kernelIDF16_DF16_LN4vllm18Fp8KVCacheDataTypeE0EhLi32ELi64ELi256ELb0ELi13EEvPKT_PKT0_S7_ifPKiS9_S9_iPKfiiiPfSC_PS2_PT2_iSB_SB_.num_vgpr, max(3, .L__assert_fail.num_vgpr)
	.set _Z39paged_attention_ll4mi_QKV_mfma16_kernelIDF16_DF16_LN4vllm18Fp8KVCacheDataTypeE0EhLi32ELi64ELi256ELb0ELi13EEvPKT_PKT0_S7_ifPKiS9_S9_iPKfiiiPfSC_PS2_PT2_iSB_SB_.num_agpr, max(0, .L__assert_fail.num_agpr)
	.set _Z39paged_attention_ll4mi_QKV_mfma16_kernelIDF16_DF16_LN4vllm18Fp8KVCacheDataTypeE0EhLi32ELi64ELi256ELb0ELi13EEvPKT_PKT0_S7_ifPKiS9_S9_iPKfiiiPfSC_PS2_PT2_iSB_SB_.numbered_sgpr, max(33, .L__assert_fail.numbered_sgpr)
	.set _Z39paged_attention_ll4mi_QKV_mfma16_kernelIDF16_DF16_LN4vllm18Fp8KVCacheDataTypeE0EhLi32ELi64ELi256ELb0ELi13EEvPKT_PKT0_S7_ifPKiS9_S9_iPKfiiiPfSC_PS2_PT2_iSB_SB_.num_named_barrier, max(0, .L__assert_fail.num_named_barrier)
	.set _Z39paged_attention_ll4mi_QKV_mfma16_kernelIDF16_DF16_LN4vllm18Fp8KVCacheDataTypeE0EhLi32ELi64ELi256ELb0ELi13EEvPKT_PKT0_S7_ifPKiS9_S9_iPKfiiiPfSC_PS2_PT2_iSB_SB_.private_seg_size, 0+max(.L__assert_fail.private_seg_size)
	.set _Z39paged_attention_ll4mi_QKV_mfma16_kernelIDF16_DF16_LN4vllm18Fp8KVCacheDataTypeE0EhLi32ELi64ELi256ELb0ELi13EEvPKT_PKT0_S7_ifPKiS9_S9_iPKfiiiPfSC_PS2_PT2_iSB_SB_.uses_vcc, or(1, .L__assert_fail.uses_vcc)
	.set _Z39paged_attention_ll4mi_QKV_mfma16_kernelIDF16_DF16_LN4vllm18Fp8KVCacheDataTypeE0EhLi32ELi64ELi256ELb0ELi13EEvPKT_PKT0_S7_ifPKiS9_S9_iPKfiiiPfSC_PS2_PT2_iSB_SB_.uses_flat_scratch, or(0, .L__assert_fail.uses_flat_scratch)
	.set _Z39paged_attention_ll4mi_QKV_mfma16_kernelIDF16_DF16_LN4vllm18Fp8KVCacheDataTypeE0EhLi32ELi64ELi256ELb0ELi13EEvPKT_PKT0_S7_ifPKiS9_S9_iPKfiiiPfSC_PS2_PT2_iSB_SB_.has_dyn_sized_stack, or(0, .L__assert_fail.has_dyn_sized_stack)
	.set _Z39paged_attention_ll4mi_QKV_mfma16_kernelIDF16_DF16_LN4vllm18Fp8KVCacheDataTypeE0EhLi32ELi64ELi256ELb0ELi13EEvPKT_PKT0_S7_ifPKiS9_S9_iPKfiiiPfSC_PS2_PT2_iSB_SB_.has_recursion, or(0, .L__assert_fail.has_recursion)
	.set _Z39paged_attention_ll4mi_QKV_mfma16_kernelIDF16_DF16_LN4vllm18Fp8KVCacheDataTypeE0EhLi32ELi64ELi256ELb0ELi13EEvPKT_PKT0_S7_ifPKiS9_S9_iPKfiiiPfSC_PS2_PT2_iSB_SB_.has_indirect_call, or(0, .L__assert_fail.has_indirect_call)
	.section	.AMDGPU.csdata,"",@progbits
; Kernel info:
; codeLenInByte = 68
; TotalNumSgprs: 36
; NumVgprs: 51
; ScratchSize: 64
; MemoryBound: 0
; FloatMode: 240
; IeeeMode: 1
; LDSByteSize: 0 bytes/workgroup (compile time only)
; SGPRBlocks: 0
; VGPRBlocks: 3
; NumSGPRsForWavesPerEU: 36
; NumVGPRsForWavesPerEU: 51
; NamedBarCnt: 0
; Occupancy: 16
; WaveLimiterHint : 1
; COMPUTE_PGM_RSRC2:SCRATCH_EN: 1
; COMPUTE_PGM_RSRC2:USER_SGPR: 2
; COMPUTE_PGM_RSRC2:TRAP_HANDLER: 0
; COMPUTE_PGM_RSRC2:TGID_X_EN: 1
; COMPUTE_PGM_RSRC2:TGID_Y_EN: 0
; COMPUTE_PGM_RSRC2:TGID_Z_EN: 0
; COMPUTE_PGM_RSRC2:TIDIG_COMP_CNT: 0
	.section	.text._Z39paged_attention_ll4mi_QKV_mfma16_kernelIDF16_DF16_LN4vllm18Fp8KVCacheDataTypeE0EhLi32ELi64ELi256ELb0ELi14EEvPKT_PKT0_S7_ifPKiS9_S9_iPKfiiiPfSC_PS2_PT2_iSB_SB_,"axG",@progbits,_Z39paged_attention_ll4mi_QKV_mfma16_kernelIDF16_DF16_LN4vllm18Fp8KVCacheDataTypeE0EhLi32ELi64ELi256ELb0ELi14EEvPKT_PKT0_S7_ifPKiS9_S9_iPKfiiiPfSC_PS2_PT2_iSB_SB_,comdat
	.protected	_Z39paged_attention_ll4mi_QKV_mfma16_kernelIDF16_DF16_LN4vllm18Fp8KVCacheDataTypeE0EhLi32ELi64ELi256ELb0ELi14EEvPKT_PKT0_S7_ifPKiS9_S9_iPKfiiiPfSC_PS2_PT2_iSB_SB_ ; -- Begin function _Z39paged_attention_ll4mi_QKV_mfma16_kernelIDF16_DF16_LN4vllm18Fp8KVCacheDataTypeE0EhLi32ELi64ELi256ELb0ELi14EEvPKT_PKT0_S7_ifPKiS9_S9_iPKfiiiPfSC_PS2_PT2_iSB_SB_
	.globl	_Z39paged_attention_ll4mi_QKV_mfma16_kernelIDF16_DF16_LN4vllm18Fp8KVCacheDataTypeE0EhLi32ELi64ELi256ELb0ELi14EEvPKT_PKT0_S7_ifPKiS9_S9_iPKfiiiPfSC_PS2_PT2_iSB_SB_
	.p2align	8
	.type	_Z39paged_attention_ll4mi_QKV_mfma16_kernelIDF16_DF16_LN4vllm18Fp8KVCacheDataTypeE0EhLi32ELi64ELi256ELb0ELi14EEvPKT_PKT0_S7_ifPKiS9_S9_iPKfiiiPfSC_PS2_PT2_iSB_SB_,@function
_Z39paged_attention_ll4mi_QKV_mfma16_kernelIDF16_DF16_LN4vllm18Fp8KVCacheDataTypeE0EhLi32ELi64ELi256ELb0ELi14EEvPKT_PKT0_S7_ifPKiS9_S9_iPKfiiiPfSC_PS2_PT2_iSB_SB_: ; @_Z39paged_attention_ll4mi_QKV_mfma16_kernelIDF16_DF16_LN4vllm18Fp8KVCacheDataTypeE0EhLi32ELi64ELi256ELb0ELi14EEvPKT_PKT0_S7_ifPKiS9_S9_iPKfiiiPfSC_PS2_PT2_iSB_SB_
; %bb.0:
	s_get_pc_i64 s[2:3]
	s_add_nc_u64 s[2:3], s[2:3], __PRETTY_FUNCTION__._Z39paged_attention_ll4mi_QKV_mfma16_kernelIDF16_DF16_LN4vllm18Fp8KVCacheDataTypeE0EhLi32ELi64ELi256ELb0ELi14EEvPKT_PKT0_S7_ifPKiS9_S9_iPKfiiiPfSC_PS2_PT2_iSB_SB_@rel64+4
	s_delay_alu instid0(SALU_CYCLE_1)
	v_dual_mov_b32 v0, 0xbb3 :: v_dual_mov_b32 v1, s2
	v_mov_b32_e32 v2, s3
	s_add_nc_u64 s[8:9], s[0:1], 0x90
	s_get_pc_i64 s[0:1]
	s_add_nc_u64 s[0:1], s[0:1], __assert_fail@rel64+4
	s_mov_b32 s32, 0
	s_swap_pc_i64 s[30:31], s[0:1]
	.section	.rodata,"a",@progbits
	.p2align	6, 0x0
	.amdhsa_kernel _Z39paged_attention_ll4mi_QKV_mfma16_kernelIDF16_DF16_LN4vllm18Fp8KVCacheDataTypeE0EhLi32ELi64ELi256ELb0ELi14EEvPKT_PKT0_S7_ifPKiS9_S9_iPKfiiiPfSC_PS2_PT2_iSB_SB_
		.amdhsa_group_segment_fixed_size 0
		.amdhsa_private_segment_fixed_size 64
		.amdhsa_kernarg_size 400
		.amdhsa_user_sgpr_count 2
		.amdhsa_user_sgpr_dispatch_ptr 0
		.amdhsa_user_sgpr_queue_ptr 0
		.amdhsa_user_sgpr_kernarg_segment_ptr 1
		.amdhsa_user_sgpr_dispatch_id 0
		.amdhsa_user_sgpr_kernarg_preload_length 0
		.amdhsa_user_sgpr_kernarg_preload_offset 0
		.amdhsa_user_sgpr_private_segment_size 0
		.amdhsa_wavefront_size32 1
		.amdhsa_uses_dynamic_stack 0
		.amdhsa_enable_private_segment 1
		.amdhsa_system_sgpr_workgroup_id_x 1
		.amdhsa_system_sgpr_workgroup_id_y 0
		.amdhsa_system_sgpr_workgroup_id_z 0
		.amdhsa_system_sgpr_workgroup_info 0
		.amdhsa_system_vgpr_workitem_id 0
		.amdhsa_next_free_vgpr 51
		.amdhsa_next_free_sgpr 34
		.amdhsa_named_barrier_count 0
		.amdhsa_reserve_vcc 1
		.amdhsa_float_round_mode_32 0
		.amdhsa_float_round_mode_16_64 0
		.amdhsa_float_denorm_mode_32 3
		.amdhsa_float_denorm_mode_16_64 3
		.amdhsa_fp16_overflow 0
		.amdhsa_memory_ordered 1
		.amdhsa_forward_progress 1
		.amdhsa_inst_pref_size 1
		.amdhsa_round_robin_scheduling 0
		.amdhsa_exception_fp_ieee_invalid_op 0
		.amdhsa_exception_fp_denorm_src 0
		.amdhsa_exception_fp_ieee_div_zero 0
		.amdhsa_exception_fp_ieee_overflow 0
		.amdhsa_exception_fp_ieee_underflow 0
		.amdhsa_exception_fp_ieee_inexact 0
		.amdhsa_exception_int_div_zero 0
	.end_amdhsa_kernel
	.section	.text._Z39paged_attention_ll4mi_QKV_mfma16_kernelIDF16_DF16_LN4vllm18Fp8KVCacheDataTypeE0EhLi32ELi64ELi256ELb0ELi14EEvPKT_PKT0_S7_ifPKiS9_S9_iPKfiiiPfSC_PS2_PT2_iSB_SB_,"axG",@progbits,_Z39paged_attention_ll4mi_QKV_mfma16_kernelIDF16_DF16_LN4vllm18Fp8KVCacheDataTypeE0EhLi32ELi64ELi256ELb0ELi14EEvPKT_PKT0_S7_ifPKiS9_S9_iPKfiiiPfSC_PS2_PT2_iSB_SB_,comdat
.Lfunc_end147:
	.size	_Z39paged_attention_ll4mi_QKV_mfma16_kernelIDF16_DF16_LN4vllm18Fp8KVCacheDataTypeE0EhLi32ELi64ELi256ELb0ELi14EEvPKT_PKT0_S7_ifPKiS9_S9_iPKfiiiPfSC_PS2_PT2_iSB_SB_, .Lfunc_end147-_Z39paged_attention_ll4mi_QKV_mfma16_kernelIDF16_DF16_LN4vllm18Fp8KVCacheDataTypeE0EhLi32ELi64ELi256ELb0ELi14EEvPKT_PKT0_S7_ifPKiS9_S9_iPKfiiiPfSC_PS2_PT2_iSB_SB_
                                        ; -- End function
	.set _Z39paged_attention_ll4mi_QKV_mfma16_kernelIDF16_DF16_LN4vllm18Fp8KVCacheDataTypeE0EhLi32ELi64ELi256ELb0ELi14EEvPKT_PKT0_S7_ifPKiS9_S9_iPKfiiiPfSC_PS2_PT2_iSB_SB_.num_vgpr, max(3, .L__assert_fail.num_vgpr)
	.set _Z39paged_attention_ll4mi_QKV_mfma16_kernelIDF16_DF16_LN4vllm18Fp8KVCacheDataTypeE0EhLi32ELi64ELi256ELb0ELi14EEvPKT_PKT0_S7_ifPKiS9_S9_iPKfiiiPfSC_PS2_PT2_iSB_SB_.num_agpr, max(0, .L__assert_fail.num_agpr)
	.set _Z39paged_attention_ll4mi_QKV_mfma16_kernelIDF16_DF16_LN4vllm18Fp8KVCacheDataTypeE0EhLi32ELi64ELi256ELb0ELi14EEvPKT_PKT0_S7_ifPKiS9_S9_iPKfiiiPfSC_PS2_PT2_iSB_SB_.numbered_sgpr, max(33, .L__assert_fail.numbered_sgpr)
	.set _Z39paged_attention_ll4mi_QKV_mfma16_kernelIDF16_DF16_LN4vllm18Fp8KVCacheDataTypeE0EhLi32ELi64ELi256ELb0ELi14EEvPKT_PKT0_S7_ifPKiS9_S9_iPKfiiiPfSC_PS2_PT2_iSB_SB_.num_named_barrier, max(0, .L__assert_fail.num_named_barrier)
	.set _Z39paged_attention_ll4mi_QKV_mfma16_kernelIDF16_DF16_LN4vllm18Fp8KVCacheDataTypeE0EhLi32ELi64ELi256ELb0ELi14EEvPKT_PKT0_S7_ifPKiS9_S9_iPKfiiiPfSC_PS2_PT2_iSB_SB_.private_seg_size, 0+max(.L__assert_fail.private_seg_size)
	.set _Z39paged_attention_ll4mi_QKV_mfma16_kernelIDF16_DF16_LN4vllm18Fp8KVCacheDataTypeE0EhLi32ELi64ELi256ELb0ELi14EEvPKT_PKT0_S7_ifPKiS9_S9_iPKfiiiPfSC_PS2_PT2_iSB_SB_.uses_vcc, or(1, .L__assert_fail.uses_vcc)
	.set _Z39paged_attention_ll4mi_QKV_mfma16_kernelIDF16_DF16_LN4vllm18Fp8KVCacheDataTypeE0EhLi32ELi64ELi256ELb0ELi14EEvPKT_PKT0_S7_ifPKiS9_S9_iPKfiiiPfSC_PS2_PT2_iSB_SB_.uses_flat_scratch, or(0, .L__assert_fail.uses_flat_scratch)
	.set _Z39paged_attention_ll4mi_QKV_mfma16_kernelIDF16_DF16_LN4vllm18Fp8KVCacheDataTypeE0EhLi32ELi64ELi256ELb0ELi14EEvPKT_PKT0_S7_ifPKiS9_S9_iPKfiiiPfSC_PS2_PT2_iSB_SB_.has_dyn_sized_stack, or(0, .L__assert_fail.has_dyn_sized_stack)
	.set _Z39paged_attention_ll4mi_QKV_mfma16_kernelIDF16_DF16_LN4vllm18Fp8KVCacheDataTypeE0EhLi32ELi64ELi256ELb0ELi14EEvPKT_PKT0_S7_ifPKiS9_S9_iPKfiiiPfSC_PS2_PT2_iSB_SB_.has_recursion, or(0, .L__assert_fail.has_recursion)
	.set _Z39paged_attention_ll4mi_QKV_mfma16_kernelIDF16_DF16_LN4vllm18Fp8KVCacheDataTypeE0EhLi32ELi64ELi256ELb0ELi14EEvPKT_PKT0_S7_ifPKiS9_S9_iPKfiiiPfSC_PS2_PT2_iSB_SB_.has_indirect_call, or(0, .L__assert_fail.has_indirect_call)
	.section	.AMDGPU.csdata,"",@progbits
; Kernel info:
; codeLenInByte = 68
; TotalNumSgprs: 36
; NumVgprs: 51
; ScratchSize: 64
; MemoryBound: 0
; FloatMode: 240
; IeeeMode: 1
; LDSByteSize: 0 bytes/workgroup (compile time only)
; SGPRBlocks: 0
; VGPRBlocks: 3
; NumSGPRsForWavesPerEU: 36
; NumVGPRsForWavesPerEU: 51
; NamedBarCnt: 0
; Occupancy: 16
; WaveLimiterHint : 1
; COMPUTE_PGM_RSRC2:SCRATCH_EN: 1
; COMPUTE_PGM_RSRC2:USER_SGPR: 2
; COMPUTE_PGM_RSRC2:TRAP_HANDLER: 0
; COMPUTE_PGM_RSRC2:TGID_X_EN: 1
; COMPUTE_PGM_RSRC2:TGID_Y_EN: 0
; COMPUTE_PGM_RSRC2:TGID_Z_EN: 0
; COMPUTE_PGM_RSRC2:TIDIG_COMP_CNT: 0
	.section	.text._Z39paged_attention_ll4mi_QKV_mfma16_kernelIDF16_DF16_LN4vllm18Fp8KVCacheDataTypeE0EhLi32ELi64ELi256ELb0ELi15EEvPKT_PKT0_S7_ifPKiS9_S9_iPKfiiiPfSC_PS2_PT2_iSB_SB_,"axG",@progbits,_Z39paged_attention_ll4mi_QKV_mfma16_kernelIDF16_DF16_LN4vllm18Fp8KVCacheDataTypeE0EhLi32ELi64ELi256ELb0ELi15EEvPKT_PKT0_S7_ifPKiS9_S9_iPKfiiiPfSC_PS2_PT2_iSB_SB_,comdat
	.protected	_Z39paged_attention_ll4mi_QKV_mfma16_kernelIDF16_DF16_LN4vllm18Fp8KVCacheDataTypeE0EhLi32ELi64ELi256ELb0ELi15EEvPKT_PKT0_S7_ifPKiS9_S9_iPKfiiiPfSC_PS2_PT2_iSB_SB_ ; -- Begin function _Z39paged_attention_ll4mi_QKV_mfma16_kernelIDF16_DF16_LN4vllm18Fp8KVCacheDataTypeE0EhLi32ELi64ELi256ELb0ELi15EEvPKT_PKT0_S7_ifPKiS9_S9_iPKfiiiPfSC_PS2_PT2_iSB_SB_
	.globl	_Z39paged_attention_ll4mi_QKV_mfma16_kernelIDF16_DF16_LN4vllm18Fp8KVCacheDataTypeE0EhLi32ELi64ELi256ELb0ELi15EEvPKT_PKT0_S7_ifPKiS9_S9_iPKfiiiPfSC_PS2_PT2_iSB_SB_
	.p2align	8
	.type	_Z39paged_attention_ll4mi_QKV_mfma16_kernelIDF16_DF16_LN4vllm18Fp8KVCacheDataTypeE0EhLi32ELi64ELi256ELb0ELi15EEvPKT_PKT0_S7_ifPKiS9_S9_iPKfiiiPfSC_PS2_PT2_iSB_SB_,@function
_Z39paged_attention_ll4mi_QKV_mfma16_kernelIDF16_DF16_LN4vllm18Fp8KVCacheDataTypeE0EhLi32ELi64ELi256ELb0ELi15EEvPKT_PKT0_S7_ifPKiS9_S9_iPKfiiiPfSC_PS2_PT2_iSB_SB_: ; @_Z39paged_attention_ll4mi_QKV_mfma16_kernelIDF16_DF16_LN4vllm18Fp8KVCacheDataTypeE0EhLi32ELi64ELi256ELb0ELi15EEvPKT_PKT0_S7_ifPKiS9_S9_iPKfiiiPfSC_PS2_PT2_iSB_SB_
; %bb.0:
	s_get_pc_i64 s[2:3]
	s_add_nc_u64 s[2:3], s[2:3], __PRETTY_FUNCTION__._Z39paged_attention_ll4mi_QKV_mfma16_kernelIDF16_DF16_LN4vllm18Fp8KVCacheDataTypeE0EhLi32ELi64ELi256ELb0ELi15EEvPKT_PKT0_S7_ifPKiS9_S9_iPKfiiiPfSC_PS2_PT2_iSB_SB_@rel64+4
	s_delay_alu instid0(SALU_CYCLE_1)
	v_dual_mov_b32 v0, 0xbb3 :: v_dual_mov_b32 v1, s2
	v_mov_b32_e32 v2, s3
	s_add_nc_u64 s[8:9], s[0:1], 0x90
	s_get_pc_i64 s[0:1]
	s_add_nc_u64 s[0:1], s[0:1], __assert_fail@rel64+4
	s_mov_b32 s32, 0
	s_swap_pc_i64 s[30:31], s[0:1]
	.section	.rodata,"a",@progbits
	.p2align	6, 0x0
	.amdhsa_kernel _Z39paged_attention_ll4mi_QKV_mfma16_kernelIDF16_DF16_LN4vllm18Fp8KVCacheDataTypeE0EhLi32ELi64ELi256ELb0ELi15EEvPKT_PKT0_S7_ifPKiS9_S9_iPKfiiiPfSC_PS2_PT2_iSB_SB_
		.amdhsa_group_segment_fixed_size 0
		.amdhsa_private_segment_fixed_size 64
		.amdhsa_kernarg_size 400
		.amdhsa_user_sgpr_count 2
		.amdhsa_user_sgpr_dispatch_ptr 0
		.amdhsa_user_sgpr_queue_ptr 0
		.amdhsa_user_sgpr_kernarg_segment_ptr 1
		.amdhsa_user_sgpr_dispatch_id 0
		.amdhsa_user_sgpr_kernarg_preload_length 0
		.amdhsa_user_sgpr_kernarg_preload_offset 0
		.amdhsa_user_sgpr_private_segment_size 0
		.amdhsa_wavefront_size32 1
		.amdhsa_uses_dynamic_stack 0
		.amdhsa_enable_private_segment 1
		.amdhsa_system_sgpr_workgroup_id_x 1
		.amdhsa_system_sgpr_workgroup_id_y 0
		.amdhsa_system_sgpr_workgroup_id_z 0
		.amdhsa_system_sgpr_workgroup_info 0
		.amdhsa_system_vgpr_workitem_id 0
		.amdhsa_next_free_vgpr 51
		.amdhsa_next_free_sgpr 34
		.amdhsa_named_barrier_count 0
		.amdhsa_reserve_vcc 1
		.amdhsa_float_round_mode_32 0
		.amdhsa_float_round_mode_16_64 0
		.amdhsa_float_denorm_mode_32 3
		.amdhsa_float_denorm_mode_16_64 3
		.amdhsa_fp16_overflow 0
		.amdhsa_memory_ordered 1
		.amdhsa_forward_progress 1
		.amdhsa_inst_pref_size 1
		.amdhsa_round_robin_scheduling 0
		.amdhsa_exception_fp_ieee_invalid_op 0
		.amdhsa_exception_fp_denorm_src 0
		.amdhsa_exception_fp_ieee_div_zero 0
		.amdhsa_exception_fp_ieee_overflow 0
		.amdhsa_exception_fp_ieee_underflow 0
		.amdhsa_exception_fp_ieee_inexact 0
		.amdhsa_exception_int_div_zero 0
	.end_amdhsa_kernel
	.section	.text._Z39paged_attention_ll4mi_QKV_mfma16_kernelIDF16_DF16_LN4vllm18Fp8KVCacheDataTypeE0EhLi32ELi64ELi256ELb0ELi15EEvPKT_PKT0_S7_ifPKiS9_S9_iPKfiiiPfSC_PS2_PT2_iSB_SB_,"axG",@progbits,_Z39paged_attention_ll4mi_QKV_mfma16_kernelIDF16_DF16_LN4vllm18Fp8KVCacheDataTypeE0EhLi32ELi64ELi256ELb0ELi15EEvPKT_PKT0_S7_ifPKiS9_S9_iPKfiiiPfSC_PS2_PT2_iSB_SB_,comdat
.Lfunc_end148:
	.size	_Z39paged_attention_ll4mi_QKV_mfma16_kernelIDF16_DF16_LN4vllm18Fp8KVCacheDataTypeE0EhLi32ELi64ELi256ELb0ELi15EEvPKT_PKT0_S7_ifPKiS9_S9_iPKfiiiPfSC_PS2_PT2_iSB_SB_, .Lfunc_end148-_Z39paged_attention_ll4mi_QKV_mfma16_kernelIDF16_DF16_LN4vllm18Fp8KVCacheDataTypeE0EhLi32ELi64ELi256ELb0ELi15EEvPKT_PKT0_S7_ifPKiS9_S9_iPKfiiiPfSC_PS2_PT2_iSB_SB_
                                        ; -- End function
	.set _Z39paged_attention_ll4mi_QKV_mfma16_kernelIDF16_DF16_LN4vllm18Fp8KVCacheDataTypeE0EhLi32ELi64ELi256ELb0ELi15EEvPKT_PKT0_S7_ifPKiS9_S9_iPKfiiiPfSC_PS2_PT2_iSB_SB_.num_vgpr, max(3, .L__assert_fail.num_vgpr)
	.set _Z39paged_attention_ll4mi_QKV_mfma16_kernelIDF16_DF16_LN4vllm18Fp8KVCacheDataTypeE0EhLi32ELi64ELi256ELb0ELi15EEvPKT_PKT0_S7_ifPKiS9_S9_iPKfiiiPfSC_PS2_PT2_iSB_SB_.num_agpr, max(0, .L__assert_fail.num_agpr)
	.set _Z39paged_attention_ll4mi_QKV_mfma16_kernelIDF16_DF16_LN4vllm18Fp8KVCacheDataTypeE0EhLi32ELi64ELi256ELb0ELi15EEvPKT_PKT0_S7_ifPKiS9_S9_iPKfiiiPfSC_PS2_PT2_iSB_SB_.numbered_sgpr, max(33, .L__assert_fail.numbered_sgpr)
	.set _Z39paged_attention_ll4mi_QKV_mfma16_kernelIDF16_DF16_LN4vllm18Fp8KVCacheDataTypeE0EhLi32ELi64ELi256ELb0ELi15EEvPKT_PKT0_S7_ifPKiS9_S9_iPKfiiiPfSC_PS2_PT2_iSB_SB_.num_named_barrier, max(0, .L__assert_fail.num_named_barrier)
	.set _Z39paged_attention_ll4mi_QKV_mfma16_kernelIDF16_DF16_LN4vllm18Fp8KVCacheDataTypeE0EhLi32ELi64ELi256ELb0ELi15EEvPKT_PKT0_S7_ifPKiS9_S9_iPKfiiiPfSC_PS2_PT2_iSB_SB_.private_seg_size, 0+max(.L__assert_fail.private_seg_size)
	.set _Z39paged_attention_ll4mi_QKV_mfma16_kernelIDF16_DF16_LN4vllm18Fp8KVCacheDataTypeE0EhLi32ELi64ELi256ELb0ELi15EEvPKT_PKT0_S7_ifPKiS9_S9_iPKfiiiPfSC_PS2_PT2_iSB_SB_.uses_vcc, or(1, .L__assert_fail.uses_vcc)
	.set _Z39paged_attention_ll4mi_QKV_mfma16_kernelIDF16_DF16_LN4vllm18Fp8KVCacheDataTypeE0EhLi32ELi64ELi256ELb0ELi15EEvPKT_PKT0_S7_ifPKiS9_S9_iPKfiiiPfSC_PS2_PT2_iSB_SB_.uses_flat_scratch, or(0, .L__assert_fail.uses_flat_scratch)
	.set _Z39paged_attention_ll4mi_QKV_mfma16_kernelIDF16_DF16_LN4vllm18Fp8KVCacheDataTypeE0EhLi32ELi64ELi256ELb0ELi15EEvPKT_PKT0_S7_ifPKiS9_S9_iPKfiiiPfSC_PS2_PT2_iSB_SB_.has_dyn_sized_stack, or(0, .L__assert_fail.has_dyn_sized_stack)
	.set _Z39paged_attention_ll4mi_QKV_mfma16_kernelIDF16_DF16_LN4vllm18Fp8KVCacheDataTypeE0EhLi32ELi64ELi256ELb0ELi15EEvPKT_PKT0_S7_ifPKiS9_S9_iPKfiiiPfSC_PS2_PT2_iSB_SB_.has_recursion, or(0, .L__assert_fail.has_recursion)
	.set _Z39paged_attention_ll4mi_QKV_mfma16_kernelIDF16_DF16_LN4vllm18Fp8KVCacheDataTypeE0EhLi32ELi64ELi256ELb0ELi15EEvPKT_PKT0_S7_ifPKiS9_S9_iPKfiiiPfSC_PS2_PT2_iSB_SB_.has_indirect_call, or(0, .L__assert_fail.has_indirect_call)
	.section	.AMDGPU.csdata,"",@progbits
; Kernel info:
; codeLenInByte = 68
; TotalNumSgprs: 36
; NumVgprs: 51
; ScratchSize: 64
; MemoryBound: 0
; FloatMode: 240
; IeeeMode: 1
; LDSByteSize: 0 bytes/workgroup (compile time only)
; SGPRBlocks: 0
; VGPRBlocks: 3
; NumSGPRsForWavesPerEU: 36
; NumVGPRsForWavesPerEU: 51
; NamedBarCnt: 0
; Occupancy: 16
; WaveLimiterHint : 1
; COMPUTE_PGM_RSRC2:SCRATCH_EN: 1
; COMPUTE_PGM_RSRC2:USER_SGPR: 2
; COMPUTE_PGM_RSRC2:TRAP_HANDLER: 0
; COMPUTE_PGM_RSRC2:TGID_X_EN: 1
; COMPUTE_PGM_RSRC2:TGID_Y_EN: 0
; COMPUTE_PGM_RSRC2:TGID_Z_EN: 0
; COMPUTE_PGM_RSRC2:TIDIG_COMP_CNT: 0
	.section	.text._Z39paged_attention_ll4mi_QKV_mfma16_kernelIDF16_DF16_LN4vllm18Fp8KVCacheDataTypeE0EhLi32ELi64ELi256ELb0ELi16EEvPKT_PKT0_S7_ifPKiS9_S9_iPKfiiiPfSC_PS2_PT2_iSB_SB_,"axG",@progbits,_Z39paged_attention_ll4mi_QKV_mfma16_kernelIDF16_DF16_LN4vllm18Fp8KVCacheDataTypeE0EhLi32ELi64ELi256ELb0ELi16EEvPKT_PKT0_S7_ifPKiS9_S9_iPKfiiiPfSC_PS2_PT2_iSB_SB_,comdat
	.protected	_Z39paged_attention_ll4mi_QKV_mfma16_kernelIDF16_DF16_LN4vllm18Fp8KVCacheDataTypeE0EhLi32ELi64ELi256ELb0ELi16EEvPKT_PKT0_S7_ifPKiS9_S9_iPKfiiiPfSC_PS2_PT2_iSB_SB_ ; -- Begin function _Z39paged_attention_ll4mi_QKV_mfma16_kernelIDF16_DF16_LN4vllm18Fp8KVCacheDataTypeE0EhLi32ELi64ELi256ELb0ELi16EEvPKT_PKT0_S7_ifPKiS9_S9_iPKfiiiPfSC_PS2_PT2_iSB_SB_
	.globl	_Z39paged_attention_ll4mi_QKV_mfma16_kernelIDF16_DF16_LN4vllm18Fp8KVCacheDataTypeE0EhLi32ELi64ELi256ELb0ELi16EEvPKT_PKT0_S7_ifPKiS9_S9_iPKfiiiPfSC_PS2_PT2_iSB_SB_
	.p2align	8
	.type	_Z39paged_attention_ll4mi_QKV_mfma16_kernelIDF16_DF16_LN4vllm18Fp8KVCacheDataTypeE0EhLi32ELi64ELi256ELb0ELi16EEvPKT_PKT0_S7_ifPKiS9_S9_iPKfiiiPfSC_PS2_PT2_iSB_SB_,@function
_Z39paged_attention_ll4mi_QKV_mfma16_kernelIDF16_DF16_LN4vllm18Fp8KVCacheDataTypeE0EhLi32ELi64ELi256ELb0ELi16EEvPKT_PKT0_S7_ifPKiS9_S9_iPKfiiiPfSC_PS2_PT2_iSB_SB_: ; @_Z39paged_attention_ll4mi_QKV_mfma16_kernelIDF16_DF16_LN4vllm18Fp8KVCacheDataTypeE0EhLi32ELi64ELi256ELb0ELi16EEvPKT_PKT0_S7_ifPKiS9_S9_iPKfiiiPfSC_PS2_PT2_iSB_SB_
; %bb.0:
	s_get_pc_i64 s[2:3]
	s_add_nc_u64 s[2:3], s[2:3], __PRETTY_FUNCTION__._Z39paged_attention_ll4mi_QKV_mfma16_kernelIDF16_DF16_LN4vllm18Fp8KVCacheDataTypeE0EhLi32ELi64ELi256ELb0ELi16EEvPKT_PKT0_S7_ifPKiS9_S9_iPKfiiiPfSC_PS2_PT2_iSB_SB_@rel64+4
	s_delay_alu instid0(SALU_CYCLE_1)
	v_dual_mov_b32 v0, 0xbb3 :: v_dual_mov_b32 v1, s2
	v_mov_b32_e32 v2, s3
	s_add_nc_u64 s[8:9], s[0:1], 0x90
	s_get_pc_i64 s[0:1]
	s_add_nc_u64 s[0:1], s[0:1], __assert_fail@rel64+4
	s_mov_b32 s32, 0
	s_swap_pc_i64 s[30:31], s[0:1]
	.section	.rodata,"a",@progbits
	.p2align	6, 0x0
	.amdhsa_kernel _Z39paged_attention_ll4mi_QKV_mfma16_kernelIDF16_DF16_LN4vllm18Fp8KVCacheDataTypeE0EhLi32ELi64ELi256ELb0ELi16EEvPKT_PKT0_S7_ifPKiS9_S9_iPKfiiiPfSC_PS2_PT2_iSB_SB_
		.amdhsa_group_segment_fixed_size 0
		.amdhsa_private_segment_fixed_size 64
		.amdhsa_kernarg_size 400
		.amdhsa_user_sgpr_count 2
		.amdhsa_user_sgpr_dispatch_ptr 0
		.amdhsa_user_sgpr_queue_ptr 0
		.amdhsa_user_sgpr_kernarg_segment_ptr 1
		.amdhsa_user_sgpr_dispatch_id 0
		.amdhsa_user_sgpr_kernarg_preload_length 0
		.amdhsa_user_sgpr_kernarg_preload_offset 0
		.amdhsa_user_sgpr_private_segment_size 0
		.amdhsa_wavefront_size32 1
		.amdhsa_uses_dynamic_stack 0
		.amdhsa_enable_private_segment 1
		.amdhsa_system_sgpr_workgroup_id_x 1
		.amdhsa_system_sgpr_workgroup_id_y 0
		.amdhsa_system_sgpr_workgroup_id_z 0
		.amdhsa_system_sgpr_workgroup_info 0
		.amdhsa_system_vgpr_workitem_id 0
		.amdhsa_next_free_vgpr 51
		.amdhsa_next_free_sgpr 34
		.amdhsa_named_barrier_count 0
		.amdhsa_reserve_vcc 1
		.amdhsa_float_round_mode_32 0
		.amdhsa_float_round_mode_16_64 0
		.amdhsa_float_denorm_mode_32 3
		.amdhsa_float_denorm_mode_16_64 3
		.amdhsa_fp16_overflow 0
		.amdhsa_memory_ordered 1
		.amdhsa_forward_progress 1
		.amdhsa_inst_pref_size 1
		.amdhsa_round_robin_scheduling 0
		.amdhsa_exception_fp_ieee_invalid_op 0
		.amdhsa_exception_fp_denorm_src 0
		.amdhsa_exception_fp_ieee_div_zero 0
		.amdhsa_exception_fp_ieee_overflow 0
		.amdhsa_exception_fp_ieee_underflow 0
		.amdhsa_exception_fp_ieee_inexact 0
		.amdhsa_exception_int_div_zero 0
	.end_amdhsa_kernel
	.section	.text._Z39paged_attention_ll4mi_QKV_mfma16_kernelIDF16_DF16_LN4vllm18Fp8KVCacheDataTypeE0EhLi32ELi64ELi256ELb0ELi16EEvPKT_PKT0_S7_ifPKiS9_S9_iPKfiiiPfSC_PS2_PT2_iSB_SB_,"axG",@progbits,_Z39paged_attention_ll4mi_QKV_mfma16_kernelIDF16_DF16_LN4vllm18Fp8KVCacheDataTypeE0EhLi32ELi64ELi256ELb0ELi16EEvPKT_PKT0_S7_ifPKiS9_S9_iPKfiiiPfSC_PS2_PT2_iSB_SB_,comdat
.Lfunc_end149:
	.size	_Z39paged_attention_ll4mi_QKV_mfma16_kernelIDF16_DF16_LN4vllm18Fp8KVCacheDataTypeE0EhLi32ELi64ELi256ELb0ELi16EEvPKT_PKT0_S7_ifPKiS9_S9_iPKfiiiPfSC_PS2_PT2_iSB_SB_, .Lfunc_end149-_Z39paged_attention_ll4mi_QKV_mfma16_kernelIDF16_DF16_LN4vllm18Fp8KVCacheDataTypeE0EhLi32ELi64ELi256ELb0ELi16EEvPKT_PKT0_S7_ifPKiS9_S9_iPKfiiiPfSC_PS2_PT2_iSB_SB_
                                        ; -- End function
	.set _Z39paged_attention_ll4mi_QKV_mfma16_kernelIDF16_DF16_LN4vllm18Fp8KVCacheDataTypeE0EhLi32ELi64ELi256ELb0ELi16EEvPKT_PKT0_S7_ifPKiS9_S9_iPKfiiiPfSC_PS2_PT2_iSB_SB_.num_vgpr, max(3, .L__assert_fail.num_vgpr)
	.set _Z39paged_attention_ll4mi_QKV_mfma16_kernelIDF16_DF16_LN4vllm18Fp8KVCacheDataTypeE0EhLi32ELi64ELi256ELb0ELi16EEvPKT_PKT0_S7_ifPKiS9_S9_iPKfiiiPfSC_PS2_PT2_iSB_SB_.num_agpr, max(0, .L__assert_fail.num_agpr)
	.set _Z39paged_attention_ll4mi_QKV_mfma16_kernelIDF16_DF16_LN4vllm18Fp8KVCacheDataTypeE0EhLi32ELi64ELi256ELb0ELi16EEvPKT_PKT0_S7_ifPKiS9_S9_iPKfiiiPfSC_PS2_PT2_iSB_SB_.numbered_sgpr, max(33, .L__assert_fail.numbered_sgpr)
	.set _Z39paged_attention_ll4mi_QKV_mfma16_kernelIDF16_DF16_LN4vllm18Fp8KVCacheDataTypeE0EhLi32ELi64ELi256ELb0ELi16EEvPKT_PKT0_S7_ifPKiS9_S9_iPKfiiiPfSC_PS2_PT2_iSB_SB_.num_named_barrier, max(0, .L__assert_fail.num_named_barrier)
	.set _Z39paged_attention_ll4mi_QKV_mfma16_kernelIDF16_DF16_LN4vllm18Fp8KVCacheDataTypeE0EhLi32ELi64ELi256ELb0ELi16EEvPKT_PKT0_S7_ifPKiS9_S9_iPKfiiiPfSC_PS2_PT2_iSB_SB_.private_seg_size, 0+max(.L__assert_fail.private_seg_size)
	.set _Z39paged_attention_ll4mi_QKV_mfma16_kernelIDF16_DF16_LN4vllm18Fp8KVCacheDataTypeE0EhLi32ELi64ELi256ELb0ELi16EEvPKT_PKT0_S7_ifPKiS9_S9_iPKfiiiPfSC_PS2_PT2_iSB_SB_.uses_vcc, or(1, .L__assert_fail.uses_vcc)
	.set _Z39paged_attention_ll4mi_QKV_mfma16_kernelIDF16_DF16_LN4vllm18Fp8KVCacheDataTypeE0EhLi32ELi64ELi256ELb0ELi16EEvPKT_PKT0_S7_ifPKiS9_S9_iPKfiiiPfSC_PS2_PT2_iSB_SB_.uses_flat_scratch, or(0, .L__assert_fail.uses_flat_scratch)
	.set _Z39paged_attention_ll4mi_QKV_mfma16_kernelIDF16_DF16_LN4vllm18Fp8KVCacheDataTypeE0EhLi32ELi64ELi256ELb0ELi16EEvPKT_PKT0_S7_ifPKiS9_S9_iPKfiiiPfSC_PS2_PT2_iSB_SB_.has_dyn_sized_stack, or(0, .L__assert_fail.has_dyn_sized_stack)
	.set _Z39paged_attention_ll4mi_QKV_mfma16_kernelIDF16_DF16_LN4vllm18Fp8KVCacheDataTypeE0EhLi32ELi64ELi256ELb0ELi16EEvPKT_PKT0_S7_ifPKiS9_S9_iPKfiiiPfSC_PS2_PT2_iSB_SB_.has_recursion, or(0, .L__assert_fail.has_recursion)
	.set _Z39paged_attention_ll4mi_QKV_mfma16_kernelIDF16_DF16_LN4vllm18Fp8KVCacheDataTypeE0EhLi32ELi64ELi256ELb0ELi16EEvPKT_PKT0_S7_ifPKiS9_S9_iPKfiiiPfSC_PS2_PT2_iSB_SB_.has_indirect_call, or(0, .L__assert_fail.has_indirect_call)
	.section	.AMDGPU.csdata,"",@progbits
; Kernel info:
; codeLenInByte = 68
; TotalNumSgprs: 36
; NumVgprs: 51
; ScratchSize: 64
; MemoryBound: 0
; FloatMode: 240
; IeeeMode: 1
; LDSByteSize: 0 bytes/workgroup (compile time only)
; SGPRBlocks: 0
; VGPRBlocks: 3
; NumSGPRsForWavesPerEU: 36
; NumVGPRsForWavesPerEU: 51
; NamedBarCnt: 0
; Occupancy: 16
; WaveLimiterHint : 1
; COMPUTE_PGM_RSRC2:SCRATCH_EN: 1
; COMPUTE_PGM_RSRC2:USER_SGPR: 2
; COMPUTE_PGM_RSRC2:TRAP_HANDLER: 0
; COMPUTE_PGM_RSRC2:TGID_X_EN: 1
; COMPUTE_PGM_RSRC2:TGID_Y_EN: 0
; COMPUTE_PGM_RSRC2:TGID_Z_EN: 0
; COMPUTE_PGM_RSRC2:TIDIG_COMP_CNT: 0
	.section	.text._Z39paged_attention_ll4mi_QKV_mfma16_kernelIDF16_DF16_LN4vllm18Fp8KVCacheDataTypeE0EhLi32ELi64ELi256ELb0ELi1EEvPKT_PKT0_S7_ifPKiS9_S9_iPKfiiiPfSC_PS2_PT2_iSB_SB_,"axG",@progbits,_Z39paged_attention_ll4mi_QKV_mfma16_kernelIDF16_DF16_LN4vllm18Fp8KVCacheDataTypeE0EhLi32ELi64ELi256ELb0ELi1EEvPKT_PKT0_S7_ifPKiS9_S9_iPKfiiiPfSC_PS2_PT2_iSB_SB_,comdat
	.protected	_Z39paged_attention_ll4mi_QKV_mfma16_kernelIDF16_DF16_LN4vllm18Fp8KVCacheDataTypeE0EhLi32ELi64ELi256ELb0ELi1EEvPKT_PKT0_S7_ifPKiS9_S9_iPKfiiiPfSC_PS2_PT2_iSB_SB_ ; -- Begin function _Z39paged_attention_ll4mi_QKV_mfma16_kernelIDF16_DF16_LN4vllm18Fp8KVCacheDataTypeE0EhLi32ELi64ELi256ELb0ELi1EEvPKT_PKT0_S7_ifPKiS9_S9_iPKfiiiPfSC_PS2_PT2_iSB_SB_
	.globl	_Z39paged_attention_ll4mi_QKV_mfma16_kernelIDF16_DF16_LN4vllm18Fp8KVCacheDataTypeE0EhLi32ELi64ELi256ELb0ELi1EEvPKT_PKT0_S7_ifPKiS9_S9_iPKfiiiPfSC_PS2_PT2_iSB_SB_
	.p2align	8
	.type	_Z39paged_attention_ll4mi_QKV_mfma16_kernelIDF16_DF16_LN4vllm18Fp8KVCacheDataTypeE0EhLi32ELi64ELi256ELb0ELi1EEvPKT_PKT0_S7_ifPKiS9_S9_iPKfiiiPfSC_PS2_PT2_iSB_SB_,@function
_Z39paged_attention_ll4mi_QKV_mfma16_kernelIDF16_DF16_LN4vllm18Fp8KVCacheDataTypeE0EhLi32ELi64ELi256ELb0ELi1EEvPKT_PKT0_S7_ifPKiS9_S9_iPKfiiiPfSC_PS2_PT2_iSB_SB_: ; @_Z39paged_attention_ll4mi_QKV_mfma16_kernelIDF16_DF16_LN4vllm18Fp8KVCacheDataTypeE0EhLi32ELi64ELi256ELb0ELi1EEvPKT_PKT0_S7_ifPKiS9_S9_iPKfiiiPfSC_PS2_PT2_iSB_SB_
; %bb.0:
	s_get_pc_i64 s[2:3]
	s_add_nc_u64 s[2:3], s[2:3], __PRETTY_FUNCTION__._Z39paged_attention_ll4mi_QKV_mfma16_kernelIDF16_DF16_LN4vllm18Fp8KVCacheDataTypeE0EhLi32ELi64ELi256ELb0ELi1EEvPKT_PKT0_S7_ifPKiS9_S9_iPKfiiiPfSC_PS2_PT2_iSB_SB_@rel64+4
	s_delay_alu instid0(SALU_CYCLE_1)
	v_dual_mov_b32 v0, 0xbb3 :: v_dual_mov_b32 v1, s2
	v_mov_b32_e32 v2, s3
	s_add_nc_u64 s[8:9], s[0:1], 0x90
	s_get_pc_i64 s[0:1]
	s_add_nc_u64 s[0:1], s[0:1], __assert_fail@rel64+4
	s_mov_b32 s32, 0
	s_swap_pc_i64 s[30:31], s[0:1]
	.section	.rodata,"a",@progbits
	.p2align	6, 0x0
	.amdhsa_kernel _Z39paged_attention_ll4mi_QKV_mfma16_kernelIDF16_DF16_LN4vllm18Fp8KVCacheDataTypeE0EhLi32ELi64ELi256ELb0ELi1EEvPKT_PKT0_S7_ifPKiS9_S9_iPKfiiiPfSC_PS2_PT2_iSB_SB_
		.amdhsa_group_segment_fixed_size 0
		.amdhsa_private_segment_fixed_size 64
		.amdhsa_kernarg_size 400
		.amdhsa_user_sgpr_count 2
		.amdhsa_user_sgpr_dispatch_ptr 0
		.amdhsa_user_sgpr_queue_ptr 0
		.amdhsa_user_sgpr_kernarg_segment_ptr 1
		.amdhsa_user_sgpr_dispatch_id 0
		.amdhsa_user_sgpr_kernarg_preload_length 0
		.amdhsa_user_sgpr_kernarg_preload_offset 0
		.amdhsa_user_sgpr_private_segment_size 0
		.amdhsa_wavefront_size32 1
		.amdhsa_uses_dynamic_stack 0
		.amdhsa_enable_private_segment 1
		.amdhsa_system_sgpr_workgroup_id_x 1
		.amdhsa_system_sgpr_workgroup_id_y 0
		.amdhsa_system_sgpr_workgroup_id_z 0
		.amdhsa_system_sgpr_workgroup_info 0
		.amdhsa_system_vgpr_workitem_id 0
		.amdhsa_next_free_vgpr 51
		.amdhsa_next_free_sgpr 34
		.amdhsa_named_barrier_count 0
		.amdhsa_reserve_vcc 1
		.amdhsa_float_round_mode_32 0
		.amdhsa_float_round_mode_16_64 0
		.amdhsa_float_denorm_mode_32 3
		.amdhsa_float_denorm_mode_16_64 3
		.amdhsa_fp16_overflow 0
		.amdhsa_memory_ordered 1
		.amdhsa_forward_progress 1
		.amdhsa_inst_pref_size 1
		.amdhsa_round_robin_scheduling 0
		.amdhsa_exception_fp_ieee_invalid_op 0
		.amdhsa_exception_fp_denorm_src 0
		.amdhsa_exception_fp_ieee_div_zero 0
		.amdhsa_exception_fp_ieee_overflow 0
		.amdhsa_exception_fp_ieee_underflow 0
		.amdhsa_exception_fp_ieee_inexact 0
		.amdhsa_exception_int_div_zero 0
	.end_amdhsa_kernel
	.section	.text._Z39paged_attention_ll4mi_QKV_mfma16_kernelIDF16_DF16_LN4vllm18Fp8KVCacheDataTypeE0EhLi32ELi64ELi256ELb0ELi1EEvPKT_PKT0_S7_ifPKiS9_S9_iPKfiiiPfSC_PS2_PT2_iSB_SB_,"axG",@progbits,_Z39paged_attention_ll4mi_QKV_mfma16_kernelIDF16_DF16_LN4vllm18Fp8KVCacheDataTypeE0EhLi32ELi64ELi256ELb0ELi1EEvPKT_PKT0_S7_ifPKiS9_S9_iPKfiiiPfSC_PS2_PT2_iSB_SB_,comdat
.Lfunc_end150:
	.size	_Z39paged_attention_ll4mi_QKV_mfma16_kernelIDF16_DF16_LN4vllm18Fp8KVCacheDataTypeE0EhLi32ELi64ELi256ELb0ELi1EEvPKT_PKT0_S7_ifPKiS9_S9_iPKfiiiPfSC_PS2_PT2_iSB_SB_, .Lfunc_end150-_Z39paged_attention_ll4mi_QKV_mfma16_kernelIDF16_DF16_LN4vllm18Fp8KVCacheDataTypeE0EhLi32ELi64ELi256ELb0ELi1EEvPKT_PKT0_S7_ifPKiS9_S9_iPKfiiiPfSC_PS2_PT2_iSB_SB_
                                        ; -- End function
	.set _Z39paged_attention_ll4mi_QKV_mfma16_kernelIDF16_DF16_LN4vllm18Fp8KVCacheDataTypeE0EhLi32ELi64ELi256ELb0ELi1EEvPKT_PKT0_S7_ifPKiS9_S9_iPKfiiiPfSC_PS2_PT2_iSB_SB_.num_vgpr, max(3, .L__assert_fail.num_vgpr)
	.set _Z39paged_attention_ll4mi_QKV_mfma16_kernelIDF16_DF16_LN4vllm18Fp8KVCacheDataTypeE0EhLi32ELi64ELi256ELb0ELi1EEvPKT_PKT0_S7_ifPKiS9_S9_iPKfiiiPfSC_PS2_PT2_iSB_SB_.num_agpr, max(0, .L__assert_fail.num_agpr)
	.set _Z39paged_attention_ll4mi_QKV_mfma16_kernelIDF16_DF16_LN4vllm18Fp8KVCacheDataTypeE0EhLi32ELi64ELi256ELb0ELi1EEvPKT_PKT0_S7_ifPKiS9_S9_iPKfiiiPfSC_PS2_PT2_iSB_SB_.numbered_sgpr, max(33, .L__assert_fail.numbered_sgpr)
	.set _Z39paged_attention_ll4mi_QKV_mfma16_kernelIDF16_DF16_LN4vllm18Fp8KVCacheDataTypeE0EhLi32ELi64ELi256ELb0ELi1EEvPKT_PKT0_S7_ifPKiS9_S9_iPKfiiiPfSC_PS2_PT2_iSB_SB_.num_named_barrier, max(0, .L__assert_fail.num_named_barrier)
	.set _Z39paged_attention_ll4mi_QKV_mfma16_kernelIDF16_DF16_LN4vllm18Fp8KVCacheDataTypeE0EhLi32ELi64ELi256ELb0ELi1EEvPKT_PKT0_S7_ifPKiS9_S9_iPKfiiiPfSC_PS2_PT2_iSB_SB_.private_seg_size, 0+max(.L__assert_fail.private_seg_size)
	.set _Z39paged_attention_ll4mi_QKV_mfma16_kernelIDF16_DF16_LN4vllm18Fp8KVCacheDataTypeE0EhLi32ELi64ELi256ELb0ELi1EEvPKT_PKT0_S7_ifPKiS9_S9_iPKfiiiPfSC_PS2_PT2_iSB_SB_.uses_vcc, or(1, .L__assert_fail.uses_vcc)
	.set _Z39paged_attention_ll4mi_QKV_mfma16_kernelIDF16_DF16_LN4vllm18Fp8KVCacheDataTypeE0EhLi32ELi64ELi256ELb0ELi1EEvPKT_PKT0_S7_ifPKiS9_S9_iPKfiiiPfSC_PS2_PT2_iSB_SB_.uses_flat_scratch, or(0, .L__assert_fail.uses_flat_scratch)
	.set _Z39paged_attention_ll4mi_QKV_mfma16_kernelIDF16_DF16_LN4vllm18Fp8KVCacheDataTypeE0EhLi32ELi64ELi256ELb0ELi1EEvPKT_PKT0_S7_ifPKiS9_S9_iPKfiiiPfSC_PS2_PT2_iSB_SB_.has_dyn_sized_stack, or(0, .L__assert_fail.has_dyn_sized_stack)
	.set _Z39paged_attention_ll4mi_QKV_mfma16_kernelIDF16_DF16_LN4vllm18Fp8KVCacheDataTypeE0EhLi32ELi64ELi256ELb0ELi1EEvPKT_PKT0_S7_ifPKiS9_S9_iPKfiiiPfSC_PS2_PT2_iSB_SB_.has_recursion, or(0, .L__assert_fail.has_recursion)
	.set _Z39paged_attention_ll4mi_QKV_mfma16_kernelIDF16_DF16_LN4vllm18Fp8KVCacheDataTypeE0EhLi32ELi64ELi256ELb0ELi1EEvPKT_PKT0_S7_ifPKiS9_S9_iPKfiiiPfSC_PS2_PT2_iSB_SB_.has_indirect_call, or(0, .L__assert_fail.has_indirect_call)
	.section	.AMDGPU.csdata,"",@progbits
; Kernel info:
; codeLenInByte = 68
; TotalNumSgprs: 36
; NumVgprs: 51
; ScratchSize: 64
; MemoryBound: 0
; FloatMode: 240
; IeeeMode: 1
; LDSByteSize: 0 bytes/workgroup (compile time only)
; SGPRBlocks: 0
; VGPRBlocks: 3
; NumSGPRsForWavesPerEU: 36
; NumVGPRsForWavesPerEU: 51
; NamedBarCnt: 0
; Occupancy: 16
; WaveLimiterHint : 1
; COMPUTE_PGM_RSRC2:SCRATCH_EN: 1
; COMPUTE_PGM_RSRC2:USER_SGPR: 2
; COMPUTE_PGM_RSRC2:TRAP_HANDLER: 0
; COMPUTE_PGM_RSRC2:TGID_X_EN: 1
; COMPUTE_PGM_RSRC2:TGID_Y_EN: 0
; COMPUTE_PGM_RSRC2:TGID_Z_EN: 0
; COMPUTE_PGM_RSRC2:TIDIG_COMP_CNT: 0
	.section	.text._Z39paged_attention_ll4mi_QKV_mfma16_kernelIDF16_DF16_LN4vllm18Fp8KVCacheDataTypeE0EhLi32ELi64ELi256ELb0ELi2EEvPKT_PKT0_S7_ifPKiS9_S9_iPKfiiiPfSC_PS2_PT2_iSB_SB_,"axG",@progbits,_Z39paged_attention_ll4mi_QKV_mfma16_kernelIDF16_DF16_LN4vllm18Fp8KVCacheDataTypeE0EhLi32ELi64ELi256ELb0ELi2EEvPKT_PKT0_S7_ifPKiS9_S9_iPKfiiiPfSC_PS2_PT2_iSB_SB_,comdat
	.protected	_Z39paged_attention_ll4mi_QKV_mfma16_kernelIDF16_DF16_LN4vllm18Fp8KVCacheDataTypeE0EhLi32ELi64ELi256ELb0ELi2EEvPKT_PKT0_S7_ifPKiS9_S9_iPKfiiiPfSC_PS2_PT2_iSB_SB_ ; -- Begin function _Z39paged_attention_ll4mi_QKV_mfma16_kernelIDF16_DF16_LN4vllm18Fp8KVCacheDataTypeE0EhLi32ELi64ELi256ELb0ELi2EEvPKT_PKT0_S7_ifPKiS9_S9_iPKfiiiPfSC_PS2_PT2_iSB_SB_
	.globl	_Z39paged_attention_ll4mi_QKV_mfma16_kernelIDF16_DF16_LN4vllm18Fp8KVCacheDataTypeE0EhLi32ELi64ELi256ELb0ELi2EEvPKT_PKT0_S7_ifPKiS9_S9_iPKfiiiPfSC_PS2_PT2_iSB_SB_
	.p2align	8
	.type	_Z39paged_attention_ll4mi_QKV_mfma16_kernelIDF16_DF16_LN4vllm18Fp8KVCacheDataTypeE0EhLi32ELi64ELi256ELb0ELi2EEvPKT_PKT0_S7_ifPKiS9_S9_iPKfiiiPfSC_PS2_PT2_iSB_SB_,@function
_Z39paged_attention_ll4mi_QKV_mfma16_kernelIDF16_DF16_LN4vllm18Fp8KVCacheDataTypeE0EhLi32ELi64ELi256ELb0ELi2EEvPKT_PKT0_S7_ifPKiS9_S9_iPKfiiiPfSC_PS2_PT2_iSB_SB_: ; @_Z39paged_attention_ll4mi_QKV_mfma16_kernelIDF16_DF16_LN4vllm18Fp8KVCacheDataTypeE0EhLi32ELi64ELi256ELb0ELi2EEvPKT_PKT0_S7_ifPKiS9_S9_iPKfiiiPfSC_PS2_PT2_iSB_SB_
; %bb.0:
	s_get_pc_i64 s[2:3]
	s_add_nc_u64 s[2:3], s[2:3], __PRETTY_FUNCTION__._Z39paged_attention_ll4mi_QKV_mfma16_kernelIDF16_DF16_LN4vllm18Fp8KVCacheDataTypeE0EhLi32ELi64ELi256ELb0ELi2EEvPKT_PKT0_S7_ifPKiS9_S9_iPKfiiiPfSC_PS2_PT2_iSB_SB_@rel64+4
	s_delay_alu instid0(SALU_CYCLE_1)
	v_dual_mov_b32 v0, 0xbb3 :: v_dual_mov_b32 v1, s2
	v_mov_b32_e32 v2, s3
	s_add_nc_u64 s[8:9], s[0:1], 0x90
	s_get_pc_i64 s[0:1]
	s_add_nc_u64 s[0:1], s[0:1], __assert_fail@rel64+4
	s_mov_b32 s32, 0
	s_swap_pc_i64 s[30:31], s[0:1]
	.section	.rodata,"a",@progbits
	.p2align	6, 0x0
	.amdhsa_kernel _Z39paged_attention_ll4mi_QKV_mfma16_kernelIDF16_DF16_LN4vllm18Fp8KVCacheDataTypeE0EhLi32ELi64ELi256ELb0ELi2EEvPKT_PKT0_S7_ifPKiS9_S9_iPKfiiiPfSC_PS2_PT2_iSB_SB_
		.amdhsa_group_segment_fixed_size 0
		.amdhsa_private_segment_fixed_size 64
		.amdhsa_kernarg_size 400
		.amdhsa_user_sgpr_count 2
		.amdhsa_user_sgpr_dispatch_ptr 0
		.amdhsa_user_sgpr_queue_ptr 0
		.amdhsa_user_sgpr_kernarg_segment_ptr 1
		.amdhsa_user_sgpr_dispatch_id 0
		.amdhsa_user_sgpr_kernarg_preload_length 0
		.amdhsa_user_sgpr_kernarg_preload_offset 0
		.amdhsa_user_sgpr_private_segment_size 0
		.amdhsa_wavefront_size32 1
		.amdhsa_uses_dynamic_stack 0
		.amdhsa_enable_private_segment 1
		.amdhsa_system_sgpr_workgroup_id_x 1
		.amdhsa_system_sgpr_workgroup_id_y 0
		.amdhsa_system_sgpr_workgroup_id_z 0
		.amdhsa_system_sgpr_workgroup_info 0
		.amdhsa_system_vgpr_workitem_id 0
		.amdhsa_next_free_vgpr 51
		.amdhsa_next_free_sgpr 34
		.amdhsa_named_barrier_count 0
		.amdhsa_reserve_vcc 1
		.amdhsa_float_round_mode_32 0
		.amdhsa_float_round_mode_16_64 0
		.amdhsa_float_denorm_mode_32 3
		.amdhsa_float_denorm_mode_16_64 3
		.amdhsa_fp16_overflow 0
		.amdhsa_memory_ordered 1
		.amdhsa_forward_progress 1
		.amdhsa_inst_pref_size 1
		.amdhsa_round_robin_scheduling 0
		.amdhsa_exception_fp_ieee_invalid_op 0
		.amdhsa_exception_fp_denorm_src 0
		.amdhsa_exception_fp_ieee_div_zero 0
		.amdhsa_exception_fp_ieee_overflow 0
		.amdhsa_exception_fp_ieee_underflow 0
		.amdhsa_exception_fp_ieee_inexact 0
		.amdhsa_exception_int_div_zero 0
	.end_amdhsa_kernel
	.section	.text._Z39paged_attention_ll4mi_QKV_mfma16_kernelIDF16_DF16_LN4vllm18Fp8KVCacheDataTypeE0EhLi32ELi64ELi256ELb0ELi2EEvPKT_PKT0_S7_ifPKiS9_S9_iPKfiiiPfSC_PS2_PT2_iSB_SB_,"axG",@progbits,_Z39paged_attention_ll4mi_QKV_mfma16_kernelIDF16_DF16_LN4vllm18Fp8KVCacheDataTypeE0EhLi32ELi64ELi256ELb0ELi2EEvPKT_PKT0_S7_ifPKiS9_S9_iPKfiiiPfSC_PS2_PT2_iSB_SB_,comdat
.Lfunc_end151:
	.size	_Z39paged_attention_ll4mi_QKV_mfma16_kernelIDF16_DF16_LN4vllm18Fp8KVCacheDataTypeE0EhLi32ELi64ELi256ELb0ELi2EEvPKT_PKT0_S7_ifPKiS9_S9_iPKfiiiPfSC_PS2_PT2_iSB_SB_, .Lfunc_end151-_Z39paged_attention_ll4mi_QKV_mfma16_kernelIDF16_DF16_LN4vllm18Fp8KVCacheDataTypeE0EhLi32ELi64ELi256ELb0ELi2EEvPKT_PKT0_S7_ifPKiS9_S9_iPKfiiiPfSC_PS2_PT2_iSB_SB_
                                        ; -- End function
	.set _Z39paged_attention_ll4mi_QKV_mfma16_kernelIDF16_DF16_LN4vllm18Fp8KVCacheDataTypeE0EhLi32ELi64ELi256ELb0ELi2EEvPKT_PKT0_S7_ifPKiS9_S9_iPKfiiiPfSC_PS2_PT2_iSB_SB_.num_vgpr, max(3, .L__assert_fail.num_vgpr)
	.set _Z39paged_attention_ll4mi_QKV_mfma16_kernelIDF16_DF16_LN4vllm18Fp8KVCacheDataTypeE0EhLi32ELi64ELi256ELb0ELi2EEvPKT_PKT0_S7_ifPKiS9_S9_iPKfiiiPfSC_PS2_PT2_iSB_SB_.num_agpr, max(0, .L__assert_fail.num_agpr)
	.set _Z39paged_attention_ll4mi_QKV_mfma16_kernelIDF16_DF16_LN4vllm18Fp8KVCacheDataTypeE0EhLi32ELi64ELi256ELb0ELi2EEvPKT_PKT0_S7_ifPKiS9_S9_iPKfiiiPfSC_PS2_PT2_iSB_SB_.numbered_sgpr, max(33, .L__assert_fail.numbered_sgpr)
	.set _Z39paged_attention_ll4mi_QKV_mfma16_kernelIDF16_DF16_LN4vllm18Fp8KVCacheDataTypeE0EhLi32ELi64ELi256ELb0ELi2EEvPKT_PKT0_S7_ifPKiS9_S9_iPKfiiiPfSC_PS2_PT2_iSB_SB_.num_named_barrier, max(0, .L__assert_fail.num_named_barrier)
	.set _Z39paged_attention_ll4mi_QKV_mfma16_kernelIDF16_DF16_LN4vllm18Fp8KVCacheDataTypeE0EhLi32ELi64ELi256ELb0ELi2EEvPKT_PKT0_S7_ifPKiS9_S9_iPKfiiiPfSC_PS2_PT2_iSB_SB_.private_seg_size, 0+max(.L__assert_fail.private_seg_size)
	.set _Z39paged_attention_ll4mi_QKV_mfma16_kernelIDF16_DF16_LN4vllm18Fp8KVCacheDataTypeE0EhLi32ELi64ELi256ELb0ELi2EEvPKT_PKT0_S7_ifPKiS9_S9_iPKfiiiPfSC_PS2_PT2_iSB_SB_.uses_vcc, or(1, .L__assert_fail.uses_vcc)
	.set _Z39paged_attention_ll4mi_QKV_mfma16_kernelIDF16_DF16_LN4vllm18Fp8KVCacheDataTypeE0EhLi32ELi64ELi256ELb0ELi2EEvPKT_PKT0_S7_ifPKiS9_S9_iPKfiiiPfSC_PS2_PT2_iSB_SB_.uses_flat_scratch, or(0, .L__assert_fail.uses_flat_scratch)
	.set _Z39paged_attention_ll4mi_QKV_mfma16_kernelIDF16_DF16_LN4vllm18Fp8KVCacheDataTypeE0EhLi32ELi64ELi256ELb0ELi2EEvPKT_PKT0_S7_ifPKiS9_S9_iPKfiiiPfSC_PS2_PT2_iSB_SB_.has_dyn_sized_stack, or(0, .L__assert_fail.has_dyn_sized_stack)
	.set _Z39paged_attention_ll4mi_QKV_mfma16_kernelIDF16_DF16_LN4vllm18Fp8KVCacheDataTypeE0EhLi32ELi64ELi256ELb0ELi2EEvPKT_PKT0_S7_ifPKiS9_S9_iPKfiiiPfSC_PS2_PT2_iSB_SB_.has_recursion, or(0, .L__assert_fail.has_recursion)
	.set _Z39paged_attention_ll4mi_QKV_mfma16_kernelIDF16_DF16_LN4vllm18Fp8KVCacheDataTypeE0EhLi32ELi64ELi256ELb0ELi2EEvPKT_PKT0_S7_ifPKiS9_S9_iPKfiiiPfSC_PS2_PT2_iSB_SB_.has_indirect_call, or(0, .L__assert_fail.has_indirect_call)
	.section	.AMDGPU.csdata,"",@progbits
; Kernel info:
; codeLenInByte = 68
; TotalNumSgprs: 36
; NumVgprs: 51
; ScratchSize: 64
; MemoryBound: 0
; FloatMode: 240
; IeeeMode: 1
; LDSByteSize: 0 bytes/workgroup (compile time only)
; SGPRBlocks: 0
; VGPRBlocks: 3
; NumSGPRsForWavesPerEU: 36
; NumVGPRsForWavesPerEU: 51
; NamedBarCnt: 0
; Occupancy: 16
; WaveLimiterHint : 1
; COMPUTE_PGM_RSRC2:SCRATCH_EN: 1
; COMPUTE_PGM_RSRC2:USER_SGPR: 2
; COMPUTE_PGM_RSRC2:TRAP_HANDLER: 0
; COMPUTE_PGM_RSRC2:TGID_X_EN: 1
; COMPUTE_PGM_RSRC2:TGID_Y_EN: 0
; COMPUTE_PGM_RSRC2:TGID_Z_EN: 0
; COMPUTE_PGM_RSRC2:TIDIG_COMP_CNT: 0
	.section	.text._Z39paged_attention_ll4mi_QKV_mfma16_kernelIDF16_DF16_LN4vllm18Fp8KVCacheDataTypeE0EhLi32ELi64ELi256ELb0ELi3EEvPKT_PKT0_S7_ifPKiS9_S9_iPKfiiiPfSC_PS2_PT2_iSB_SB_,"axG",@progbits,_Z39paged_attention_ll4mi_QKV_mfma16_kernelIDF16_DF16_LN4vllm18Fp8KVCacheDataTypeE0EhLi32ELi64ELi256ELb0ELi3EEvPKT_PKT0_S7_ifPKiS9_S9_iPKfiiiPfSC_PS2_PT2_iSB_SB_,comdat
	.protected	_Z39paged_attention_ll4mi_QKV_mfma16_kernelIDF16_DF16_LN4vllm18Fp8KVCacheDataTypeE0EhLi32ELi64ELi256ELb0ELi3EEvPKT_PKT0_S7_ifPKiS9_S9_iPKfiiiPfSC_PS2_PT2_iSB_SB_ ; -- Begin function _Z39paged_attention_ll4mi_QKV_mfma16_kernelIDF16_DF16_LN4vllm18Fp8KVCacheDataTypeE0EhLi32ELi64ELi256ELb0ELi3EEvPKT_PKT0_S7_ifPKiS9_S9_iPKfiiiPfSC_PS2_PT2_iSB_SB_
	.globl	_Z39paged_attention_ll4mi_QKV_mfma16_kernelIDF16_DF16_LN4vllm18Fp8KVCacheDataTypeE0EhLi32ELi64ELi256ELb0ELi3EEvPKT_PKT0_S7_ifPKiS9_S9_iPKfiiiPfSC_PS2_PT2_iSB_SB_
	.p2align	8
	.type	_Z39paged_attention_ll4mi_QKV_mfma16_kernelIDF16_DF16_LN4vllm18Fp8KVCacheDataTypeE0EhLi32ELi64ELi256ELb0ELi3EEvPKT_PKT0_S7_ifPKiS9_S9_iPKfiiiPfSC_PS2_PT2_iSB_SB_,@function
_Z39paged_attention_ll4mi_QKV_mfma16_kernelIDF16_DF16_LN4vllm18Fp8KVCacheDataTypeE0EhLi32ELi64ELi256ELb0ELi3EEvPKT_PKT0_S7_ifPKiS9_S9_iPKfiiiPfSC_PS2_PT2_iSB_SB_: ; @_Z39paged_attention_ll4mi_QKV_mfma16_kernelIDF16_DF16_LN4vllm18Fp8KVCacheDataTypeE0EhLi32ELi64ELi256ELb0ELi3EEvPKT_PKT0_S7_ifPKiS9_S9_iPKfiiiPfSC_PS2_PT2_iSB_SB_
; %bb.0:
	s_get_pc_i64 s[2:3]
	s_add_nc_u64 s[2:3], s[2:3], __PRETTY_FUNCTION__._Z39paged_attention_ll4mi_QKV_mfma16_kernelIDF16_DF16_LN4vllm18Fp8KVCacheDataTypeE0EhLi32ELi64ELi256ELb0ELi3EEvPKT_PKT0_S7_ifPKiS9_S9_iPKfiiiPfSC_PS2_PT2_iSB_SB_@rel64+4
	s_delay_alu instid0(SALU_CYCLE_1)
	v_dual_mov_b32 v0, 0xbb3 :: v_dual_mov_b32 v1, s2
	v_mov_b32_e32 v2, s3
	s_add_nc_u64 s[8:9], s[0:1], 0x90
	s_get_pc_i64 s[0:1]
	s_add_nc_u64 s[0:1], s[0:1], __assert_fail@rel64+4
	s_mov_b32 s32, 0
	s_swap_pc_i64 s[30:31], s[0:1]
	.section	.rodata,"a",@progbits
	.p2align	6, 0x0
	.amdhsa_kernel _Z39paged_attention_ll4mi_QKV_mfma16_kernelIDF16_DF16_LN4vllm18Fp8KVCacheDataTypeE0EhLi32ELi64ELi256ELb0ELi3EEvPKT_PKT0_S7_ifPKiS9_S9_iPKfiiiPfSC_PS2_PT2_iSB_SB_
		.amdhsa_group_segment_fixed_size 0
		.amdhsa_private_segment_fixed_size 64
		.amdhsa_kernarg_size 400
		.amdhsa_user_sgpr_count 2
		.amdhsa_user_sgpr_dispatch_ptr 0
		.amdhsa_user_sgpr_queue_ptr 0
		.amdhsa_user_sgpr_kernarg_segment_ptr 1
		.amdhsa_user_sgpr_dispatch_id 0
		.amdhsa_user_sgpr_kernarg_preload_length 0
		.amdhsa_user_sgpr_kernarg_preload_offset 0
		.amdhsa_user_sgpr_private_segment_size 0
		.amdhsa_wavefront_size32 1
		.amdhsa_uses_dynamic_stack 0
		.amdhsa_enable_private_segment 1
		.amdhsa_system_sgpr_workgroup_id_x 1
		.amdhsa_system_sgpr_workgroup_id_y 0
		.amdhsa_system_sgpr_workgroup_id_z 0
		.amdhsa_system_sgpr_workgroup_info 0
		.amdhsa_system_vgpr_workitem_id 0
		.amdhsa_next_free_vgpr 51
		.amdhsa_next_free_sgpr 34
		.amdhsa_named_barrier_count 0
		.amdhsa_reserve_vcc 1
		.amdhsa_float_round_mode_32 0
		.amdhsa_float_round_mode_16_64 0
		.amdhsa_float_denorm_mode_32 3
		.amdhsa_float_denorm_mode_16_64 3
		.amdhsa_fp16_overflow 0
		.amdhsa_memory_ordered 1
		.amdhsa_forward_progress 1
		.amdhsa_inst_pref_size 1
		.amdhsa_round_robin_scheduling 0
		.amdhsa_exception_fp_ieee_invalid_op 0
		.amdhsa_exception_fp_denorm_src 0
		.amdhsa_exception_fp_ieee_div_zero 0
		.amdhsa_exception_fp_ieee_overflow 0
		.amdhsa_exception_fp_ieee_underflow 0
		.amdhsa_exception_fp_ieee_inexact 0
		.amdhsa_exception_int_div_zero 0
	.end_amdhsa_kernel
	.section	.text._Z39paged_attention_ll4mi_QKV_mfma16_kernelIDF16_DF16_LN4vllm18Fp8KVCacheDataTypeE0EhLi32ELi64ELi256ELb0ELi3EEvPKT_PKT0_S7_ifPKiS9_S9_iPKfiiiPfSC_PS2_PT2_iSB_SB_,"axG",@progbits,_Z39paged_attention_ll4mi_QKV_mfma16_kernelIDF16_DF16_LN4vllm18Fp8KVCacheDataTypeE0EhLi32ELi64ELi256ELb0ELi3EEvPKT_PKT0_S7_ifPKiS9_S9_iPKfiiiPfSC_PS2_PT2_iSB_SB_,comdat
.Lfunc_end152:
	.size	_Z39paged_attention_ll4mi_QKV_mfma16_kernelIDF16_DF16_LN4vllm18Fp8KVCacheDataTypeE0EhLi32ELi64ELi256ELb0ELi3EEvPKT_PKT0_S7_ifPKiS9_S9_iPKfiiiPfSC_PS2_PT2_iSB_SB_, .Lfunc_end152-_Z39paged_attention_ll4mi_QKV_mfma16_kernelIDF16_DF16_LN4vllm18Fp8KVCacheDataTypeE0EhLi32ELi64ELi256ELb0ELi3EEvPKT_PKT0_S7_ifPKiS9_S9_iPKfiiiPfSC_PS2_PT2_iSB_SB_
                                        ; -- End function
	.set _Z39paged_attention_ll4mi_QKV_mfma16_kernelIDF16_DF16_LN4vllm18Fp8KVCacheDataTypeE0EhLi32ELi64ELi256ELb0ELi3EEvPKT_PKT0_S7_ifPKiS9_S9_iPKfiiiPfSC_PS2_PT2_iSB_SB_.num_vgpr, max(3, .L__assert_fail.num_vgpr)
	.set _Z39paged_attention_ll4mi_QKV_mfma16_kernelIDF16_DF16_LN4vllm18Fp8KVCacheDataTypeE0EhLi32ELi64ELi256ELb0ELi3EEvPKT_PKT0_S7_ifPKiS9_S9_iPKfiiiPfSC_PS2_PT2_iSB_SB_.num_agpr, max(0, .L__assert_fail.num_agpr)
	.set _Z39paged_attention_ll4mi_QKV_mfma16_kernelIDF16_DF16_LN4vllm18Fp8KVCacheDataTypeE0EhLi32ELi64ELi256ELb0ELi3EEvPKT_PKT0_S7_ifPKiS9_S9_iPKfiiiPfSC_PS2_PT2_iSB_SB_.numbered_sgpr, max(33, .L__assert_fail.numbered_sgpr)
	.set _Z39paged_attention_ll4mi_QKV_mfma16_kernelIDF16_DF16_LN4vllm18Fp8KVCacheDataTypeE0EhLi32ELi64ELi256ELb0ELi3EEvPKT_PKT0_S7_ifPKiS9_S9_iPKfiiiPfSC_PS2_PT2_iSB_SB_.num_named_barrier, max(0, .L__assert_fail.num_named_barrier)
	.set _Z39paged_attention_ll4mi_QKV_mfma16_kernelIDF16_DF16_LN4vllm18Fp8KVCacheDataTypeE0EhLi32ELi64ELi256ELb0ELi3EEvPKT_PKT0_S7_ifPKiS9_S9_iPKfiiiPfSC_PS2_PT2_iSB_SB_.private_seg_size, 0+max(.L__assert_fail.private_seg_size)
	.set _Z39paged_attention_ll4mi_QKV_mfma16_kernelIDF16_DF16_LN4vllm18Fp8KVCacheDataTypeE0EhLi32ELi64ELi256ELb0ELi3EEvPKT_PKT0_S7_ifPKiS9_S9_iPKfiiiPfSC_PS2_PT2_iSB_SB_.uses_vcc, or(1, .L__assert_fail.uses_vcc)
	.set _Z39paged_attention_ll4mi_QKV_mfma16_kernelIDF16_DF16_LN4vllm18Fp8KVCacheDataTypeE0EhLi32ELi64ELi256ELb0ELi3EEvPKT_PKT0_S7_ifPKiS9_S9_iPKfiiiPfSC_PS2_PT2_iSB_SB_.uses_flat_scratch, or(0, .L__assert_fail.uses_flat_scratch)
	.set _Z39paged_attention_ll4mi_QKV_mfma16_kernelIDF16_DF16_LN4vllm18Fp8KVCacheDataTypeE0EhLi32ELi64ELi256ELb0ELi3EEvPKT_PKT0_S7_ifPKiS9_S9_iPKfiiiPfSC_PS2_PT2_iSB_SB_.has_dyn_sized_stack, or(0, .L__assert_fail.has_dyn_sized_stack)
	.set _Z39paged_attention_ll4mi_QKV_mfma16_kernelIDF16_DF16_LN4vllm18Fp8KVCacheDataTypeE0EhLi32ELi64ELi256ELb0ELi3EEvPKT_PKT0_S7_ifPKiS9_S9_iPKfiiiPfSC_PS2_PT2_iSB_SB_.has_recursion, or(0, .L__assert_fail.has_recursion)
	.set _Z39paged_attention_ll4mi_QKV_mfma16_kernelIDF16_DF16_LN4vllm18Fp8KVCacheDataTypeE0EhLi32ELi64ELi256ELb0ELi3EEvPKT_PKT0_S7_ifPKiS9_S9_iPKfiiiPfSC_PS2_PT2_iSB_SB_.has_indirect_call, or(0, .L__assert_fail.has_indirect_call)
	.section	.AMDGPU.csdata,"",@progbits
; Kernel info:
; codeLenInByte = 68
; TotalNumSgprs: 36
; NumVgprs: 51
; ScratchSize: 64
; MemoryBound: 0
; FloatMode: 240
; IeeeMode: 1
; LDSByteSize: 0 bytes/workgroup (compile time only)
; SGPRBlocks: 0
; VGPRBlocks: 3
; NumSGPRsForWavesPerEU: 36
; NumVGPRsForWavesPerEU: 51
; NamedBarCnt: 0
; Occupancy: 16
; WaveLimiterHint : 1
; COMPUTE_PGM_RSRC2:SCRATCH_EN: 1
; COMPUTE_PGM_RSRC2:USER_SGPR: 2
; COMPUTE_PGM_RSRC2:TRAP_HANDLER: 0
; COMPUTE_PGM_RSRC2:TGID_X_EN: 1
; COMPUTE_PGM_RSRC2:TGID_Y_EN: 0
; COMPUTE_PGM_RSRC2:TGID_Z_EN: 0
; COMPUTE_PGM_RSRC2:TIDIG_COMP_CNT: 0
	.section	.text._Z39paged_attention_ll4mi_QKV_mfma16_kernelIDF16_DF16_LN4vllm18Fp8KVCacheDataTypeE0EhLi32ELi64ELi256ELb0ELi4EEvPKT_PKT0_S7_ifPKiS9_S9_iPKfiiiPfSC_PS2_PT2_iSB_SB_,"axG",@progbits,_Z39paged_attention_ll4mi_QKV_mfma16_kernelIDF16_DF16_LN4vllm18Fp8KVCacheDataTypeE0EhLi32ELi64ELi256ELb0ELi4EEvPKT_PKT0_S7_ifPKiS9_S9_iPKfiiiPfSC_PS2_PT2_iSB_SB_,comdat
	.protected	_Z39paged_attention_ll4mi_QKV_mfma16_kernelIDF16_DF16_LN4vllm18Fp8KVCacheDataTypeE0EhLi32ELi64ELi256ELb0ELi4EEvPKT_PKT0_S7_ifPKiS9_S9_iPKfiiiPfSC_PS2_PT2_iSB_SB_ ; -- Begin function _Z39paged_attention_ll4mi_QKV_mfma16_kernelIDF16_DF16_LN4vllm18Fp8KVCacheDataTypeE0EhLi32ELi64ELi256ELb0ELi4EEvPKT_PKT0_S7_ifPKiS9_S9_iPKfiiiPfSC_PS2_PT2_iSB_SB_
	.globl	_Z39paged_attention_ll4mi_QKV_mfma16_kernelIDF16_DF16_LN4vllm18Fp8KVCacheDataTypeE0EhLi32ELi64ELi256ELb0ELi4EEvPKT_PKT0_S7_ifPKiS9_S9_iPKfiiiPfSC_PS2_PT2_iSB_SB_
	.p2align	8
	.type	_Z39paged_attention_ll4mi_QKV_mfma16_kernelIDF16_DF16_LN4vllm18Fp8KVCacheDataTypeE0EhLi32ELi64ELi256ELb0ELi4EEvPKT_PKT0_S7_ifPKiS9_S9_iPKfiiiPfSC_PS2_PT2_iSB_SB_,@function
_Z39paged_attention_ll4mi_QKV_mfma16_kernelIDF16_DF16_LN4vllm18Fp8KVCacheDataTypeE0EhLi32ELi64ELi256ELb0ELi4EEvPKT_PKT0_S7_ifPKiS9_S9_iPKfiiiPfSC_PS2_PT2_iSB_SB_: ; @_Z39paged_attention_ll4mi_QKV_mfma16_kernelIDF16_DF16_LN4vllm18Fp8KVCacheDataTypeE0EhLi32ELi64ELi256ELb0ELi4EEvPKT_PKT0_S7_ifPKiS9_S9_iPKfiiiPfSC_PS2_PT2_iSB_SB_
; %bb.0:
	s_get_pc_i64 s[2:3]
	s_add_nc_u64 s[2:3], s[2:3], __PRETTY_FUNCTION__._Z39paged_attention_ll4mi_QKV_mfma16_kernelIDF16_DF16_LN4vllm18Fp8KVCacheDataTypeE0EhLi32ELi64ELi256ELb0ELi4EEvPKT_PKT0_S7_ifPKiS9_S9_iPKfiiiPfSC_PS2_PT2_iSB_SB_@rel64+4
	s_delay_alu instid0(SALU_CYCLE_1)
	v_dual_mov_b32 v0, 0xbb3 :: v_dual_mov_b32 v1, s2
	v_mov_b32_e32 v2, s3
	s_add_nc_u64 s[8:9], s[0:1], 0x90
	s_get_pc_i64 s[0:1]
	s_add_nc_u64 s[0:1], s[0:1], __assert_fail@rel64+4
	s_mov_b32 s32, 0
	s_swap_pc_i64 s[30:31], s[0:1]
	.section	.rodata,"a",@progbits
	.p2align	6, 0x0
	.amdhsa_kernel _Z39paged_attention_ll4mi_QKV_mfma16_kernelIDF16_DF16_LN4vllm18Fp8KVCacheDataTypeE0EhLi32ELi64ELi256ELb0ELi4EEvPKT_PKT0_S7_ifPKiS9_S9_iPKfiiiPfSC_PS2_PT2_iSB_SB_
		.amdhsa_group_segment_fixed_size 0
		.amdhsa_private_segment_fixed_size 64
		.amdhsa_kernarg_size 400
		.amdhsa_user_sgpr_count 2
		.amdhsa_user_sgpr_dispatch_ptr 0
		.amdhsa_user_sgpr_queue_ptr 0
		.amdhsa_user_sgpr_kernarg_segment_ptr 1
		.amdhsa_user_sgpr_dispatch_id 0
		.amdhsa_user_sgpr_kernarg_preload_length 0
		.amdhsa_user_sgpr_kernarg_preload_offset 0
		.amdhsa_user_sgpr_private_segment_size 0
		.amdhsa_wavefront_size32 1
		.amdhsa_uses_dynamic_stack 0
		.amdhsa_enable_private_segment 1
		.amdhsa_system_sgpr_workgroup_id_x 1
		.amdhsa_system_sgpr_workgroup_id_y 0
		.amdhsa_system_sgpr_workgroup_id_z 0
		.amdhsa_system_sgpr_workgroup_info 0
		.amdhsa_system_vgpr_workitem_id 0
		.amdhsa_next_free_vgpr 51
		.amdhsa_next_free_sgpr 34
		.amdhsa_named_barrier_count 0
		.amdhsa_reserve_vcc 1
		.amdhsa_float_round_mode_32 0
		.amdhsa_float_round_mode_16_64 0
		.amdhsa_float_denorm_mode_32 3
		.amdhsa_float_denorm_mode_16_64 3
		.amdhsa_fp16_overflow 0
		.amdhsa_memory_ordered 1
		.amdhsa_forward_progress 1
		.amdhsa_inst_pref_size 1
		.amdhsa_round_robin_scheduling 0
		.amdhsa_exception_fp_ieee_invalid_op 0
		.amdhsa_exception_fp_denorm_src 0
		.amdhsa_exception_fp_ieee_div_zero 0
		.amdhsa_exception_fp_ieee_overflow 0
		.amdhsa_exception_fp_ieee_underflow 0
		.amdhsa_exception_fp_ieee_inexact 0
		.amdhsa_exception_int_div_zero 0
	.end_amdhsa_kernel
	.section	.text._Z39paged_attention_ll4mi_QKV_mfma16_kernelIDF16_DF16_LN4vllm18Fp8KVCacheDataTypeE0EhLi32ELi64ELi256ELb0ELi4EEvPKT_PKT0_S7_ifPKiS9_S9_iPKfiiiPfSC_PS2_PT2_iSB_SB_,"axG",@progbits,_Z39paged_attention_ll4mi_QKV_mfma16_kernelIDF16_DF16_LN4vllm18Fp8KVCacheDataTypeE0EhLi32ELi64ELi256ELb0ELi4EEvPKT_PKT0_S7_ifPKiS9_S9_iPKfiiiPfSC_PS2_PT2_iSB_SB_,comdat
.Lfunc_end153:
	.size	_Z39paged_attention_ll4mi_QKV_mfma16_kernelIDF16_DF16_LN4vllm18Fp8KVCacheDataTypeE0EhLi32ELi64ELi256ELb0ELi4EEvPKT_PKT0_S7_ifPKiS9_S9_iPKfiiiPfSC_PS2_PT2_iSB_SB_, .Lfunc_end153-_Z39paged_attention_ll4mi_QKV_mfma16_kernelIDF16_DF16_LN4vllm18Fp8KVCacheDataTypeE0EhLi32ELi64ELi256ELb0ELi4EEvPKT_PKT0_S7_ifPKiS9_S9_iPKfiiiPfSC_PS2_PT2_iSB_SB_
                                        ; -- End function
	.set _Z39paged_attention_ll4mi_QKV_mfma16_kernelIDF16_DF16_LN4vllm18Fp8KVCacheDataTypeE0EhLi32ELi64ELi256ELb0ELi4EEvPKT_PKT0_S7_ifPKiS9_S9_iPKfiiiPfSC_PS2_PT2_iSB_SB_.num_vgpr, max(3, .L__assert_fail.num_vgpr)
	.set _Z39paged_attention_ll4mi_QKV_mfma16_kernelIDF16_DF16_LN4vllm18Fp8KVCacheDataTypeE0EhLi32ELi64ELi256ELb0ELi4EEvPKT_PKT0_S7_ifPKiS9_S9_iPKfiiiPfSC_PS2_PT2_iSB_SB_.num_agpr, max(0, .L__assert_fail.num_agpr)
	.set _Z39paged_attention_ll4mi_QKV_mfma16_kernelIDF16_DF16_LN4vllm18Fp8KVCacheDataTypeE0EhLi32ELi64ELi256ELb0ELi4EEvPKT_PKT0_S7_ifPKiS9_S9_iPKfiiiPfSC_PS2_PT2_iSB_SB_.numbered_sgpr, max(33, .L__assert_fail.numbered_sgpr)
	.set _Z39paged_attention_ll4mi_QKV_mfma16_kernelIDF16_DF16_LN4vllm18Fp8KVCacheDataTypeE0EhLi32ELi64ELi256ELb0ELi4EEvPKT_PKT0_S7_ifPKiS9_S9_iPKfiiiPfSC_PS2_PT2_iSB_SB_.num_named_barrier, max(0, .L__assert_fail.num_named_barrier)
	.set _Z39paged_attention_ll4mi_QKV_mfma16_kernelIDF16_DF16_LN4vllm18Fp8KVCacheDataTypeE0EhLi32ELi64ELi256ELb0ELi4EEvPKT_PKT0_S7_ifPKiS9_S9_iPKfiiiPfSC_PS2_PT2_iSB_SB_.private_seg_size, 0+max(.L__assert_fail.private_seg_size)
	.set _Z39paged_attention_ll4mi_QKV_mfma16_kernelIDF16_DF16_LN4vllm18Fp8KVCacheDataTypeE0EhLi32ELi64ELi256ELb0ELi4EEvPKT_PKT0_S7_ifPKiS9_S9_iPKfiiiPfSC_PS2_PT2_iSB_SB_.uses_vcc, or(1, .L__assert_fail.uses_vcc)
	.set _Z39paged_attention_ll4mi_QKV_mfma16_kernelIDF16_DF16_LN4vllm18Fp8KVCacheDataTypeE0EhLi32ELi64ELi256ELb0ELi4EEvPKT_PKT0_S7_ifPKiS9_S9_iPKfiiiPfSC_PS2_PT2_iSB_SB_.uses_flat_scratch, or(0, .L__assert_fail.uses_flat_scratch)
	.set _Z39paged_attention_ll4mi_QKV_mfma16_kernelIDF16_DF16_LN4vllm18Fp8KVCacheDataTypeE0EhLi32ELi64ELi256ELb0ELi4EEvPKT_PKT0_S7_ifPKiS9_S9_iPKfiiiPfSC_PS2_PT2_iSB_SB_.has_dyn_sized_stack, or(0, .L__assert_fail.has_dyn_sized_stack)
	.set _Z39paged_attention_ll4mi_QKV_mfma16_kernelIDF16_DF16_LN4vllm18Fp8KVCacheDataTypeE0EhLi32ELi64ELi256ELb0ELi4EEvPKT_PKT0_S7_ifPKiS9_S9_iPKfiiiPfSC_PS2_PT2_iSB_SB_.has_recursion, or(0, .L__assert_fail.has_recursion)
	.set _Z39paged_attention_ll4mi_QKV_mfma16_kernelIDF16_DF16_LN4vllm18Fp8KVCacheDataTypeE0EhLi32ELi64ELi256ELb0ELi4EEvPKT_PKT0_S7_ifPKiS9_S9_iPKfiiiPfSC_PS2_PT2_iSB_SB_.has_indirect_call, or(0, .L__assert_fail.has_indirect_call)
	.section	.AMDGPU.csdata,"",@progbits
; Kernel info:
; codeLenInByte = 68
; TotalNumSgprs: 36
; NumVgprs: 51
; ScratchSize: 64
; MemoryBound: 0
; FloatMode: 240
; IeeeMode: 1
; LDSByteSize: 0 bytes/workgroup (compile time only)
; SGPRBlocks: 0
; VGPRBlocks: 3
; NumSGPRsForWavesPerEU: 36
; NumVGPRsForWavesPerEU: 51
; NamedBarCnt: 0
; Occupancy: 16
; WaveLimiterHint : 1
; COMPUTE_PGM_RSRC2:SCRATCH_EN: 1
; COMPUTE_PGM_RSRC2:USER_SGPR: 2
; COMPUTE_PGM_RSRC2:TRAP_HANDLER: 0
; COMPUTE_PGM_RSRC2:TGID_X_EN: 1
; COMPUTE_PGM_RSRC2:TGID_Y_EN: 0
; COMPUTE_PGM_RSRC2:TGID_Z_EN: 0
; COMPUTE_PGM_RSRC2:TIDIG_COMP_CNT: 0
	.section	.text._Z38paged_attention_ll4mi_QKV_mfma4_kernelIDF16_DF16_LN4vllm18Fp8KVCacheDataTypeE0EDF16_Li32ELi64ELi256ELb1ELi1EEvPKT_PKT0_S7_ifPKiS9_S9_iPKfiiiPfSC_PS2_PT2_iSB_SB_,"axG",@progbits,_Z38paged_attention_ll4mi_QKV_mfma4_kernelIDF16_DF16_LN4vllm18Fp8KVCacheDataTypeE0EDF16_Li32ELi64ELi256ELb1ELi1EEvPKT_PKT0_S7_ifPKiS9_S9_iPKfiiiPfSC_PS2_PT2_iSB_SB_,comdat
	.protected	_Z38paged_attention_ll4mi_QKV_mfma4_kernelIDF16_DF16_LN4vllm18Fp8KVCacheDataTypeE0EDF16_Li32ELi64ELi256ELb1ELi1EEvPKT_PKT0_S7_ifPKiS9_S9_iPKfiiiPfSC_PS2_PT2_iSB_SB_ ; -- Begin function _Z38paged_attention_ll4mi_QKV_mfma4_kernelIDF16_DF16_LN4vllm18Fp8KVCacheDataTypeE0EDF16_Li32ELi64ELi256ELb1ELi1EEvPKT_PKT0_S7_ifPKiS9_S9_iPKfiiiPfSC_PS2_PT2_iSB_SB_
	.globl	_Z38paged_attention_ll4mi_QKV_mfma4_kernelIDF16_DF16_LN4vllm18Fp8KVCacheDataTypeE0EDF16_Li32ELi64ELi256ELb1ELi1EEvPKT_PKT0_S7_ifPKiS9_S9_iPKfiiiPfSC_PS2_PT2_iSB_SB_
	.p2align	8
	.type	_Z38paged_attention_ll4mi_QKV_mfma4_kernelIDF16_DF16_LN4vllm18Fp8KVCacheDataTypeE0EDF16_Li32ELi64ELi256ELb1ELi1EEvPKT_PKT0_S7_ifPKiS9_S9_iPKfiiiPfSC_PS2_PT2_iSB_SB_,@function
_Z38paged_attention_ll4mi_QKV_mfma4_kernelIDF16_DF16_LN4vllm18Fp8KVCacheDataTypeE0EDF16_Li32ELi64ELi256ELb1ELi1EEvPKT_PKT0_S7_ifPKiS9_S9_iPKfiiiPfSC_PS2_PT2_iSB_SB_: ; @_Z38paged_attention_ll4mi_QKV_mfma4_kernelIDF16_DF16_LN4vllm18Fp8KVCacheDataTypeE0EDF16_Li32ELi64ELi256ELb1ELi1EEvPKT_PKT0_S7_ifPKiS9_S9_iPKfiiiPfSC_PS2_PT2_iSB_SB_
; %bb.0:
	s_get_pc_i64 s[2:3]
	s_add_nc_u64 s[2:3], s[2:3], __PRETTY_FUNCTION__._Z38paged_attention_ll4mi_QKV_mfma4_kernelIDF16_DF16_LN4vllm18Fp8KVCacheDataTypeE0EDF16_Li32ELi64ELi256ELb1ELi1EEvPKT_PKT0_S7_ifPKiS9_S9_iPKfiiiPfSC_PS2_PT2_iSB_SB_@rel64+4
	s_delay_alu instid0(SALU_CYCLE_1)
	v_dual_mov_b32 v0, 0xbce :: v_dual_mov_b32 v1, s2
	v_mov_b32_e32 v2, s3
	s_add_nc_u64 s[8:9], s[0:1], 0x90
	s_get_pc_i64 s[0:1]
	s_add_nc_u64 s[0:1], s[0:1], __assert_fail@rel64+4
	s_mov_b32 s32, 0
	s_swap_pc_i64 s[30:31], s[0:1]
	.section	.rodata,"a",@progbits
	.p2align	6, 0x0
	.amdhsa_kernel _Z38paged_attention_ll4mi_QKV_mfma4_kernelIDF16_DF16_LN4vllm18Fp8KVCacheDataTypeE0EDF16_Li32ELi64ELi256ELb1ELi1EEvPKT_PKT0_S7_ifPKiS9_S9_iPKfiiiPfSC_PS2_PT2_iSB_SB_
		.amdhsa_group_segment_fixed_size 0
		.amdhsa_private_segment_fixed_size 64
		.amdhsa_kernarg_size 400
		.amdhsa_user_sgpr_count 2
		.amdhsa_user_sgpr_dispatch_ptr 0
		.amdhsa_user_sgpr_queue_ptr 0
		.amdhsa_user_sgpr_kernarg_segment_ptr 1
		.amdhsa_user_sgpr_dispatch_id 0
		.amdhsa_user_sgpr_kernarg_preload_length 0
		.amdhsa_user_sgpr_kernarg_preload_offset 0
		.amdhsa_user_sgpr_private_segment_size 0
		.amdhsa_wavefront_size32 1
		.amdhsa_uses_dynamic_stack 0
		.amdhsa_enable_private_segment 1
		.amdhsa_system_sgpr_workgroup_id_x 1
		.amdhsa_system_sgpr_workgroup_id_y 0
		.amdhsa_system_sgpr_workgroup_id_z 0
		.amdhsa_system_sgpr_workgroup_info 0
		.amdhsa_system_vgpr_workitem_id 0
		.amdhsa_next_free_vgpr 51
		.amdhsa_next_free_sgpr 34
		.amdhsa_named_barrier_count 0
		.amdhsa_reserve_vcc 1
		.amdhsa_float_round_mode_32 0
		.amdhsa_float_round_mode_16_64 0
		.amdhsa_float_denorm_mode_32 3
		.amdhsa_float_denorm_mode_16_64 3
		.amdhsa_fp16_overflow 0
		.amdhsa_memory_ordered 1
		.amdhsa_forward_progress 1
		.amdhsa_inst_pref_size 1
		.amdhsa_round_robin_scheduling 0
		.amdhsa_exception_fp_ieee_invalid_op 0
		.amdhsa_exception_fp_denorm_src 0
		.amdhsa_exception_fp_ieee_div_zero 0
		.amdhsa_exception_fp_ieee_overflow 0
		.amdhsa_exception_fp_ieee_underflow 0
		.amdhsa_exception_fp_ieee_inexact 0
		.amdhsa_exception_int_div_zero 0
	.end_amdhsa_kernel
	.section	.text._Z38paged_attention_ll4mi_QKV_mfma4_kernelIDF16_DF16_LN4vllm18Fp8KVCacheDataTypeE0EDF16_Li32ELi64ELi256ELb1ELi1EEvPKT_PKT0_S7_ifPKiS9_S9_iPKfiiiPfSC_PS2_PT2_iSB_SB_,"axG",@progbits,_Z38paged_attention_ll4mi_QKV_mfma4_kernelIDF16_DF16_LN4vllm18Fp8KVCacheDataTypeE0EDF16_Li32ELi64ELi256ELb1ELi1EEvPKT_PKT0_S7_ifPKiS9_S9_iPKfiiiPfSC_PS2_PT2_iSB_SB_,comdat
.Lfunc_end154:
	.size	_Z38paged_attention_ll4mi_QKV_mfma4_kernelIDF16_DF16_LN4vllm18Fp8KVCacheDataTypeE0EDF16_Li32ELi64ELi256ELb1ELi1EEvPKT_PKT0_S7_ifPKiS9_S9_iPKfiiiPfSC_PS2_PT2_iSB_SB_, .Lfunc_end154-_Z38paged_attention_ll4mi_QKV_mfma4_kernelIDF16_DF16_LN4vllm18Fp8KVCacheDataTypeE0EDF16_Li32ELi64ELi256ELb1ELi1EEvPKT_PKT0_S7_ifPKiS9_S9_iPKfiiiPfSC_PS2_PT2_iSB_SB_
                                        ; -- End function
	.set _Z38paged_attention_ll4mi_QKV_mfma4_kernelIDF16_DF16_LN4vllm18Fp8KVCacheDataTypeE0EDF16_Li32ELi64ELi256ELb1ELi1EEvPKT_PKT0_S7_ifPKiS9_S9_iPKfiiiPfSC_PS2_PT2_iSB_SB_.num_vgpr, max(3, .L__assert_fail.num_vgpr)
	.set _Z38paged_attention_ll4mi_QKV_mfma4_kernelIDF16_DF16_LN4vllm18Fp8KVCacheDataTypeE0EDF16_Li32ELi64ELi256ELb1ELi1EEvPKT_PKT0_S7_ifPKiS9_S9_iPKfiiiPfSC_PS2_PT2_iSB_SB_.num_agpr, max(0, .L__assert_fail.num_agpr)
	.set _Z38paged_attention_ll4mi_QKV_mfma4_kernelIDF16_DF16_LN4vllm18Fp8KVCacheDataTypeE0EDF16_Li32ELi64ELi256ELb1ELi1EEvPKT_PKT0_S7_ifPKiS9_S9_iPKfiiiPfSC_PS2_PT2_iSB_SB_.numbered_sgpr, max(33, .L__assert_fail.numbered_sgpr)
	.set _Z38paged_attention_ll4mi_QKV_mfma4_kernelIDF16_DF16_LN4vllm18Fp8KVCacheDataTypeE0EDF16_Li32ELi64ELi256ELb1ELi1EEvPKT_PKT0_S7_ifPKiS9_S9_iPKfiiiPfSC_PS2_PT2_iSB_SB_.num_named_barrier, max(0, .L__assert_fail.num_named_barrier)
	.set _Z38paged_attention_ll4mi_QKV_mfma4_kernelIDF16_DF16_LN4vllm18Fp8KVCacheDataTypeE0EDF16_Li32ELi64ELi256ELb1ELi1EEvPKT_PKT0_S7_ifPKiS9_S9_iPKfiiiPfSC_PS2_PT2_iSB_SB_.private_seg_size, 0+max(.L__assert_fail.private_seg_size)
	.set _Z38paged_attention_ll4mi_QKV_mfma4_kernelIDF16_DF16_LN4vllm18Fp8KVCacheDataTypeE0EDF16_Li32ELi64ELi256ELb1ELi1EEvPKT_PKT0_S7_ifPKiS9_S9_iPKfiiiPfSC_PS2_PT2_iSB_SB_.uses_vcc, or(1, .L__assert_fail.uses_vcc)
	.set _Z38paged_attention_ll4mi_QKV_mfma4_kernelIDF16_DF16_LN4vllm18Fp8KVCacheDataTypeE0EDF16_Li32ELi64ELi256ELb1ELi1EEvPKT_PKT0_S7_ifPKiS9_S9_iPKfiiiPfSC_PS2_PT2_iSB_SB_.uses_flat_scratch, or(0, .L__assert_fail.uses_flat_scratch)
	.set _Z38paged_attention_ll4mi_QKV_mfma4_kernelIDF16_DF16_LN4vllm18Fp8KVCacheDataTypeE0EDF16_Li32ELi64ELi256ELb1ELi1EEvPKT_PKT0_S7_ifPKiS9_S9_iPKfiiiPfSC_PS2_PT2_iSB_SB_.has_dyn_sized_stack, or(0, .L__assert_fail.has_dyn_sized_stack)
	.set _Z38paged_attention_ll4mi_QKV_mfma4_kernelIDF16_DF16_LN4vllm18Fp8KVCacheDataTypeE0EDF16_Li32ELi64ELi256ELb1ELi1EEvPKT_PKT0_S7_ifPKiS9_S9_iPKfiiiPfSC_PS2_PT2_iSB_SB_.has_recursion, or(0, .L__assert_fail.has_recursion)
	.set _Z38paged_attention_ll4mi_QKV_mfma4_kernelIDF16_DF16_LN4vllm18Fp8KVCacheDataTypeE0EDF16_Li32ELi64ELi256ELb1ELi1EEvPKT_PKT0_S7_ifPKiS9_S9_iPKfiiiPfSC_PS2_PT2_iSB_SB_.has_indirect_call, or(0, .L__assert_fail.has_indirect_call)
	.section	.AMDGPU.csdata,"",@progbits
; Kernel info:
; codeLenInByte = 68
; TotalNumSgprs: 36
; NumVgprs: 51
; ScratchSize: 64
; MemoryBound: 0
; FloatMode: 240
; IeeeMode: 1
; LDSByteSize: 0 bytes/workgroup (compile time only)
; SGPRBlocks: 0
; VGPRBlocks: 3
; NumSGPRsForWavesPerEU: 36
; NumVGPRsForWavesPerEU: 51
; NamedBarCnt: 0
; Occupancy: 16
; WaveLimiterHint : 1
; COMPUTE_PGM_RSRC2:SCRATCH_EN: 1
; COMPUTE_PGM_RSRC2:USER_SGPR: 2
; COMPUTE_PGM_RSRC2:TRAP_HANDLER: 0
; COMPUTE_PGM_RSRC2:TGID_X_EN: 1
; COMPUTE_PGM_RSRC2:TGID_Y_EN: 0
; COMPUTE_PGM_RSRC2:TGID_Z_EN: 0
; COMPUTE_PGM_RSRC2:TIDIG_COMP_CNT: 0
	.section	.text._Z38paged_attention_ll4mi_QKV_mfma4_kernelIDF16_DF16_LN4vllm18Fp8KVCacheDataTypeE0EDF16_Li32ELi64ELi256ELb1ELi2EEvPKT_PKT0_S7_ifPKiS9_S9_iPKfiiiPfSC_PS2_PT2_iSB_SB_,"axG",@progbits,_Z38paged_attention_ll4mi_QKV_mfma4_kernelIDF16_DF16_LN4vllm18Fp8KVCacheDataTypeE0EDF16_Li32ELi64ELi256ELb1ELi2EEvPKT_PKT0_S7_ifPKiS9_S9_iPKfiiiPfSC_PS2_PT2_iSB_SB_,comdat
	.protected	_Z38paged_attention_ll4mi_QKV_mfma4_kernelIDF16_DF16_LN4vllm18Fp8KVCacheDataTypeE0EDF16_Li32ELi64ELi256ELb1ELi2EEvPKT_PKT0_S7_ifPKiS9_S9_iPKfiiiPfSC_PS2_PT2_iSB_SB_ ; -- Begin function _Z38paged_attention_ll4mi_QKV_mfma4_kernelIDF16_DF16_LN4vllm18Fp8KVCacheDataTypeE0EDF16_Li32ELi64ELi256ELb1ELi2EEvPKT_PKT0_S7_ifPKiS9_S9_iPKfiiiPfSC_PS2_PT2_iSB_SB_
	.globl	_Z38paged_attention_ll4mi_QKV_mfma4_kernelIDF16_DF16_LN4vllm18Fp8KVCacheDataTypeE0EDF16_Li32ELi64ELi256ELb1ELi2EEvPKT_PKT0_S7_ifPKiS9_S9_iPKfiiiPfSC_PS2_PT2_iSB_SB_
	.p2align	8
	.type	_Z38paged_attention_ll4mi_QKV_mfma4_kernelIDF16_DF16_LN4vllm18Fp8KVCacheDataTypeE0EDF16_Li32ELi64ELi256ELb1ELi2EEvPKT_PKT0_S7_ifPKiS9_S9_iPKfiiiPfSC_PS2_PT2_iSB_SB_,@function
_Z38paged_attention_ll4mi_QKV_mfma4_kernelIDF16_DF16_LN4vllm18Fp8KVCacheDataTypeE0EDF16_Li32ELi64ELi256ELb1ELi2EEvPKT_PKT0_S7_ifPKiS9_S9_iPKfiiiPfSC_PS2_PT2_iSB_SB_: ; @_Z38paged_attention_ll4mi_QKV_mfma4_kernelIDF16_DF16_LN4vllm18Fp8KVCacheDataTypeE0EDF16_Li32ELi64ELi256ELb1ELi2EEvPKT_PKT0_S7_ifPKiS9_S9_iPKfiiiPfSC_PS2_PT2_iSB_SB_
; %bb.0:
	s_get_pc_i64 s[2:3]
	s_add_nc_u64 s[2:3], s[2:3], __PRETTY_FUNCTION__._Z38paged_attention_ll4mi_QKV_mfma4_kernelIDF16_DF16_LN4vllm18Fp8KVCacheDataTypeE0EDF16_Li32ELi64ELi256ELb1ELi2EEvPKT_PKT0_S7_ifPKiS9_S9_iPKfiiiPfSC_PS2_PT2_iSB_SB_@rel64+4
	s_delay_alu instid0(SALU_CYCLE_1)
	v_dual_mov_b32 v0, 0xbce :: v_dual_mov_b32 v1, s2
	v_mov_b32_e32 v2, s3
	s_add_nc_u64 s[8:9], s[0:1], 0x90
	s_get_pc_i64 s[0:1]
	s_add_nc_u64 s[0:1], s[0:1], __assert_fail@rel64+4
	s_mov_b32 s32, 0
	s_swap_pc_i64 s[30:31], s[0:1]
	.section	.rodata,"a",@progbits
	.p2align	6, 0x0
	.amdhsa_kernel _Z38paged_attention_ll4mi_QKV_mfma4_kernelIDF16_DF16_LN4vllm18Fp8KVCacheDataTypeE0EDF16_Li32ELi64ELi256ELb1ELi2EEvPKT_PKT0_S7_ifPKiS9_S9_iPKfiiiPfSC_PS2_PT2_iSB_SB_
		.amdhsa_group_segment_fixed_size 0
		.amdhsa_private_segment_fixed_size 64
		.amdhsa_kernarg_size 400
		.amdhsa_user_sgpr_count 2
		.amdhsa_user_sgpr_dispatch_ptr 0
		.amdhsa_user_sgpr_queue_ptr 0
		.amdhsa_user_sgpr_kernarg_segment_ptr 1
		.amdhsa_user_sgpr_dispatch_id 0
		.amdhsa_user_sgpr_kernarg_preload_length 0
		.amdhsa_user_sgpr_kernarg_preload_offset 0
		.amdhsa_user_sgpr_private_segment_size 0
		.amdhsa_wavefront_size32 1
		.amdhsa_uses_dynamic_stack 0
		.amdhsa_enable_private_segment 1
		.amdhsa_system_sgpr_workgroup_id_x 1
		.amdhsa_system_sgpr_workgroup_id_y 0
		.amdhsa_system_sgpr_workgroup_id_z 0
		.amdhsa_system_sgpr_workgroup_info 0
		.amdhsa_system_vgpr_workitem_id 0
		.amdhsa_next_free_vgpr 51
		.amdhsa_next_free_sgpr 34
		.amdhsa_named_barrier_count 0
		.amdhsa_reserve_vcc 1
		.amdhsa_float_round_mode_32 0
		.amdhsa_float_round_mode_16_64 0
		.amdhsa_float_denorm_mode_32 3
		.amdhsa_float_denorm_mode_16_64 3
		.amdhsa_fp16_overflow 0
		.amdhsa_memory_ordered 1
		.amdhsa_forward_progress 1
		.amdhsa_inst_pref_size 1
		.amdhsa_round_robin_scheduling 0
		.amdhsa_exception_fp_ieee_invalid_op 0
		.amdhsa_exception_fp_denorm_src 0
		.amdhsa_exception_fp_ieee_div_zero 0
		.amdhsa_exception_fp_ieee_overflow 0
		.amdhsa_exception_fp_ieee_underflow 0
		.amdhsa_exception_fp_ieee_inexact 0
		.amdhsa_exception_int_div_zero 0
	.end_amdhsa_kernel
	.section	.text._Z38paged_attention_ll4mi_QKV_mfma4_kernelIDF16_DF16_LN4vllm18Fp8KVCacheDataTypeE0EDF16_Li32ELi64ELi256ELb1ELi2EEvPKT_PKT0_S7_ifPKiS9_S9_iPKfiiiPfSC_PS2_PT2_iSB_SB_,"axG",@progbits,_Z38paged_attention_ll4mi_QKV_mfma4_kernelIDF16_DF16_LN4vllm18Fp8KVCacheDataTypeE0EDF16_Li32ELi64ELi256ELb1ELi2EEvPKT_PKT0_S7_ifPKiS9_S9_iPKfiiiPfSC_PS2_PT2_iSB_SB_,comdat
.Lfunc_end155:
	.size	_Z38paged_attention_ll4mi_QKV_mfma4_kernelIDF16_DF16_LN4vllm18Fp8KVCacheDataTypeE0EDF16_Li32ELi64ELi256ELb1ELi2EEvPKT_PKT0_S7_ifPKiS9_S9_iPKfiiiPfSC_PS2_PT2_iSB_SB_, .Lfunc_end155-_Z38paged_attention_ll4mi_QKV_mfma4_kernelIDF16_DF16_LN4vllm18Fp8KVCacheDataTypeE0EDF16_Li32ELi64ELi256ELb1ELi2EEvPKT_PKT0_S7_ifPKiS9_S9_iPKfiiiPfSC_PS2_PT2_iSB_SB_
                                        ; -- End function
	.set _Z38paged_attention_ll4mi_QKV_mfma4_kernelIDF16_DF16_LN4vllm18Fp8KVCacheDataTypeE0EDF16_Li32ELi64ELi256ELb1ELi2EEvPKT_PKT0_S7_ifPKiS9_S9_iPKfiiiPfSC_PS2_PT2_iSB_SB_.num_vgpr, max(3, .L__assert_fail.num_vgpr)
	.set _Z38paged_attention_ll4mi_QKV_mfma4_kernelIDF16_DF16_LN4vllm18Fp8KVCacheDataTypeE0EDF16_Li32ELi64ELi256ELb1ELi2EEvPKT_PKT0_S7_ifPKiS9_S9_iPKfiiiPfSC_PS2_PT2_iSB_SB_.num_agpr, max(0, .L__assert_fail.num_agpr)
	.set _Z38paged_attention_ll4mi_QKV_mfma4_kernelIDF16_DF16_LN4vllm18Fp8KVCacheDataTypeE0EDF16_Li32ELi64ELi256ELb1ELi2EEvPKT_PKT0_S7_ifPKiS9_S9_iPKfiiiPfSC_PS2_PT2_iSB_SB_.numbered_sgpr, max(33, .L__assert_fail.numbered_sgpr)
	.set _Z38paged_attention_ll4mi_QKV_mfma4_kernelIDF16_DF16_LN4vllm18Fp8KVCacheDataTypeE0EDF16_Li32ELi64ELi256ELb1ELi2EEvPKT_PKT0_S7_ifPKiS9_S9_iPKfiiiPfSC_PS2_PT2_iSB_SB_.num_named_barrier, max(0, .L__assert_fail.num_named_barrier)
	.set _Z38paged_attention_ll4mi_QKV_mfma4_kernelIDF16_DF16_LN4vllm18Fp8KVCacheDataTypeE0EDF16_Li32ELi64ELi256ELb1ELi2EEvPKT_PKT0_S7_ifPKiS9_S9_iPKfiiiPfSC_PS2_PT2_iSB_SB_.private_seg_size, 0+max(.L__assert_fail.private_seg_size)
	.set _Z38paged_attention_ll4mi_QKV_mfma4_kernelIDF16_DF16_LN4vllm18Fp8KVCacheDataTypeE0EDF16_Li32ELi64ELi256ELb1ELi2EEvPKT_PKT0_S7_ifPKiS9_S9_iPKfiiiPfSC_PS2_PT2_iSB_SB_.uses_vcc, or(1, .L__assert_fail.uses_vcc)
	.set _Z38paged_attention_ll4mi_QKV_mfma4_kernelIDF16_DF16_LN4vllm18Fp8KVCacheDataTypeE0EDF16_Li32ELi64ELi256ELb1ELi2EEvPKT_PKT0_S7_ifPKiS9_S9_iPKfiiiPfSC_PS2_PT2_iSB_SB_.uses_flat_scratch, or(0, .L__assert_fail.uses_flat_scratch)
	.set _Z38paged_attention_ll4mi_QKV_mfma4_kernelIDF16_DF16_LN4vllm18Fp8KVCacheDataTypeE0EDF16_Li32ELi64ELi256ELb1ELi2EEvPKT_PKT0_S7_ifPKiS9_S9_iPKfiiiPfSC_PS2_PT2_iSB_SB_.has_dyn_sized_stack, or(0, .L__assert_fail.has_dyn_sized_stack)
	.set _Z38paged_attention_ll4mi_QKV_mfma4_kernelIDF16_DF16_LN4vllm18Fp8KVCacheDataTypeE0EDF16_Li32ELi64ELi256ELb1ELi2EEvPKT_PKT0_S7_ifPKiS9_S9_iPKfiiiPfSC_PS2_PT2_iSB_SB_.has_recursion, or(0, .L__assert_fail.has_recursion)
	.set _Z38paged_attention_ll4mi_QKV_mfma4_kernelIDF16_DF16_LN4vllm18Fp8KVCacheDataTypeE0EDF16_Li32ELi64ELi256ELb1ELi2EEvPKT_PKT0_S7_ifPKiS9_S9_iPKfiiiPfSC_PS2_PT2_iSB_SB_.has_indirect_call, or(0, .L__assert_fail.has_indirect_call)
	.section	.AMDGPU.csdata,"",@progbits
; Kernel info:
; codeLenInByte = 68
; TotalNumSgprs: 36
; NumVgprs: 51
; ScratchSize: 64
; MemoryBound: 0
; FloatMode: 240
; IeeeMode: 1
; LDSByteSize: 0 bytes/workgroup (compile time only)
; SGPRBlocks: 0
; VGPRBlocks: 3
; NumSGPRsForWavesPerEU: 36
; NumVGPRsForWavesPerEU: 51
; NamedBarCnt: 0
; Occupancy: 16
; WaveLimiterHint : 1
; COMPUTE_PGM_RSRC2:SCRATCH_EN: 1
; COMPUTE_PGM_RSRC2:USER_SGPR: 2
; COMPUTE_PGM_RSRC2:TRAP_HANDLER: 0
; COMPUTE_PGM_RSRC2:TGID_X_EN: 1
; COMPUTE_PGM_RSRC2:TGID_Y_EN: 0
; COMPUTE_PGM_RSRC2:TGID_Z_EN: 0
; COMPUTE_PGM_RSRC2:TIDIG_COMP_CNT: 0
	.section	.text._Z38paged_attention_ll4mi_QKV_mfma4_kernelIDF16_DF16_LN4vllm18Fp8KVCacheDataTypeE0EDF16_Li32ELi64ELi256ELb1ELi3EEvPKT_PKT0_S7_ifPKiS9_S9_iPKfiiiPfSC_PS2_PT2_iSB_SB_,"axG",@progbits,_Z38paged_attention_ll4mi_QKV_mfma4_kernelIDF16_DF16_LN4vllm18Fp8KVCacheDataTypeE0EDF16_Li32ELi64ELi256ELb1ELi3EEvPKT_PKT0_S7_ifPKiS9_S9_iPKfiiiPfSC_PS2_PT2_iSB_SB_,comdat
	.protected	_Z38paged_attention_ll4mi_QKV_mfma4_kernelIDF16_DF16_LN4vllm18Fp8KVCacheDataTypeE0EDF16_Li32ELi64ELi256ELb1ELi3EEvPKT_PKT0_S7_ifPKiS9_S9_iPKfiiiPfSC_PS2_PT2_iSB_SB_ ; -- Begin function _Z38paged_attention_ll4mi_QKV_mfma4_kernelIDF16_DF16_LN4vllm18Fp8KVCacheDataTypeE0EDF16_Li32ELi64ELi256ELb1ELi3EEvPKT_PKT0_S7_ifPKiS9_S9_iPKfiiiPfSC_PS2_PT2_iSB_SB_
	.globl	_Z38paged_attention_ll4mi_QKV_mfma4_kernelIDF16_DF16_LN4vllm18Fp8KVCacheDataTypeE0EDF16_Li32ELi64ELi256ELb1ELi3EEvPKT_PKT0_S7_ifPKiS9_S9_iPKfiiiPfSC_PS2_PT2_iSB_SB_
	.p2align	8
	.type	_Z38paged_attention_ll4mi_QKV_mfma4_kernelIDF16_DF16_LN4vllm18Fp8KVCacheDataTypeE0EDF16_Li32ELi64ELi256ELb1ELi3EEvPKT_PKT0_S7_ifPKiS9_S9_iPKfiiiPfSC_PS2_PT2_iSB_SB_,@function
_Z38paged_attention_ll4mi_QKV_mfma4_kernelIDF16_DF16_LN4vllm18Fp8KVCacheDataTypeE0EDF16_Li32ELi64ELi256ELb1ELi3EEvPKT_PKT0_S7_ifPKiS9_S9_iPKfiiiPfSC_PS2_PT2_iSB_SB_: ; @_Z38paged_attention_ll4mi_QKV_mfma4_kernelIDF16_DF16_LN4vllm18Fp8KVCacheDataTypeE0EDF16_Li32ELi64ELi256ELb1ELi3EEvPKT_PKT0_S7_ifPKiS9_S9_iPKfiiiPfSC_PS2_PT2_iSB_SB_
; %bb.0:
	s_get_pc_i64 s[2:3]
	s_add_nc_u64 s[2:3], s[2:3], __PRETTY_FUNCTION__._Z38paged_attention_ll4mi_QKV_mfma4_kernelIDF16_DF16_LN4vllm18Fp8KVCacheDataTypeE0EDF16_Li32ELi64ELi256ELb1ELi3EEvPKT_PKT0_S7_ifPKiS9_S9_iPKfiiiPfSC_PS2_PT2_iSB_SB_@rel64+4
	s_delay_alu instid0(SALU_CYCLE_1)
	v_dual_mov_b32 v0, 0xbce :: v_dual_mov_b32 v1, s2
	v_mov_b32_e32 v2, s3
	s_add_nc_u64 s[8:9], s[0:1], 0x90
	s_get_pc_i64 s[0:1]
	s_add_nc_u64 s[0:1], s[0:1], __assert_fail@rel64+4
	s_mov_b32 s32, 0
	s_swap_pc_i64 s[30:31], s[0:1]
	.section	.rodata,"a",@progbits
	.p2align	6, 0x0
	.amdhsa_kernel _Z38paged_attention_ll4mi_QKV_mfma4_kernelIDF16_DF16_LN4vllm18Fp8KVCacheDataTypeE0EDF16_Li32ELi64ELi256ELb1ELi3EEvPKT_PKT0_S7_ifPKiS9_S9_iPKfiiiPfSC_PS2_PT2_iSB_SB_
		.amdhsa_group_segment_fixed_size 0
		.amdhsa_private_segment_fixed_size 64
		.amdhsa_kernarg_size 400
		.amdhsa_user_sgpr_count 2
		.amdhsa_user_sgpr_dispatch_ptr 0
		.amdhsa_user_sgpr_queue_ptr 0
		.amdhsa_user_sgpr_kernarg_segment_ptr 1
		.amdhsa_user_sgpr_dispatch_id 0
		.amdhsa_user_sgpr_kernarg_preload_length 0
		.amdhsa_user_sgpr_kernarg_preload_offset 0
		.amdhsa_user_sgpr_private_segment_size 0
		.amdhsa_wavefront_size32 1
		.amdhsa_uses_dynamic_stack 0
		.amdhsa_enable_private_segment 1
		.amdhsa_system_sgpr_workgroup_id_x 1
		.amdhsa_system_sgpr_workgroup_id_y 0
		.amdhsa_system_sgpr_workgroup_id_z 0
		.amdhsa_system_sgpr_workgroup_info 0
		.amdhsa_system_vgpr_workitem_id 0
		.amdhsa_next_free_vgpr 51
		.amdhsa_next_free_sgpr 34
		.amdhsa_named_barrier_count 0
		.amdhsa_reserve_vcc 1
		.amdhsa_float_round_mode_32 0
		.amdhsa_float_round_mode_16_64 0
		.amdhsa_float_denorm_mode_32 3
		.amdhsa_float_denorm_mode_16_64 3
		.amdhsa_fp16_overflow 0
		.amdhsa_memory_ordered 1
		.amdhsa_forward_progress 1
		.amdhsa_inst_pref_size 1
		.amdhsa_round_robin_scheduling 0
		.amdhsa_exception_fp_ieee_invalid_op 0
		.amdhsa_exception_fp_denorm_src 0
		.amdhsa_exception_fp_ieee_div_zero 0
		.amdhsa_exception_fp_ieee_overflow 0
		.amdhsa_exception_fp_ieee_underflow 0
		.amdhsa_exception_fp_ieee_inexact 0
		.amdhsa_exception_int_div_zero 0
	.end_amdhsa_kernel
	.section	.text._Z38paged_attention_ll4mi_QKV_mfma4_kernelIDF16_DF16_LN4vllm18Fp8KVCacheDataTypeE0EDF16_Li32ELi64ELi256ELb1ELi3EEvPKT_PKT0_S7_ifPKiS9_S9_iPKfiiiPfSC_PS2_PT2_iSB_SB_,"axG",@progbits,_Z38paged_attention_ll4mi_QKV_mfma4_kernelIDF16_DF16_LN4vllm18Fp8KVCacheDataTypeE0EDF16_Li32ELi64ELi256ELb1ELi3EEvPKT_PKT0_S7_ifPKiS9_S9_iPKfiiiPfSC_PS2_PT2_iSB_SB_,comdat
.Lfunc_end156:
	.size	_Z38paged_attention_ll4mi_QKV_mfma4_kernelIDF16_DF16_LN4vllm18Fp8KVCacheDataTypeE0EDF16_Li32ELi64ELi256ELb1ELi3EEvPKT_PKT0_S7_ifPKiS9_S9_iPKfiiiPfSC_PS2_PT2_iSB_SB_, .Lfunc_end156-_Z38paged_attention_ll4mi_QKV_mfma4_kernelIDF16_DF16_LN4vllm18Fp8KVCacheDataTypeE0EDF16_Li32ELi64ELi256ELb1ELi3EEvPKT_PKT0_S7_ifPKiS9_S9_iPKfiiiPfSC_PS2_PT2_iSB_SB_
                                        ; -- End function
	.set _Z38paged_attention_ll4mi_QKV_mfma4_kernelIDF16_DF16_LN4vllm18Fp8KVCacheDataTypeE0EDF16_Li32ELi64ELi256ELb1ELi3EEvPKT_PKT0_S7_ifPKiS9_S9_iPKfiiiPfSC_PS2_PT2_iSB_SB_.num_vgpr, max(3, .L__assert_fail.num_vgpr)
	.set _Z38paged_attention_ll4mi_QKV_mfma4_kernelIDF16_DF16_LN4vllm18Fp8KVCacheDataTypeE0EDF16_Li32ELi64ELi256ELb1ELi3EEvPKT_PKT0_S7_ifPKiS9_S9_iPKfiiiPfSC_PS2_PT2_iSB_SB_.num_agpr, max(0, .L__assert_fail.num_agpr)
	.set _Z38paged_attention_ll4mi_QKV_mfma4_kernelIDF16_DF16_LN4vllm18Fp8KVCacheDataTypeE0EDF16_Li32ELi64ELi256ELb1ELi3EEvPKT_PKT0_S7_ifPKiS9_S9_iPKfiiiPfSC_PS2_PT2_iSB_SB_.numbered_sgpr, max(33, .L__assert_fail.numbered_sgpr)
	.set _Z38paged_attention_ll4mi_QKV_mfma4_kernelIDF16_DF16_LN4vllm18Fp8KVCacheDataTypeE0EDF16_Li32ELi64ELi256ELb1ELi3EEvPKT_PKT0_S7_ifPKiS9_S9_iPKfiiiPfSC_PS2_PT2_iSB_SB_.num_named_barrier, max(0, .L__assert_fail.num_named_barrier)
	.set _Z38paged_attention_ll4mi_QKV_mfma4_kernelIDF16_DF16_LN4vllm18Fp8KVCacheDataTypeE0EDF16_Li32ELi64ELi256ELb1ELi3EEvPKT_PKT0_S7_ifPKiS9_S9_iPKfiiiPfSC_PS2_PT2_iSB_SB_.private_seg_size, 0+max(.L__assert_fail.private_seg_size)
	.set _Z38paged_attention_ll4mi_QKV_mfma4_kernelIDF16_DF16_LN4vllm18Fp8KVCacheDataTypeE0EDF16_Li32ELi64ELi256ELb1ELi3EEvPKT_PKT0_S7_ifPKiS9_S9_iPKfiiiPfSC_PS2_PT2_iSB_SB_.uses_vcc, or(1, .L__assert_fail.uses_vcc)
	.set _Z38paged_attention_ll4mi_QKV_mfma4_kernelIDF16_DF16_LN4vllm18Fp8KVCacheDataTypeE0EDF16_Li32ELi64ELi256ELb1ELi3EEvPKT_PKT0_S7_ifPKiS9_S9_iPKfiiiPfSC_PS2_PT2_iSB_SB_.uses_flat_scratch, or(0, .L__assert_fail.uses_flat_scratch)
	.set _Z38paged_attention_ll4mi_QKV_mfma4_kernelIDF16_DF16_LN4vllm18Fp8KVCacheDataTypeE0EDF16_Li32ELi64ELi256ELb1ELi3EEvPKT_PKT0_S7_ifPKiS9_S9_iPKfiiiPfSC_PS2_PT2_iSB_SB_.has_dyn_sized_stack, or(0, .L__assert_fail.has_dyn_sized_stack)
	.set _Z38paged_attention_ll4mi_QKV_mfma4_kernelIDF16_DF16_LN4vllm18Fp8KVCacheDataTypeE0EDF16_Li32ELi64ELi256ELb1ELi3EEvPKT_PKT0_S7_ifPKiS9_S9_iPKfiiiPfSC_PS2_PT2_iSB_SB_.has_recursion, or(0, .L__assert_fail.has_recursion)
	.set _Z38paged_attention_ll4mi_QKV_mfma4_kernelIDF16_DF16_LN4vllm18Fp8KVCacheDataTypeE0EDF16_Li32ELi64ELi256ELb1ELi3EEvPKT_PKT0_S7_ifPKiS9_S9_iPKfiiiPfSC_PS2_PT2_iSB_SB_.has_indirect_call, or(0, .L__assert_fail.has_indirect_call)
	.section	.AMDGPU.csdata,"",@progbits
; Kernel info:
; codeLenInByte = 68
; TotalNumSgprs: 36
; NumVgprs: 51
; ScratchSize: 64
; MemoryBound: 0
; FloatMode: 240
; IeeeMode: 1
; LDSByteSize: 0 bytes/workgroup (compile time only)
; SGPRBlocks: 0
; VGPRBlocks: 3
; NumSGPRsForWavesPerEU: 36
; NumVGPRsForWavesPerEU: 51
; NamedBarCnt: 0
; Occupancy: 16
; WaveLimiterHint : 1
; COMPUTE_PGM_RSRC2:SCRATCH_EN: 1
; COMPUTE_PGM_RSRC2:USER_SGPR: 2
; COMPUTE_PGM_RSRC2:TRAP_HANDLER: 0
; COMPUTE_PGM_RSRC2:TGID_X_EN: 1
; COMPUTE_PGM_RSRC2:TGID_Y_EN: 0
; COMPUTE_PGM_RSRC2:TGID_Z_EN: 0
; COMPUTE_PGM_RSRC2:TIDIG_COMP_CNT: 0
	.section	.text._Z38paged_attention_ll4mi_QKV_mfma4_kernelIDF16_DF16_LN4vllm18Fp8KVCacheDataTypeE0EDF16_Li32ELi64ELi256ELb1ELi4EEvPKT_PKT0_S7_ifPKiS9_S9_iPKfiiiPfSC_PS2_PT2_iSB_SB_,"axG",@progbits,_Z38paged_attention_ll4mi_QKV_mfma4_kernelIDF16_DF16_LN4vllm18Fp8KVCacheDataTypeE0EDF16_Li32ELi64ELi256ELb1ELi4EEvPKT_PKT0_S7_ifPKiS9_S9_iPKfiiiPfSC_PS2_PT2_iSB_SB_,comdat
	.protected	_Z38paged_attention_ll4mi_QKV_mfma4_kernelIDF16_DF16_LN4vllm18Fp8KVCacheDataTypeE0EDF16_Li32ELi64ELi256ELb1ELi4EEvPKT_PKT0_S7_ifPKiS9_S9_iPKfiiiPfSC_PS2_PT2_iSB_SB_ ; -- Begin function _Z38paged_attention_ll4mi_QKV_mfma4_kernelIDF16_DF16_LN4vllm18Fp8KVCacheDataTypeE0EDF16_Li32ELi64ELi256ELb1ELi4EEvPKT_PKT0_S7_ifPKiS9_S9_iPKfiiiPfSC_PS2_PT2_iSB_SB_
	.globl	_Z38paged_attention_ll4mi_QKV_mfma4_kernelIDF16_DF16_LN4vllm18Fp8KVCacheDataTypeE0EDF16_Li32ELi64ELi256ELb1ELi4EEvPKT_PKT0_S7_ifPKiS9_S9_iPKfiiiPfSC_PS2_PT2_iSB_SB_
	.p2align	8
	.type	_Z38paged_attention_ll4mi_QKV_mfma4_kernelIDF16_DF16_LN4vllm18Fp8KVCacheDataTypeE0EDF16_Li32ELi64ELi256ELb1ELi4EEvPKT_PKT0_S7_ifPKiS9_S9_iPKfiiiPfSC_PS2_PT2_iSB_SB_,@function
_Z38paged_attention_ll4mi_QKV_mfma4_kernelIDF16_DF16_LN4vllm18Fp8KVCacheDataTypeE0EDF16_Li32ELi64ELi256ELb1ELi4EEvPKT_PKT0_S7_ifPKiS9_S9_iPKfiiiPfSC_PS2_PT2_iSB_SB_: ; @_Z38paged_attention_ll4mi_QKV_mfma4_kernelIDF16_DF16_LN4vllm18Fp8KVCacheDataTypeE0EDF16_Li32ELi64ELi256ELb1ELi4EEvPKT_PKT0_S7_ifPKiS9_S9_iPKfiiiPfSC_PS2_PT2_iSB_SB_
; %bb.0:
	s_get_pc_i64 s[2:3]
	s_add_nc_u64 s[2:3], s[2:3], __PRETTY_FUNCTION__._Z38paged_attention_ll4mi_QKV_mfma4_kernelIDF16_DF16_LN4vllm18Fp8KVCacheDataTypeE0EDF16_Li32ELi64ELi256ELb1ELi4EEvPKT_PKT0_S7_ifPKiS9_S9_iPKfiiiPfSC_PS2_PT2_iSB_SB_@rel64+4
	s_delay_alu instid0(SALU_CYCLE_1)
	v_dual_mov_b32 v0, 0xbce :: v_dual_mov_b32 v1, s2
	v_mov_b32_e32 v2, s3
	s_add_nc_u64 s[8:9], s[0:1], 0x90
	s_get_pc_i64 s[0:1]
	s_add_nc_u64 s[0:1], s[0:1], __assert_fail@rel64+4
	s_mov_b32 s32, 0
	s_swap_pc_i64 s[30:31], s[0:1]
	.section	.rodata,"a",@progbits
	.p2align	6, 0x0
	.amdhsa_kernel _Z38paged_attention_ll4mi_QKV_mfma4_kernelIDF16_DF16_LN4vllm18Fp8KVCacheDataTypeE0EDF16_Li32ELi64ELi256ELb1ELi4EEvPKT_PKT0_S7_ifPKiS9_S9_iPKfiiiPfSC_PS2_PT2_iSB_SB_
		.amdhsa_group_segment_fixed_size 0
		.amdhsa_private_segment_fixed_size 64
		.amdhsa_kernarg_size 400
		.amdhsa_user_sgpr_count 2
		.amdhsa_user_sgpr_dispatch_ptr 0
		.amdhsa_user_sgpr_queue_ptr 0
		.amdhsa_user_sgpr_kernarg_segment_ptr 1
		.amdhsa_user_sgpr_dispatch_id 0
		.amdhsa_user_sgpr_kernarg_preload_length 0
		.amdhsa_user_sgpr_kernarg_preload_offset 0
		.amdhsa_user_sgpr_private_segment_size 0
		.amdhsa_wavefront_size32 1
		.amdhsa_uses_dynamic_stack 0
		.amdhsa_enable_private_segment 1
		.amdhsa_system_sgpr_workgroup_id_x 1
		.amdhsa_system_sgpr_workgroup_id_y 0
		.amdhsa_system_sgpr_workgroup_id_z 0
		.amdhsa_system_sgpr_workgroup_info 0
		.amdhsa_system_vgpr_workitem_id 0
		.amdhsa_next_free_vgpr 51
		.amdhsa_next_free_sgpr 34
		.amdhsa_named_barrier_count 0
		.amdhsa_reserve_vcc 1
		.amdhsa_float_round_mode_32 0
		.amdhsa_float_round_mode_16_64 0
		.amdhsa_float_denorm_mode_32 3
		.amdhsa_float_denorm_mode_16_64 3
		.amdhsa_fp16_overflow 0
		.amdhsa_memory_ordered 1
		.amdhsa_forward_progress 1
		.amdhsa_inst_pref_size 1
		.amdhsa_round_robin_scheduling 0
		.amdhsa_exception_fp_ieee_invalid_op 0
		.amdhsa_exception_fp_denorm_src 0
		.amdhsa_exception_fp_ieee_div_zero 0
		.amdhsa_exception_fp_ieee_overflow 0
		.amdhsa_exception_fp_ieee_underflow 0
		.amdhsa_exception_fp_ieee_inexact 0
		.amdhsa_exception_int_div_zero 0
	.end_amdhsa_kernel
	.section	.text._Z38paged_attention_ll4mi_QKV_mfma4_kernelIDF16_DF16_LN4vllm18Fp8KVCacheDataTypeE0EDF16_Li32ELi64ELi256ELb1ELi4EEvPKT_PKT0_S7_ifPKiS9_S9_iPKfiiiPfSC_PS2_PT2_iSB_SB_,"axG",@progbits,_Z38paged_attention_ll4mi_QKV_mfma4_kernelIDF16_DF16_LN4vllm18Fp8KVCacheDataTypeE0EDF16_Li32ELi64ELi256ELb1ELi4EEvPKT_PKT0_S7_ifPKiS9_S9_iPKfiiiPfSC_PS2_PT2_iSB_SB_,comdat
.Lfunc_end157:
	.size	_Z38paged_attention_ll4mi_QKV_mfma4_kernelIDF16_DF16_LN4vllm18Fp8KVCacheDataTypeE0EDF16_Li32ELi64ELi256ELb1ELi4EEvPKT_PKT0_S7_ifPKiS9_S9_iPKfiiiPfSC_PS2_PT2_iSB_SB_, .Lfunc_end157-_Z38paged_attention_ll4mi_QKV_mfma4_kernelIDF16_DF16_LN4vllm18Fp8KVCacheDataTypeE0EDF16_Li32ELi64ELi256ELb1ELi4EEvPKT_PKT0_S7_ifPKiS9_S9_iPKfiiiPfSC_PS2_PT2_iSB_SB_
                                        ; -- End function
	.set _Z38paged_attention_ll4mi_QKV_mfma4_kernelIDF16_DF16_LN4vllm18Fp8KVCacheDataTypeE0EDF16_Li32ELi64ELi256ELb1ELi4EEvPKT_PKT0_S7_ifPKiS9_S9_iPKfiiiPfSC_PS2_PT2_iSB_SB_.num_vgpr, max(3, .L__assert_fail.num_vgpr)
	.set _Z38paged_attention_ll4mi_QKV_mfma4_kernelIDF16_DF16_LN4vllm18Fp8KVCacheDataTypeE0EDF16_Li32ELi64ELi256ELb1ELi4EEvPKT_PKT0_S7_ifPKiS9_S9_iPKfiiiPfSC_PS2_PT2_iSB_SB_.num_agpr, max(0, .L__assert_fail.num_agpr)
	.set _Z38paged_attention_ll4mi_QKV_mfma4_kernelIDF16_DF16_LN4vllm18Fp8KVCacheDataTypeE0EDF16_Li32ELi64ELi256ELb1ELi4EEvPKT_PKT0_S7_ifPKiS9_S9_iPKfiiiPfSC_PS2_PT2_iSB_SB_.numbered_sgpr, max(33, .L__assert_fail.numbered_sgpr)
	.set _Z38paged_attention_ll4mi_QKV_mfma4_kernelIDF16_DF16_LN4vllm18Fp8KVCacheDataTypeE0EDF16_Li32ELi64ELi256ELb1ELi4EEvPKT_PKT0_S7_ifPKiS9_S9_iPKfiiiPfSC_PS2_PT2_iSB_SB_.num_named_barrier, max(0, .L__assert_fail.num_named_barrier)
	.set _Z38paged_attention_ll4mi_QKV_mfma4_kernelIDF16_DF16_LN4vllm18Fp8KVCacheDataTypeE0EDF16_Li32ELi64ELi256ELb1ELi4EEvPKT_PKT0_S7_ifPKiS9_S9_iPKfiiiPfSC_PS2_PT2_iSB_SB_.private_seg_size, 0+max(.L__assert_fail.private_seg_size)
	.set _Z38paged_attention_ll4mi_QKV_mfma4_kernelIDF16_DF16_LN4vllm18Fp8KVCacheDataTypeE0EDF16_Li32ELi64ELi256ELb1ELi4EEvPKT_PKT0_S7_ifPKiS9_S9_iPKfiiiPfSC_PS2_PT2_iSB_SB_.uses_vcc, or(1, .L__assert_fail.uses_vcc)
	.set _Z38paged_attention_ll4mi_QKV_mfma4_kernelIDF16_DF16_LN4vllm18Fp8KVCacheDataTypeE0EDF16_Li32ELi64ELi256ELb1ELi4EEvPKT_PKT0_S7_ifPKiS9_S9_iPKfiiiPfSC_PS2_PT2_iSB_SB_.uses_flat_scratch, or(0, .L__assert_fail.uses_flat_scratch)
	.set _Z38paged_attention_ll4mi_QKV_mfma4_kernelIDF16_DF16_LN4vllm18Fp8KVCacheDataTypeE0EDF16_Li32ELi64ELi256ELb1ELi4EEvPKT_PKT0_S7_ifPKiS9_S9_iPKfiiiPfSC_PS2_PT2_iSB_SB_.has_dyn_sized_stack, or(0, .L__assert_fail.has_dyn_sized_stack)
	.set _Z38paged_attention_ll4mi_QKV_mfma4_kernelIDF16_DF16_LN4vllm18Fp8KVCacheDataTypeE0EDF16_Li32ELi64ELi256ELb1ELi4EEvPKT_PKT0_S7_ifPKiS9_S9_iPKfiiiPfSC_PS2_PT2_iSB_SB_.has_recursion, or(0, .L__assert_fail.has_recursion)
	.set _Z38paged_attention_ll4mi_QKV_mfma4_kernelIDF16_DF16_LN4vllm18Fp8KVCacheDataTypeE0EDF16_Li32ELi64ELi256ELb1ELi4EEvPKT_PKT0_S7_ifPKiS9_S9_iPKfiiiPfSC_PS2_PT2_iSB_SB_.has_indirect_call, or(0, .L__assert_fail.has_indirect_call)
	.section	.AMDGPU.csdata,"",@progbits
; Kernel info:
; codeLenInByte = 68
; TotalNumSgprs: 36
; NumVgprs: 51
; ScratchSize: 64
; MemoryBound: 0
; FloatMode: 240
; IeeeMode: 1
; LDSByteSize: 0 bytes/workgroup (compile time only)
; SGPRBlocks: 0
; VGPRBlocks: 3
; NumSGPRsForWavesPerEU: 36
; NumVGPRsForWavesPerEU: 51
; NamedBarCnt: 0
; Occupancy: 16
; WaveLimiterHint : 1
; COMPUTE_PGM_RSRC2:SCRATCH_EN: 1
; COMPUTE_PGM_RSRC2:USER_SGPR: 2
; COMPUTE_PGM_RSRC2:TRAP_HANDLER: 0
; COMPUTE_PGM_RSRC2:TGID_X_EN: 1
; COMPUTE_PGM_RSRC2:TGID_Y_EN: 0
; COMPUTE_PGM_RSRC2:TGID_Z_EN: 0
; COMPUTE_PGM_RSRC2:TIDIG_COMP_CNT: 0
	.section	.text._Z39paged_attention_ll4mi_QKV_mfma16_kernelIDF16_DF16_LN4vllm18Fp8KVCacheDataTypeE0EDF16_Li32ELi64ELi256ELb1ELi5EEvPKT_PKT0_S7_ifPKiS9_S9_iPKfiiiPfSC_PS2_PT2_iSB_SB_,"axG",@progbits,_Z39paged_attention_ll4mi_QKV_mfma16_kernelIDF16_DF16_LN4vllm18Fp8KVCacheDataTypeE0EDF16_Li32ELi64ELi256ELb1ELi5EEvPKT_PKT0_S7_ifPKiS9_S9_iPKfiiiPfSC_PS2_PT2_iSB_SB_,comdat
	.protected	_Z39paged_attention_ll4mi_QKV_mfma16_kernelIDF16_DF16_LN4vllm18Fp8KVCacheDataTypeE0EDF16_Li32ELi64ELi256ELb1ELi5EEvPKT_PKT0_S7_ifPKiS9_S9_iPKfiiiPfSC_PS2_PT2_iSB_SB_ ; -- Begin function _Z39paged_attention_ll4mi_QKV_mfma16_kernelIDF16_DF16_LN4vllm18Fp8KVCacheDataTypeE0EDF16_Li32ELi64ELi256ELb1ELi5EEvPKT_PKT0_S7_ifPKiS9_S9_iPKfiiiPfSC_PS2_PT2_iSB_SB_
	.globl	_Z39paged_attention_ll4mi_QKV_mfma16_kernelIDF16_DF16_LN4vllm18Fp8KVCacheDataTypeE0EDF16_Li32ELi64ELi256ELb1ELi5EEvPKT_PKT0_S7_ifPKiS9_S9_iPKfiiiPfSC_PS2_PT2_iSB_SB_
	.p2align	8
	.type	_Z39paged_attention_ll4mi_QKV_mfma16_kernelIDF16_DF16_LN4vllm18Fp8KVCacheDataTypeE0EDF16_Li32ELi64ELi256ELb1ELi5EEvPKT_PKT0_S7_ifPKiS9_S9_iPKfiiiPfSC_PS2_PT2_iSB_SB_,@function
_Z39paged_attention_ll4mi_QKV_mfma16_kernelIDF16_DF16_LN4vllm18Fp8KVCacheDataTypeE0EDF16_Li32ELi64ELi256ELb1ELi5EEvPKT_PKT0_S7_ifPKiS9_S9_iPKfiiiPfSC_PS2_PT2_iSB_SB_: ; @_Z39paged_attention_ll4mi_QKV_mfma16_kernelIDF16_DF16_LN4vllm18Fp8KVCacheDataTypeE0EDF16_Li32ELi64ELi256ELb1ELi5EEvPKT_PKT0_S7_ifPKiS9_S9_iPKfiiiPfSC_PS2_PT2_iSB_SB_
; %bb.0:
	s_get_pc_i64 s[2:3]
	s_add_nc_u64 s[2:3], s[2:3], __PRETTY_FUNCTION__._Z39paged_attention_ll4mi_QKV_mfma16_kernelIDF16_DF16_LN4vllm18Fp8KVCacheDataTypeE0EDF16_Li32ELi64ELi256ELb1ELi5EEvPKT_PKT0_S7_ifPKiS9_S9_iPKfiiiPfSC_PS2_PT2_iSB_SB_@rel64+4
	s_delay_alu instid0(SALU_CYCLE_1)
	v_dual_mov_b32 v0, 0xbb3 :: v_dual_mov_b32 v1, s2
	v_mov_b32_e32 v2, s3
	s_add_nc_u64 s[8:9], s[0:1], 0x90
	s_get_pc_i64 s[0:1]
	s_add_nc_u64 s[0:1], s[0:1], __assert_fail@rel64+4
	s_mov_b32 s32, 0
	s_swap_pc_i64 s[30:31], s[0:1]
	.section	.rodata,"a",@progbits
	.p2align	6, 0x0
	.amdhsa_kernel _Z39paged_attention_ll4mi_QKV_mfma16_kernelIDF16_DF16_LN4vllm18Fp8KVCacheDataTypeE0EDF16_Li32ELi64ELi256ELb1ELi5EEvPKT_PKT0_S7_ifPKiS9_S9_iPKfiiiPfSC_PS2_PT2_iSB_SB_
		.amdhsa_group_segment_fixed_size 0
		.amdhsa_private_segment_fixed_size 64
		.amdhsa_kernarg_size 400
		.amdhsa_user_sgpr_count 2
		.amdhsa_user_sgpr_dispatch_ptr 0
		.amdhsa_user_sgpr_queue_ptr 0
		.amdhsa_user_sgpr_kernarg_segment_ptr 1
		.amdhsa_user_sgpr_dispatch_id 0
		.amdhsa_user_sgpr_kernarg_preload_length 0
		.amdhsa_user_sgpr_kernarg_preload_offset 0
		.amdhsa_user_sgpr_private_segment_size 0
		.amdhsa_wavefront_size32 1
		.amdhsa_uses_dynamic_stack 0
		.amdhsa_enable_private_segment 1
		.amdhsa_system_sgpr_workgroup_id_x 1
		.amdhsa_system_sgpr_workgroup_id_y 0
		.amdhsa_system_sgpr_workgroup_id_z 0
		.amdhsa_system_sgpr_workgroup_info 0
		.amdhsa_system_vgpr_workitem_id 0
		.amdhsa_next_free_vgpr 51
		.amdhsa_next_free_sgpr 34
		.amdhsa_named_barrier_count 0
		.amdhsa_reserve_vcc 1
		.amdhsa_float_round_mode_32 0
		.amdhsa_float_round_mode_16_64 0
		.amdhsa_float_denorm_mode_32 3
		.amdhsa_float_denorm_mode_16_64 3
		.amdhsa_fp16_overflow 0
		.amdhsa_memory_ordered 1
		.amdhsa_forward_progress 1
		.amdhsa_inst_pref_size 1
		.amdhsa_round_robin_scheduling 0
		.amdhsa_exception_fp_ieee_invalid_op 0
		.amdhsa_exception_fp_denorm_src 0
		.amdhsa_exception_fp_ieee_div_zero 0
		.amdhsa_exception_fp_ieee_overflow 0
		.amdhsa_exception_fp_ieee_underflow 0
		.amdhsa_exception_fp_ieee_inexact 0
		.amdhsa_exception_int_div_zero 0
	.end_amdhsa_kernel
	.section	.text._Z39paged_attention_ll4mi_QKV_mfma16_kernelIDF16_DF16_LN4vllm18Fp8KVCacheDataTypeE0EDF16_Li32ELi64ELi256ELb1ELi5EEvPKT_PKT0_S7_ifPKiS9_S9_iPKfiiiPfSC_PS2_PT2_iSB_SB_,"axG",@progbits,_Z39paged_attention_ll4mi_QKV_mfma16_kernelIDF16_DF16_LN4vllm18Fp8KVCacheDataTypeE0EDF16_Li32ELi64ELi256ELb1ELi5EEvPKT_PKT0_S7_ifPKiS9_S9_iPKfiiiPfSC_PS2_PT2_iSB_SB_,comdat
.Lfunc_end158:
	.size	_Z39paged_attention_ll4mi_QKV_mfma16_kernelIDF16_DF16_LN4vllm18Fp8KVCacheDataTypeE0EDF16_Li32ELi64ELi256ELb1ELi5EEvPKT_PKT0_S7_ifPKiS9_S9_iPKfiiiPfSC_PS2_PT2_iSB_SB_, .Lfunc_end158-_Z39paged_attention_ll4mi_QKV_mfma16_kernelIDF16_DF16_LN4vllm18Fp8KVCacheDataTypeE0EDF16_Li32ELi64ELi256ELb1ELi5EEvPKT_PKT0_S7_ifPKiS9_S9_iPKfiiiPfSC_PS2_PT2_iSB_SB_
                                        ; -- End function
	.set _Z39paged_attention_ll4mi_QKV_mfma16_kernelIDF16_DF16_LN4vllm18Fp8KVCacheDataTypeE0EDF16_Li32ELi64ELi256ELb1ELi5EEvPKT_PKT0_S7_ifPKiS9_S9_iPKfiiiPfSC_PS2_PT2_iSB_SB_.num_vgpr, max(3, .L__assert_fail.num_vgpr)
	.set _Z39paged_attention_ll4mi_QKV_mfma16_kernelIDF16_DF16_LN4vllm18Fp8KVCacheDataTypeE0EDF16_Li32ELi64ELi256ELb1ELi5EEvPKT_PKT0_S7_ifPKiS9_S9_iPKfiiiPfSC_PS2_PT2_iSB_SB_.num_agpr, max(0, .L__assert_fail.num_agpr)
	.set _Z39paged_attention_ll4mi_QKV_mfma16_kernelIDF16_DF16_LN4vllm18Fp8KVCacheDataTypeE0EDF16_Li32ELi64ELi256ELb1ELi5EEvPKT_PKT0_S7_ifPKiS9_S9_iPKfiiiPfSC_PS2_PT2_iSB_SB_.numbered_sgpr, max(33, .L__assert_fail.numbered_sgpr)
	.set _Z39paged_attention_ll4mi_QKV_mfma16_kernelIDF16_DF16_LN4vllm18Fp8KVCacheDataTypeE0EDF16_Li32ELi64ELi256ELb1ELi5EEvPKT_PKT0_S7_ifPKiS9_S9_iPKfiiiPfSC_PS2_PT2_iSB_SB_.num_named_barrier, max(0, .L__assert_fail.num_named_barrier)
	.set _Z39paged_attention_ll4mi_QKV_mfma16_kernelIDF16_DF16_LN4vllm18Fp8KVCacheDataTypeE0EDF16_Li32ELi64ELi256ELb1ELi5EEvPKT_PKT0_S7_ifPKiS9_S9_iPKfiiiPfSC_PS2_PT2_iSB_SB_.private_seg_size, 0+max(.L__assert_fail.private_seg_size)
	.set _Z39paged_attention_ll4mi_QKV_mfma16_kernelIDF16_DF16_LN4vllm18Fp8KVCacheDataTypeE0EDF16_Li32ELi64ELi256ELb1ELi5EEvPKT_PKT0_S7_ifPKiS9_S9_iPKfiiiPfSC_PS2_PT2_iSB_SB_.uses_vcc, or(1, .L__assert_fail.uses_vcc)
	.set _Z39paged_attention_ll4mi_QKV_mfma16_kernelIDF16_DF16_LN4vllm18Fp8KVCacheDataTypeE0EDF16_Li32ELi64ELi256ELb1ELi5EEvPKT_PKT0_S7_ifPKiS9_S9_iPKfiiiPfSC_PS2_PT2_iSB_SB_.uses_flat_scratch, or(0, .L__assert_fail.uses_flat_scratch)
	.set _Z39paged_attention_ll4mi_QKV_mfma16_kernelIDF16_DF16_LN4vllm18Fp8KVCacheDataTypeE0EDF16_Li32ELi64ELi256ELb1ELi5EEvPKT_PKT0_S7_ifPKiS9_S9_iPKfiiiPfSC_PS2_PT2_iSB_SB_.has_dyn_sized_stack, or(0, .L__assert_fail.has_dyn_sized_stack)
	.set _Z39paged_attention_ll4mi_QKV_mfma16_kernelIDF16_DF16_LN4vllm18Fp8KVCacheDataTypeE0EDF16_Li32ELi64ELi256ELb1ELi5EEvPKT_PKT0_S7_ifPKiS9_S9_iPKfiiiPfSC_PS2_PT2_iSB_SB_.has_recursion, or(0, .L__assert_fail.has_recursion)
	.set _Z39paged_attention_ll4mi_QKV_mfma16_kernelIDF16_DF16_LN4vllm18Fp8KVCacheDataTypeE0EDF16_Li32ELi64ELi256ELb1ELi5EEvPKT_PKT0_S7_ifPKiS9_S9_iPKfiiiPfSC_PS2_PT2_iSB_SB_.has_indirect_call, or(0, .L__assert_fail.has_indirect_call)
	.section	.AMDGPU.csdata,"",@progbits
; Kernel info:
; codeLenInByte = 68
; TotalNumSgprs: 36
; NumVgprs: 51
; ScratchSize: 64
; MemoryBound: 0
; FloatMode: 240
; IeeeMode: 1
; LDSByteSize: 0 bytes/workgroup (compile time only)
; SGPRBlocks: 0
; VGPRBlocks: 3
; NumSGPRsForWavesPerEU: 36
; NumVGPRsForWavesPerEU: 51
; NamedBarCnt: 0
; Occupancy: 16
; WaveLimiterHint : 1
; COMPUTE_PGM_RSRC2:SCRATCH_EN: 1
; COMPUTE_PGM_RSRC2:USER_SGPR: 2
; COMPUTE_PGM_RSRC2:TRAP_HANDLER: 0
; COMPUTE_PGM_RSRC2:TGID_X_EN: 1
; COMPUTE_PGM_RSRC2:TGID_Y_EN: 0
; COMPUTE_PGM_RSRC2:TGID_Z_EN: 0
; COMPUTE_PGM_RSRC2:TIDIG_COMP_CNT: 0
	.section	.text._Z39paged_attention_ll4mi_QKV_mfma16_kernelIDF16_DF16_LN4vllm18Fp8KVCacheDataTypeE0EDF16_Li32ELi64ELi256ELb1ELi6EEvPKT_PKT0_S7_ifPKiS9_S9_iPKfiiiPfSC_PS2_PT2_iSB_SB_,"axG",@progbits,_Z39paged_attention_ll4mi_QKV_mfma16_kernelIDF16_DF16_LN4vllm18Fp8KVCacheDataTypeE0EDF16_Li32ELi64ELi256ELb1ELi6EEvPKT_PKT0_S7_ifPKiS9_S9_iPKfiiiPfSC_PS2_PT2_iSB_SB_,comdat
	.protected	_Z39paged_attention_ll4mi_QKV_mfma16_kernelIDF16_DF16_LN4vllm18Fp8KVCacheDataTypeE0EDF16_Li32ELi64ELi256ELb1ELi6EEvPKT_PKT0_S7_ifPKiS9_S9_iPKfiiiPfSC_PS2_PT2_iSB_SB_ ; -- Begin function _Z39paged_attention_ll4mi_QKV_mfma16_kernelIDF16_DF16_LN4vllm18Fp8KVCacheDataTypeE0EDF16_Li32ELi64ELi256ELb1ELi6EEvPKT_PKT0_S7_ifPKiS9_S9_iPKfiiiPfSC_PS2_PT2_iSB_SB_
	.globl	_Z39paged_attention_ll4mi_QKV_mfma16_kernelIDF16_DF16_LN4vllm18Fp8KVCacheDataTypeE0EDF16_Li32ELi64ELi256ELb1ELi6EEvPKT_PKT0_S7_ifPKiS9_S9_iPKfiiiPfSC_PS2_PT2_iSB_SB_
	.p2align	8
	.type	_Z39paged_attention_ll4mi_QKV_mfma16_kernelIDF16_DF16_LN4vllm18Fp8KVCacheDataTypeE0EDF16_Li32ELi64ELi256ELb1ELi6EEvPKT_PKT0_S7_ifPKiS9_S9_iPKfiiiPfSC_PS2_PT2_iSB_SB_,@function
_Z39paged_attention_ll4mi_QKV_mfma16_kernelIDF16_DF16_LN4vllm18Fp8KVCacheDataTypeE0EDF16_Li32ELi64ELi256ELb1ELi6EEvPKT_PKT0_S7_ifPKiS9_S9_iPKfiiiPfSC_PS2_PT2_iSB_SB_: ; @_Z39paged_attention_ll4mi_QKV_mfma16_kernelIDF16_DF16_LN4vllm18Fp8KVCacheDataTypeE0EDF16_Li32ELi64ELi256ELb1ELi6EEvPKT_PKT0_S7_ifPKiS9_S9_iPKfiiiPfSC_PS2_PT2_iSB_SB_
; %bb.0:
	s_get_pc_i64 s[2:3]
	s_add_nc_u64 s[2:3], s[2:3], __PRETTY_FUNCTION__._Z39paged_attention_ll4mi_QKV_mfma16_kernelIDF16_DF16_LN4vllm18Fp8KVCacheDataTypeE0EDF16_Li32ELi64ELi256ELb1ELi6EEvPKT_PKT0_S7_ifPKiS9_S9_iPKfiiiPfSC_PS2_PT2_iSB_SB_@rel64+4
	s_delay_alu instid0(SALU_CYCLE_1)
	v_dual_mov_b32 v0, 0xbb3 :: v_dual_mov_b32 v1, s2
	v_mov_b32_e32 v2, s3
	s_add_nc_u64 s[8:9], s[0:1], 0x90
	s_get_pc_i64 s[0:1]
	s_add_nc_u64 s[0:1], s[0:1], __assert_fail@rel64+4
	s_mov_b32 s32, 0
	s_swap_pc_i64 s[30:31], s[0:1]
	.section	.rodata,"a",@progbits
	.p2align	6, 0x0
	.amdhsa_kernel _Z39paged_attention_ll4mi_QKV_mfma16_kernelIDF16_DF16_LN4vllm18Fp8KVCacheDataTypeE0EDF16_Li32ELi64ELi256ELb1ELi6EEvPKT_PKT0_S7_ifPKiS9_S9_iPKfiiiPfSC_PS2_PT2_iSB_SB_
		.amdhsa_group_segment_fixed_size 0
		.amdhsa_private_segment_fixed_size 64
		.amdhsa_kernarg_size 400
		.amdhsa_user_sgpr_count 2
		.amdhsa_user_sgpr_dispatch_ptr 0
		.amdhsa_user_sgpr_queue_ptr 0
		.amdhsa_user_sgpr_kernarg_segment_ptr 1
		.amdhsa_user_sgpr_dispatch_id 0
		.amdhsa_user_sgpr_kernarg_preload_length 0
		.amdhsa_user_sgpr_kernarg_preload_offset 0
		.amdhsa_user_sgpr_private_segment_size 0
		.amdhsa_wavefront_size32 1
		.amdhsa_uses_dynamic_stack 0
		.amdhsa_enable_private_segment 1
		.amdhsa_system_sgpr_workgroup_id_x 1
		.amdhsa_system_sgpr_workgroup_id_y 0
		.amdhsa_system_sgpr_workgroup_id_z 0
		.amdhsa_system_sgpr_workgroup_info 0
		.amdhsa_system_vgpr_workitem_id 0
		.amdhsa_next_free_vgpr 51
		.amdhsa_next_free_sgpr 34
		.amdhsa_named_barrier_count 0
		.amdhsa_reserve_vcc 1
		.amdhsa_float_round_mode_32 0
		.amdhsa_float_round_mode_16_64 0
		.amdhsa_float_denorm_mode_32 3
		.amdhsa_float_denorm_mode_16_64 3
		.amdhsa_fp16_overflow 0
		.amdhsa_memory_ordered 1
		.amdhsa_forward_progress 1
		.amdhsa_inst_pref_size 1
		.amdhsa_round_robin_scheduling 0
		.amdhsa_exception_fp_ieee_invalid_op 0
		.amdhsa_exception_fp_denorm_src 0
		.amdhsa_exception_fp_ieee_div_zero 0
		.amdhsa_exception_fp_ieee_overflow 0
		.amdhsa_exception_fp_ieee_underflow 0
		.amdhsa_exception_fp_ieee_inexact 0
		.amdhsa_exception_int_div_zero 0
	.end_amdhsa_kernel
	.section	.text._Z39paged_attention_ll4mi_QKV_mfma16_kernelIDF16_DF16_LN4vllm18Fp8KVCacheDataTypeE0EDF16_Li32ELi64ELi256ELb1ELi6EEvPKT_PKT0_S7_ifPKiS9_S9_iPKfiiiPfSC_PS2_PT2_iSB_SB_,"axG",@progbits,_Z39paged_attention_ll4mi_QKV_mfma16_kernelIDF16_DF16_LN4vllm18Fp8KVCacheDataTypeE0EDF16_Li32ELi64ELi256ELb1ELi6EEvPKT_PKT0_S7_ifPKiS9_S9_iPKfiiiPfSC_PS2_PT2_iSB_SB_,comdat
.Lfunc_end159:
	.size	_Z39paged_attention_ll4mi_QKV_mfma16_kernelIDF16_DF16_LN4vllm18Fp8KVCacheDataTypeE0EDF16_Li32ELi64ELi256ELb1ELi6EEvPKT_PKT0_S7_ifPKiS9_S9_iPKfiiiPfSC_PS2_PT2_iSB_SB_, .Lfunc_end159-_Z39paged_attention_ll4mi_QKV_mfma16_kernelIDF16_DF16_LN4vllm18Fp8KVCacheDataTypeE0EDF16_Li32ELi64ELi256ELb1ELi6EEvPKT_PKT0_S7_ifPKiS9_S9_iPKfiiiPfSC_PS2_PT2_iSB_SB_
                                        ; -- End function
	.set _Z39paged_attention_ll4mi_QKV_mfma16_kernelIDF16_DF16_LN4vllm18Fp8KVCacheDataTypeE0EDF16_Li32ELi64ELi256ELb1ELi6EEvPKT_PKT0_S7_ifPKiS9_S9_iPKfiiiPfSC_PS2_PT2_iSB_SB_.num_vgpr, max(3, .L__assert_fail.num_vgpr)
	.set _Z39paged_attention_ll4mi_QKV_mfma16_kernelIDF16_DF16_LN4vllm18Fp8KVCacheDataTypeE0EDF16_Li32ELi64ELi256ELb1ELi6EEvPKT_PKT0_S7_ifPKiS9_S9_iPKfiiiPfSC_PS2_PT2_iSB_SB_.num_agpr, max(0, .L__assert_fail.num_agpr)
	.set _Z39paged_attention_ll4mi_QKV_mfma16_kernelIDF16_DF16_LN4vllm18Fp8KVCacheDataTypeE0EDF16_Li32ELi64ELi256ELb1ELi6EEvPKT_PKT0_S7_ifPKiS9_S9_iPKfiiiPfSC_PS2_PT2_iSB_SB_.numbered_sgpr, max(33, .L__assert_fail.numbered_sgpr)
	.set _Z39paged_attention_ll4mi_QKV_mfma16_kernelIDF16_DF16_LN4vllm18Fp8KVCacheDataTypeE0EDF16_Li32ELi64ELi256ELb1ELi6EEvPKT_PKT0_S7_ifPKiS9_S9_iPKfiiiPfSC_PS2_PT2_iSB_SB_.num_named_barrier, max(0, .L__assert_fail.num_named_barrier)
	.set _Z39paged_attention_ll4mi_QKV_mfma16_kernelIDF16_DF16_LN4vllm18Fp8KVCacheDataTypeE0EDF16_Li32ELi64ELi256ELb1ELi6EEvPKT_PKT0_S7_ifPKiS9_S9_iPKfiiiPfSC_PS2_PT2_iSB_SB_.private_seg_size, 0+max(.L__assert_fail.private_seg_size)
	.set _Z39paged_attention_ll4mi_QKV_mfma16_kernelIDF16_DF16_LN4vllm18Fp8KVCacheDataTypeE0EDF16_Li32ELi64ELi256ELb1ELi6EEvPKT_PKT0_S7_ifPKiS9_S9_iPKfiiiPfSC_PS2_PT2_iSB_SB_.uses_vcc, or(1, .L__assert_fail.uses_vcc)
	.set _Z39paged_attention_ll4mi_QKV_mfma16_kernelIDF16_DF16_LN4vllm18Fp8KVCacheDataTypeE0EDF16_Li32ELi64ELi256ELb1ELi6EEvPKT_PKT0_S7_ifPKiS9_S9_iPKfiiiPfSC_PS2_PT2_iSB_SB_.uses_flat_scratch, or(0, .L__assert_fail.uses_flat_scratch)
	.set _Z39paged_attention_ll4mi_QKV_mfma16_kernelIDF16_DF16_LN4vllm18Fp8KVCacheDataTypeE0EDF16_Li32ELi64ELi256ELb1ELi6EEvPKT_PKT0_S7_ifPKiS9_S9_iPKfiiiPfSC_PS2_PT2_iSB_SB_.has_dyn_sized_stack, or(0, .L__assert_fail.has_dyn_sized_stack)
	.set _Z39paged_attention_ll4mi_QKV_mfma16_kernelIDF16_DF16_LN4vllm18Fp8KVCacheDataTypeE0EDF16_Li32ELi64ELi256ELb1ELi6EEvPKT_PKT0_S7_ifPKiS9_S9_iPKfiiiPfSC_PS2_PT2_iSB_SB_.has_recursion, or(0, .L__assert_fail.has_recursion)
	.set _Z39paged_attention_ll4mi_QKV_mfma16_kernelIDF16_DF16_LN4vllm18Fp8KVCacheDataTypeE0EDF16_Li32ELi64ELi256ELb1ELi6EEvPKT_PKT0_S7_ifPKiS9_S9_iPKfiiiPfSC_PS2_PT2_iSB_SB_.has_indirect_call, or(0, .L__assert_fail.has_indirect_call)
	.section	.AMDGPU.csdata,"",@progbits
; Kernel info:
; codeLenInByte = 68
; TotalNumSgprs: 36
; NumVgprs: 51
; ScratchSize: 64
; MemoryBound: 0
; FloatMode: 240
; IeeeMode: 1
; LDSByteSize: 0 bytes/workgroup (compile time only)
; SGPRBlocks: 0
; VGPRBlocks: 3
; NumSGPRsForWavesPerEU: 36
; NumVGPRsForWavesPerEU: 51
; NamedBarCnt: 0
; Occupancy: 16
; WaveLimiterHint : 1
; COMPUTE_PGM_RSRC2:SCRATCH_EN: 1
; COMPUTE_PGM_RSRC2:USER_SGPR: 2
; COMPUTE_PGM_RSRC2:TRAP_HANDLER: 0
; COMPUTE_PGM_RSRC2:TGID_X_EN: 1
; COMPUTE_PGM_RSRC2:TGID_Y_EN: 0
; COMPUTE_PGM_RSRC2:TGID_Z_EN: 0
; COMPUTE_PGM_RSRC2:TIDIG_COMP_CNT: 0
	.section	.text._Z39paged_attention_ll4mi_QKV_mfma16_kernelIDF16_DF16_LN4vllm18Fp8KVCacheDataTypeE0EDF16_Li32ELi64ELi256ELb1ELi7EEvPKT_PKT0_S7_ifPKiS9_S9_iPKfiiiPfSC_PS2_PT2_iSB_SB_,"axG",@progbits,_Z39paged_attention_ll4mi_QKV_mfma16_kernelIDF16_DF16_LN4vllm18Fp8KVCacheDataTypeE0EDF16_Li32ELi64ELi256ELb1ELi7EEvPKT_PKT0_S7_ifPKiS9_S9_iPKfiiiPfSC_PS2_PT2_iSB_SB_,comdat
	.protected	_Z39paged_attention_ll4mi_QKV_mfma16_kernelIDF16_DF16_LN4vllm18Fp8KVCacheDataTypeE0EDF16_Li32ELi64ELi256ELb1ELi7EEvPKT_PKT0_S7_ifPKiS9_S9_iPKfiiiPfSC_PS2_PT2_iSB_SB_ ; -- Begin function _Z39paged_attention_ll4mi_QKV_mfma16_kernelIDF16_DF16_LN4vllm18Fp8KVCacheDataTypeE0EDF16_Li32ELi64ELi256ELb1ELi7EEvPKT_PKT0_S7_ifPKiS9_S9_iPKfiiiPfSC_PS2_PT2_iSB_SB_
	.globl	_Z39paged_attention_ll4mi_QKV_mfma16_kernelIDF16_DF16_LN4vllm18Fp8KVCacheDataTypeE0EDF16_Li32ELi64ELi256ELb1ELi7EEvPKT_PKT0_S7_ifPKiS9_S9_iPKfiiiPfSC_PS2_PT2_iSB_SB_
	.p2align	8
	.type	_Z39paged_attention_ll4mi_QKV_mfma16_kernelIDF16_DF16_LN4vllm18Fp8KVCacheDataTypeE0EDF16_Li32ELi64ELi256ELb1ELi7EEvPKT_PKT0_S7_ifPKiS9_S9_iPKfiiiPfSC_PS2_PT2_iSB_SB_,@function
_Z39paged_attention_ll4mi_QKV_mfma16_kernelIDF16_DF16_LN4vllm18Fp8KVCacheDataTypeE0EDF16_Li32ELi64ELi256ELb1ELi7EEvPKT_PKT0_S7_ifPKiS9_S9_iPKfiiiPfSC_PS2_PT2_iSB_SB_: ; @_Z39paged_attention_ll4mi_QKV_mfma16_kernelIDF16_DF16_LN4vllm18Fp8KVCacheDataTypeE0EDF16_Li32ELi64ELi256ELb1ELi7EEvPKT_PKT0_S7_ifPKiS9_S9_iPKfiiiPfSC_PS2_PT2_iSB_SB_
; %bb.0:
	s_get_pc_i64 s[2:3]
	s_add_nc_u64 s[2:3], s[2:3], __PRETTY_FUNCTION__._Z39paged_attention_ll4mi_QKV_mfma16_kernelIDF16_DF16_LN4vllm18Fp8KVCacheDataTypeE0EDF16_Li32ELi64ELi256ELb1ELi7EEvPKT_PKT0_S7_ifPKiS9_S9_iPKfiiiPfSC_PS2_PT2_iSB_SB_@rel64+4
	s_delay_alu instid0(SALU_CYCLE_1)
	v_dual_mov_b32 v0, 0xbb3 :: v_dual_mov_b32 v1, s2
	v_mov_b32_e32 v2, s3
	s_add_nc_u64 s[8:9], s[0:1], 0x90
	s_get_pc_i64 s[0:1]
	s_add_nc_u64 s[0:1], s[0:1], __assert_fail@rel64+4
	s_mov_b32 s32, 0
	s_swap_pc_i64 s[30:31], s[0:1]
	.section	.rodata,"a",@progbits
	.p2align	6, 0x0
	.amdhsa_kernel _Z39paged_attention_ll4mi_QKV_mfma16_kernelIDF16_DF16_LN4vllm18Fp8KVCacheDataTypeE0EDF16_Li32ELi64ELi256ELb1ELi7EEvPKT_PKT0_S7_ifPKiS9_S9_iPKfiiiPfSC_PS2_PT2_iSB_SB_
		.amdhsa_group_segment_fixed_size 0
		.amdhsa_private_segment_fixed_size 64
		.amdhsa_kernarg_size 400
		.amdhsa_user_sgpr_count 2
		.amdhsa_user_sgpr_dispatch_ptr 0
		.amdhsa_user_sgpr_queue_ptr 0
		.amdhsa_user_sgpr_kernarg_segment_ptr 1
		.amdhsa_user_sgpr_dispatch_id 0
		.amdhsa_user_sgpr_kernarg_preload_length 0
		.amdhsa_user_sgpr_kernarg_preload_offset 0
		.amdhsa_user_sgpr_private_segment_size 0
		.amdhsa_wavefront_size32 1
		.amdhsa_uses_dynamic_stack 0
		.amdhsa_enable_private_segment 1
		.amdhsa_system_sgpr_workgroup_id_x 1
		.amdhsa_system_sgpr_workgroup_id_y 0
		.amdhsa_system_sgpr_workgroup_id_z 0
		.amdhsa_system_sgpr_workgroup_info 0
		.amdhsa_system_vgpr_workitem_id 0
		.amdhsa_next_free_vgpr 51
		.amdhsa_next_free_sgpr 34
		.amdhsa_named_barrier_count 0
		.amdhsa_reserve_vcc 1
		.amdhsa_float_round_mode_32 0
		.amdhsa_float_round_mode_16_64 0
		.amdhsa_float_denorm_mode_32 3
		.amdhsa_float_denorm_mode_16_64 3
		.amdhsa_fp16_overflow 0
		.amdhsa_memory_ordered 1
		.amdhsa_forward_progress 1
		.amdhsa_inst_pref_size 1
		.amdhsa_round_robin_scheduling 0
		.amdhsa_exception_fp_ieee_invalid_op 0
		.amdhsa_exception_fp_denorm_src 0
		.amdhsa_exception_fp_ieee_div_zero 0
		.amdhsa_exception_fp_ieee_overflow 0
		.amdhsa_exception_fp_ieee_underflow 0
		.amdhsa_exception_fp_ieee_inexact 0
		.amdhsa_exception_int_div_zero 0
	.end_amdhsa_kernel
	.section	.text._Z39paged_attention_ll4mi_QKV_mfma16_kernelIDF16_DF16_LN4vllm18Fp8KVCacheDataTypeE0EDF16_Li32ELi64ELi256ELb1ELi7EEvPKT_PKT0_S7_ifPKiS9_S9_iPKfiiiPfSC_PS2_PT2_iSB_SB_,"axG",@progbits,_Z39paged_attention_ll4mi_QKV_mfma16_kernelIDF16_DF16_LN4vllm18Fp8KVCacheDataTypeE0EDF16_Li32ELi64ELi256ELb1ELi7EEvPKT_PKT0_S7_ifPKiS9_S9_iPKfiiiPfSC_PS2_PT2_iSB_SB_,comdat
.Lfunc_end160:
	.size	_Z39paged_attention_ll4mi_QKV_mfma16_kernelIDF16_DF16_LN4vllm18Fp8KVCacheDataTypeE0EDF16_Li32ELi64ELi256ELb1ELi7EEvPKT_PKT0_S7_ifPKiS9_S9_iPKfiiiPfSC_PS2_PT2_iSB_SB_, .Lfunc_end160-_Z39paged_attention_ll4mi_QKV_mfma16_kernelIDF16_DF16_LN4vllm18Fp8KVCacheDataTypeE0EDF16_Li32ELi64ELi256ELb1ELi7EEvPKT_PKT0_S7_ifPKiS9_S9_iPKfiiiPfSC_PS2_PT2_iSB_SB_
                                        ; -- End function
	.set _Z39paged_attention_ll4mi_QKV_mfma16_kernelIDF16_DF16_LN4vllm18Fp8KVCacheDataTypeE0EDF16_Li32ELi64ELi256ELb1ELi7EEvPKT_PKT0_S7_ifPKiS9_S9_iPKfiiiPfSC_PS2_PT2_iSB_SB_.num_vgpr, max(3, .L__assert_fail.num_vgpr)
	.set _Z39paged_attention_ll4mi_QKV_mfma16_kernelIDF16_DF16_LN4vllm18Fp8KVCacheDataTypeE0EDF16_Li32ELi64ELi256ELb1ELi7EEvPKT_PKT0_S7_ifPKiS9_S9_iPKfiiiPfSC_PS2_PT2_iSB_SB_.num_agpr, max(0, .L__assert_fail.num_agpr)
	.set _Z39paged_attention_ll4mi_QKV_mfma16_kernelIDF16_DF16_LN4vllm18Fp8KVCacheDataTypeE0EDF16_Li32ELi64ELi256ELb1ELi7EEvPKT_PKT0_S7_ifPKiS9_S9_iPKfiiiPfSC_PS2_PT2_iSB_SB_.numbered_sgpr, max(33, .L__assert_fail.numbered_sgpr)
	.set _Z39paged_attention_ll4mi_QKV_mfma16_kernelIDF16_DF16_LN4vllm18Fp8KVCacheDataTypeE0EDF16_Li32ELi64ELi256ELb1ELi7EEvPKT_PKT0_S7_ifPKiS9_S9_iPKfiiiPfSC_PS2_PT2_iSB_SB_.num_named_barrier, max(0, .L__assert_fail.num_named_barrier)
	.set _Z39paged_attention_ll4mi_QKV_mfma16_kernelIDF16_DF16_LN4vllm18Fp8KVCacheDataTypeE0EDF16_Li32ELi64ELi256ELb1ELi7EEvPKT_PKT0_S7_ifPKiS9_S9_iPKfiiiPfSC_PS2_PT2_iSB_SB_.private_seg_size, 0+max(.L__assert_fail.private_seg_size)
	.set _Z39paged_attention_ll4mi_QKV_mfma16_kernelIDF16_DF16_LN4vllm18Fp8KVCacheDataTypeE0EDF16_Li32ELi64ELi256ELb1ELi7EEvPKT_PKT0_S7_ifPKiS9_S9_iPKfiiiPfSC_PS2_PT2_iSB_SB_.uses_vcc, or(1, .L__assert_fail.uses_vcc)
	.set _Z39paged_attention_ll4mi_QKV_mfma16_kernelIDF16_DF16_LN4vllm18Fp8KVCacheDataTypeE0EDF16_Li32ELi64ELi256ELb1ELi7EEvPKT_PKT0_S7_ifPKiS9_S9_iPKfiiiPfSC_PS2_PT2_iSB_SB_.uses_flat_scratch, or(0, .L__assert_fail.uses_flat_scratch)
	.set _Z39paged_attention_ll4mi_QKV_mfma16_kernelIDF16_DF16_LN4vllm18Fp8KVCacheDataTypeE0EDF16_Li32ELi64ELi256ELb1ELi7EEvPKT_PKT0_S7_ifPKiS9_S9_iPKfiiiPfSC_PS2_PT2_iSB_SB_.has_dyn_sized_stack, or(0, .L__assert_fail.has_dyn_sized_stack)
	.set _Z39paged_attention_ll4mi_QKV_mfma16_kernelIDF16_DF16_LN4vllm18Fp8KVCacheDataTypeE0EDF16_Li32ELi64ELi256ELb1ELi7EEvPKT_PKT0_S7_ifPKiS9_S9_iPKfiiiPfSC_PS2_PT2_iSB_SB_.has_recursion, or(0, .L__assert_fail.has_recursion)
	.set _Z39paged_attention_ll4mi_QKV_mfma16_kernelIDF16_DF16_LN4vllm18Fp8KVCacheDataTypeE0EDF16_Li32ELi64ELi256ELb1ELi7EEvPKT_PKT0_S7_ifPKiS9_S9_iPKfiiiPfSC_PS2_PT2_iSB_SB_.has_indirect_call, or(0, .L__assert_fail.has_indirect_call)
	.section	.AMDGPU.csdata,"",@progbits
; Kernel info:
; codeLenInByte = 68
; TotalNumSgprs: 36
; NumVgprs: 51
; ScratchSize: 64
; MemoryBound: 0
; FloatMode: 240
; IeeeMode: 1
; LDSByteSize: 0 bytes/workgroup (compile time only)
; SGPRBlocks: 0
; VGPRBlocks: 3
; NumSGPRsForWavesPerEU: 36
; NumVGPRsForWavesPerEU: 51
; NamedBarCnt: 0
; Occupancy: 16
; WaveLimiterHint : 1
; COMPUTE_PGM_RSRC2:SCRATCH_EN: 1
; COMPUTE_PGM_RSRC2:USER_SGPR: 2
; COMPUTE_PGM_RSRC2:TRAP_HANDLER: 0
; COMPUTE_PGM_RSRC2:TGID_X_EN: 1
; COMPUTE_PGM_RSRC2:TGID_Y_EN: 0
; COMPUTE_PGM_RSRC2:TGID_Z_EN: 0
; COMPUTE_PGM_RSRC2:TIDIG_COMP_CNT: 0
	.section	.text._Z39paged_attention_ll4mi_QKV_mfma16_kernelIDF16_DF16_LN4vllm18Fp8KVCacheDataTypeE0EDF16_Li32ELi64ELi256ELb1ELi8EEvPKT_PKT0_S7_ifPKiS9_S9_iPKfiiiPfSC_PS2_PT2_iSB_SB_,"axG",@progbits,_Z39paged_attention_ll4mi_QKV_mfma16_kernelIDF16_DF16_LN4vllm18Fp8KVCacheDataTypeE0EDF16_Li32ELi64ELi256ELb1ELi8EEvPKT_PKT0_S7_ifPKiS9_S9_iPKfiiiPfSC_PS2_PT2_iSB_SB_,comdat
	.protected	_Z39paged_attention_ll4mi_QKV_mfma16_kernelIDF16_DF16_LN4vllm18Fp8KVCacheDataTypeE0EDF16_Li32ELi64ELi256ELb1ELi8EEvPKT_PKT0_S7_ifPKiS9_S9_iPKfiiiPfSC_PS2_PT2_iSB_SB_ ; -- Begin function _Z39paged_attention_ll4mi_QKV_mfma16_kernelIDF16_DF16_LN4vllm18Fp8KVCacheDataTypeE0EDF16_Li32ELi64ELi256ELb1ELi8EEvPKT_PKT0_S7_ifPKiS9_S9_iPKfiiiPfSC_PS2_PT2_iSB_SB_
	.globl	_Z39paged_attention_ll4mi_QKV_mfma16_kernelIDF16_DF16_LN4vllm18Fp8KVCacheDataTypeE0EDF16_Li32ELi64ELi256ELb1ELi8EEvPKT_PKT0_S7_ifPKiS9_S9_iPKfiiiPfSC_PS2_PT2_iSB_SB_
	.p2align	8
	.type	_Z39paged_attention_ll4mi_QKV_mfma16_kernelIDF16_DF16_LN4vllm18Fp8KVCacheDataTypeE0EDF16_Li32ELi64ELi256ELb1ELi8EEvPKT_PKT0_S7_ifPKiS9_S9_iPKfiiiPfSC_PS2_PT2_iSB_SB_,@function
_Z39paged_attention_ll4mi_QKV_mfma16_kernelIDF16_DF16_LN4vllm18Fp8KVCacheDataTypeE0EDF16_Li32ELi64ELi256ELb1ELi8EEvPKT_PKT0_S7_ifPKiS9_S9_iPKfiiiPfSC_PS2_PT2_iSB_SB_: ; @_Z39paged_attention_ll4mi_QKV_mfma16_kernelIDF16_DF16_LN4vllm18Fp8KVCacheDataTypeE0EDF16_Li32ELi64ELi256ELb1ELi8EEvPKT_PKT0_S7_ifPKiS9_S9_iPKfiiiPfSC_PS2_PT2_iSB_SB_
; %bb.0:
	s_get_pc_i64 s[2:3]
	s_add_nc_u64 s[2:3], s[2:3], __PRETTY_FUNCTION__._Z39paged_attention_ll4mi_QKV_mfma16_kernelIDF16_DF16_LN4vllm18Fp8KVCacheDataTypeE0EDF16_Li32ELi64ELi256ELb1ELi8EEvPKT_PKT0_S7_ifPKiS9_S9_iPKfiiiPfSC_PS2_PT2_iSB_SB_@rel64+4
	s_delay_alu instid0(SALU_CYCLE_1)
	v_dual_mov_b32 v0, 0xbb3 :: v_dual_mov_b32 v1, s2
	v_mov_b32_e32 v2, s3
	s_add_nc_u64 s[8:9], s[0:1], 0x90
	s_get_pc_i64 s[0:1]
	s_add_nc_u64 s[0:1], s[0:1], __assert_fail@rel64+4
	s_mov_b32 s32, 0
	s_swap_pc_i64 s[30:31], s[0:1]
	.section	.rodata,"a",@progbits
	.p2align	6, 0x0
	.amdhsa_kernel _Z39paged_attention_ll4mi_QKV_mfma16_kernelIDF16_DF16_LN4vllm18Fp8KVCacheDataTypeE0EDF16_Li32ELi64ELi256ELb1ELi8EEvPKT_PKT0_S7_ifPKiS9_S9_iPKfiiiPfSC_PS2_PT2_iSB_SB_
		.amdhsa_group_segment_fixed_size 0
		.amdhsa_private_segment_fixed_size 64
		.amdhsa_kernarg_size 400
		.amdhsa_user_sgpr_count 2
		.amdhsa_user_sgpr_dispatch_ptr 0
		.amdhsa_user_sgpr_queue_ptr 0
		.amdhsa_user_sgpr_kernarg_segment_ptr 1
		.amdhsa_user_sgpr_dispatch_id 0
		.amdhsa_user_sgpr_kernarg_preload_length 0
		.amdhsa_user_sgpr_kernarg_preload_offset 0
		.amdhsa_user_sgpr_private_segment_size 0
		.amdhsa_wavefront_size32 1
		.amdhsa_uses_dynamic_stack 0
		.amdhsa_enable_private_segment 1
		.amdhsa_system_sgpr_workgroup_id_x 1
		.amdhsa_system_sgpr_workgroup_id_y 0
		.amdhsa_system_sgpr_workgroup_id_z 0
		.amdhsa_system_sgpr_workgroup_info 0
		.amdhsa_system_vgpr_workitem_id 0
		.amdhsa_next_free_vgpr 51
		.amdhsa_next_free_sgpr 34
		.amdhsa_named_barrier_count 0
		.amdhsa_reserve_vcc 1
		.amdhsa_float_round_mode_32 0
		.amdhsa_float_round_mode_16_64 0
		.amdhsa_float_denorm_mode_32 3
		.amdhsa_float_denorm_mode_16_64 3
		.amdhsa_fp16_overflow 0
		.amdhsa_memory_ordered 1
		.amdhsa_forward_progress 1
		.amdhsa_inst_pref_size 1
		.amdhsa_round_robin_scheduling 0
		.amdhsa_exception_fp_ieee_invalid_op 0
		.amdhsa_exception_fp_denorm_src 0
		.amdhsa_exception_fp_ieee_div_zero 0
		.amdhsa_exception_fp_ieee_overflow 0
		.amdhsa_exception_fp_ieee_underflow 0
		.amdhsa_exception_fp_ieee_inexact 0
		.amdhsa_exception_int_div_zero 0
	.end_amdhsa_kernel
	.section	.text._Z39paged_attention_ll4mi_QKV_mfma16_kernelIDF16_DF16_LN4vllm18Fp8KVCacheDataTypeE0EDF16_Li32ELi64ELi256ELb1ELi8EEvPKT_PKT0_S7_ifPKiS9_S9_iPKfiiiPfSC_PS2_PT2_iSB_SB_,"axG",@progbits,_Z39paged_attention_ll4mi_QKV_mfma16_kernelIDF16_DF16_LN4vllm18Fp8KVCacheDataTypeE0EDF16_Li32ELi64ELi256ELb1ELi8EEvPKT_PKT0_S7_ifPKiS9_S9_iPKfiiiPfSC_PS2_PT2_iSB_SB_,comdat
.Lfunc_end161:
	.size	_Z39paged_attention_ll4mi_QKV_mfma16_kernelIDF16_DF16_LN4vllm18Fp8KVCacheDataTypeE0EDF16_Li32ELi64ELi256ELb1ELi8EEvPKT_PKT0_S7_ifPKiS9_S9_iPKfiiiPfSC_PS2_PT2_iSB_SB_, .Lfunc_end161-_Z39paged_attention_ll4mi_QKV_mfma16_kernelIDF16_DF16_LN4vllm18Fp8KVCacheDataTypeE0EDF16_Li32ELi64ELi256ELb1ELi8EEvPKT_PKT0_S7_ifPKiS9_S9_iPKfiiiPfSC_PS2_PT2_iSB_SB_
                                        ; -- End function
	.set _Z39paged_attention_ll4mi_QKV_mfma16_kernelIDF16_DF16_LN4vllm18Fp8KVCacheDataTypeE0EDF16_Li32ELi64ELi256ELb1ELi8EEvPKT_PKT0_S7_ifPKiS9_S9_iPKfiiiPfSC_PS2_PT2_iSB_SB_.num_vgpr, max(3, .L__assert_fail.num_vgpr)
	.set _Z39paged_attention_ll4mi_QKV_mfma16_kernelIDF16_DF16_LN4vllm18Fp8KVCacheDataTypeE0EDF16_Li32ELi64ELi256ELb1ELi8EEvPKT_PKT0_S7_ifPKiS9_S9_iPKfiiiPfSC_PS2_PT2_iSB_SB_.num_agpr, max(0, .L__assert_fail.num_agpr)
	.set _Z39paged_attention_ll4mi_QKV_mfma16_kernelIDF16_DF16_LN4vllm18Fp8KVCacheDataTypeE0EDF16_Li32ELi64ELi256ELb1ELi8EEvPKT_PKT0_S7_ifPKiS9_S9_iPKfiiiPfSC_PS2_PT2_iSB_SB_.numbered_sgpr, max(33, .L__assert_fail.numbered_sgpr)
	.set _Z39paged_attention_ll4mi_QKV_mfma16_kernelIDF16_DF16_LN4vllm18Fp8KVCacheDataTypeE0EDF16_Li32ELi64ELi256ELb1ELi8EEvPKT_PKT0_S7_ifPKiS9_S9_iPKfiiiPfSC_PS2_PT2_iSB_SB_.num_named_barrier, max(0, .L__assert_fail.num_named_barrier)
	.set _Z39paged_attention_ll4mi_QKV_mfma16_kernelIDF16_DF16_LN4vllm18Fp8KVCacheDataTypeE0EDF16_Li32ELi64ELi256ELb1ELi8EEvPKT_PKT0_S7_ifPKiS9_S9_iPKfiiiPfSC_PS2_PT2_iSB_SB_.private_seg_size, 0+max(.L__assert_fail.private_seg_size)
	.set _Z39paged_attention_ll4mi_QKV_mfma16_kernelIDF16_DF16_LN4vllm18Fp8KVCacheDataTypeE0EDF16_Li32ELi64ELi256ELb1ELi8EEvPKT_PKT0_S7_ifPKiS9_S9_iPKfiiiPfSC_PS2_PT2_iSB_SB_.uses_vcc, or(1, .L__assert_fail.uses_vcc)
	.set _Z39paged_attention_ll4mi_QKV_mfma16_kernelIDF16_DF16_LN4vllm18Fp8KVCacheDataTypeE0EDF16_Li32ELi64ELi256ELb1ELi8EEvPKT_PKT0_S7_ifPKiS9_S9_iPKfiiiPfSC_PS2_PT2_iSB_SB_.uses_flat_scratch, or(0, .L__assert_fail.uses_flat_scratch)
	.set _Z39paged_attention_ll4mi_QKV_mfma16_kernelIDF16_DF16_LN4vllm18Fp8KVCacheDataTypeE0EDF16_Li32ELi64ELi256ELb1ELi8EEvPKT_PKT0_S7_ifPKiS9_S9_iPKfiiiPfSC_PS2_PT2_iSB_SB_.has_dyn_sized_stack, or(0, .L__assert_fail.has_dyn_sized_stack)
	.set _Z39paged_attention_ll4mi_QKV_mfma16_kernelIDF16_DF16_LN4vllm18Fp8KVCacheDataTypeE0EDF16_Li32ELi64ELi256ELb1ELi8EEvPKT_PKT0_S7_ifPKiS9_S9_iPKfiiiPfSC_PS2_PT2_iSB_SB_.has_recursion, or(0, .L__assert_fail.has_recursion)
	.set _Z39paged_attention_ll4mi_QKV_mfma16_kernelIDF16_DF16_LN4vllm18Fp8KVCacheDataTypeE0EDF16_Li32ELi64ELi256ELb1ELi8EEvPKT_PKT0_S7_ifPKiS9_S9_iPKfiiiPfSC_PS2_PT2_iSB_SB_.has_indirect_call, or(0, .L__assert_fail.has_indirect_call)
	.section	.AMDGPU.csdata,"",@progbits
; Kernel info:
; codeLenInByte = 68
; TotalNumSgprs: 36
; NumVgprs: 51
; ScratchSize: 64
; MemoryBound: 0
; FloatMode: 240
; IeeeMode: 1
; LDSByteSize: 0 bytes/workgroup (compile time only)
; SGPRBlocks: 0
; VGPRBlocks: 3
; NumSGPRsForWavesPerEU: 36
; NumVGPRsForWavesPerEU: 51
; NamedBarCnt: 0
; Occupancy: 16
; WaveLimiterHint : 1
; COMPUTE_PGM_RSRC2:SCRATCH_EN: 1
; COMPUTE_PGM_RSRC2:USER_SGPR: 2
; COMPUTE_PGM_RSRC2:TRAP_HANDLER: 0
; COMPUTE_PGM_RSRC2:TGID_X_EN: 1
; COMPUTE_PGM_RSRC2:TGID_Y_EN: 0
; COMPUTE_PGM_RSRC2:TGID_Z_EN: 0
; COMPUTE_PGM_RSRC2:TIDIG_COMP_CNT: 0
	.section	.text._Z39paged_attention_ll4mi_QKV_mfma16_kernelIDF16_DF16_LN4vllm18Fp8KVCacheDataTypeE0EDF16_Li32ELi64ELi256ELb1ELi9EEvPKT_PKT0_S7_ifPKiS9_S9_iPKfiiiPfSC_PS2_PT2_iSB_SB_,"axG",@progbits,_Z39paged_attention_ll4mi_QKV_mfma16_kernelIDF16_DF16_LN4vllm18Fp8KVCacheDataTypeE0EDF16_Li32ELi64ELi256ELb1ELi9EEvPKT_PKT0_S7_ifPKiS9_S9_iPKfiiiPfSC_PS2_PT2_iSB_SB_,comdat
	.protected	_Z39paged_attention_ll4mi_QKV_mfma16_kernelIDF16_DF16_LN4vllm18Fp8KVCacheDataTypeE0EDF16_Li32ELi64ELi256ELb1ELi9EEvPKT_PKT0_S7_ifPKiS9_S9_iPKfiiiPfSC_PS2_PT2_iSB_SB_ ; -- Begin function _Z39paged_attention_ll4mi_QKV_mfma16_kernelIDF16_DF16_LN4vllm18Fp8KVCacheDataTypeE0EDF16_Li32ELi64ELi256ELb1ELi9EEvPKT_PKT0_S7_ifPKiS9_S9_iPKfiiiPfSC_PS2_PT2_iSB_SB_
	.globl	_Z39paged_attention_ll4mi_QKV_mfma16_kernelIDF16_DF16_LN4vllm18Fp8KVCacheDataTypeE0EDF16_Li32ELi64ELi256ELb1ELi9EEvPKT_PKT0_S7_ifPKiS9_S9_iPKfiiiPfSC_PS2_PT2_iSB_SB_
	.p2align	8
	.type	_Z39paged_attention_ll4mi_QKV_mfma16_kernelIDF16_DF16_LN4vllm18Fp8KVCacheDataTypeE0EDF16_Li32ELi64ELi256ELb1ELi9EEvPKT_PKT0_S7_ifPKiS9_S9_iPKfiiiPfSC_PS2_PT2_iSB_SB_,@function
_Z39paged_attention_ll4mi_QKV_mfma16_kernelIDF16_DF16_LN4vllm18Fp8KVCacheDataTypeE0EDF16_Li32ELi64ELi256ELb1ELi9EEvPKT_PKT0_S7_ifPKiS9_S9_iPKfiiiPfSC_PS2_PT2_iSB_SB_: ; @_Z39paged_attention_ll4mi_QKV_mfma16_kernelIDF16_DF16_LN4vllm18Fp8KVCacheDataTypeE0EDF16_Li32ELi64ELi256ELb1ELi9EEvPKT_PKT0_S7_ifPKiS9_S9_iPKfiiiPfSC_PS2_PT2_iSB_SB_
; %bb.0:
	s_get_pc_i64 s[2:3]
	s_add_nc_u64 s[2:3], s[2:3], __PRETTY_FUNCTION__._Z39paged_attention_ll4mi_QKV_mfma16_kernelIDF16_DF16_LN4vllm18Fp8KVCacheDataTypeE0EDF16_Li32ELi64ELi256ELb1ELi9EEvPKT_PKT0_S7_ifPKiS9_S9_iPKfiiiPfSC_PS2_PT2_iSB_SB_@rel64+4
	s_delay_alu instid0(SALU_CYCLE_1)
	v_dual_mov_b32 v0, 0xbb3 :: v_dual_mov_b32 v1, s2
	v_mov_b32_e32 v2, s3
	s_add_nc_u64 s[8:9], s[0:1], 0x90
	s_get_pc_i64 s[0:1]
	s_add_nc_u64 s[0:1], s[0:1], __assert_fail@rel64+4
	s_mov_b32 s32, 0
	s_swap_pc_i64 s[30:31], s[0:1]
	.section	.rodata,"a",@progbits
	.p2align	6, 0x0
	.amdhsa_kernel _Z39paged_attention_ll4mi_QKV_mfma16_kernelIDF16_DF16_LN4vllm18Fp8KVCacheDataTypeE0EDF16_Li32ELi64ELi256ELb1ELi9EEvPKT_PKT0_S7_ifPKiS9_S9_iPKfiiiPfSC_PS2_PT2_iSB_SB_
		.amdhsa_group_segment_fixed_size 0
		.amdhsa_private_segment_fixed_size 64
		.amdhsa_kernarg_size 400
		.amdhsa_user_sgpr_count 2
		.amdhsa_user_sgpr_dispatch_ptr 0
		.amdhsa_user_sgpr_queue_ptr 0
		.amdhsa_user_sgpr_kernarg_segment_ptr 1
		.amdhsa_user_sgpr_dispatch_id 0
		.amdhsa_user_sgpr_kernarg_preload_length 0
		.amdhsa_user_sgpr_kernarg_preload_offset 0
		.amdhsa_user_sgpr_private_segment_size 0
		.amdhsa_wavefront_size32 1
		.amdhsa_uses_dynamic_stack 0
		.amdhsa_enable_private_segment 1
		.amdhsa_system_sgpr_workgroup_id_x 1
		.amdhsa_system_sgpr_workgroup_id_y 0
		.amdhsa_system_sgpr_workgroup_id_z 0
		.amdhsa_system_sgpr_workgroup_info 0
		.amdhsa_system_vgpr_workitem_id 0
		.amdhsa_next_free_vgpr 51
		.amdhsa_next_free_sgpr 34
		.amdhsa_named_barrier_count 0
		.amdhsa_reserve_vcc 1
		.amdhsa_float_round_mode_32 0
		.amdhsa_float_round_mode_16_64 0
		.amdhsa_float_denorm_mode_32 3
		.amdhsa_float_denorm_mode_16_64 3
		.amdhsa_fp16_overflow 0
		.amdhsa_memory_ordered 1
		.amdhsa_forward_progress 1
		.amdhsa_inst_pref_size 1
		.amdhsa_round_robin_scheduling 0
		.amdhsa_exception_fp_ieee_invalid_op 0
		.amdhsa_exception_fp_denorm_src 0
		.amdhsa_exception_fp_ieee_div_zero 0
		.amdhsa_exception_fp_ieee_overflow 0
		.amdhsa_exception_fp_ieee_underflow 0
		.amdhsa_exception_fp_ieee_inexact 0
		.amdhsa_exception_int_div_zero 0
	.end_amdhsa_kernel
	.section	.text._Z39paged_attention_ll4mi_QKV_mfma16_kernelIDF16_DF16_LN4vllm18Fp8KVCacheDataTypeE0EDF16_Li32ELi64ELi256ELb1ELi9EEvPKT_PKT0_S7_ifPKiS9_S9_iPKfiiiPfSC_PS2_PT2_iSB_SB_,"axG",@progbits,_Z39paged_attention_ll4mi_QKV_mfma16_kernelIDF16_DF16_LN4vllm18Fp8KVCacheDataTypeE0EDF16_Li32ELi64ELi256ELb1ELi9EEvPKT_PKT0_S7_ifPKiS9_S9_iPKfiiiPfSC_PS2_PT2_iSB_SB_,comdat
.Lfunc_end162:
	.size	_Z39paged_attention_ll4mi_QKV_mfma16_kernelIDF16_DF16_LN4vllm18Fp8KVCacheDataTypeE0EDF16_Li32ELi64ELi256ELb1ELi9EEvPKT_PKT0_S7_ifPKiS9_S9_iPKfiiiPfSC_PS2_PT2_iSB_SB_, .Lfunc_end162-_Z39paged_attention_ll4mi_QKV_mfma16_kernelIDF16_DF16_LN4vllm18Fp8KVCacheDataTypeE0EDF16_Li32ELi64ELi256ELb1ELi9EEvPKT_PKT0_S7_ifPKiS9_S9_iPKfiiiPfSC_PS2_PT2_iSB_SB_
                                        ; -- End function
	.set _Z39paged_attention_ll4mi_QKV_mfma16_kernelIDF16_DF16_LN4vllm18Fp8KVCacheDataTypeE0EDF16_Li32ELi64ELi256ELb1ELi9EEvPKT_PKT0_S7_ifPKiS9_S9_iPKfiiiPfSC_PS2_PT2_iSB_SB_.num_vgpr, max(3, .L__assert_fail.num_vgpr)
	.set _Z39paged_attention_ll4mi_QKV_mfma16_kernelIDF16_DF16_LN4vllm18Fp8KVCacheDataTypeE0EDF16_Li32ELi64ELi256ELb1ELi9EEvPKT_PKT0_S7_ifPKiS9_S9_iPKfiiiPfSC_PS2_PT2_iSB_SB_.num_agpr, max(0, .L__assert_fail.num_agpr)
	.set _Z39paged_attention_ll4mi_QKV_mfma16_kernelIDF16_DF16_LN4vllm18Fp8KVCacheDataTypeE0EDF16_Li32ELi64ELi256ELb1ELi9EEvPKT_PKT0_S7_ifPKiS9_S9_iPKfiiiPfSC_PS2_PT2_iSB_SB_.numbered_sgpr, max(33, .L__assert_fail.numbered_sgpr)
	.set _Z39paged_attention_ll4mi_QKV_mfma16_kernelIDF16_DF16_LN4vllm18Fp8KVCacheDataTypeE0EDF16_Li32ELi64ELi256ELb1ELi9EEvPKT_PKT0_S7_ifPKiS9_S9_iPKfiiiPfSC_PS2_PT2_iSB_SB_.num_named_barrier, max(0, .L__assert_fail.num_named_barrier)
	.set _Z39paged_attention_ll4mi_QKV_mfma16_kernelIDF16_DF16_LN4vllm18Fp8KVCacheDataTypeE0EDF16_Li32ELi64ELi256ELb1ELi9EEvPKT_PKT0_S7_ifPKiS9_S9_iPKfiiiPfSC_PS2_PT2_iSB_SB_.private_seg_size, 0+max(.L__assert_fail.private_seg_size)
	.set _Z39paged_attention_ll4mi_QKV_mfma16_kernelIDF16_DF16_LN4vllm18Fp8KVCacheDataTypeE0EDF16_Li32ELi64ELi256ELb1ELi9EEvPKT_PKT0_S7_ifPKiS9_S9_iPKfiiiPfSC_PS2_PT2_iSB_SB_.uses_vcc, or(1, .L__assert_fail.uses_vcc)
	.set _Z39paged_attention_ll4mi_QKV_mfma16_kernelIDF16_DF16_LN4vllm18Fp8KVCacheDataTypeE0EDF16_Li32ELi64ELi256ELb1ELi9EEvPKT_PKT0_S7_ifPKiS9_S9_iPKfiiiPfSC_PS2_PT2_iSB_SB_.uses_flat_scratch, or(0, .L__assert_fail.uses_flat_scratch)
	.set _Z39paged_attention_ll4mi_QKV_mfma16_kernelIDF16_DF16_LN4vllm18Fp8KVCacheDataTypeE0EDF16_Li32ELi64ELi256ELb1ELi9EEvPKT_PKT0_S7_ifPKiS9_S9_iPKfiiiPfSC_PS2_PT2_iSB_SB_.has_dyn_sized_stack, or(0, .L__assert_fail.has_dyn_sized_stack)
	.set _Z39paged_attention_ll4mi_QKV_mfma16_kernelIDF16_DF16_LN4vllm18Fp8KVCacheDataTypeE0EDF16_Li32ELi64ELi256ELb1ELi9EEvPKT_PKT0_S7_ifPKiS9_S9_iPKfiiiPfSC_PS2_PT2_iSB_SB_.has_recursion, or(0, .L__assert_fail.has_recursion)
	.set _Z39paged_attention_ll4mi_QKV_mfma16_kernelIDF16_DF16_LN4vllm18Fp8KVCacheDataTypeE0EDF16_Li32ELi64ELi256ELb1ELi9EEvPKT_PKT0_S7_ifPKiS9_S9_iPKfiiiPfSC_PS2_PT2_iSB_SB_.has_indirect_call, or(0, .L__assert_fail.has_indirect_call)
	.section	.AMDGPU.csdata,"",@progbits
; Kernel info:
; codeLenInByte = 68
; TotalNumSgprs: 36
; NumVgprs: 51
; ScratchSize: 64
; MemoryBound: 0
; FloatMode: 240
; IeeeMode: 1
; LDSByteSize: 0 bytes/workgroup (compile time only)
; SGPRBlocks: 0
; VGPRBlocks: 3
; NumSGPRsForWavesPerEU: 36
; NumVGPRsForWavesPerEU: 51
; NamedBarCnt: 0
; Occupancy: 16
; WaveLimiterHint : 1
; COMPUTE_PGM_RSRC2:SCRATCH_EN: 1
; COMPUTE_PGM_RSRC2:USER_SGPR: 2
; COMPUTE_PGM_RSRC2:TRAP_HANDLER: 0
; COMPUTE_PGM_RSRC2:TGID_X_EN: 1
; COMPUTE_PGM_RSRC2:TGID_Y_EN: 0
; COMPUTE_PGM_RSRC2:TGID_Z_EN: 0
; COMPUTE_PGM_RSRC2:TIDIG_COMP_CNT: 0
	.section	.text._Z39paged_attention_ll4mi_QKV_mfma16_kernelIDF16_DF16_LN4vllm18Fp8KVCacheDataTypeE0EDF16_Li32ELi64ELi256ELb1ELi10EEvPKT_PKT0_S7_ifPKiS9_S9_iPKfiiiPfSC_PS2_PT2_iSB_SB_,"axG",@progbits,_Z39paged_attention_ll4mi_QKV_mfma16_kernelIDF16_DF16_LN4vllm18Fp8KVCacheDataTypeE0EDF16_Li32ELi64ELi256ELb1ELi10EEvPKT_PKT0_S7_ifPKiS9_S9_iPKfiiiPfSC_PS2_PT2_iSB_SB_,comdat
	.protected	_Z39paged_attention_ll4mi_QKV_mfma16_kernelIDF16_DF16_LN4vllm18Fp8KVCacheDataTypeE0EDF16_Li32ELi64ELi256ELb1ELi10EEvPKT_PKT0_S7_ifPKiS9_S9_iPKfiiiPfSC_PS2_PT2_iSB_SB_ ; -- Begin function _Z39paged_attention_ll4mi_QKV_mfma16_kernelIDF16_DF16_LN4vllm18Fp8KVCacheDataTypeE0EDF16_Li32ELi64ELi256ELb1ELi10EEvPKT_PKT0_S7_ifPKiS9_S9_iPKfiiiPfSC_PS2_PT2_iSB_SB_
	.globl	_Z39paged_attention_ll4mi_QKV_mfma16_kernelIDF16_DF16_LN4vllm18Fp8KVCacheDataTypeE0EDF16_Li32ELi64ELi256ELb1ELi10EEvPKT_PKT0_S7_ifPKiS9_S9_iPKfiiiPfSC_PS2_PT2_iSB_SB_
	.p2align	8
	.type	_Z39paged_attention_ll4mi_QKV_mfma16_kernelIDF16_DF16_LN4vllm18Fp8KVCacheDataTypeE0EDF16_Li32ELi64ELi256ELb1ELi10EEvPKT_PKT0_S7_ifPKiS9_S9_iPKfiiiPfSC_PS2_PT2_iSB_SB_,@function
_Z39paged_attention_ll4mi_QKV_mfma16_kernelIDF16_DF16_LN4vllm18Fp8KVCacheDataTypeE0EDF16_Li32ELi64ELi256ELb1ELi10EEvPKT_PKT0_S7_ifPKiS9_S9_iPKfiiiPfSC_PS2_PT2_iSB_SB_: ; @_Z39paged_attention_ll4mi_QKV_mfma16_kernelIDF16_DF16_LN4vllm18Fp8KVCacheDataTypeE0EDF16_Li32ELi64ELi256ELb1ELi10EEvPKT_PKT0_S7_ifPKiS9_S9_iPKfiiiPfSC_PS2_PT2_iSB_SB_
; %bb.0:
	s_get_pc_i64 s[2:3]
	s_add_nc_u64 s[2:3], s[2:3], __PRETTY_FUNCTION__._Z39paged_attention_ll4mi_QKV_mfma16_kernelIDF16_DF16_LN4vllm18Fp8KVCacheDataTypeE0EDF16_Li32ELi64ELi256ELb1ELi10EEvPKT_PKT0_S7_ifPKiS9_S9_iPKfiiiPfSC_PS2_PT2_iSB_SB_@rel64+4
	s_delay_alu instid0(SALU_CYCLE_1)
	v_dual_mov_b32 v0, 0xbb3 :: v_dual_mov_b32 v1, s2
	v_mov_b32_e32 v2, s3
	s_add_nc_u64 s[8:9], s[0:1], 0x90
	s_get_pc_i64 s[0:1]
	s_add_nc_u64 s[0:1], s[0:1], __assert_fail@rel64+4
	s_mov_b32 s32, 0
	s_swap_pc_i64 s[30:31], s[0:1]
	.section	.rodata,"a",@progbits
	.p2align	6, 0x0
	.amdhsa_kernel _Z39paged_attention_ll4mi_QKV_mfma16_kernelIDF16_DF16_LN4vllm18Fp8KVCacheDataTypeE0EDF16_Li32ELi64ELi256ELb1ELi10EEvPKT_PKT0_S7_ifPKiS9_S9_iPKfiiiPfSC_PS2_PT2_iSB_SB_
		.amdhsa_group_segment_fixed_size 0
		.amdhsa_private_segment_fixed_size 64
		.amdhsa_kernarg_size 400
		.amdhsa_user_sgpr_count 2
		.amdhsa_user_sgpr_dispatch_ptr 0
		.amdhsa_user_sgpr_queue_ptr 0
		.amdhsa_user_sgpr_kernarg_segment_ptr 1
		.amdhsa_user_sgpr_dispatch_id 0
		.amdhsa_user_sgpr_kernarg_preload_length 0
		.amdhsa_user_sgpr_kernarg_preload_offset 0
		.amdhsa_user_sgpr_private_segment_size 0
		.amdhsa_wavefront_size32 1
		.amdhsa_uses_dynamic_stack 0
		.amdhsa_enable_private_segment 1
		.amdhsa_system_sgpr_workgroup_id_x 1
		.amdhsa_system_sgpr_workgroup_id_y 0
		.amdhsa_system_sgpr_workgroup_id_z 0
		.amdhsa_system_sgpr_workgroup_info 0
		.amdhsa_system_vgpr_workitem_id 0
		.amdhsa_next_free_vgpr 51
		.amdhsa_next_free_sgpr 34
		.amdhsa_named_barrier_count 0
		.amdhsa_reserve_vcc 1
		.amdhsa_float_round_mode_32 0
		.amdhsa_float_round_mode_16_64 0
		.amdhsa_float_denorm_mode_32 3
		.amdhsa_float_denorm_mode_16_64 3
		.amdhsa_fp16_overflow 0
		.amdhsa_memory_ordered 1
		.amdhsa_forward_progress 1
		.amdhsa_inst_pref_size 1
		.amdhsa_round_robin_scheduling 0
		.amdhsa_exception_fp_ieee_invalid_op 0
		.amdhsa_exception_fp_denorm_src 0
		.amdhsa_exception_fp_ieee_div_zero 0
		.amdhsa_exception_fp_ieee_overflow 0
		.amdhsa_exception_fp_ieee_underflow 0
		.amdhsa_exception_fp_ieee_inexact 0
		.amdhsa_exception_int_div_zero 0
	.end_amdhsa_kernel
	.section	.text._Z39paged_attention_ll4mi_QKV_mfma16_kernelIDF16_DF16_LN4vllm18Fp8KVCacheDataTypeE0EDF16_Li32ELi64ELi256ELb1ELi10EEvPKT_PKT0_S7_ifPKiS9_S9_iPKfiiiPfSC_PS2_PT2_iSB_SB_,"axG",@progbits,_Z39paged_attention_ll4mi_QKV_mfma16_kernelIDF16_DF16_LN4vllm18Fp8KVCacheDataTypeE0EDF16_Li32ELi64ELi256ELb1ELi10EEvPKT_PKT0_S7_ifPKiS9_S9_iPKfiiiPfSC_PS2_PT2_iSB_SB_,comdat
.Lfunc_end163:
	.size	_Z39paged_attention_ll4mi_QKV_mfma16_kernelIDF16_DF16_LN4vllm18Fp8KVCacheDataTypeE0EDF16_Li32ELi64ELi256ELb1ELi10EEvPKT_PKT0_S7_ifPKiS9_S9_iPKfiiiPfSC_PS2_PT2_iSB_SB_, .Lfunc_end163-_Z39paged_attention_ll4mi_QKV_mfma16_kernelIDF16_DF16_LN4vllm18Fp8KVCacheDataTypeE0EDF16_Li32ELi64ELi256ELb1ELi10EEvPKT_PKT0_S7_ifPKiS9_S9_iPKfiiiPfSC_PS2_PT2_iSB_SB_
                                        ; -- End function
	.set _Z39paged_attention_ll4mi_QKV_mfma16_kernelIDF16_DF16_LN4vllm18Fp8KVCacheDataTypeE0EDF16_Li32ELi64ELi256ELb1ELi10EEvPKT_PKT0_S7_ifPKiS9_S9_iPKfiiiPfSC_PS2_PT2_iSB_SB_.num_vgpr, max(3, .L__assert_fail.num_vgpr)
	.set _Z39paged_attention_ll4mi_QKV_mfma16_kernelIDF16_DF16_LN4vllm18Fp8KVCacheDataTypeE0EDF16_Li32ELi64ELi256ELb1ELi10EEvPKT_PKT0_S7_ifPKiS9_S9_iPKfiiiPfSC_PS2_PT2_iSB_SB_.num_agpr, max(0, .L__assert_fail.num_agpr)
	.set _Z39paged_attention_ll4mi_QKV_mfma16_kernelIDF16_DF16_LN4vllm18Fp8KVCacheDataTypeE0EDF16_Li32ELi64ELi256ELb1ELi10EEvPKT_PKT0_S7_ifPKiS9_S9_iPKfiiiPfSC_PS2_PT2_iSB_SB_.numbered_sgpr, max(33, .L__assert_fail.numbered_sgpr)
	.set _Z39paged_attention_ll4mi_QKV_mfma16_kernelIDF16_DF16_LN4vllm18Fp8KVCacheDataTypeE0EDF16_Li32ELi64ELi256ELb1ELi10EEvPKT_PKT0_S7_ifPKiS9_S9_iPKfiiiPfSC_PS2_PT2_iSB_SB_.num_named_barrier, max(0, .L__assert_fail.num_named_barrier)
	.set _Z39paged_attention_ll4mi_QKV_mfma16_kernelIDF16_DF16_LN4vllm18Fp8KVCacheDataTypeE0EDF16_Li32ELi64ELi256ELb1ELi10EEvPKT_PKT0_S7_ifPKiS9_S9_iPKfiiiPfSC_PS2_PT2_iSB_SB_.private_seg_size, 0+max(.L__assert_fail.private_seg_size)
	.set _Z39paged_attention_ll4mi_QKV_mfma16_kernelIDF16_DF16_LN4vllm18Fp8KVCacheDataTypeE0EDF16_Li32ELi64ELi256ELb1ELi10EEvPKT_PKT0_S7_ifPKiS9_S9_iPKfiiiPfSC_PS2_PT2_iSB_SB_.uses_vcc, or(1, .L__assert_fail.uses_vcc)
	.set _Z39paged_attention_ll4mi_QKV_mfma16_kernelIDF16_DF16_LN4vllm18Fp8KVCacheDataTypeE0EDF16_Li32ELi64ELi256ELb1ELi10EEvPKT_PKT0_S7_ifPKiS9_S9_iPKfiiiPfSC_PS2_PT2_iSB_SB_.uses_flat_scratch, or(0, .L__assert_fail.uses_flat_scratch)
	.set _Z39paged_attention_ll4mi_QKV_mfma16_kernelIDF16_DF16_LN4vllm18Fp8KVCacheDataTypeE0EDF16_Li32ELi64ELi256ELb1ELi10EEvPKT_PKT0_S7_ifPKiS9_S9_iPKfiiiPfSC_PS2_PT2_iSB_SB_.has_dyn_sized_stack, or(0, .L__assert_fail.has_dyn_sized_stack)
	.set _Z39paged_attention_ll4mi_QKV_mfma16_kernelIDF16_DF16_LN4vllm18Fp8KVCacheDataTypeE0EDF16_Li32ELi64ELi256ELb1ELi10EEvPKT_PKT0_S7_ifPKiS9_S9_iPKfiiiPfSC_PS2_PT2_iSB_SB_.has_recursion, or(0, .L__assert_fail.has_recursion)
	.set _Z39paged_attention_ll4mi_QKV_mfma16_kernelIDF16_DF16_LN4vllm18Fp8KVCacheDataTypeE0EDF16_Li32ELi64ELi256ELb1ELi10EEvPKT_PKT0_S7_ifPKiS9_S9_iPKfiiiPfSC_PS2_PT2_iSB_SB_.has_indirect_call, or(0, .L__assert_fail.has_indirect_call)
	.section	.AMDGPU.csdata,"",@progbits
; Kernel info:
; codeLenInByte = 68
; TotalNumSgprs: 36
; NumVgprs: 51
; ScratchSize: 64
; MemoryBound: 0
; FloatMode: 240
; IeeeMode: 1
; LDSByteSize: 0 bytes/workgroup (compile time only)
; SGPRBlocks: 0
; VGPRBlocks: 3
; NumSGPRsForWavesPerEU: 36
; NumVGPRsForWavesPerEU: 51
; NamedBarCnt: 0
; Occupancy: 16
; WaveLimiterHint : 1
; COMPUTE_PGM_RSRC2:SCRATCH_EN: 1
; COMPUTE_PGM_RSRC2:USER_SGPR: 2
; COMPUTE_PGM_RSRC2:TRAP_HANDLER: 0
; COMPUTE_PGM_RSRC2:TGID_X_EN: 1
; COMPUTE_PGM_RSRC2:TGID_Y_EN: 0
; COMPUTE_PGM_RSRC2:TGID_Z_EN: 0
; COMPUTE_PGM_RSRC2:TIDIG_COMP_CNT: 0
	.section	.text._Z39paged_attention_ll4mi_QKV_mfma16_kernelIDF16_DF16_LN4vllm18Fp8KVCacheDataTypeE0EDF16_Li32ELi64ELi256ELb1ELi11EEvPKT_PKT0_S7_ifPKiS9_S9_iPKfiiiPfSC_PS2_PT2_iSB_SB_,"axG",@progbits,_Z39paged_attention_ll4mi_QKV_mfma16_kernelIDF16_DF16_LN4vllm18Fp8KVCacheDataTypeE0EDF16_Li32ELi64ELi256ELb1ELi11EEvPKT_PKT0_S7_ifPKiS9_S9_iPKfiiiPfSC_PS2_PT2_iSB_SB_,comdat
	.protected	_Z39paged_attention_ll4mi_QKV_mfma16_kernelIDF16_DF16_LN4vllm18Fp8KVCacheDataTypeE0EDF16_Li32ELi64ELi256ELb1ELi11EEvPKT_PKT0_S7_ifPKiS9_S9_iPKfiiiPfSC_PS2_PT2_iSB_SB_ ; -- Begin function _Z39paged_attention_ll4mi_QKV_mfma16_kernelIDF16_DF16_LN4vllm18Fp8KVCacheDataTypeE0EDF16_Li32ELi64ELi256ELb1ELi11EEvPKT_PKT0_S7_ifPKiS9_S9_iPKfiiiPfSC_PS2_PT2_iSB_SB_
	.globl	_Z39paged_attention_ll4mi_QKV_mfma16_kernelIDF16_DF16_LN4vllm18Fp8KVCacheDataTypeE0EDF16_Li32ELi64ELi256ELb1ELi11EEvPKT_PKT0_S7_ifPKiS9_S9_iPKfiiiPfSC_PS2_PT2_iSB_SB_
	.p2align	8
	.type	_Z39paged_attention_ll4mi_QKV_mfma16_kernelIDF16_DF16_LN4vllm18Fp8KVCacheDataTypeE0EDF16_Li32ELi64ELi256ELb1ELi11EEvPKT_PKT0_S7_ifPKiS9_S9_iPKfiiiPfSC_PS2_PT2_iSB_SB_,@function
_Z39paged_attention_ll4mi_QKV_mfma16_kernelIDF16_DF16_LN4vllm18Fp8KVCacheDataTypeE0EDF16_Li32ELi64ELi256ELb1ELi11EEvPKT_PKT0_S7_ifPKiS9_S9_iPKfiiiPfSC_PS2_PT2_iSB_SB_: ; @_Z39paged_attention_ll4mi_QKV_mfma16_kernelIDF16_DF16_LN4vllm18Fp8KVCacheDataTypeE0EDF16_Li32ELi64ELi256ELb1ELi11EEvPKT_PKT0_S7_ifPKiS9_S9_iPKfiiiPfSC_PS2_PT2_iSB_SB_
; %bb.0:
	s_get_pc_i64 s[2:3]
	s_add_nc_u64 s[2:3], s[2:3], __PRETTY_FUNCTION__._Z39paged_attention_ll4mi_QKV_mfma16_kernelIDF16_DF16_LN4vllm18Fp8KVCacheDataTypeE0EDF16_Li32ELi64ELi256ELb1ELi11EEvPKT_PKT0_S7_ifPKiS9_S9_iPKfiiiPfSC_PS2_PT2_iSB_SB_@rel64+4
	s_delay_alu instid0(SALU_CYCLE_1)
	v_dual_mov_b32 v0, 0xbb3 :: v_dual_mov_b32 v1, s2
	v_mov_b32_e32 v2, s3
	s_add_nc_u64 s[8:9], s[0:1], 0x90
	s_get_pc_i64 s[0:1]
	s_add_nc_u64 s[0:1], s[0:1], __assert_fail@rel64+4
	s_mov_b32 s32, 0
	s_swap_pc_i64 s[30:31], s[0:1]
	.section	.rodata,"a",@progbits
	.p2align	6, 0x0
	.amdhsa_kernel _Z39paged_attention_ll4mi_QKV_mfma16_kernelIDF16_DF16_LN4vllm18Fp8KVCacheDataTypeE0EDF16_Li32ELi64ELi256ELb1ELi11EEvPKT_PKT0_S7_ifPKiS9_S9_iPKfiiiPfSC_PS2_PT2_iSB_SB_
		.amdhsa_group_segment_fixed_size 0
		.amdhsa_private_segment_fixed_size 64
		.amdhsa_kernarg_size 400
		.amdhsa_user_sgpr_count 2
		.amdhsa_user_sgpr_dispatch_ptr 0
		.amdhsa_user_sgpr_queue_ptr 0
		.amdhsa_user_sgpr_kernarg_segment_ptr 1
		.amdhsa_user_sgpr_dispatch_id 0
		.amdhsa_user_sgpr_kernarg_preload_length 0
		.amdhsa_user_sgpr_kernarg_preload_offset 0
		.amdhsa_user_sgpr_private_segment_size 0
		.amdhsa_wavefront_size32 1
		.amdhsa_uses_dynamic_stack 0
		.amdhsa_enable_private_segment 1
		.amdhsa_system_sgpr_workgroup_id_x 1
		.amdhsa_system_sgpr_workgroup_id_y 0
		.amdhsa_system_sgpr_workgroup_id_z 0
		.amdhsa_system_sgpr_workgroup_info 0
		.amdhsa_system_vgpr_workitem_id 0
		.amdhsa_next_free_vgpr 51
		.amdhsa_next_free_sgpr 34
		.amdhsa_named_barrier_count 0
		.amdhsa_reserve_vcc 1
		.amdhsa_float_round_mode_32 0
		.amdhsa_float_round_mode_16_64 0
		.amdhsa_float_denorm_mode_32 3
		.amdhsa_float_denorm_mode_16_64 3
		.amdhsa_fp16_overflow 0
		.amdhsa_memory_ordered 1
		.amdhsa_forward_progress 1
		.amdhsa_inst_pref_size 1
		.amdhsa_round_robin_scheduling 0
		.amdhsa_exception_fp_ieee_invalid_op 0
		.amdhsa_exception_fp_denorm_src 0
		.amdhsa_exception_fp_ieee_div_zero 0
		.amdhsa_exception_fp_ieee_overflow 0
		.amdhsa_exception_fp_ieee_underflow 0
		.amdhsa_exception_fp_ieee_inexact 0
		.amdhsa_exception_int_div_zero 0
	.end_amdhsa_kernel
	.section	.text._Z39paged_attention_ll4mi_QKV_mfma16_kernelIDF16_DF16_LN4vllm18Fp8KVCacheDataTypeE0EDF16_Li32ELi64ELi256ELb1ELi11EEvPKT_PKT0_S7_ifPKiS9_S9_iPKfiiiPfSC_PS2_PT2_iSB_SB_,"axG",@progbits,_Z39paged_attention_ll4mi_QKV_mfma16_kernelIDF16_DF16_LN4vllm18Fp8KVCacheDataTypeE0EDF16_Li32ELi64ELi256ELb1ELi11EEvPKT_PKT0_S7_ifPKiS9_S9_iPKfiiiPfSC_PS2_PT2_iSB_SB_,comdat
.Lfunc_end164:
	.size	_Z39paged_attention_ll4mi_QKV_mfma16_kernelIDF16_DF16_LN4vllm18Fp8KVCacheDataTypeE0EDF16_Li32ELi64ELi256ELb1ELi11EEvPKT_PKT0_S7_ifPKiS9_S9_iPKfiiiPfSC_PS2_PT2_iSB_SB_, .Lfunc_end164-_Z39paged_attention_ll4mi_QKV_mfma16_kernelIDF16_DF16_LN4vllm18Fp8KVCacheDataTypeE0EDF16_Li32ELi64ELi256ELb1ELi11EEvPKT_PKT0_S7_ifPKiS9_S9_iPKfiiiPfSC_PS2_PT2_iSB_SB_
                                        ; -- End function
	.set _Z39paged_attention_ll4mi_QKV_mfma16_kernelIDF16_DF16_LN4vllm18Fp8KVCacheDataTypeE0EDF16_Li32ELi64ELi256ELb1ELi11EEvPKT_PKT0_S7_ifPKiS9_S9_iPKfiiiPfSC_PS2_PT2_iSB_SB_.num_vgpr, max(3, .L__assert_fail.num_vgpr)
	.set _Z39paged_attention_ll4mi_QKV_mfma16_kernelIDF16_DF16_LN4vllm18Fp8KVCacheDataTypeE0EDF16_Li32ELi64ELi256ELb1ELi11EEvPKT_PKT0_S7_ifPKiS9_S9_iPKfiiiPfSC_PS2_PT2_iSB_SB_.num_agpr, max(0, .L__assert_fail.num_agpr)
	.set _Z39paged_attention_ll4mi_QKV_mfma16_kernelIDF16_DF16_LN4vllm18Fp8KVCacheDataTypeE0EDF16_Li32ELi64ELi256ELb1ELi11EEvPKT_PKT0_S7_ifPKiS9_S9_iPKfiiiPfSC_PS2_PT2_iSB_SB_.numbered_sgpr, max(33, .L__assert_fail.numbered_sgpr)
	.set _Z39paged_attention_ll4mi_QKV_mfma16_kernelIDF16_DF16_LN4vllm18Fp8KVCacheDataTypeE0EDF16_Li32ELi64ELi256ELb1ELi11EEvPKT_PKT0_S7_ifPKiS9_S9_iPKfiiiPfSC_PS2_PT2_iSB_SB_.num_named_barrier, max(0, .L__assert_fail.num_named_barrier)
	.set _Z39paged_attention_ll4mi_QKV_mfma16_kernelIDF16_DF16_LN4vllm18Fp8KVCacheDataTypeE0EDF16_Li32ELi64ELi256ELb1ELi11EEvPKT_PKT0_S7_ifPKiS9_S9_iPKfiiiPfSC_PS2_PT2_iSB_SB_.private_seg_size, 0+max(.L__assert_fail.private_seg_size)
	.set _Z39paged_attention_ll4mi_QKV_mfma16_kernelIDF16_DF16_LN4vllm18Fp8KVCacheDataTypeE0EDF16_Li32ELi64ELi256ELb1ELi11EEvPKT_PKT0_S7_ifPKiS9_S9_iPKfiiiPfSC_PS2_PT2_iSB_SB_.uses_vcc, or(1, .L__assert_fail.uses_vcc)
	.set _Z39paged_attention_ll4mi_QKV_mfma16_kernelIDF16_DF16_LN4vllm18Fp8KVCacheDataTypeE0EDF16_Li32ELi64ELi256ELb1ELi11EEvPKT_PKT0_S7_ifPKiS9_S9_iPKfiiiPfSC_PS2_PT2_iSB_SB_.uses_flat_scratch, or(0, .L__assert_fail.uses_flat_scratch)
	.set _Z39paged_attention_ll4mi_QKV_mfma16_kernelIDF16_DF16_LN4vllm18Fp8KVCacheDataTypeE0EDF16_Li32ELi64ELi256ELb1ELi11EEvPKT_PKT0_S7_ifPKiS9_S9_iPKfiiiPfSC_PS2_PT2_iSB_SB_.has_dyn_sized_stack, or(0, .L__assert_fail.has_dyn_sized_stack)
	.set _Z39paged_attention_ll4mi_QKV_mfma16_kernelIDF16_DF16_LN4vllm18Fp8KVCacheDataTypeE0EDF16_Li32ELi64ELi256ELb1ELi11EEvPKT_PKT0_S7_ifPKiS9_S9_iPKfiiiPfSC_PS2_PT2_iSB_SB_.has_recursion, or(0, .L__assert_fail.has_recursion)
	.set _Z39paged_attention_ll4mi_QKV_mfma16_kernelIDF16_DF16_LN4vllm18Fp8KVCacheDataTypeE0EDF16_Li32ELi64ELi256ELb1ELi11EEvPKT_PKT0_S7_ifPKiS9_S9_iPKfiiiPfSC_PS2_PT2_iSB_SB_.has_indirect_call, or(0, .L__assert_fail.has_indirect_call)
	.section	.AMDGPU.csdata,"",@progbits
; Kernel info:
; codeLenInByte = 68
; TotalNumSgprs: 36
; NumVgprs: 51
; ScratchSize: 64
; MemoryBound: 0
; FloatMode: 240
; IeeeMode: 1
; LDSByteSize: 0 bytes/workgroup (compile time only)
; SGPRBlocks: 0
; VGPRBlocks: 3
; NumSGPRsForWavesPerEU: 36
; NumVGPRsForWavesPerEU: 51
; NamedBarCnt: 0
; Occupancy: 16
; WaveLimiterHint : 1
; COMPUTE_PGM_RSRC2:SCRATCH_EN: 1
; COMPUTE_PGM_RSRC2:USER_SGPR: 2
; COMPUTE_PGM_RSRC2:TRAP_HANDLER: 0
; COMPUTE_PGM_RSRC2:TGID_X_EN: 1
; COMPUTE_PGM_RSRC2:TGID_Y_EN: 0
; COMPUTE_PGM_RSRC2:TGID_Z_EN: 0
; COMPUTE_PGM_RSRC2:TIDIG_COMP_CNT: 0
	.section	.text._Z39paged_attention_ll4mi_QKV_mfma16_kernelIDF16_DF16_LN4vllm18Fp8KVCacheDataTypeE0EDF16_Li32ELi64ELi256ELb1ELi12EEvPKT_PKT0_S7_ifPKiS9_S9_iPKfiiiPfSC_PS2_PT2_iSB_SB_,"axG",@progbits,_Z39paged_attention_ll4mi_QKV_mfma16_kernelIDF16_DF16_LN4vllm18Fp8KVCacheDataTypeE0EDF16_Li32ELi64ELi256ELb1ELi12EEvPKT_PKT0_S7_ifPKiS9_S9_iPKfiiiPfSC_PS2_PT2_iSB_SB_,comdat
	.protected	_Z39paged_attention_ll4mi_QKV_mfma16_kernelIDF16_DF16_LN4vllm18Fp8KVCacheDataTypeE0EDF16_Li32ELi64ELi256ELb1ELi12EEvPKT_PKT0_S7_ifPKiS9_S9_iPKfiiiPfSC_PS2_PT2_iSB_SB_ ; -- Begin function _Z39paged_attention_ll4mi_QKV_mfma16_kernelIDF16_DF16_LN4vllm18Fp8KVCacheDataTypeE0EDF16_Li32ELi64ELi256ELb1ELi12EEvPKT_PKT0_S7_ifPKiS9_S9_iPKfiiiPfSC_PS2_PT2_iSB_SB_
	.globl	_Z39paged_attention_ll4mi_QKV_mfma16_kernelIDF16_DF16_LN4vllm18Fp8KVCacheDataTypeE0EDF16_Li32ELi64ELi256ELb1ELi12EEvPKT_PKT0_S7_ifPKiS9_S9_iPKfiiiPfSC_PS2_PT2_iSB_SB_
	.p2align	8
	.type	_Z39paged_attention_ll4mi_QKV_mfma16_kernelIDF16_DF16_LN4vllm18Fp8KVCacheDataTypeE0EDF16_Li32ELi64ELi256ELb1ELi12EEvPKT_PKT0_S7_ifPKiS9_S9_iPKfiiiPfSC_PS2_PT2_iSB_SB_,@function
_Z39paged_attention_ll4mi_QKV_mfma16_kernelIDF16_DF16_LN4vllm18Fp8KVCacheDataTypeE0EDF16_Li32ELi64ELi256ELb1ELi12EEvPKT_PKT0_S7_ifPKiS9_S9_iPKfiiiPfSC_PS2_PT2_iSB_SB_: ; @_Z39paged_attention_ll4mi_QKV_mfma16_kernelIDF16_DF16_LN4vllm18Fp8KVCacheDataTypeE0EDF16_Li32ELi64ELi256ELb1ELi12EEvPKT_PKT0_S7_ifPKiS9_S9_iPKfiiiPfSC_PS2_PT2_iSB_SB_
; %bb.0:
	s_get_pc_i64 s[2:3]
	s_add_nc_u64 s[2:3], s[2:3], __PRETTY_FUNCTION__._Z39paged_attention_ll4mi_QKV_mfma16_kernelIDF16_DF16_LN4vllm18Fp8KVCacheDataTypeE0EDF16_Li32ELi64ELi256ELb1ELi12EEvPKT_PKT0_S7_ifPKiS9_S9_iPKfiiiPfSC_PS2_PT2_iSB_SB_@rel64+4
	s_delay_alu instid0(SALU_CYCLE_1)
	v_dual_mov_b32 v0, 0xbb3 :: v_dual_mov_b32 v1, s2
	v_mov_b32_e32 v2, s3
	s_add_nc_u64 s[8:9], s[0:1], 0x90
	s_get_pc_i64 s[0:1]
	s_add_nc_u64 s[0:1], s[0:1], __assert_fail@rel64+4
	s_mov_b32 s32, 0
	s_swap_pc_i64 s[30:31], s[0:1]
	.section	.rodata,"a",@progbits
	.p2align	6, 0x0
	.amdhsa_kernel _Z39paged_attention_ll4mi_QKV_mfma16_kernelIDF16_DF16_LN4vllm18Fp8KVCacheDataTypeE0EDF16_Li32ELi64ELi256ELb1ELi12EEvPKT_PKT0_S7_ifPKiS9_S9_iPKfiiiPfSC_PS2_PT2_iSB_SB_
		.amdhsa_group_segment_fixed_size 0
		.amdhsa_private_segment_fixed_size 64
		.amdhsa_kernarg_size 400
		.amdhsa_user_sgpr_count 2
		.amdhsa_user_sgpr_dispatch_ptr 0
		.amdhsa_user_sgpr_queue_ptr 0
		.amdhsa_user_sgpr_kernarg_segment_ptr 1
		.amdhsa_user_sgpr_dispatch_id 0
		.amdhsa_user_sgpr_kernarg_preload_length 0
		.amdhsa_user_sgpr_kernarg_preload_offset 0
		.amdhsa_user_sgpr_private_segment_size 0
		.amdhsa_wavefront_size32 1
		.amdhsa_uses_dynamic_stack 0
		.amdhsa_enable_private_segment 1
		.amdhsa_system_sgpr_workgroup_id_x 1
		.amdhsa_system_sgpr_workgroup_id_y 0
		.amdhsa_system_sgpr_workgroup_id_z 0
		.amdhsa_system_sgpr_workgroup_info 0
		.amdhsa_system_vgpr_workitem_id 0
		.amdhsa_next_free_vgpr 51
		.amdhsa_next_free_sgpr 34
		.amdhsa_named_barrier_count 0
		.amdhsa_reserve_vcc 1
		.amdhsa_float_round_mode_32 0
		.amdhsa_float_round_mode_16_64 0
		.amdhsa_float_denorm_mode_32 3
		.amdhsa_float_denorm_mode_16_64 3
		.amdhsa_fp16_overflow 0
		.amdhsa_memory_ordered 1
		.amdhsa_forward_progress 1
		.amdhsa_inst_pref_size 1
		.amdhsa_round_robin_scheduling 0
		.amdhsa_exception_fp_ieee_invalid_op 0
		.amdhsa_exception_fp_denorm_src 0
		.amdhsa_exception_fp_ieee_div_zero 0
		.amdhsa_exception_fp_ieee_overflow 0
		.amdhsa_exception_fp_ieee_underflow 0
		.amdhsa_exception_fp_ieee_inexact 0
		.amdhsa_exception_int_div_zero 0
	.end_amdhsa_kernel
	.section	.text._Z39paged_attention_ll4mi_QKV_mfma16_kernelIDF16_DF16_LN4vllm18Fp8KVCacheDataTypeE0EDF16_Li32ELi64ELi256ELb1ELi12EEvPKT_PKT0_S7_ifPKiS9_S9_iPKfiiiPfSC_PS2_PT2_iSB_SB_,"axG",@progbits,_Z39paged_attention_ll4mi_QKV_mfma16_kernelIDF16_DF16_LN4vllm18Fp8KVCacheDataTypeE0EDF16_Li32ELi64ELi256ELb1ELi12EEvPKT_PKT0_S7_ifPKiS9_S9_iPKfiiiPfSC_PS2_PT2_iSB_SB_,comdat
.Lfunc_end165:
	.size	_Z39paged_attention_ll4mi_QKV_mfma16_kernelIDF16_DF16_LN4vllm18Fp8KVCacheDataTypeE0EDF16_Li32ELi64ELi256ELb1ELi12EEvPKT_PKT0_S7_ifPKiS9_S9_iPKfiiiPfSC_PS2_PT2_iSB_SB_, .Lfunc_end165-_Z39paged_attention_ll4mi_QKV_mfma16_kernelIDF16_DF16_LN4vllm18Fp8KVCacheDataTypeE0EDF16_Li32ELi64ELi256ELb1ELi12EEvPKT_PKT0_S7_ifPKiS9_S9_iPKfiiiPfSC_PS2_PT2_iSB_SB_
                                        ; -- End function
	.set _Z39paged_attention_ll4mi_QKV_mfma16_kernelIDF16_DF16_LN4vllm18Fp8KVCacheDataTypeE0EDF16_Li32ELi64ELi256ELb1ELi12EEvPKT_PKT0_S7_ifPKiS9_S9_iPKfiiiPfSC_PS2_PT2_iSB_SB_.num_vgpr, max(3, .L__assert_fail.num_vgpr)
	.set _Z39paged_attention_ll4mi_QKV_mfma16_kernelIDF16_DF16_LN4vllm18Fp8KVCacheDataTypeE0EDF16_Li32ELi64ELi256ELb1ELi12EEvPKT_PKT0_S7_ifPKiS9_S9_iPKfiiiPfSC_PS2_PT2_iSB_SB_.num_agpr, max(0, .L__assert_fail.num_agpr)
	.set _Z39paged_attention_ll4mi_QKV_mfma16_kernelIDF16_DF16_LN4vllm18Fp8KVCacheDataTypeE0EDF16_Li32ELi64ELi256ELb1ELi12EEvPKT_PKT0_S7_ifPKiS9_S9_iPKfiiiPfSC_PS2_PT2_iSB_SB_.numbered_sgpr, max(33, .L__assert_fail.numbered_sgpr)
	.set _Z39paged_attention_ll4mi_QKV_mfma16_kernelIDF16_DF16_LN4vllm18Fp8KVCacheDataTypeE0EDF16_Li32ELi64ELi256ELb1ELi12EEvPKT_PKT0_S7_ifPKiS9_S9_iPKfiiiPfSC_PS2_PT2_iSB_SB_.num_named_barrier, max(0, .L__assert_fail.num_named_barrier)
	.set _Z39paged_attention_ll4mi_QKV_mfma16_kernelIDF16_DF16_LN4vllm18Fp8KVCacheDataTypeE0EDF16_Li32ELi64ELi256ELb1ELi12EEvPKT_PKT0_S7_ifPKiS9_S9_iPKfiiiPfSC_PS2_PT2_iSB_SB_.private_seg_size, 0+max(.L__assert_fail.private_seg_size)
	.set _Z39paged_attention_ll4mi_QKV_mfma16_kernelIDF16_DF16_LN4vllm18Fp8KVCacheDataTypeE0EDF16_Li32ELi64ELi256ELb1ELi12EEvPKT_PKT0_S7_ifPKiS9_S9_iPKfiiiPfSC_PS2_PT2_iSB_SB_.uses_vcc, or(1, .L__assert_fail.uses_vcc)
	.set _Z39paged_attention_ll4mi_QKV_mfma16_kernelIDF16_DF16_LN4vllm18Fp8KVCacheDataTypeE0EDF16_Li32ELi64ELi256ELb1ELi12EEvPKT_PKT0_S7_ifPKiS9_S9_iPKfiiiPfSC_PS2_PT2_iSB_SB_.uses_flat_scratch, or(0, .L__assert_fail.uses_flat_scratch)
	.set _Z39paged_attention_ll4mi_QKV_mfma16_kernelIDF16_DF16_LN4vllm18Fp8KVCacheDataTypeE0EDF16_Li32ELi64ELi256ELb1ELi12EEvPKT_PKT0_S7_ifPKiS9_S9_iPKfiiiPfSC_PS2_PT2_iSB_SB_.has_dyn_sized_stack, or(0, .L__assert_fail.has_dyn_sized_stack)
	.set _Z39paged_attention_ll4mi_QKV_mfma16_kernelIDF16_DF16_LN4vllm18Fp8KVCacheDataTypeE0EDF16_Li32ELi64ELi256ELb1ELi12EEvPKT_PKT0_S7_ifPKiS9_S9_iPKfiiiPfSC_PS2_PT2_iSB_SB_.has_recursion, or(0, .L__assert_fail.has_recursion)
	.set _Z39paged_attention_ll4mi_QKV_mfma16_kernelIDF16_DF16_LN4vllm18Fp8KVCacheDataTypeE0EDF16_Li32ELi64ELi256ELb1ELi12EEvPKT_PKT0_S7_ifPKiS9_S9_iPKfiiiPfSC_PS2_PT2_iSB_SB_.has_indirect_call, or(0, .L__assert_fail.has_indirect_call)
	.section	.AMDGPU.csdata,"",@progbits
; Kernel info:
; codeLenInByte = 68
; TotalNumSgprs: 36
; NumVgprs: 51
; ScratchSize: 64
; MemoryBound: 0
; FloatMode: 240
; IeeeMode: 1
; LDSByteSize: 0 bytes/workgroup (compile time only)
; SGPRBlocks: 0
; VGPRBlocks: 3
; NumSGPRsForWavesPerEU: 36
; NumVGPRsForWavesPerEU: 51
; NamedBarCnt: 0
; Occupancy: 16
; WaveLimiterHint : 1
; COMPUTE_PGM_RSRC2:SCRATCH_EN: 1
; COMPUTE_PGM_RSRC2:USER_SGPR: 2
; COMPUTE_PGM_RSRC2:TRAP_HANDLER: 0
; COMPUTE_PGM_RSRC2:TGID_X_EN: 1
; COMPUTE_PGM_RSRC2:TGID_Y_EN: 0
; COMPUTE_PGM_RSRC2:TGID_Z_EN: 0
; COMPUTE_PGM_RSRC2:TIDIG_COMP_CNT: 0
	.section	.text._Z39paged_attention_ll4mi_QKV_mfma16_kernelIDF16_DF16_LN4vllm18Fp8KVCacheDataTypeE0EDF16_Li32ELi64ELi256ELb1ELi13EEvPKT_PKT0_S7_ifPKiS9_S9_iPKfiiiPfSC_PS2_PT2_iSB_SB_,"axG",@progbits,_Z39paged_attention_ll4mi_QKV_mfma16_kernelIDF16_DF16_LN4vllm18Fp8KVCacheDataTypeE0EDF16_Li32ELi64ELi256ELb1ELi13EEvPKT_PKT0_S7_ifPKiS9_S9_iPKfiiiPfSC_PS2_PT2_iSB_SB_,comdat
	.protected	_Z39paged_attention_ll4mi_QKV_mfma16_kernelIDF16_DF16_LN4vllm18Fp8KVCacheDataTypeE0EDF16_Li32ELi64ELi256ELb1ELi13EEvPKT_PKT0_S7_ifPKiS9_S9_iPKfiiiPfSC_PS2_PT2_iSB_SB_ ; -- Begin function _Z39paged_attention_ll4mi_QKV_mfma16_kernelIDF16_DF16_LN4vllm18Fp8KVCacheDataTypeE0EDF16_Li32ELi64ELi256ELb1ELi13EEvPKT_PKT0_S7_ifPKiS9_S9_iPKfiiiPfSC_PS2_PT2_iSB_SB_
	.globl	_Z39paged_attention_ll4mi_QKV_mfma16_kernelIDF16_DF16_LN4vllm18Fp8KVCacheDataTypeE0EDF16_Li32ELi64ELi256ELb1ELi13EEvPKT_PKT0_S7_ifPKiS9_S9_iPKfiiiPfSC_PS2_PT2_iSB_SB_
	.p2align	8
	.type	_Z39paged_attention_ll4mi_QKV_mfma16_kernelIDF16_DF16_LN4vllm18Fp8KVCacheDataTypeE0EDF16_Li32ELi64ELi256ELb1ELi13EEvPKT_PKT0_S7_ifPKiS9_S9_iPKfiiiPfSC_PS2_PT2_iSB_SB_,@function
_Z39paged_attention_ll4mi_QKV_mfma16_kernelIDF16_DF16_LN4vllm18Fp8KVCacheDataTypeE0EDF16_Li32ELi64ELi256ELb1ELi13EEvPKT_PKT0_S7_ifPKiS9_S9_iPKfiiiPfSC_PS2_PT2_iSB_SB_: ; @_Z39paged_attention_ll4mi_QKV_mfma16_kernelIDF16_DF16_LN4vllm18Fp8KVCacheDataTypeE0EDF16_Li32ELi64ELi256ELb1ELi13EEvPKT_PKT0_S7_ifPKiS9_S9_iPKfiiiPfSC_PS2_PT2_iSB_SB_
; %bb.0:
	s_get_pc_i64 s[2:3]
	s_add_nc_u64 s[2:3], s[2:3], __PRETTY_FUNCTION__._Z39paged_attention_ll4mi_QKV_mfma16_kernelIDF16_DF16_LN4vllm18Fp8KVCacheDataTypeE0EDF16_Li32ELi64ELi256ELb1ELi13EEvPKT_PKT0_S7_ifPKiS9_S9_iPKfiiiPfSC_PS2_PT2_iSB_SB_@rel64+4
	s_delay_alu instid0(SALU_CYCLE_1)
	v_dual_mov_b32 v0, 0xbb3 :: v_dual_mov_b32 v1, s2
	v_mov_b32_e32 v2, s3
	s_add_nc_u64 s[8:9], s[0:1], 0x90
	s_get_pc_i64 s[0:1]
	s_add_nc_u64 s[0:1], s[0:1], __assert_fail@rel64+4
	s_mov_b32 s32, 0
	s_swap_pc_i64 s[30:31], s[0:1]
	.section	.rodata,"a",@progbits
	.p2align	6, 0x0
	.amdhsa_kernel _Z39paged_attention_ll4mi_QKV_mfma16_kernelIDF16_DF16_LN4vllm18Fp8KVCacheDataTypeE0EDF16_Li32ELi64ELi256ELb1ELi13EEvPKT_PKT0_S7_ifPKiS9_S9_iPKfiiiPfSC_PS2_PT2_iSB_SB_
		.amdhsa_group_segment_fixed_size 0
		.amdhsa_private_segment_fixed_size 64
		.amdhsa_kernarg_size 400
		.amdhsa_user_sgpr_count 2
		.amdhsa_user_sgpr_dispatch_ptr 0
		.amdhsa_user_sgpr_queue_ptr 0
		.amdhsa_user_sgpr_kernarg_segment_ptr 1
		.amdhsa_user_sgpr_dispatch_id 0
		.amdhsa_user_sgpr_kernarg_preload_length 0
		.amdhsa_user_sgpr_kernarg_preload_offset 0
		.amdhsa_user_sgpr_private_segment_size 0
		.amdhsa_wavefront_size32 1
		.amdhsa_uses_dynamic_stack 0
		.amdhsa_enable_private_segment 1
		.amdhsa_system_sgpr_workgroup_id_x 1
		.amdhsa_system_sgpr_workgroup_id_y 0
		.amdhsa_system_sgpr_workgroup_id_z 0
		.amdhsa_system_sgpr_workgroup_info 0
		.amdhsa_system_vgpr_workitem_id 0
		.amdhsa_next_free_vgpr 51
		.amdhsa_next_free_sgpr 34
		.amdhsa_named_barrier_count 0
		.amdhsa_reserve_vcc 1
		.amdhsa_float_round_mode_32 0
		.amdhsa_float_round_mode_16_64 0
		.amdhsa_float_denorm_mode_32 3
		.amdhsa_float_denorm_mode_16_64 3
		.amdhsa_fp16_overflow 0
		.amdhsa_memory_ordered 1
		.amdhsa_forward_progress 1
		.amdhsa_inst_pref_size 1
		.amdhsa_round_robin_scheduling 0
		.amdhsa_exception_fp_ieee_invalid_op 0
		.amdhsa_exception_fp_denorm_src 0
		.amdhsa_exception_fp_ieee_div_zero 0
		.amdhsa_exception_fp_ieee_overflow 0
		.amdhsa_exception_fp_ieee_underflow 0
		.amdhsa_exception_fp_ieee_inexact 0
		.amdhsa_exception_int_div_zero 0
	.end_amdhsa_kernel
	.section	.text._Z39paged_attention_ll4mi_QKV_mfma16_kernelIDF16_DF16_LN4vllm18Fp8KVCacheDataTypeE0EDF16_Li32ELi64ELi256ELb1ELi13EEvPKT_PKT0_S7_ifPKiS9_S9_iPKfiiiPfSC_PS2_PT2_iSB_SB_,"axG",@progbits,_Z39paged_attention_ll4mi_QKV_mfma16_kernelIDF16_DF16_LN4vllm18Fp8KVCacheDataTypeE0EDF16_Li32ELi64ELi256ELb1ELi13EEvPKT_PKT0_S7_ifPKiS9_S9_iPKfiiiPfSC_PS2_PT2_iSB_SB_,comdat
.Lfunc_end166:
	.size	_Z39paged_attention_ll4mi_QKV_mfma16_kernelIDF16_DF16_LN4vllm18Fp8KVCacheDataTypeE0EDF16_Li32ELi64ELi256ELb1ELi13EEvPKT_PKT0_S7_ifPKiS9_S9_iPKfiiiPfSC_PS2_PT2_iSB_SB_, .Lfunc_end166-_Z39paged_attention_ll4mi_QKV_mfma16_kernelIDF16_DF16_LN4vllm18Fp8KVCacheDataTypeE0EDF16_Li32ELi64ELi256ELb1ELi13EEvPKT_PKT0_S7_ifPKiS9_S9_iPKfiiiPfSC_PS2_PT2_iSB_SB_
                                        ; -- End function
	.set _Z39paged_attention_ll4mi_QKV_mfma16_kernelIDF16_DF16_LN4vllm18Fp8KVCacheDataTypeE0EDF16_Li32ELi64ELi256ELb1ELi13EEvPKT_PKT0_S7_ifPKiS9_S9_iPKfiiiPfSC_PS2_PT2_iSB_SB_.num_vgpr, max(3, .L__assert_fail.num_vgpr)
	.set _Z39paged_attention_ll4mi_QKV_mfma16_kernelIDF16_DF16_LN4vllm18Fp8KVCacheDataTypeE0EDF16_Li32ELi64ELi256ELb1ELi13EEvPKT_PKT0_S7_ifPKiS9_S9_iPKfiiiPfSC_PS2_PT2_iSB_SB_.num_agpr, max(0, .L__assert_fail.num_agpr)
	.set _Z39paged_attention_ll4mi_QKV_mfma16_kernelIDF16_DF16_LN4vllm18Fp8KVCacheDataTypeE0EDF16_Li32ELi64ELi256ELb1ELi13EEvPKT_PKT0_S7_ifPKiS9_S9_iPKfiiiPfSC_PS2_PT2_iSB_SB_.numbered_sgpr, max(33, .L__assert_fail.numbered_sgpr)
	.set _Z39paged_attention_ll4mi_QKV_mfma16_kernelIDF16_DF16_LN4vllm18Fp8KVCacheDataTypeE0EDF16_Li32ELi64ELi256ELb1ELi13EEvPKT_PKT0_S7_ifPKiS9_S9_iPKfiiiPfSC_PS2_PT2_iSB_SB_.num_named_barrier, max(0, .L__assert_fail.num_named_barrier)
	.set _Z39paged_attention_ll4mi_QKV_mfma16_kernelIDF16_DF16_LN4vllm18Fp8KVCacheDataTypeE0EDF16_Li32ELi64ELi256ELb1ELi13EEvPKT_PKT0_S7_ifPKiS9_S9_iPKfiiiPfSC_PS2_PT2_iSB_SB_.private_seg_size, 0+max(.L__assert_fail.private_seg_size)
	.set _Z39paged_attention_ll4mi_QKV_mfma16_kernelIDF16_DF16_LN4vllm18Fp8KVCacheDataTypeE0EDF16_Li32ELi64ELi256ELb1ELi13EEvPKT_PKT0_S7_ifPKiS9_S9_iPKfiiiPfSC_PS2_PT2_iSB_SB_.uses_vcc, or(1, .L__assert_fail.uses_vcc)
	.set _Z39paged_attention_ll4mi_QKV_mfma16_kernelIDF16_DF16_LN4vllm18Fp8KVCacheDataTypeE0EDF16_Li32ELi64ELi256ELb1ELi13EEvPKT_PKT0_S7_ifPKiS9_S9_iPKfiiiPfSC_PS2_PT2_iSB_SB_.uses_flat_scratch, or(0, .L__assert_fail.uses_flat_scratch)
	.set _Z39paged_attention_ll4mi_QKV_mfma16_kernelIDF16_DF16_LN4vllm18Fp8KVCacheDataTypeE0EDF16_Li32ELi64ELi256ELb1ELi13EEvPKT_PKT0_S7_ifPKiS9_S9_iPKfiiiPfSC_PS2_PT2_iSB_SB_.has_dyn_sized_stack, or(0, .L__assert_fail.has_dyn_sized_stack)
	.set _Z39paged_attention_ll4mi_QKV_mfma16_kernelIDF16_DF16_LN4vllm18Fp8KVCacheDataTypeE0EDF16_Li32ELi64ELi256ELb1ELi13EEvPKT_PKT0_S7_ifPKiS9_S9_iPKfiiiPfSC_PS2_PT2_iSB_SB_.has_recursion, or(0, .L__assert_fail.has_recursion)
	.set _Z39paged_attention_ll4mi_QKV_mfma16_kernelIDF16_DF16_LN4vllm18Fp8KVCacheDataTypeE0EDF16_Li32ELi64ELi256ELb1ELi13EEvPKT_PKT0_S7_ifPKiS9_S9_iPKfiiiPfSC_PS2_PT2_iSB_SB_.has_indirect_call, or(0, .L__assert_fail.has_indirect_call)
	.section	.AMDGPU.csdata,"",@progbits
; Kernel info:
; codeLenInByte = 68
; TotalNumSgprs: 36
; NumVgprs: 51
; ScratchSize: 64
; MemoryBound: 0
; FloatMode: 240
; IeeeMode: 1
; LDSByteSize: 0 bytes/workgroup (compile time only)
; SGPRBlocks: 0
; VGPRBlocks: 3
; NumSGPRsForWavesPerEU: 36
; NumVGPRsForWavesPerEU: 51
; NamedBarCnt: 0
; Occupancy: 16
; WaveLimiterHint : 1
; COMPUTE_PGM_RSRC2:SCRATCH_EN: 1
; COMPUTE_PGM_RSRC2:USER_SGPR: 2
; COMPUTE_PGM_RSRC2:TRAP_HANDLER: 0
; COMPUTE_PGM_RSRC2:TGID_X_EN: 1
; COMPUTE_PGM_RSRC2:TGID_Y_EN: 0
; COMPUTE_PGM_RSRC2:TGID_Z_EN: 0
; COMPUTE_PGM_RSRC2:TIDIG_COMP_CNT: 0
	.section	.text._Z39paged_attention_ll4mi_QKV_mfma16_kernelIDF16_DF16_LN4vllm18Fp8KVCacheDataTypeE0EDF16_Li32ELi64ELi256ELb1ELi14EEvPKT_PKT0_S7_ifPKiS9_S9_iPKfiiiPfSC_PS2_PT2_iSB_SB_,"axG",@progbits,_Z39paged_attention_ll4mi_QKV_mfma16_kernelIDF16_DF16_LN4vllm18Fp8KVCacheDataTypeE0EDF16_Li32ELi64ELi256ELb1ELi14EEvPKT_PKT0_S7_ifPKiS9_S9_iPKfiiiPfSC_PS2_PT2_iSB_SB_,comdat
	.protected	_Z39paged_attention_ll4mi_QKV_mfma16_kernelIDF16_DF16_LN4vllm18Fp8KVCacheDataTypeE0EDF16_Li32ELi64ELi256ELb1ELi14EEvPKT_PKT0_S7_ifPKiS9_S9_iPKfiiiPfSC_PS2_PT2_iSB_SB_ ; -- Begin function _Z39paged_attention_ll4mi_QKV_mfma16_kernelIDF16_DF16_LN4vllm18Fp8KVCacheDataTypeE0EDF16_Li32ELi64ELi256ELb1ELi14EEvPKT_PKT0_S7_ifPKiS9_S9_iPKfiiiPfSC_PS2_PT2_iSB_SB_
	.globl	_Z39paged_attention_ll4mi_QKV_mfma16_kernelIDF16_DF16_LN4vllm18Fp8KVCacheDataTypeE0EDF16_Li32ELi64ELi256ELb1ELi14EEvPKT_PKT0_S7_ifPKiS9_S9_iPKfiiiPfSC_PS2_PT2_iSB_SB_
	.p2align	8
	.type	_Z39paged_attention_ll4mi_QKV_mfma16_kernelIDF16_DF16_LN4vllm18Fp8KVCacheDataTypeE0EDF16_Li32ELi64ELi256ELb1ELi14EEvPKT_PKT0_S7_ifPKiS9_S9_iPKfiiiPfSC_PS2_PT2_iSB_SB_,@function
_Z39paged_attention_ll4mi_QKV_mfma16_kernelIDF16_DF16_LN4vllm18Fp8KVCacheDataTypeE0EDF16_Li32ELi64ELi256ELb1ELi14EEvPKT_PKT0_S7_ifPKiS9_S9_iPKfiiiPfSC_PS2_PT2_iSB_SB_: ; @_Z39paged_attention_ll4mi_QKV_mfma16_kernelIDF16_DF16_LN4vllm18Fp8KVCacheDataTypeE0EDF16_Li32ELi64ELi256ELb1ELi14EEvPKT_PKT0_S7_ifPKiS9_S9_iPKfiiiPfSC_PS2_PT2_iSB_SB_
; %bb.0:
	s_get_pc_i64 s[2:3]
	s_add_nc_u64 s[2:3], s[2:3], __PRETTY_FUNCTION__._Z39paged_attention_ll4mi_QKV_mfma16_kernelIDF16_DF16_LN4vllm18Fp8KVCacheDataTypeE0EDF16_Li32ELi64ELi256ELb1ELi14EEvPKT_PKT0_S7_ifPKiS9_S9_iPKfiiiPfSC_PS2_PT2_iSB_SB_@rel64+4
	s_delay_alu instid0(SALU_CYCLE_1)
	v_dual_mov_b32 v0, 0xbb3 :: v_dual_mov_b32 v1, s2
	v_mov_b32_e32 v2, s3
	s_add_nc_u64 s[8:9], s[0:1], 0x90
	s_get_pc_i64 s[0:1]
	s_add_nc_u64 s[0:1], s[0:1], __assert_fail@rel64+4
	s_mov_b32 s32, 0
	s_swap_pc_i64 s[30:31], s[0:1]
	.section	.rodata,"a",@progbits
	.p2align	6, 0x0
	.amdhsa_kernel _Z39paged_attention_ll4mi_QKV_mfma16_kernelIDF16_DF16_LN4vllm18Fp8KVCacheDataTypeE0EDF16_Li32ELi64ELi256ELb1ELi14EEvPKT_PKT0_S7_ifPKiS9_S9_iPKfiiiPfSC_PS2_PT2_iSB_SB_
		.amdhsa_group_segment_fixed_size 0
		.amdhsa_private_segment_fixed_size 64
		.amdhsa_kernarg_size 400
		.amdhsa_user_sgpr_count 2
		.amdhsa_user_sgpr_dispatch_ptr 0
		.amdhsa_user_sgpr_queue_ptr 0
		.amdhsa_user_sgpr_kernarg_segment_ptr 1
		.amdhsa_user_sgpr_dispatch_id 0
		.amdhsa_user_sgpr_kernarg_preload_length 0
		.amdhsa_user_sgpr_kernarg_preload_offset 0
		.amdhsa_user_sgpr_private_segment_size 0
		.amdhsa_wavefront_size32 1
		.amdhsa_uses_dynamic_stack 0
		.amdhsa_enable_private_segment 1
		.amdhsa_system_sgpr_workgroup_id_x 1
		.amdhsa_system_sgpr_workgroup_id_y 0
		.amdhsa_system_sgpr_workgroup_id_z 0
		.amdhsa_system_sgpr_workgroup_info 0
		.amdhsa_system_vgpr_workitem_id 0
		.amdhsa_next_free_vgpr 51
		.amdhsa_next_free_sgpr 34
		.amdhsa_named_barrier_count 0
		.amdhsa_reserve_vcc 1
		.amdhsa_float_round_mode_32 0
		.amdhsa_float_round_mode_16_64 0
		.amdhsa_float_denorm_mode_32 3
		.amdhsa_float_denorm_mode_16_64 3
		.amdhsa_fp16_overflow 0
		.amdhsa_memory_ordered 1
		.amdhsa_forward_progress 1
		.amdhsa_inst_pref_size 1
		.amdhsa_round_robin_scheduling 0
		.amdhsa_exception_fp_ieee_invalid_op 0
		.amdhsa_exception_fp_denorm_src 0
		.amdhsa_exception_fp_ieee_div_zero 0
		.amdhsa_exception_fp_ieee_overflow 0
		.amdhsa_exception_fp_ieee_underflow 0
		.amdhsa_exception_fp_ieee_inexact 0
		.amdhsa_exception_int_div_zero 0
	.end_amdhsa_kernel
	.section	.text._Z39paged_attention_ll4mi_QKV_mfma16_kernelIDF16_DF16_LN4vllm18Fp8KVCacheDataTypeE0EDF16_Li32ELi64ELi256ELb1ELi14EEvPKT_PKT0_S7_ifPKiS9_S9_iPKfiiiPfSC_PS2_PT2_iSB_SB_,"axG",@progbits,_Z39paged_attention_ll4mi_QKV_mfma16_kernelIDF16_DF16_LN4vllm18Fp8KVCacheDataTypeE0EDF16_Li32ELi64ELi256ELb1ELi14EEvPKT_PKT0_S7_ifPKiS9_S9_iPKfiiiPfSC_PS2_PT2_iSB_SB_,comdat
.Lfunc_end167:
	.size	_Z39paged_attention_ll4mi_QKV_mfma16_kernelIDF16_DF16_LN4vllm18Fp8KVCacheDataTypeE0EDF16_Li32ELi64ELi256ELb1ELi14EEvPKT_PKT0_S7_ifPKiS9_S9_iPKfiiiPfSC_PS2_PT2_iSB_SB_, .Lfunc_end167-_Z39paged_attention_ll4mi_QKV_mfma16_kernelIDF16_DF16_LN4vllm18Fp8KVCacheDataTypeE0EDF16_Li32ELi64ELi256ELb1ELi14EEvPKT_PKT0_S7_ifPKiS9_S9_iPKfiiiPfSC_PS2_PT2_iSB_SB_
                                        ; -- End function
	.set _Z39paged_attention_ll4mi_QKV_mfma16_kernelIDF16_DF16_LN4vllm18Fp8KVCacheDataTypeE0EDF16_Li32ELi64ELi256ELb1ELi14EEvPKT_PKT0_S7_ifPKiS9_S9_iPKfiiiPfSC_PS2_PT2_iSB_SB_.num_vgpr, max(3, .L__assert_fail.num_vgpr)
	.set _Z39paged_attention_ll4mi_QKV_mfma16_kernelIDF16_DF16_LN4vllm18Fp8KVCacheDataTypeE0EDF16_Li32ELi64ELi256ELb1ELi14EEvPKT_PKT0_S7_ifPKiS9_S9_iPKfiiiPfSC_PS2_PT2_iSB_SB_.num_agpr, max(0, .L__assert_fail.num_agpr)
	.set _Z39paged_attention_ll4mi_QKV_mfma16_kernelIDF16_DF16_LN4vllm18Fp8KVCacheDataTypeE0EDF16_Li32ELi64ELi256ELb1ELi14EEvPKT_PKT0_S7_ifPKiS9_S9_iPKfiiiPfSC_PS2_PT2_iSB_SB_.numbered_sgpr, max(33, .L__assert_fail.numbered_sgpr)
	.set _Z39paged_attention_ll4mi_QKV_mfma16_kernelIDF16_DF16_LN4vllm18Fp8KVCacheDataTypeE0EDF16_Li32ELi64ELi256ELb1ELi14EEvPKT_PKT0_S7_ifPKiS9_S9_iPKfiiiPfSC_PS2_PT2_iSB_SB_.num_named_barrier, max(0, .L__assert_fail.num_named_barrier)
	.set _Z39paged_attention_ll4mi_QKV_mfma16_kernelIDF16_DF16_LN4vllm18Fp8KVCacheDataTypeE0EDF16_Li32ELi64ELi256ELb1ELi14EEvPKT_PKT0_S7_ifPKiS9_S9_iPKfiiiPfSC_PS2_PT2_iSB_SB_.private_seg_size, 0+max(.L__assert_fail.private_seg_size)
	.set _Z39paged_attention_ll4mi_QKV_mfma16_kernelIDF16_DF16_LN4vllm18Fp8KVCacheDataTypeE0EDF16_Li32ELi64ELi256ELb1ELi14EEvPKT_PKT0_S7_ifPKiS9_S9_iPKfiiiPfSC_PS2_PT2_iSB_SB_.uses_vcc, or(1, .L__assert_fail.uses_vcc)
	.set _Z39paged_attention_ll4mi_QKV_mfma16_kernelIDF16_DF16_LN4vllm18Fp8KVCacheDataTypeE0EDF16_Li32ELi64ELi256ELb1ELi14EEvPKT_PKT0_S7_ifPKiS9_S9_iPKfiiiPfSC_PS2_PT2_iSB_SB_.uses_flat_scratch, or(0, .L__assert_fail.uses_flat_scratch)
	.set _Z39paged_attention_ll4mi_QKV_mfma16_kernelIDF16_DF16_LN4vllm18Fp8KVCacheDataTypeE0EDF16_Li32ELi64ELi256ELb1ELi14EEvPKT_PKT0_S7_ifPKiS9_S9_iPKfiiiPfSC_PS2_PT2_iSB_SB_.has_dyn_sized_stack, or(0, .L__assert_fail.has_dyn_sized_stack)
	.set _Z39paged_attention_ll4mi_QKV_mfma16_kernelIDF16_DF16_LN4vllm18Fp8KVCacheDataTypeE0EDF16_Li32ELi64ELi256ELb1ELi14EEvPKT_PKT0_S7_ifPKiS9_S9_iPKfiiiPfSC_PS2_PT2_iSB_SB_.has_recursion, or(0, .L__assert_fail.has_recursion)
	.set _Z39paged_attention_ll4mi_QKV_mfma16_kernelIDF16_DF16_LN4vllm18Fp8KVCacheDataTypeE0EDF16_Li32ELi64ELi256ELb1ELi14EEvPKT_PKT0_S7_ifPKiS9_S9_iPKfiiiPfSC_PS2_PT2_iSB_SB_.has_indirect_call, or(0, .L__assert_fail.has_indirect_call)
	.section	.AMDGPU.csdata,"",@progbits
; Kernel info:
; codeLenInByte = 68
; TotalNumSgprs: 36
; NumVgprs: 51
; ScratchSize: 64
; MemoryBound: 0
; FloatMode: 240
; IeeeMode: 1
; LDSByteSize: 0 bytes/workgroup (compile time only)
; SGPRBlocks: 0
; VGPRBlocks: 3
; NumSGPRsForWavesPerEU: 36
; NumVGPRsForWavesPerEU: 51
; NamedBarCnt: 0
; Occupancy: 16
; WaveLimiterHint : 1
; COMPUTE_PGM_RSRC2:SCRATCH_EN: 1
; COMPUTE_PGM_RSRC2:USER_SGPR: 2
; COMPUTE_PGM_RSRC2:TRAP_HANDLER: 0
; COMPUTE_PGM_RSRC2:TGID_X_EN: 1
; COMPUTE_PGM_RSRC2:TGID_Y_EN: 0
; COMPUTE_PGM_RSRC2:TGID_Z_EN: 0
; COMPUTE_PGM_RSRC2:TIDIG_COMP_CNT: 0
	.section	.text._Z39paged_attention_ll4mi_QKV_mfma16_kernelIDF16_DF16_LN4vllm18Fp8KVCacheDataTypeE0EDF16_Li32ELi64ELi256ELb1ELi15EEvPKT_PKT0_S7_ifPKiS9_S9_iPKfiiiPfSC_PS2_PT2_iSB_SB_,"axG",@progbits,_Z39paged_attention_ll4mi_QKV_mfma16_kernelIDF16_DF16_LN4vllm18Fp8KVCacheDataTypeE0EDF16_Li32ELi64ELi256ELb1ELi15EEvPKT_PKT0_S7_ifPKiS9_S9_iPKfiiiPfSC_PS2_PT2_iSB_SB_,comdat
	.protected	_Z39paged_attention_ll4mi_QKV_mfma16_kernelIDF16_DF16_LN4vllm18Fp8KVCacheDataTypeE0EDF16_Li32ELi64ELi256ELb1ELi15EEvPKT_PKT0_S7_ifPKiS9_S9_iPKfiiiPfSC_PS2_PT2_iSB_SB_ ; -- Begin function _Z39paged_attention_ll4mi_QKV_mfma16_kernelIDF16_DF16_LN4vllm18Fp8KVCacheDataTypeE0EDF16_Li32ELi64ELi256ELb1ELi15EEvPKT_PKT0_S7_ifPKiS9_S9_iPKfiiiPfSC_PS2_PT2_iSB_SB_
	.globl	_Z39paged_attention_ll4mi_QKV_mfma16_kernelIDF16_DF16_LN4vllm18Fp8KVCacheDataTypeE0EDF16_Li32ELi64ELi256ELb1ELi15EEvPKT_PKT0_S7_ifPKiS9_S9_iPKfiiiPfSC_PS2_PT2_iSB_SB_
	.p2align	8
	.type	_Z39paged_attention_ll4mi_QKV_mfma16_kernelIDF16_DF16_LN4vllm18Fp8KVCacheDataTypeE0EDF16_Li32ELi64ELi256ELb1ELi15EEvPKT_PKT0_S7_ifPKiS9_S9_iPKfiiiPfSC_PS2_PT2_iSB_SB_,@function
_Z39paged_attention_ll4mi_QKV_mfma16_kernelIDF16_DF16_LN4vllm18Fp8KVCacheDataTypeE0EDF16_Li32ELi64ELi256ELb1ELi15EEvPKT_PKT0_S7_ifPKiS9_S9_iPKfiiiPfSC_PS2_PT2_iSB_SB_: ; @_Z39paged_attention_ll4mi_QKV_mfma16_kernelIDF16_DF16_LN4vllm18Fp8KVCacheDataTypeE0EDF16_Li32ELi64ELi256ELb1ELi15EEvPKT_PKT0_S7_ifPKiS9_S9_iPKfiiiPfSC_PS2_PT2_iSB_SB_
; %bb.0:
	s_get_pc_i64 s[2:3]
	s_add_nc_u64 s[2:3], s[2:3], __PRETTY_FUNCTION__._Z39paged_attention_ll4mi_QKV_mfma16_kernelIDF16_DF16_LN4vllm18Fp8KVCacheDataTypeE0EDF16_Li32ELi64ELi256ELb1ELi15EEvPKT_PKT0_S7_ifPKiS9_S9_iPKfiiiPfSC_PS2_PT2_iSB_SB_@rel64+4
	s_delay_alu instid0(SALU_CYCLE_1)
	v_dual_mov_b32 v0, 0xbb3 :: v_dual_mov_b32 v1, s2
	v_mov_b32_e32 v2, s3
	s_add_nc_u64 s[8:9], s[0:1], 0x90
	s_get_pc_i64 s[0:1]
	s_add_nc_u64 s[0:1], s[0:1], __assert_fail@rel64+4
	s_mov_b32 s32, 0
	s_swap_pc_i64 s[30:31], s[0:1]
	.section	.rodata,"a",@progbits
	.p2align	6, 0x0
	.amdhsa_kernel _Z39paged_attention_ll4mi_QKV_mfma16_kernelIDF16_DF16_LN4vllm18Fp8KVCacheDataTypeE0EDF16_Li32ELi64ELi256ELb1ELi15EEvPKT_PKT0_S7_ifPKiS9_S9_iPKfiiiPfSC_PS2_PT2_iSB_SB_
		.amdhsa_group_segment_fixed_size 0
		.amdhsa_private_segment_fixed_size 64
		.amdhsa_kernarg_size 400
		.amdhsa_user_sgpr_count 2
		.amdhsa_user_sgpr_dispatch_ptr 0
		.amdhsa_user_sgpr_queue_ptr 0
		.amdhsa_user_sgpr_kernarg_segment_ptr 1
		.amdhsa_user_sgpr_dispatch_id 0
		.amdhsa_user_sgpr_kernarg_preload_length 0
		.amdhsa_user_sgpr_kernarg_preload_offset 0
		.amdhsa_user_sgpr_private_segment_size 0
		.amdhsa_wavefront_size32 1
		.amdhsa_uses_dynamic_stack 0
		.amdhsa_enable_private_segment 1
		.amdhsa_system_sgpr_workgroup_id_x 1
		.amdhsa_system_sgpr_workgroup_id_y 0
		.amdhsa_system_sgpr_workgroup_id_z 0
		.amdhsa_system_sgpr_workgroup_info 0
		.amdhsa_system_vgpr_workitem_id 0
		.amdhsa_next_free_vgpr 51
		.amdhsa_next_free_sgpr 34
		.amdhsa_named_barrier_count 0
		.amdhsa_reserve_vcc 1
		.amdhsa_float_round_mode_32 0
		.amdhsa_float_round_mode_16_64 0
		.amdhsa_float_denorm_mode_32 3
		.amdhsa_float_denorm_mode_16_64 3
		.amdhsa_fp16_overflow 0
		.amdhsa_memory_ordered 1
		.amdhsa_forward_progress 1
		.amdhsa_inst_pref_size 1
		.amdhsa_round_robin_scheduling 0
		.amdhsa_exception_fp_ieee_invalid_op 0
		.amdhsa_exception_fp_denorm_src 0
		.amdhsa_exception_fp_ieee_div_zero 0
		.amdhsa_exception_fp_ieee_overflow 0
		.amdhsa_exception_fp_ieee_underflow 0
		.amdhsa_exception_fp_ieee_inexact 0
		.amdhsa_exception_int_div_zero 0
	.end_amdhsa_kernel
	.section	.text._Z39paged_attention_ll4mi_QKV_mfma16_kernelIDF16_DF16_LN4vllm18Fp8KVCacheDataTypeE0EDF16_Li32ELi64ELi256ELb1ELi15EEvPKT_PKT0_S7_ifPKiS9_S9_iPKfiiiPfSC_PS2_PT2_iSB_SB_,"axG",@progbits,_Z39paged_attention_ll4mi_QKV_mfma16_kernelIDF16_DF16_LN4vllm18Fp8KVCacheDataTypeE0EDF16_Li32ELi64ELi256ELb1ELi15EEvPKT_PKT0_S7_ifPKiS9_S9_iPKfiiiPfSC_PS2_PT2_iSB_SB_,comdat
.Lfunc_end168:
	.size	_Z39paged_attention_ll4mi_QKV_mfma16_kernelIDF16_DF16_LN4vllm18Fp8KVCacheDataTypeE0EDF16_Li32ELi64ELi256ELb1ELi15EEvPKT_PKT0_S7_ifPKiS9_S9_iPKfiiiPfSC_PS2_PT2_iSB_SB_, .Lfunc_end168-_Z39paged_attention_ll4mi_QKV_mfma16_kernelIDF16_DF16_LN4vllm18Fp8KVCacheDataTypeE0EDF16_Li32ELi64ELi256ELb1ELi15EEvPKT_PKT0_S7_ifPKiS9_S9_iPKfiiiPfSC_PS2_PT2_iSB_SB_
                                        ; -- End function
	.set _Z39paged_attention_ll4mi_QKV_mfma16_kernelIDF16_DF16_LN4vllm18Fp8KVCacheDataTypeE0EDF16_Li32ELi64ELi256ELb1ELi15EEvPKT_PKT0_S7_ifPKiS9_S9_iPKfiiiPfSC_PS2_PT2_iSB_SB_.num_vgpr, max(3, .L__assert_fail.num_vgpr)
	.set _Z39paged_attention_ll4mi_QKV_mfma16_kernelIDF16_DF16_LN4vllm18Fp8KVCacheDataTypeE0EDF16_Li32ELi64ELi256ELb1ELi15EEvPKT_PKT0_S7_ifPKiS9_S9_iPKfiiiPfSC_PS2_PT2_iSB_SB_.num_agpr, max(0, .L__assert_fail.num_agpr)
	.set _Z39paged_attention_ll4mi_QKV_mfma16_kernelIDF16_DF16_LN4vllm18Fp8KVCacheDataTypeE0EDF16_Li32ELi64ELi256ELb1ELi15EEvPKT_PKT0_S7_ifPKiS9_S9_iPKfiiiPfSC_PS2_PT2_iSB_SB_.numbered_sgpr, max(33, .L__assert_fail.numbered_sgpr)
	.set _Z39paged_attention_ll4mi_QKV_mfma16_kernelIDF16_DF16_LN4vllm18Fp8KVCacheDataTypeE0EDF16_Li32ELi64ELi256ELb1ELi15EEvPKT_PKT0_S7_ifPKiS9_S9_iPKfiiiPfSC_PS2_PT2_iSB_SB_.num_named_barrier, max(0, .L__assert_fail.num_named_barrier)
	.set _Z39paged_attention_ll4mi_QKV_mfma16_kernelIDF16_DF16_LN4vllm18Fp8KVCacheDataTypeE0EDF16_Li32ELi64ELi256ELb1ELi15EEvPKT_PKT0_S7_ifPKiS9_S9_iPKfiiiPfSC_PS2_PT2_iSB_SB_.private_seg_size, 0+max(.L__assert_fail.private_seg_size)
	.set _Z39paged_attention_ll4mi_QKV_mfma16_kernelIDF16_DF16_LN4vllm18Fp8KVCacheDataTypeE0EDF16_Li32ELi64ELi256ELb1ELi15EEvPKT_PKT0_S7_ifPKiS9_S9_iPKfiiiPfSC_PS2_PT2_iSB_SB_.uses_vcc, or(1, .L__assert_fail.uses_vcc)
	.set _Z39paged_attention_ll4mi_QKV_mfma16_kernelIDF16_DF16_LN4vllm18Fp8KVCacheDataTypeE0EDF16_Li32ELi64ELi256ELb1ELi15EEvPKT_PKT0_S7_ifPKiS9_S9_iPKfiiiPfSC_PS2_PT2_iSB_SB_.uses_flat_scratch, or(0, .L__assert_fail.uses_flat_scratch)
	.set _Z39paged_attention_ll4mi_QKV_mfma16_kernelIDF16_DF16_LN4vllm18Fp8KVCacheDataTypeE0EDF16_Li32ELi64ELi256ELb1ELi15EEvPKT_PKT0_S7_ifPKiS9_S9_iPKfiiiPfSC_PS2_PT2_iSB_SB_.has_dyn_sized_stack, or(0, .L__assert_fail.has_dyn_sized_stack)
	.set _Z39paged_attention_ll4mi_QKV_mfma16_kernelIDF16_DF16_LN4vllm18Fp8KVCacheDataTypeE0EDF16_Li32ELi64ELi256ELb1ELi15EEvPKT_PKT0_S7_ifPKiS9_S9_iPKfiiiPfSC_PS2_PT2_iSB_SB_.has_recursion, or(0, .L__assert_fail.has_recursion)
	.set _Z39paged_attention_ll4mi_QKV_mfma16_kernelIDF16_DF16_LN4vllm18Fp8KVCacheDataTypeE0EDF16_Li32ELi64ELi256ELb1ELi15EEvPKT_PKT0_S7_ifPKiS9_S9_iPKfiiiPfSC_PS2_PT2_iSB_SB_.has_indirect_call, or(0, .L__assert_fail.has_indirect_call)
	.section	.AMDGPU.csdata,"",@progbits
; Kernel info:
; codeLenInByte = 68
; TotalNumSgprs: 36
; NumVgprs: 51
; ScratchSize: 64
; MemoryBound: 0
; FloatMode: 240
; IeeeMode: 1
; LDSByteSize: 0 bytes/workgroup (compile time only)
; SGPRBlocks: 0
; VGPRBlocks: 3
; NumSGPRsForWavesPerEU: 36
; NumVGPRsForWavesPerEU: 51
; NamedBarCnt: 0
; Occupancy: 16
; WaveLimiterHint : 1
; COMPUTE_PGM_RSRC2:SCRATCH_EN: 1
; COMPUTE_PGM_RSRC2:USER_SGPR: 2
; COMPUTE_PGM_RSRC2:TRAP_HANDLER: 0
; COMPUTE_PGM_RSRC2:TGID_X_EN: 1
; COMPUTE_PGM_RSRC2:TGID_Y_EN: 0
; COMPUTE_PGM_RSRC2:TGID_Z_EN: 0
; COMPUTE_PGM_RSRC2:TIDIG_COMP_CNT: 0
	.section	.text._Z39paged_attention_ll4mi_QKV_mfma16_kernelIDF16_DF16_LN4vllm18Fp8KVCacheDataTypeE0EDF16_Li32ELi64ELi256ELb1ELi16EEvPKT_PKT0_S7_ifPKiS9_S9_iPKfiiiPfSC_PS2_PT2_iSB_SB_,"axG",@progbits,_Z39paged_attention_ll4mi_QKV_mfma16_kernelIDF16_DF16_LN4vllm18Fp8KVCacheDataTypeE0EDF16_Li32ELi64ELi256ELb1ELi16EEvPKT_PKT0_S7_ifPKiS9_S9_iPKfiiiPfSC_PS2_PT2_iSB_SB_,comdat
	.protected	_Z39paged_attention_ll4mi_QKV_mfma16_kernelIDF16_DF16_LN4vllm18Fp8KVCacheDataTypeE0EDF16_Li32ELi64ELi256ELb1ELi16EEvPKT_PKT0_S7_ifPKiS9_S9_iPKfiiiPfSC_PS2_PT2_iSB_SB_ ; -- Begin function _Z39paged_attention_ll4mi_QKV_mfma16_kernelIDF16_DF16_LN4vllm18Fp8KVCacheDataTypeE0EDF16_Li32ELi64ELi256ELb1ELi16EEvPKT_PKT0_S7_ifPKiS9_S9_iPKfiiiPfSC_PS2_PT2_iSB_SB_
	.globl	_Z39paged_attention_ll4mi_QKV_mfma16_kernelIDF16_DF16_LN4vllm18Fp8KVCacheDataTypeE0EDF16_Li32ELi64ELi256ELb1ELi16EEvPKT_PKT0_S7_ifPKiS9_S9_iPKfiiiPfSC_PS2_PT2_iSB_SB_
	.p2align	8
	.type	_Z39paged_attention_ll4mi_QKV_mfma16_kernelIDF16_DF16_LN4vllm18Fp8KVCacheDataTypeE0EDF16_Li32ELi64ELi256ELb1ELi16EEvPKT_PKT0_S7_ifPKiS9_S9_iPKfiiiPfSC_PS2_PT2_iSB_SB_,@function
_Z39paged_attention_ll4mi_QKV_mfma16_kernelIDF16_DF16_LN4vllm18Fp8KVCacheDataTypeE0EDF16_Li32ELi64ELi256ELb1ELi16EEvPKT_PKT0_S7_ifPKiS9_S9_iPKfiiiPfSC_PS2_PT2_iSB_SB_: ; @_Z39paged_attention_ll4mi_QKV_mfma16_kernelIDF16_DF16_LN4vllm18Fp8KVCacheDataTypeE0EDF16_Li32ELi64ELi256ELb1ELi16EEvPKT_PKT0_S7_ifPKiS9_S9_iPKfiiiPfSC_PS2_PT2_iSB_SB_
; %bb.0:
	s_get_pc_i64 s[2:3]
	s_add_nc_u64 s[2:3], s[2:3], __PRETTY_FUNCTION__._Z39paged_attention_ll4mi_QKV_mfma16_kernelIDF16_DF16_LN4vllm18Fp8KVCacheDataTypeE0EDF16_Li32ELi64ELi256ELb1ELi16EEvPKT_PKT0_S7_ifPKiS9_S9_iPKfiiiPfSC_PS2_PT2_iSB_SB_@rel64+4
	s_delay_alu instid0(SALU_CYCLE_1)
	v_dual_mov_b32 v0, 0xbb3 :: v_dual_mov_b32 v1, s2
	v_mov_b32_e32 v2, s3
	s_add_nc_u64 s[8:9], s[0:1], 0x90
	s_get_pc_i64 s[0:1]
	s_add_nc_u64 s[0:1], s[0:1], __assert_fail@rel64+4
	s_mov_b32 s32, 0
	s_swap_pc_i64 s[30:31], s[0:1]
	.section	.rodata,"a",@progbits
	.p2align	6, 0x0
	.amdhsa_kernel _Z39paged_attention_ll4mi_QKV_mfma16_kernelIDF16_DF16_LN4vllm18Fp8KVCacheDataTypeE0EDF16_Li32ELi64ELi256ELb1ELi16EEvPKT_PKT0_S7_ifPKiS9_S9_iPKfiiiPfSC_PS2_PT2_iSB_SB_
		.amdhsa_group_segment_fixed_size 0
		.amdhsa_private_segment_fixed_size 64
		.amdhsa_kernarg_size 400
		.amdhsa_user_sgpr_count 2
		.amdhsa_user_sgpr_dispatch_ptr 0
		.amdhsa_user_sgpr_queue_ptr 0
		.amdhsa_user_sgpr_kernarg_segment_ptr 1
		.amdhsa_user_sgpr_dispatch_id 0
		.amdhsa_user_sgpr_kernarg_preload_length 0
		.amdhsa_user_sgpr_kernarg_preload_offset 0
		.amdhsa_user_sgpr_private_segment_size 0
		.amdhsa_wavefront_size32 1
		.amdhsa_uses_dynamic_stack 0
		.amdhsa_enable_private_segment 1
		.amdhsa_system_sgpr_workgroup_id_x 1
		.amdhsa_system_sgpr_workgroup_id_y 0
		.amdhsa_system_sgpr_workgroup_id_z 0
		.amdhsa_system_sgpr_workgroup_info 0
		.amdhsa_system_vgpr_workitem_id 0
		.amdhsa_next_free_vgpr 51
		.amdhsa_next_free_sgpr 34
		.amdhsa_named_barrier_count 0
		.amdhsa_reserve_vcc 1
		.amdhsa_float_round_mode_32 0
		.amdhsa_float_round_mode_16_64 0
		.amdhsa_float_denorm_mode_32 3
		.amdhsa_float_denorm_mode_16_64 3
		.amdhsa_fp16_overflow 0
		.amdhsa_memory_ordered 1
		.amdhsa_forward_progress 1
		.amdhsa_inst_pref_size 1
		.amdhsa_round_robin_scheduling 0
		.amdhsa_exception_fp_ieee_invalid_op 0
		.amdhsa_exception_fp_denorm_src 0
		.amdhsa_exception_fp_ieee_div_zero 0
		.amdhsa_exception_fp_ieee_overflow 0
		.amdhsa_exception_fp_ieee_underflow 0
		.amdhsa_exception_fp_ieee_inexact 0
		.amdhsa_exception_int_div_zero 0
	.end_amdhsa_kernel
	.section	.text._Z39paged_attention_ll4mi_QKV_mfma16_kernelIDF16_DF16_LN4vllm18Fp8KVCacheDataTypeE0EDF16_Li32ELi64ELi256ELb1ELi16EEvPKT_PKT0_S7_ifPKiS9_S9_iPKfiiiPfSC_PS2_PT2_iSB_SB_,"axG",@progbits,_Z39paged_attention_ll4mi_QKV_mfma16_kernelIDF16_DF16_LN4vllm18Fp8KVCacheDataTypeE0EDF16_Li32ELi64ELi256ELb1ELi16EEvPKT_PKT0_S7_ifPKiS9_S9_iPKfiiiPfSC_PS2_PT2_iSB_SB_,comdat
.Lfunc_end169:
	.size	_Z39paged_attention_ll4mi_QKV_mfma16_kernelIDF16_DF16_LN4vllm18Fp8KVCacheDataTypeE0EDF16_Li32ELi64ELi256ELb1ELi16EEvPKT_PKT0_S7_ifPKiS9_S9_iPKfiiiPfSC_PS2_PT2_iSB_SB_, .Lfunc_end169-_Z39paged_attention_ll4mi_QKV_mfma16_kernelIDF16_DF16_LN4vllm18Fp8KVCacheDataTypeE0EDF16_Li32ELi64ELi256ELb1ELi16EEvPKT_PKT0_S7_ifPKiS9_S9_iPKfiiiPfSC_PS2_PT2_iSB_SB_
                                        ; -- End function
	.set _Z39paged_attention_ll4mi_QKV_mfma16_kernelIDF16_DF16_LN4vllm18Fp8KVCacheDataTypeE0EDF16_Li32ELi64ELi256ELb1ELi16EEvPKT_PKT0_S7_ifPKiS9_S9_iPKfiiiPfSC_PS2_PT2_iSB_SB_.num_vgpr, max(3, .L__assert_fail.num_vgpr)
	.set _Z39paged_attention_ll4mi_QKV_mfma16_kernelIDF16_DF16_LN4vllm18Fp8KVCacheDataTypeE0EDF16_Li32ELi64ELi256ELb1ELi16EEvPKT_PKT0_S7_ifPKiS9_S9_iPKfiiiPfSC_PS2_PT2_iSB_SB_.num_agpr, max(0, .L__assert_fail.num_agpr)
	.set _Z39paged_attention_ll4mi_QKV_mfma16_kernelIDF16_DF16_LN4vllm18Fp8KVCacheDataTypeE0EDF16_Li32ELi64ELi256ELb1ELi16EEvPKT_PKT0_S7_ifPKiS9_S9_iPKfiiiPfSC_PS2_PT2_iSB_SB_.numbered_sgpr, max(33, .L__assert_fail.numbered_sgpr)
	.set _Z39paged_attention_ll4mi_QKV_mfma16_kernelIDF16_DF16_LN4vllm18Fp8KVCacheDataTypeE0EDF16_Li32ELi64ELi256ELb1ELi16EEvPKT_PKT0_S7_ifPKiS9_S9_iPKfiiiPfSC_PS2_PT2_iSB_SB_.num_named_barrier, max(0, .L__assert_fail.num_named_barrier)
	.set _Z39paged_attention_ll4mi_QKV_mfma16_kernelIDF16_DF16_LN4vllm18Fp8KVCacheDataTypeE0EDF16_Li32ELi64ELi256ELb1ELi16EEvPKT_PKT0_S7_ifPKiS9_S9_iPKfiiiPfSC_PS2_PT2_iSB_SB_.private_seg_size, 0+max(.L__assert_fail.private_seg_size)
	.set _Z39paged_attention_ll4mi_QKV_mfma16_kernelIDF16_DF16_LN4vllm18Fp8KVCacheDataTypeE0EDF16_Li32ELi64ELi256ELb1ELi16EEvPKT_PKT0_S7_ifPKiS9_S9_iPKfiiiPfSC_PS2_PT2_iSB_SB_.uses_vcc, or(1, .L__assert_fail.uses_vcc)
	.set _Z39paged_attention_ll4mi_QKV_mfma16_kernelIDF16_DF16_LN4vllm18Fp8KVCacheDataTypeE0EDF16_Li32ELi64ELi256ELb1ELi16EEvPKT_PKT0_S7_ifPKiS9_S9_iPKfiiiPfSC_PS2_PT2_iSB_SB_.uses_flat_scratch, or(0, .L__assert_fail.uses_flat_scratch)
	.set _Z39paged_attention_ll4mi_QKV_mfma16_kernelIDF16_DF16_LN4vllm18Fp8KVCacheDataTypeE0EDF16_Li32ELi64ELi256ELb1ELi16EEvPKT_PKT0_S7_ifPKiS9_S9_iPKfiiiPfSC_PS2_PT2_iSB_SB_.has_dyn_sized_stack, or(0, .L__assert_fail.has_dyn_sized_stack)
	.set _Z39paged_attention_ll4mi_QKV_mfma16_kernelIDF16_DF16_LN4vllm18Fp8KVCacheDataTypeE0EDF16_Li32ELi64ELi256ELb1ELi16EEvPKT_PKT0_S7_ifPKiS9_S9_iPKfiiiPfSC_PS2_PT2_iSB_SB_.has_recursion, or(0, .L__assert_fail.has_recursion)
	.set _Z39paged_attention_ll4mi_QKV_mfma16_kernelIDF16_DF16_LN4vllm18Fp8KVCacheDataTypeE0EDF16_Li32ELi64ELi256ELb1ELi16EEvPKT_PKT0_S7_ifPKiS9_S9_iPKfiiiPfSC_PS2_PT2_iSB_SB_.has_indirect_call, or(0, .L__assert_fail.has_indirect_call)
	.section	.AMDGPU.csdata,"",@progbits
; Kernel info:
; codeLenInByte = 68
; TotalNumSgprs: 36
; NumVgprs: 51
; ScratchSize: 64
; MemoryBound: 0
; FloatMode: 240
; IeeeMode: 1
; LDSByteSize: 0 bytes/workgroup (compile time only)
; SGPRBlocks: 0
; VGPRBlocks: 3
; NumSGPRsForWavesPerEU: 36
; NumVGPRsForWavesPerEU: 51
; NamedBarCnt: 0
; Occupancy: 16
; WaveLimiterHint : 1
; COMPUTE_PGM_RSRC2:SCRATCH_EN: 1
; COMPUTE_PGM_RSRC2:USER_SGPR: 2
; COMPUTE_PGM_RSRC2:TRAP_HANDLER: 0
; COMPUTE_PGM_RSRC2:TGID_X_EN: 1
; COMPUTE_PGM_RSRC2:TGID_Y_EN: 0
; COMPUTE_PGM_RSRC2:TGID_Z_EN: 0
; COMPUTE_PGM_RSRC2:TIDIG_COMP_CNT: 0
	.section	.text._Z39paged_attention_ll4mi_QKV_mfma16_kernelIDF16_DF16_LN4vllm18Fp8KVCacheDataTypeE0EDF16_Li32ELi64ELi256ELb1ELi1EEvPKT_PKT0_S7_ifPKiS9_S9_iPKfiiiPfSC_PS2_PT2_iSB_SB_,"axG",@progbits,_Z39paged_attention_ll4mi_QKV_mfma16_kernelIDF16_DF16_LN4vllm18Fp8KVCacheDataTypeE0EDF16_Li32ELi64ELi256ELb1ELi1EEvPKT_PKT0_S7_ifPKiS9_S9_iPKfiiiPfSC_PS2_PT2_iSB_SB_,comdat
	.protected	_Z39paged_attention_ll4mi_QKV_mfma16_kernelIDF16_DF16_LN4vllm18Fp8KVCacheDataTypeE0EDF16_Li32ELi64ELi256ELb1ELi1EEvPKT_PKT0_S7_ifPKiS9_S9_iPKfiiiPfSC_PS2_PT2_iSB_SB_ ; -- Begin function _Z39paged_attention_ll4mi_QKV_mfma16_kernelIDF16_DF16_LN4vllm18Fp8KVCacheDataTypeE0EDF16_Li32ELi64ELi256ELb1ELi1EEvPKT_PKT0_S7_ifPKiS9_S9_iPKfiiiPfSC_PS2_PT2_iSB_SB_
	.globl	_Z39paged_attention_ll4mi_QKV_mfma16_kernelIDF16_DF16_LN4vllm18Fp8KVCacheDataTypeE0EDF16_Li32ELi64ELi256ELb1ELi1EEvPKT_PKT0_S7_ifPKiS9_S9_iPKfiiiPfSC_PS2_PT2_iSB_SB_
	.p2align	8
	.type	_Z39paged_attention_ll4mi_QKV_mfma16_kernelIDF16_DF16_LN4vllm18Fp8KVCacheDataTypeE0EDF16_Li32ELi64ELi256ELb1ELi1EEvPKT_PKT0_S7_ifPKiS9_S9_iPKfiiiPfSC_PS2_PT2_iSB_SB_,@function
_Z39paged_attention_ll4mi_QKV_mfma16_kernelIDF16_DF16_LN4vllm18Fp8KVCacheDataTypeE0EDF16_Li32ELi64ELi256ELb1ELi1EEvPKT_PKT0_S7_ifPKiS9_S9_iPKfiiiPfSC_PS2_PT2_iSB_SB_: ; @_Z39paged_attention_ll4mi_QKV_mfma16_kernelIDF16_DF16_LN4vllm18Fp8KVCacheDataTypeE0EDF16_Li32ELi64ELi256ELb1ELi1EEvPKT_PKT0_S7_ifPKiS9_S9_iPKfiiiPfSC_PS2_PT2_iSB_SB_
; %bb.0:
	s_get_pc_i64 s[2:3]
	s_add_nc_u64 s[2:3], s[2:3], __PRETTY_FUNCTION__._Z39paged_attention_ll4mi_QKV_mfma16_kernelIDF16_DF16_LN4vllm18Fp8KVCacheDataTypeE0EDF16_Li32ELi64ELi256ELb1ELi1EEvPKT_PKT0_S7_ifPKiS9_S9_iPKfiiiPfSC_PS2_PT2_iSB_SB_@rel64+4
	s_delay_alu instid0(SALU_CYCLE_1)
	v_dual_mov_b32 v0, 0xbb3 :: v_dual_mov_b32 v1, s2
	v_mov_b32_e32 v2, s3
	s_add_nc_u64 s[8:9], s[0:1], 0x90
	s_get_pc_i64 s[0:1]
	s_add_nc_u64 s[0:1], s[0:1], __assert_fail@rel64+4
	s_mov_b32 s32, 0
	s_swap_pc_i64 s[30:31], s[0:1]
	.section	.rodata,"a",@progbits
	.p2align	6, 0x0
	.amdhsa_kernel _Z39paged_attention_ll4mi_QKV_mfma16_kernelIDF16_DF16_LN4vllm18Fp8KVCacheDataTypeE0EDF16_Li32ELi64ELi256ELb1ELi1EEvPKT_PKT0_S7_ifPKiS9_S9_iPKfiiiPfSC_PS2_PT2_iSB_SB_
		.amdhsa_group_segment_fixed_size 0
		.amdhsa_private_segment_fixed_size 64
		.amdhsa_kernarg_size 400
		.amdhsa_user_sgpr_count 2
		.amdhsa_user_sgpr_dispatch_ptr 0
		.amdhsa_user_sgpr_queue_ptr 0
		.amdhsa_user_sgpr_kernarg_segment_ptr 1
		.amdhsa_user_sgpr_dispatch_id 0
		.amdhsa_user_sgpr_kernarg_preload_length 0
		.amdhsa_user_sgpr_kernarg_preload_offset 0
		.amdhsa_user_sgpr_private_segment_size 0
		.amdhsa_wavefront_size32 1
		.amdhsa_uses_dynamic_stack 0
		.amdhsa_enable_private_segment 1
		.amdhsa_system_sgpr_workgroup_id_x 1
		.amdhsa_system_sgpr_workgroup_id_y 0
		.amdhsa_system_sgpr_workgroup_id_z 0
		.amdhsa_system_sgpr_workgroup_info 0
		.amdhsa_system_vgpr_workitem_id 0
		.amdhsa_next_free_vgpr 51
		.amdhsa_next_free_sgpr 34
		.amdhsa_named_barrier_count 0
		.amdhsa_reserve_vcc 1
		.amdhsa_float_round_mode_32 0
		.amdhsa_float_round_mode_16_64 0
		.amdhsa_float_denorm_mode_32 3
		.amdhsa_float_denorm_mode_16_64 3
		.amdhsa_fp16_overflow 0
		.amdhsa_memory_ordered 1
		.amdhsa_forward_progress 1
		.amdhsa_inst_pref_size 1
		.amdhsa_round_robin_scheduling 0
		.amdhsa_exception_fp_ieee_invalid_op 0
		.amdhsa_exception_fp_denorm_src 0
		.amdhsa_exception_fp_ieee_div_zero 0
		.amdhsa_exception_fp_ieee_overflow 0
		.amdhsa_exception_fp_ieee_underflow 0
		.amdhsa_exception_fp_ieee_inexact 0
		.amdhsa_exception_int_div_zero 0
	.end_amdhsa_kernel
	.section	.text._Z39paged_attention_ll4mi_QKV_mfma16_kernelIDF16_DF16_LN4vllm18Fp8KVCacheDataTypeE0EDF16_Li32ELi64ELi256ELb1ELi1EEvPKT_PKT0_S7_ifPKiS9_S9_iPKfiiiPfSC_PS2_PT2_iSB_SB_,"axG",@progbits,_Z39paged_attention_ll4mi_QKV_mfma16_kernelIDF16_DF16_LN4vllm18Fp8KVCacheDataTypeE0EDF16_Li32ELi64ELi256ELb1ELi1EEvPKT_PKT0_S7_ifPKiS9_S9_iPKfiiiPfSC_PS2_PT2_iSB_SB_,comdat
.Lfunc_end170:
	.size	_Z39paged_attention_ll4mi_QKV_mfma16_kernelIDF16_DF16_LN4vllm18Fp8KVCacheDataTypeE0EDF16_Li32ELi64ELi256ELb1ELi1EEvPKT_PKT0_S7_ifPKiS9_S9_iPKfiiiPfSC_PS2_PT2_iSB_SB_, .Lfunc_end170-_Z39paged_attention_ll4mi_QKV_mfma16_kernelIDF16_DF16_LN4vllm18Fp8KVCacheDataTypeE0EDF16_Li32ELi64ELi256ELb1ELi1EEvPKT_PKT0_S7_ifPKiS9_S9_iPKfiiiPfSC_PS2_PT2_iSB_SB_
                                        ; -- End function
	.set _Z39paged_attention_ll4mi_QKV_mfma16_kernelIDF16_DF16_LN4vllm18Fp8KVCacheDataTypeE0EDF16_Li32ELi64ELi256ELb1ELi1EEvPKT_PKT0_S7_ifPKiS9_S9_iPKfiiiPfSC_PS2_PT2_iSB_SB_.num_vgpr, max(3, .L__assert_fail.num_vgpr)
	.set _Z39paged_attention_ll4mi_QKV_mfma16_kernelIDF16_DF16_LN4vllm18Fp8KVCacheDataTypeE0EDF16_Li32ELi64ELi256ELb1ELi1EEvPKT_PKT0_S7_ifPKiS9_S9_iPKfiiiPfSC_PS2_PT2_iSB_SB_.num_agpr, max(0, .L__assert_fail.num_agpr)
	.set _Z39paged_attention_ll4mi_QKV_mfma16_kernelIDF16_DF16_LN4vllm18Fp8KVCacheDataTypeE0EDF16_Li32ELi64ELi256ELb1ELi1EEvPKT_PKT0_S7_ifPKiS9_S9_iPKfiiiPfSC_PS2_PT2_iSB_SB_.numbered_sgpr, max(33, .L__assert_fail.numbered_sgpr)
	.set _Z39paged_attention_ll4mi_QKV_mfma16_kernelIDF16_DF16_LN4vllm18Fp8KVCacheDataTypeE0EDF16_Li32ELi64ELi256ELb1ELi1EEvPKT_PKT0_S7_ifPKiS9_S9_iPKfiiiPfSC_PS2_PT2_iSB_SB_.num_named_barrier, max(0, .L__assert_fail.num_named_barrier)
	.set _Z39paged_attention_ll4mi_QKV_mfma16_kernelIDF16_DF16_LN4vllm18Fp8KVCacheDataTypeE0EDF16_Li32ELi64ELi256ELb1ELi1EEvPKT_PKT0_S7_ifPKiS9_S9_iPKfiiiPfSC_PS2_PT2_iSB_SB_.private_seg_size, 0+max(.L__assert_fail.private_seg_size)
	.set _Z39paged_attention_ll4mi_QKV_mfma16_kernelIDF16_DF16_LN4vllm18Fp8KVCacheDataTypeE0EDF16_Li32ELi64ELi256ELb1ELi1EEvPKT_PKT0_S7_ifPKiS9_S9_iPKfiiiPfSC_PS2_PT2_iSB_SB_.uses_vcc, or(1, .L__assert_fail.uses_vcc)
	.set _Z39paged_attention_ll4mi_QKV_mfma16_kernelIDF16_DF16_LN4vllm18Fp8KVCacheDataTypeE0EDF16_Li32ELi64ELi256ELb1ELi1EEvPKT_PKT0_S7_ifPKiS9_S9_iPKfiiiPfSC_PS2_PT2_iSB_SB_.uses_flat_scratch, or(0, .L__assert_fail.uses_flat_scratch)
	.set _Z39paged_attention_ll4mi_QKV_mfma16_kernelIDF16_DF16_LN4vllm18Fp8KVCacheDataTypeE0EDF16_Li32ELi64ELi256ELb1ELi1EEvPKT_PKT0_S7_ifPKiS9_S9_iPKfiiiPfSC_PS2_PT2_iSB_SB_.has_dyn_sized_stack, or(0, .L__assert_fail.has_dyn_sized_stack)
	.set _Z39paged_attention_ll4mi_QKV_mfma16_kernelIDF16_DF16_LN4vllm18Fp8KVCacheDataTypeE0EDF16_Li32ELi64ELi256ELb1ELi1EEvPKT_PKT0_S7_ifPKiS9_S9_iPKfiiiPfSC_PS2_PT2_iSB_SB_.has_recursion, or(0, .L__assert_fail.has_recursion)
	.set _Z39paged_attention_ll4mi_QKV_mfma16_kernelIDF16_DF16_LN4vllm18Fp8KVCacheDataTypeE0EDF16_Li32ELi64ELi256ELb1ELi1EEvPKT_PKT0_S7_ifPKiS9_S9_iPKfiiiPfSC_PS2_PT2_iSB_SB_.has_indirect_call, or(0, .L__assert_fail.has_indirect_call)
	.section	.AMDGPU.csdata,"",@progbits
; Kernel info:
; codeLenInByte = 68
; TotalNumSgprs: 36
; NumVgprs: 51
; ScratchSize: 64
; MemoryBound: 0
; FloatMode: 240
; IeeeMode: 1
; LDSByteSize: 0 bytes/workgroup (compile time only)
; SGPRBlocks: 0
; VGPRBlocks: 3
; NumSGPRsForWavesPerEU: 36
; NumVGPRsForWavesPerEU: 51
; NamedBarCnt: 0
; Occupancy: 16
; WaveLimiterHint : 1
; COMPUTE_PGM_RSRC2:SCRATCH_EN: 1
; COMPUTE_PGM_RSRC2:USER_SGPR: 2
; COMPUTE_PGM_RSRC2:TRAP_HANDLER: 0
; COMPUTE_PGM_RSRC2:TGID_X_EN: 1
; COMPUTE_PGM_RSRC2:TGID_Y_EN: 0
; COMPUTE_PGM_RSRC2:TGID_Z_EN: 0
; COMPUTE_PGM_RSRC2:TIDIG_COMP_CNT: 0
	.section	.text._Z39paged_attention_ll4mi_QKV_mfma16_kernelIDF16_DF16_LN4vllm18Fp8KVCacheDataTypeE0EDF16_Li32ELi64ELi256ELb1ELi2EEvPKT_PKT0_S7_ifPKiS9_S9_iPKfiiiPfSC_PS2_PT2_iSB_SB_,"axG",@progbits,_Z39paged_attention_ll4mi_QKV_mfma16_kernelIDF16_DF16_LN4vllm18Fp8KVCacheDataTypeE0EDF16_Li32ELi64ELi256ELb1ELi2EEvPKT_PKT0_S7_ifPKiS9_S9_iPKfiiiPfSC_PS2_PT2_iSB_SB_,comdat
	.protected	_Z39paged_attention_ll4mi_QKV_mfma16_kernelIDF16_DF16_LN4vllm18Fp8KVCacheDataTypeE0EDF16_Li32ELi64ELi256ELb1ELi2EEvPKT_PKT0_S7_ifPKiS9_S9_iPKfiiiPfSC_PS2_PT2_iSB_SB_ ; -- Begin function _Z39paged_attention_ll4mi_QKV_mfma16_kernelIDF16_DF16_LN4vllm18Fp8KVCacheDataTypeE0EDF16_Li32ELi64ELi256ELb1ELi2EEvPKT_PKT0_S7_ifPKiS9_S9_iPKfiiiPfSC_PS2_PT2_iSB_SB_
	.globl	_Z39paged_attention_ll4mi_QKV_mfma16_kernelIDF16_DF16_LN4vllm18Fp8KVCacheDataTypeE0EDF16_Li32ELi64ELi256ELb1ELi2EEvPKT_PKT0_S7_ifPKiS9_S9_iPKfiiiPfSC_PS2_PT2_iSB_SB_
	.p2align	8
	.type	_Z39paged_attention_ll4mi_QKV_mfma16_kernelIDF16_DF16_LN4vllm18Fp8KVCacheDataTypeE0EDF16_Li32ELi64ELi256ELb1ELi2EEvPKT_PKT0_S7_ifPKiS9_S9_iPKfiiiPfSC_PS2_PT2_iSB_SB_,@function
_Z39paged_attention_ll4mi_QKV_mfma16_kernelIDF16_DF16_LN4vllm18Fp8KVCacheDataTypeE0EDF16_Li32ELi64ELi256ELb1ELi2EEvPKT_PKT0_S7_ifPKiS9_S9_iPKfiiiPfSC_PS2_PT2_iSB_SB_: ; @_Z39paged_attention_ll4mi_QKV_mfma16_kernelIDF16_DF16_LN4vllm18Fp8KVCacheDataTypeE0EDF16_Li32ELi64ELi256ELb1ELi2EEvPKT_PKT0_S7_ifPKiS9_S9_iPKfiiiPfSC_PS2_PT2_iSB_SB_
; %bb.0:
	s_get_pc_i64 s[2:3]
	s_add_nc_u64 s[2:3], s[2:3], __PRETTY_FUNCTION__._Z39paged_attention_ll4mi_QKV_mfma16_kernelIDF16_DF16_LN4vllm18Fp8KVCacheDataTypeE0EDF16_Li32ELi64ELi256ELb1ELi2EEvPKT_PKT0_S7_ifPKiS9_S9_iPKfiiiPfSC_PS2_PT2_iSB_SB_@rel64+4
	s_delay_alu instid0(SALU_CYCLE_1)
	v_dual_mov_b32 v0, 0xbb3 :: v_dual_mov_b32 v1, s2
	v_mov_b32_e32 v2, s3
	s_add_nc_u64 s[8:9], s[0:1], 0x90
	s_get_pc_i64 s[0:1]
	s_add_nc_u64 s[0:1], s[0:1], __assert_fail@rel64+4
	s_mov_b32 s32, 0
	s_swap_pc_i64 s[30:31], s[0:1]
	.section	.rodata,"a",@progbits
	.p2align	6, 0x0
	.amdhsa_kernel _Z39paged_attention_ll4mi_QKV_mfma16_kernelIDF16_DF16_LN4vllm18Fp8KVCacheDataTypeE0EDF16_Li32ELi64ELi256ELb1ELi2EEvPKT_PKT0_S7_ifPKiS9_S9_iPKfiiiPfSC_PS2_PT2_iSB_SB_
		.amdhsa_group_segment_fixed_size 0
		.amdhsa_private_segment_fixed_size 64
		.amdhsa_kernarg_size 400
		.amdhsa_user_sgpr_count 2
		.amdhsa_user_sgpr_dispatch_ptr 0
		.amdhsa_user_sgpr_queue_ptr 0
		.amdhsa_user_sgpr_kernarg_segment_ptr 1
		.amdhsa_user_sgpr_dispatch_id 0
		.amdhsa_user_sgpr_kernarg_preload_length 0
		.amdhsa_user_sgpr_kernarg_preload_offset 0
		.amdhsa_user_sgpr_private_segment_size 0
		.amdhsa_wavefront_size32 1
		.amdhsa_uses_dynamic_stack 0
		.amdhsa_enable_private_segment 1
		.amdhsa_system_sgpr_workgroup_id_x 1
		.amdhsa_system_sgpr_workgroup_id_y 0
		.amdhsa_system_sgpr_workgroup_id_z 0
		.amdhsa_system_sgpr_workgroup_info 0
		.amdhsa_system_vgpr_workitem_id 0
		.amdhsa_next_free_vgpr 51
		.amdhsa_next_free_sgpr 34
		.amdhsa_named_barrier_count 0
		.amdhsa_reserve_vcc 1
		.amdhsa_float_round_mode_32 0
		.amdhsa_float_round_mode_16_64 0
		.amdhsa_float_denorm_mode_32 3
		.amdhsa_float_denorm_mode_16_64 3
		.amdhsa_fp16_overflow 0
		.amdhsa_memory_ordered 1
		.amdhsa_forward_progress 1
		.amdhsa_inst_pref_size 1
		.amdhsa_round_robin_scheduling 0
		.amdhsa_exception_fp_ieee_invalid_op 0
		.amdhsa_exception_fp_denorm_src 0
		.amdhsa_exception_fp_ieee_div_zero 0
		.amdhsa_exception_fp_ieee_overflow 0
		.amdhsa_exception_fp_ieee_underflow 0
		.amdhsa_exception_fp_ieee_inexact 0
		.amdhsa_exception_int_div_zero 0
	.end_amdhsa_kernel
	.section	.text._Z39paged_attention_ll4mi_QKV_mfma16_kernelIDF16_DF16_LN4vllm18Fp8KVCacheDataTypeE0EDF16_Li32ELi64ELi256ELb1ELi2EEvPKT_PKT0_S7_ifPKiS9_S9_iPKfiiiPfSC_PS2_PT2_iSB_SB_,"axG",@progbits,_Z39paged_attention_ll4mi_QKV_mfma16_kernelIDF16_DF16_LN4vllm18Fp8KVCacheDataTypeE0EDF16_Li32ELi64ELi256ELb1ELi2EEvPKT_PKT0_S7_ifPKiS9_S9_iPKfiiiPfSC_PS2_PT2_iSB_SB_,comdat
.Lfunc_end171:
	.size	_Z39paged_attention_ll4mi_QKV_mfma16_kernelIDF16_DF16_LN4vllm18Fp8KVCacheDataTypeE0EDF16_Li32ELi64ELi256ELb1ELi2EEvPKT_PKT0_S7_ifPKiS9_S9_iPKfiiiPfSC_PS2_PT2_iSB_SB_, .Lfunc_end171-_Z39paged_attention_ll4mi_QKV_mfma16_kernelIDF16_DF16_LN4vllm18Fp8KVCacheDataTypeE0EDF16_Li32ELi64ELi256ELb1ELi2EEvPKT_PKT0_S7_ifPKiS9_S9_iPKfiiiPfSC_PS2_PT2_iSB_SB_
                                        ; -- End function
	.set _Z39paged_attention_ll4mi_QKV_mfma16_kernelIDF16_DF16_LN4vllm18Fp8KVCacheDataTypeE0EDF16_Li32ELi64ELi256ELb1ELi2EEvPKT_PKT0_S7_ifPKiS9_S9_iPKfiiiPfSC_PS2_PT2_iSB_SB_.num_vgpr, max(3, .L__assert_fail.num_vgpr)
	.set _Z39paged_attention_ll4mi_QKV_mfma16_kernelIDF16_DF16_LN4vllm18Fp8KVCacheDataTypeE0EDF16_Li32ELi64ELi256ELb1ELi2EEvPKT_PKT0_S7_ifPKiS9_S9_iPKfiiiPfSC_PS2_PT2_iSB_SB_.num_agpr, max(0, .L__assert_fail.num_agpr)
	.set _Z39paged_attention_ll4mi_QKV_mfma16_kernelIDF16_DF16_LN4vllm18Fp8KVCacheDataTypeE0EDF16_Li32ELi64ELi256ELb1ELi2EEvPKT_PKT0_S7_ifPKiS9_S9_iPKfiiiPfSC_PS2_PT2_iSB_SB_.numbered_sgpr, max(33, .L__assert_fail.numbered_sgpr)
	.set _Z39paged_attention_ll4mi_QKV_mfma16_kernelIDF16_DF16_LN4vllm18Fp8KVCacheDataTypeE0EDF16_Li32ELi64ELi256ELb1ELi2EEvPKT_PKT0_S7_ifPKiS9_S9_iPKfiiiPfSC_PS2_PT2_iSB_SB_.num_named_barrier, max(0, .L__assert_fail.num_named_barrier)
	.set _Z39paged_attention_ll4mi_QKV_mfma16_kernelIDF16_DF16_LN4vllm18Fp8KVCacheDataTypeE0EDF16_Li32ELi64ELi256ELb1ELi2EEvPKT_PKT0_S7_ifPKiS9_S9_iPKfiiiPfSC_PS2_PT2_iSB_SB_.private_seg_size, 0+max(.L__assert_fail.private_seg_size)
	.set _Z39paged_attention_ll4mi_QKV_mfma16_kernelIDF16_DF16_LN4vllm18Fp8KVCacheDataTypeE0EDF16_Li32ELi64ELi256ELb1ELi2EEvPKT_PKT0_S7_ifPKiS9_S9_iPKfiiiPfSC_PS2_PT2_iSB_SB_.uses_vcc, or(1, .L__assert_fail.uses_vcc)
	.set _Z39paged_attention_ll4mi_QKV_mfma16_kernelIDF16_DF16_LN4vllm18Fp8KVCacheDataTypeE0EDF16_Li32ELi64ELi256ELb1ELi2EEvPKT_PKT0_S7_ifPKiS9_S9_iPKfiiiPfSC_PS2_PT2_iSB_SB_.uses_flat_scratch, or(0, .L__assert_fail.uses_flat_scratch)
	.set _Z39paged_attention_ll4mi_QKV_mfma16_kernelIDF16_DF16_LN4vllm18Fp8KVCacheDataTypeE0EDF16_Li32ELi64ELi256ELb1ELi2EEvPKT_PKT0_S7_ifPKiS9_S9_iPKfiiiPfSC_PS2_PT2_iSB_SB_.has_dyn_sized_stack, or(0, .L__assert_fail.has_dyn_sized_stack)
	.set _Z39paged_attention_ll4mi_QKV_mfma16_kernelIDF16_DF16_LN4vllm18Fp8KVCacheDataTypeE0EDF16_Li32ELi64ELi256ELb1ELi2EEvPKT_PKT0_S7_ifPKiS9_S9_iPKfiiiPfSC_PS2_PT2_iSB_SB_.has_recursion, or(0, .L__assert_fail.has_recursion)
	.set _Z39paged_attention_ll4mi_QKV_mfma16_kernelIDF16_DF16_LN4vllm18Fp8KVCacheDataTypeE0EDF16_Li32ELi64ELi256ELb1ELi2EEvPKT_PKT0_S7_ifPKiS9_S9_iPKfiiiPfSC_PS2_PT2_iSB_SB_.has_indirect_call, or(0, .L__assert_fail.has_indirect_call)
	.section	.AMDGPU.csdata,"",@progbits
; Kernel info:
; codeLenInByte = 68
; TotalNumSgprs: 36
; NumVgprs: 51
; ScratchSize: 64
; MemoryBound: 0
; FloatMode: 240
; IeeeMode: 1
; LDSByteSize: 0 bytes/workgroup (compile time only)
; SGPRBlocks: 0
; VGPRBlocks: 3
; NumSGPRsForWavesPerEU: 36
; NumVGPRsForWavesPerEU: 51
; NamedBarCnt: 0
; Occupancy: 16
; WaveLimiterHint : 1
; COMPUTE_PGM_RSRC2:SCRATCH_EN: 1
; COMPUTE_PGM_RSRC2:USER_SGPR: 2
; COMPUTE_PGM_RSRC2:TRAP_HANDLER: 0
; COMPUTE_PGM_RSRC2:TGID_X_EN: 1
; COMPUTE_PGM_RSRC2:TGID_Y_EN: 0
; COMPUTE_PGM_RSRC2:TGID_Z_EN: 0
; COMPUTE_PGM_RSRC2:TIDIG_COMP_CNT: 0
	.section	.text._Z39paged_attention_ll4mi_QKV_mfma16_kernelIDF16_DF16_LN4vllm18Fp8KVCacheDataTypeE0EDF16_Li32ELi64ELi256ELb1ELi3EEvPKT_PKT0_S7_ifPKiS9_S9_iPKfiiiPfSC_PS2_PT2_iSB_SB_,"axG",@progbits,_Z39paged_attention_ll4mi_QKV_mfma16_kernelIDF16_DF16_LN4vllm18Fp8KVCacheDataTypeE0EDF16_Li32ELi64ELi256ELb1ELi3EEvPKT_PKT0_S7_ifPKiS9_S9_iPKfiiiPfSC_PS2_PT2_iSB_SB_,comdat
	.protected	_Z39paged_attention_ll4mi_QKV_mfma16_kernelIDF16_DF16_LN4vllm18Fp8KVCacheDataTypeE0EDF16_Li32ELi64ELi256ELb1ELi3EEvPKT_PKT0_S7_ifPKiS9_S9_iPKfiiiPfSC_PS2_PT2_iSB_SB_ ; -- Begin function _Z39paged_attention_ll4mi_QKV_mfma16_kernelIDF16_DF16_LN4vllm18Fp8KVCacheDataTypeE0EDF16_Li32ELi64ELi256ELb1ELi3EEvPKT_PKT0_S7_ifPKiS9_S9_iPKfiiiPfSC_PS2_PT2_iSB_SB_
	.globl	_Z39paged_attention_ll4mi_QKV_mfma16_kernelIDF16_DF16_LN4vllm18Fp8KVCacheDataTypeE0EDF16_Li32ELi64ELi256ELb1ELi3EEvPKT_PKT0_S7_ifPKiS9_S9_iPKfiiiPfSC_PS2_PT2_iSB_SB_
	.p2align	8
	.type	_Z39paged_attention_ll4mi_QKV_mfma16_kernelIDF16_DF16_LN4vllm18Fp8KVCacheDataTypeE0EDF16_Li32ELi64ELi256ELb1ELi3EEvPKT_PKT0_S7_ifPKiS9_S9_iPKfiiiPfSC_PS2_PT2_iSB_SB_,@function
_Z39paged_attention_ll4mi_QKV_mfma16_kernelIDF16_DF16_LN4vllm18Fp8KVCacheDataTypeE0EDF16_Li32ELi64ELi256ELb1ELi3EEvPKT_PKT0_S7_ifPKiS9_S9_iPKfiiiPfSC_PS2_PT2_iSB_SB_: ; @_Z39paged_attention_ll4mi_QKV_mfma16_kernelIDF16_DF16_LN4vllm18Fp8KVCacheDataTypeE0EDF16_Li32ELi64ELi256ELb1ELi3EEvPKT_PKT0_S7_ifPKiS9_S9_iPKfiiiPfSC_PS2_PT2_iSB_SB_
; %bb.0:
	s_get_pc_i64 s[2:3]
	s_add_nc_u64 s[2:3], s[2:3], __PRETTY_FUNCTION__._Z39paged_attention_ll4mi_QKV_mfma16_kernelIDF16_DF16_LN4vllm18Fp8KVCacheDataTypeE0EDF16_Li32ELi64ELi256ELb1ELi3EEvPKT_PKT0_S7_ifPKiS9_S9_iPKfiiiPfSC_PS2_PT2_iSB_SB_@rel64+4
	s_delay_alu instid0(SALU_CYCLE_1)
	v_dual_mov_b32 v0, 0xbb3 :: v_dual_mov_b32 v1, s2
	v_mov_b32_e32 v2, s3
	s_add_nc_u64 s[8:9], s[0:1], 0x90
	s_get_pc_i64 s[0:1]
	s_add_nc_u64 s[0:1], s[0:1], __assert_fail@rel64+4
	s_mov_b32 s32, 0
	s_swap_pc_i64 s[30:31], s[0:1]
	.section	.rodata,"a",@progbits
	.p2align	6, 0x0
	.amdhsa_kernel _Z39paged_attention_ll4mi_QKV_mfma16_kernelIDF16_DF16_LN4vllm18Fp8KVCacheDataTypeE0EDF16_Li32ELi64ELi256ELb1ELi3EEvPKT_PKT0_S7_ifPKiS9_S9_iPKfiiiPfSC_PS2_PT2_iSB_SB_
		.amdhsa_group_segment_fixed_size 0
		.amdhsa_private_segment_fixed_size 64
		.amdhsa_kernarg_size 400
		.amdhsa_user_sgpr_count 2
		.amdhsa_user_sgpr_dispatch_ptr 0
		.amdhsa_user_sgpr_queue_ptr 0
		.amdhsa_user_sgpr_kernarg_segment_ptr 1
		.amdhsa_user_sgpr_dispatch_id 0
		.amdhsa_user_sgpr_kernarg_preload_length 0
		.amdhsa_user_sgpr_kernarg_preload_offset 0
		.amdhsa_user_sgpr_private_segment_size 0
		.amdhsa_wavefront_size32 1
		.amdhsa_uses_dynamic_stack 0
		.amdhsa_enable_private_segment 1
		.amdhsa_system_sgpr_workgroup_id_x 1
		.amdhsa_system_sgpr_workgroup_id_y 0
		.amdhsa_system_sgpr_workgroup_id_z 0
		.amdhsa_system_sgpr_workgroup_info 0
		.amdhsa_system_vgpr_workitem_id 0
		.amdhsa_next_free_vgpr 51
		.amdhsa_next_free_sgpr 34
		.amdhsa_named_barrier_count 0
		.amdhsa_reserve_vcc 1
		.amdhsa_float_round_mode_32 0
		.amdhsa_float_round_mode_16_64 0
		.amdhsa_float_denorm_mode_32 3
		.amdhsa_float_denorm_mode_16_64 3
		.amdhsa_fp16_overflow 0
		.amdhsa_memory_ordered 1
		.amdhsa_forward_progress 1
		.amdhsa_inst_pref_size 1
		.amdhsa_round_robin_scheduling 0
		.amdhsa_exception_fp_ieee_invalid_op 0
		.amdhsa_exception_fp_denorm_src 0
		.amdhsa_exception_fp_ieee_div_zero 0
		.amdhsa_exception_fp_ieee_overflow 0
		.amdhsa_exception_fp_ieee_underflow 0
		.amdhsa_exception_fp_ieee_inexact 0
		.amdhsa_exception_int_div_zero 0
	.end_amdhsa_kernel
	.section	.text._Z39paged_attention_ll4mi_QKV_mfma16_kernelIDF16_DF16_LN4vllm18Fp8KVCacheDataTypeE0EDF16_Li32ELi64ELi256ELb1ELi3EEvPKT_PKT0_S7_ifPKiS9_S9_iPKfiiiPfSC_PS2_PT2_iSB_SB_,"axG",@progbits,_Z39paged_attention_ll4mi_QKV_mfma16_kernelIDF16_DF16_LN4vllm18Fp8KVCacheDataTypeE0EDF16_Li32ELi64ELi256ELb1ELi3EEvPKT_PKT0_S7_ifPKiS9_S9_iPKfiiiPfSC_PS2_PT2_iSB_SB_,comdat
.Lfunc_end172:
	.size	_Z39paged_attention_ll4mi_QKV_mfma16_kernelIDF16_DF16_LN4vllm18Fp8KVCacheDataTypeE0EDF16_Li32ELi64ELi256ELb1ELi3EEvPKT_PKT0_S7_ifPKiS9_S9_iPKfiiiPfSC_PS2_PT2_iSB_SB_, .Lfunc_end172-_Z39paged_attention_ll4mi_QKV_mfma16_kernelIDF16_DF16_LN4vllm18Fp8KVCacheDataTypeE0EDF16_Li32ELi64ELi256ELb1ELi3EEvPKT_PKT0_S7_ifPKiS9_S9_iPKfiiiPfSC_PS2_PT2_iSB_SB_
                                        ; -- End function
	.set _Z39paged_attention_ll4mi_QKV_mfma16_kernelIDF16_DF16_LN4vllm18Fp8KVCacheDataTypeE0EDF16_Li32ELi64ELi256ELb1ELi3EEvPKT_PKT0_S7_ifPKiS9_S9_iPKfiiiPfSC_PS2_PT2_iSB_SB_.num_vgpr, max(3, .L__assert_fail.num_vgpr)
	.set _Z39paged_attention_ll4mi_QKV_mfma16_kernelIDF16_DF16_LN4vllm18Fp8KVCacheDataTypeE0EDF16_Li32ELi64ELi256ELb1ELi3EEvPKT_PKT0_S7_ifPKiS9_S9_iPKfiiiPfSC_PS2_PT2_iSB_SB_.num_agpr, max(0, .L__assert_fail.num_agpr)
	.set _Z39paged_attention_ll4mi_QKV_mfma16_kernelIDF16_DF16_LN4vllm18Fp8KVCacheDataTypeE0EDF16_Li32ELi64ELi256ELb1ELi3EEvPKT_PKT0_S7_ifPKiS9_S9_iPKfiiiPfSC_PS2_PT2_iSB_SB_.numbered_sgpr, max(33, .L__assert_fail.numbered_sgpr)
	.set _Z39paged_attention_ll4mi_QKV_mfma16_kernelIDF16_DF16_LN4vllm18Fp8KVCacheDataTypeE0EDF16_Li32ELi64ELi256ELb1ELi3EEvPKT_PKT0_S7_ifPKiS9_S9_iPKfiiiPfSC_PS2_PT2_iSB_SB_.num_named_barrier, max(0, .L__assert_fail.num_named_barrier)
	.set _Z39paged_attention_ll4mi_QKV_mfma16_kernelIDF16_DF16_LN4vllm18Fp8KVCacheDataTypeE0EDF16_Li32ELi64ELi256ELb1ELi3EEvPKT_PKT0_S7_ifPKiS9_S9_iPKfiiiPfSC_PS2_PT2_iSB_SB_.private_seg_size, 0+max(.L__assert_fail.private_seg_size)
	.set _Z39paged_attention_ll4mi_QKV_mfma16_kernelIDF16_DF16_LN4vllm18Fp8KVCacheDataTypeE0EDF16_Li32ELi64ELi256ELb1ELi3EEvPKT_PKT0_S7_ifPKiS9_S9_iPKfiiiPfSC_PS2_PT2_iSB_SB_.uses_vcc, or(1, .L__assert_fail.uses_vcc)
	.set _Z39paged_attention_ll4mi_QKV_mfma16_kernelIDF16_DF16_LN4vllm18Fp8KVCacheDataTypeE0EDF16_Li32ELi64ELi256ELb1ELi3EEvPKT_PKT0_S7_ifPKiS9_S9_iPKfiiiPfSC_PS2_PT2_iSB_SB_.uses_flat_scratch, or(0, .L__assert_fail.uses_flat_scratch)
	.set _Z39paged_attention_ll4mi_QKV_mfma16_kernelIDF16_DF16_LN4vllm18Fp8KVCacheDataTypeE0EDF16_Li32ELi64ELi256ELb1ELi3EEvPKT_PKT0_S7_ifPKiS9_S9_iPKfiiiPfSC_PS2_PT2_iSB_SB_.has_dyn_sized_stack, or(0, .L__assert_fail.has_dyn_sized_stack)
	.set _Z39paged_attention_ll4mi_QKV_mfma16_kernelIDF16_DF16_LN4vllm18Fp8KVCacheDataTypeE0EDF16_Li32ELi64ELi256ELb1ELi3EEvPKT_PKT0_S7_ifPKiS9_S9_iPKfiiiPfSC_PS2_PT2_iSB_SB_.has_recursion, or(0, .L__assert_fail.has_recursion)
	.set _Z39paged_attention_ll4mi_QKV_mfma16_kernelIDF16_DF16_LN4vllm18Fp8KVCacheDataTypeE0EDF16_Li32ELi64ELi256ELb1ELi3EEvPKT_PKT0_S7_ifPKiS9_S9_iPKfiiiPfSC_PS2_PT2_iSB_SB_.has_indirect_call, or(0, .L__assert_fail.has_indirect_call)
	.section	.AMDGPU.csdata,"",@progbits
; Kernel info:
; codeLenInByte = 68
; TotalNumSgprs: 36
; NumVgprs: 51
; ScratchSize: 64
; MemoryBound: 0
; FloatMode: 240
; IeeeMode: 1
; LDSByteSize: 0 bytes/workgroup (compile time only)
; SGPRBlocks: 0
; VGPRBlocks: 3
; NumSGPRsForWavesPerEU: 36
; NumVGPRsForWavesPerEU: 51
; NamedBarCnt: 0
; Occupancy: 16
; WaveLimiterHint : 1
; COMPUTE_PGM_RSRC2:SCRATCH_EN: 1
; COMPUTE_PGM_RSRC2:USER_SGPR: 2
; COMPUTE_PGM_RSRC2:TRAP_HANDLER: 0
; COMPUTE_PGM_RSRC2:TGID_X_EN: 1
; COMPUTE_PGM_RSRC2:TGID_Y_EN: 0
; COMPUTE_PGM_RSRC2:TGID_Z_EN: 0
; COMPUTE_PGM_RSRC2:TIDIG_COMP_CNT: 0
	.section	.text._Z39paged_attention_ll4mi_QKV_mfma16_kernelIDF16_DF16_LN4vllm18Fp8KVCacheDataTypeE0EDF16_Li32ELi64ELi256ELb1ELi4EEvPKT_PKT0_S7_ifPKiS9_S9_iPKfiiiPfSC_PS2_PT2_iSB_SB_,"axG",@progbits,_Z39paged_attention_ll4mi_QKV_mfma16_kernelIDF16_DF16_LN4vllm18Fp8KVCacheDataTypeE0EDF16_Li32ELi64ELi256ELb1ELi4EEvPKT_PKT0_S7_ifPKiS9_S9_iPKfiiiPfSC_PS2_PT2_iSB_SB_,comdat
	.protected	_Z39paged_attention_ll4mi_QKV_mfma16_kernelIDF16_DF16_LN4vllm18Fp8KVCacheDataTypeE0EDF16_Li32ELi64ELi256ELb1ELi4EEvPKT_PKT0_S7_ifPKiS9_S9_iPKfiiiPfSC_PS2_PT2_iSB_SB_ ; -- Begin function _Z39paged_attention_ll4mi_QKV_mfma16_kernelIDF16_DF16_LN4vllm18Fp8KVCacheDataTypeE0EDF16_Li32ELi64ELi256ELb1ELi4EEvPKT_PKT0_S7_ifPKiS9_S9_iPKfiiiPfSC_PS2_PT2_iSB_SB_
	.globl	_Z39paged_attention_ll4mi_QKV_mfma16_kernelIDF16_DF16_LN4vllm18Fp8KVCacheDataTypeE0EDF16_Li32ELi64ELi256ELb1ELi4EEvPKT_PKT0_S7_ifPKiS9_S9_iPKfiiiPfSC_PS2_PT2_iSB_SB_
	.p2align	8
	.type	_Z39paged_attention_ll4mi_QKV_mfma16_kernelIDF16_DF16_LN4vllm18Fp8KVCacheDataTypeE0EDF16_Li32ELi64ELi256ELb1ELi4EEvPKT_PKT0_S7_ifPKiS9_S9_iPKfiiiPfSC_PS2_PT2_iSB_SB_,@function
_Z39paged_attention_ll4mi_QKV_mfma16_kernelIDF16_DF16_LN4vllm18Fp8KVCacheDataTypeE0EDF16_Li32ELi64ELi256ELb1ELi4EEvPKT_PKT0_S7_ifPKiS9_S9_iPKfiiiPfSC_PS2_PT2_iSB_SB_: ; @_Z39paged_attention_ll4mi_QKV_mfma16_kernelIDF16_DF16_LN4vllm18Fp8KVCacheDataTypeE0EDF16_Li32ELi64ELi256ELb1ELi4EEvPKT_PKT0_S7_ifPKiS9_S9_iPKfiiiPfSC_PS2_PT2_iSB_SB_
; %bb.0:
	s_get_pc_i64 s[2:3]
	s_add_nc_u64 s[2:3], s[2:3], __PRETTY_FUNCTION__._Z39paged_attention_ll4mi_QKV_mfma16_kernelIDF16_DF16_LN4vllm18Fp8KVCacheDataTypeE0EDF16_Li32ELi64ELi256ELb1ELi4EEvPKT_PKT0_S7_ifPKiS9_S9_iPKfiiiPfSC_PS2_PT2_iSB_SB_@rel64+4
	s_delay_alu instid0(SALU_CYCLE_1)
	v_dual_mov_b32 v0, 0xbb3 :: v_dual_mov_b32 v1, s2
	v_mov_b32_e32 v2, s3
	s_add_nc_u64 s[8:9], s[0:1], 0x90
	s_get_pc_i64 s[0:1]
	s_add_nc_u64 s[0:1], s[0:1], __assert_fail@rel64+4
	s_mov_b32 s32, 0
	s_swap_pc_i64 s[30:31], s[0:1]
	.section	.rodata,"a",@progbits
	.p2align	6, 0x0
	.amdhsa_kernel _Z39paged_attention_ll4mi_QKV_mfma16_kernelIDF16_DF16_LN4vllm18Fp8KVCacheDataTypeE0EDF16_Li32ELi64ELi256ELb1ELi4EEvPKT_PKT0_S7_ifPKiS9_S9_iPKfiiiPfSC_PS2_PT2_iSB_SB_
		.amdhsa_group_segment_fixed_size 0
		.amdhsa_private_segment_fixed_size 64
		.amdhsa_kernarg_size 400
		.amdhsa_user_sgpr_count 2
		.amdhsa_user_sgpr_dispatch_ptr 0
		.amdhsa_user_sgpr_queue_ptr 0
		.amdhsa_user_sgpr_kernarg_segment_ptr 1
		.amdhsa_user_sgpr_dispatch_id 0
		.amdhsa_user_sgpr_kernarg_preload_length 0
		.amdhsa_user_sgpr_kernarg_preload_offset 0
		.amdhsa_user_sgpr_private_segment_size 0
		.amdhsa_wavefront_size32 1
		.amdhsa_uses_dynamic_stack 0
		.amdhsa_enable_private_segment 1
		.amdhsa_system_sgpr_workgroup_id_x 1
		.amdhsa_system_sgpr_workgroup_id_y 0
		.amdhsa_system_sgpr_workgroup_id_z 0
		.amdhsa_system_sgpr_workgroup_info 0
		.amdhsa_system_vgpr_workitem_id 0
		.amdhsa_next_free_vgpr 51
		.amdhsa_next_free_sgpr 34
		.amdhsa_named_barrier_count 0
		.amdhsa_reserve_vcc 1
		.amdhsa_float_round_mode_32 0
		.amdhsa_float_round_mode_16_64 0
		.amdhsa_float_denorm_mode_32 3
		.amdhsa_float_denorm_mode_16_64 3
		.amdhsa_fp16_overflow 0
		.amdhsa_memory_ordered 1
		.amdhsa_forward_progress 1
		.amdhsa_inst_pref_size 1
		.amdhsa_round_robin_scheduling 0
		.amdhsa_exception_fp_ieee_invalid_op 0
		.amdhsa_exception_fp_denorm_src 0
		.amdhsa_exception_fp_ieee_div_zero 0
		.amdhsa_exception_fp_ieee_overflow 0
		.amdhsa_exception_fp_ieee_underflow 0
		.amdhsa_exception_fp_ieee_inexact 0
		.amdhsa_exception_int_div_zero 0
	.end_amdhsa_kernel
	.section	.text._Z39paged_attention_ll4mi_QKV_mfma16_kernelIDF16_DF16_LN4vllm18Fp8KVCacheDataTypeE0EDF16_Li32ELi64ELi256ELb1ELi4EEvPKT_PKT0_S7_ifPKiS9_S9_iPKfiiiPfSC_PS2_PT2_iSB_SB_,"axG",@progbits,_Z39paged_attention_ll4mi_QKV_mfma16_kernelIDF16_DF16_LN4vllm18Fp8KVCacheDataTypeE0EDF16_Li32ELi64ELi256ELb1ELi4EEvPKT_PKT0_S7_ifPKiS9_S9_iPKfiiiPfSC_PS2_PT2_iSB_SB_,comdat
.Lfunc_end173:
	.size	_Z39paged_attention_ll4mi_QKV_mfma16_kernelIDF16_DF16_LN4vllm18Fp8KVCacheDataTypeE0EDF16_Li32ELi64ELi256ELb1ELi4EEvPKT_PKT0_S7_ifPKiS9_S9_iPKfiiiPfSC_PS2_PT2_iSB_SB_, .Lfunc_end173-_Z39paged_attention_ll4mi_QKV_mfma16_kernelIDF16_DF16_LN4vllm18Fp8KVCacheDataTypeE0EDF16_Li32ELi64ELi256ELb1ELi4EEvPKT_PKT0_S7_ifPKiS9_S9_iPKfiiiPfSC_PS2_PT2_iSB_SB_
                                        ; -- End function
	.set _Z39paged_attention_ll4mi_QKV_mfma16_kernelIDF16_DF16_LN4vllm18Fp8KVCacheDataTypeE0EDF16_Li32ELi64ELi256ELb1ELi4EEvPKT_PKT0_S7_ifPKiS9_S9_iPKfiiiPfSC_PS2_PT2_iSB_SB_.num_vgpr, max(3, .L__assert_fail.num_vgpr)
	.set _Z39paged_attention_ll4mi_QKV_mfma16_kernelIDF16_DF16_LN4vllm18Fp8KVCacheDataTypeE0EDF16_Li32ELi64ELi256ELb1ELi4EEvPKT_PKT0_S7_ifPKiS9_S9_iPKfiiiPfSC_PS2_PT2_iSB_SB_.num_agpr, max(0, .L__assert_fail.num_agpr)
	.set _Z39paged_attention_ll4mi_QKV_mfma16_kernelIDF16_DF16_LN4vllm18Fp8KVCacheDataTypeE0EDF16_Li32ELi64ELi256ELb1ELi4EEvPKT_PKT0_S7_ifPKiS9_S9_iPKfiiiPfSC_PS2_PT2_iSB_SB_.numbered_sgpr, max(33, .L__assert_fail.numbered_sgpr)
	.set _Z39paged_attention_ll4mi_QKV_mfma16_kernelIDF16_DF16_LN4vllm18Fp8KVCacheDataTypeE0EDF16_Li32ELi64ELi256ELb1ELi4EEvPKT_PKT0_S7_ifPKiS9_S9_iPKfiiiPfSC_PS2_PT2_iSB_SB_.num_named_barrier, max(0, .L__assert_fail.num_named_barrier)
	.set _Z39paged_attention_ll4mi_QKV_mfma16_kernelIDF16_DF16_LN4vllm18Fp8KVCacheDataTypeE0EDF16_Li32ELi64ELi256ELb1ELi4EEvPKT_PKT0_S7_ifPKiS9_S9_iPKfiiiPfSC_PS2_PT2_iSB_SB_.private_seg_size, 0+max(.L__assert_fail.private_seg_size)
	.set _Z39paged_attention_ll4mi_QKV_mfma16_kernelIDF16_DF16_LN4vllm18Fp8KVCacheDataTypeE0EDF16_Li32ELi64ELi256ELb1ELi4EEvPKT_PKT0_S7_ifPKiS9_S9_iPKfiiiPfSC_PS2_PT2_iSB_SB_.uses_vcc, or(1, .L__assert_fail.uses_vcc)
	.set _Z39paged_attention_ll4mi_QKV_mfma16_kernelIDF16_DF16_LN4vllm18Fp8KVCacheDataTypeE0EDF16_Li32ELi64ELi256ELb1ELi4EEvPKT_PKT0_S7_ifPKiS9_S9_iPKfiiiPfSC_PS2_PT2_iSB_SB_.uses_flat_scratch, or(0, .L__assert_fail.uses_flat_scratch)
	.set _Z39paged_attention_ll4mi_QKV_mfma16_kernelIDF16_DF16_LN4vllm18Fp8KVCacheDataTypeE0EDF16_Li32ELi64ELi256ELb1ELi4EEvPKT_PKT0_S7_ifPKiS9_S9_iPKfiiiPfSC_PS2_PT2_iSB_SB_.has_dyn_sized_stack, or(0, .L__assert_fail.has_dyn_sized_stack)
	.set _Z39paged_attention_ll4mi_QKV_mfma16_kernelIDF16_DF16_LN4vllm18Fp8KVCacheDataTypeE0EDF16_Li32ELi64ELi256ELb1ELi4EEvPKT_PKT0_S7_ifPKiS9_S9_iPKfiiiPfSC_PS2_PT2_iSB_SB_.has_recursion, or(0, .L__assert_fail.has_recursion)
	.set _Z39paged_attention_ll4mi_QKV_mfma16_kernelIDF16_DF16_LN4vllm18Fp8KVCacheDataTypeE0EDF16_Li32ELi64ELi256ELb1ELi4EEvPKT_PKT0_S7_ifPKiS9_S9_iPKfiiiPfSC_PS2_PT2_iSB_SB_.has_indirect_call, or(0, .L__assert_fail.has_indirect_call)
	.section	.AMDGPU.csdata,"",@progbits
; Kernel info:
; codeLenInByte = 68
; TotalNumSgprs: 36
; NumVgprs: 51
; ScratchSize: 64
; MemoryBound: 0
; FloatMode: 240
; IeeeMode: 1
; LDSByteSize: 0 bytes/workgroup (compile time only)
; SGPRBlocks: 0
; VGPRBlocks: 3
; NumSGPRsForWavesPerEU: 36
; NumVGPRsForWavesPerEU: 51
; NamedBarCnt: 0
; Occupancy: 16
; WaveLimiterHint : 1
; COMPUTE_PGM_RSRC2:SCRATCH_EN: 1
; COMPUTE_PGM_RSRC2:USER_SGPR: 2
; COMPUTE_PGM_RSRC2:TRAP_HANDLER: 0
; COMPUTE_PGM_RSRC2:TGID_X_EN: 1
; COMPUTE_PGM_RSRC2:TGID_Y_EN: 0
; COMPUTE_PGM_RSRC2:TGID_Z_EN: 0
; COMPUTE_PGM_RSRC2:TIDIG_COMP_CNT: 0
	.section	.text._Z38paged_attention_ll4mi_QKV_mfma4_kernelIDF16_DF16_LN4vllm18Fp8KVCacheDataTypeE0EDF16_Li32ELi64ELi256ELb0ELi1EEvPKT_PKT0_S7_ifPKiS9_S9_iPKfiiiPfSC_PS2_PT2_iSB_SB_,"axG",@progbits,_Z38paged_attention_ll4mi_QKV_mfma4_kernelIDF16_DF16_LN4vllm18Fp8KVCacheDataTypeE0EDF16_Li32ELi64ELi256ELb0ELi1EEvPKT_PKT0_S7_ifPKiS9_S9_iPKfiiiPfSC_PS2_PT2_iSB_SB_,comdat
	.protected	_Z38paged_attention_ll4mi_QKV_mfma4_kernelIDF16_DF16_LN4vllm18Fp8KVCacheDataTypeE0EDF16_Li32ELi64ELi256ELb0ELi1EEvPKT_PKT0_S7_ifPKiS9_S9_iPKfiiiPfSC_PS2_PT2_iSB_SB_ ; -- Begin function _Z38paged_attention_ll4mi_QKV_mfma4_kernelIDF16_DF16_LN4vllm18Fp8KVCacheDataTypeE0EDF16_Li32ELi64ELi256ELb0ELi1EEvPKT_PKT0_S7_ifPKiS9_S9_iPKfiiiPfSC_PS2_PT2_iSB_SB_
	.globl	_Z38paged_attention_ll4mi_QKV_mfma4_kernelIDF16_DF16_LN4vllm18Fp8KVCacheDataTypeE0EDF16_Li32ELi64ELi256ELb0ELi1EEvPKT_PKT0_S7_ifPKiS9_S9_iPKfiiiPfSC_PS2_PT2_iSB_SB_
	.p2align	8
	.type	_Z38paged_attention_ll4mi_QKV_mfma4_kernelIDF16_DF16_LN4vllm18Fp8KVCacheDataTypeE0EDF16_Li32ELi64ELi256ELb0ELi1EEvPKT_PKT0_S7_ifPKiS9_S9_iPKfiiiPfSC_PS2_PT2_iSB_SB_,@function
_Z38paged_attention_ll4mi_QKV_mfma4_kernelIDF16_DF16_LN4vllm18Fp8KVCacheDataTypeE0EDF16_Li32ELi64ELi256ELb0ELi1EEvPKT_PKT0_S7_ifPKiS9_S9_iPKfiiiPfSC_PS2_PT2_iSB_SB_: ; @_Z38paged_attention_ll4mi_QKV_mfma4_kernelIDF16_DF16_LN4vllm18Fp8KVCacheDataTypeE0EDF16_Li32ELi64ELi256ELb0ELi1EEvPKT_PKT0_S7_ifPKiS9_S9_iPKfiiiPfSC_PS2_PT2_iSB_SB_
; %bb.0:
	s_get_pc_i64 s[2:3]
	s_add_nc_u64 s[2:3], s[2:3], __PRETTY_FUNCTION__._Z38paged_attention_ll4mi_QKV_mfma4_kernelIDF16_DF16_LN4vllm18Fp8KVCacheDataTypeE0EDF16_Li32ELi64ELi256ELb0ELi1EEvPKT_PKT0_S7_ifPKiS9_S9_iPKfiiiPfSC_PS2_PT2_iSB_SB_@rel64+4
	s_delay_alu instid0(SALU_CYCLE_1)
	v_dual_mov_b32 v0, 0xbce :: v_dual_mov_b32 v1, s2
	v_mov_b32_e32 v2, s3
	s_add_nc_u64 s[8:9], s[0:1], 0x90
	s_get_pc_i64 s[0:1]
	s_add_nc_u64 s[0:1], s[0:1], __assert_fail@rel64+4
	s_mov_b32 s32, 0
	s_swap_pc_i64 s[30:31], s[0:1]
	.section	.rodata,"a",@progbits
	.p2align	6, 0x0
	.amdhsa_kernel _Z38paged_attention_ll4mi_QKV_mfma4_kernelIDF16_DF16_LN4vllm18Fp8KVCacheDataTypeE0EDF16_Li32ELi64ELi256ELb0ELi1EEvPKT_PKT0_S7_ifPKiS9_S9_iPKfiiiPfSC_PS2_PT2_iSB_SB_
		.amdhsa_group_segment_fixed_size 0
		.amdhsa_private_segment_fixed_size 64
		.amdhsa_kernarg_size 400
		.amdhsa_user_sgpr_count 2
		.amdhsa_user_sgpr_dispatch_ptr 0
		.amdhsa_user_sgpr_queue_ptr 0
		.amdhsa_user_sgpr_kernarg_segment_ptr 1
		.amdhsa_user_sgpr_dispatch_id 0
		.amdhsa_user_sgpr_kernarg_preload_length 0
		.amdhsa_user_sgpr_kernarg_preload_offset 0
		.amdhsa_user_sgpr_private_segment_size 0
		.amdhsa_wavefront_size32 1
		.amdhsa_uses_dynamic_stack 0
		.amdhsa_enable_private_segment 1
		.amdhsa_system_sgpr_workgroup_id_x 1
		.amdhsa_system_sgpr_workgroup_id_y 0
		.amdhsa_system_sgpr_workgroup_id_z 0
		.amdhsa_system_sgpr_workgroup_info 0
		.amdhsa_system_vgpr_workitem_id 0
		.amdhsa_next_free_vgpr 51
		.amdhsa_next_free_sgpr 34
		.amdhsa_named_barrier_count 0
		.amdhsa_reserve_vcc 1
		.amdhsa_float_round_mode_32 0
		.amdhsa_float_round_mode_16_64 0
		.amdhsa_float_denorm_mode_32 3
		.amdhsa_float_denorm_mode_16_64 3
		.amdhsa_fp16_overflow 0
		.amdhsa_memory_ordered 1
		.amdhsa_forward_progress 1
		.amdhsa_inst_pref_size 1
		.amdhsa_round_robin_scheduling 0
		.amdhsa_exception_fp_ieee_invalid_op 0
		.amdhsa_exception_fp_denorm_src 0
		.amdhsa_exception_fp_ieee_div_zero 0
		.amdhsa_exception_fp_ieee_overflow 0
		.amdhsa_exception_fp_ieee_underflow 0
		.amdhsa_exception_fp_ieee_inexact 0
		.amdhsa_exception_int_div_zero 0
	.end_amdhsa_kernel
	.section	.text._Z38paged_attention_ll4mi_QKV_mfma4_kernelIDF16_DF16_LN4vllm18Fp8KVCacheDataTypeE0EDF16_Li32ELi64ELi256ELb0ELi1EEvPKT_PKT0_S7_ifPKiS9_S9_iPKfiiiPfSC_PS2_PT2_iSB_SB_,"axG",@progbits,_Z38paged_attention_ll4mi_QKV_mfma4_kernelIDF16_DF16_LN4vllm18Fp8KVCacheDataTypeE0EDF16_Li32ELi64ELi256ELb0ELi1EEvPKT_PKT0_S7_ifPKiS9_S9_iPKfiiiPfSC_PS2_PT2_iSB_SB_,comdat
.Lfunc_end174:
	.size	_Z38paged_attention_ll4mi_QKV_mfma4_kernelIDF16_DF16_LN4vllm18Fp8KVCacheDataTypeE0EDF16_Li32ELi64ELi256ELb0ELi1EEvPKT_PKT0_S7_ifPKiS9_S9_iPKfiiiPfSC_PS2_PT2_iSB_SB_, .Lfunc_end174-_Z38paged_attention_ll4mi_QKV_mfma4_kernelIDF16_DF16_LN4vllm18Fp8KVCacheDataTypeE0EDF16_Li32ELi64ELi256ELb0ELi1EEvPKT_PKT0_S7_ifPKiS9_S9_iPKfiiiPfSC_PS2_PT2_iSB_SB_
                                        ; -- End function
	.set _Z38paged_attention_ll4mi_QKV_mfma4_kernelIDF16_DF16_LN4vllm18Fp8KVCacheDataTypeE0EDF16_Li32ELi64ELi256ELb0ELi1EEvPKT_PKT0_S7_ifPKiS9_S9_iPKfiiiPfSC_PS2_PT2_iSB_SB_.num_vgpr, max(3, .L__assert_fail.num_vgpr)
	.set _Z38paged_attention_ll4mi_QKV_mfma4_kernelIDF16_DF16_LN4vllm18Fp8KVCacheDataTypeE0EDF16_Li32ELi64ELi256ELb0ELi1EEvPKT_PKT0_S7_ifPKiS9_S9_iPKfiiiPfSC_PS2_PT2_iSB_SB_.num_agpr, max(0, .L__assert_fail.num_agpr)
	.set _Z38paged_attention_ll4mi_QKV_mfma4_kernelIDF16_DF16_LN4vllm18Fp8KVCacheDataTypeE0EDF16_Li32ELi64ELi256ELb0ELi1EEvPKT_PKT0_S7_ifPKiS9_S9_iPKfiiiPfSC_PS2_PT2_iSB_SB_.numbered_sgpr, max(33, .L__assert_fail.numbered_sgpr)
	.set _Z38paged_attention_ll4mi_QKV_mfma4_kernelIDF16_DF16_LN4vllm18Fp8KVCacheDataTypeE0EDF16_Li32ELi64ELi256ELb0ELi1EEvPKT_PKT0_S7_ifPKiS9_S9_iPKfiiiPfSC_PS2_PT2_iSB_SB_.num_named_barrier, max(0, .L__assert_fail.num_named_barrier)
	.set _Z38paged_attention_ll4mi_QKV_mfma4_kernelIDF16_DF16_LN4vllm18Fp8KVCacheDataTypeE0EDF16_Li32ELi64ELi256ELb0ELi1EEvPKT_PKT0_S7_ifPKiS9_S9_iPKfiiiPfSC_PS2_PT2_iSB_SB_.private_seg_size, 0+max(.L__assert_fail.private_seg_size)
	.set _Z38paged_attention_ll4mi_QKV_mfma4_kernelIDF16_DF16_LN4vllm18Fp8KVCacheDataTypeE0EDF16_Li32ELi64ELi256ELb0ELi1EEvPKT_PKT0_S7_ifPKiS9_S9_iPKfiiiPfSC_PS2_PT2_iSB_SB_.uses_vcc, or(1, .L__assert_fail.uses_vcc)
	.set _Z38paged_attention_ll4mi_QKV_mfma4_kernelIDF16_DF16_LN4vllm18Fp8KVCacheDataTypeE0EDF16_Li32ELi64ELi256ELb0ELi1EEvPKT_PKT0_S7_ifPKiS9_S9_iPKfiiiPfSC_PS2_PT2_iSB_SB_.uses_flat_scratch, or(0, .L__assert_fail.uses_flat_scratch)
	.set _Z38paged_attention_ll4mi_QKV_mfma4_kernelIDF16_DF16_LN4vllm18Fp8KVCacheDataTypeE0EDF16_Li32ELi64ELi256ELb0ELi1EEvPKT_PKT0_S7_ifPKiS9_S9_iPKfiiiPfSC_PS2_PT2_iSB_SB_.has_dyn_sized_stack, or(0, .L__assert_fail.has_dyn_sized_stack)
	.set _Z38paged_attention_ll4mi_QKV_mfma4_kernelIDF16_DF16_LN4vllm18Fp8KVCacheDataTypeE0EDF16_Li32ELi64ELi256ELb0ELi1EEvPKT_PKT0_S7_ifPKiS9_S9_iPKfiiiPfSC_PS2_PT2_iSB_SB_.has_recursion, or(0, .L__assert_fail.has_recursion)
	.set _Z38paged_attention_ll4mi_QKV_mfma4_kernelIDF16_DF16_LN4vllm18Fp8KVCacheDataTypeE0EDF16_Li32ELi64ELi256ELb0ELi1EEvPKT_PKT0_S7_ifPKiS9_S9_iPKfiiiPfSC_PS2_PT2_iSB_SB_.has_indirect_call, or(0, .L__assert_fail.has_indirect_call)
	.section	.AMDGPU.csdata,"",@progbits
; Kernel info:
; codeLenInByte = 68
; TotalNumSgprs: 36
; NumVgprs: 51
; ScratchSize: 64
; MemoryBound: 0
; FloatMode: 240
; IeeeMode: 1
; LDSByteSize: 0 bytes/workgroup (compile time only)
; SGPRBlocks: 0
; VGPRBlocks: 3
; NumSGPRsForWavesPerEU: 36
; NumVGPRsForWavesPerEU: 51
; NamedBarCnt: 0
; Occupancy: 16
; WaveLimiterHint : 1
; COMPUTE_PGM_RSRC2:SCRATCH_EN: 1
; COMPUTE_PGM_RSRC2:USER_SGPR: 2
; COMPUTE_PGM_RSRC2:TRAP_HANDLER: 0
; COMPUTE_PGM_RSRC2:TGID_X_EN: 1
; COMPUTE_PGM_RSRC2:TGID_Y_EN: 0
; COMPUTE_PGM_RSRC2:TGID_Z_EN: 0
; COMPUTE_PGM_RSRC2:TIDIG_COMP_CNT: 0
	.section	.text._Z38paged_attention_ll4mi_QKV_mfma4_kernelIDF16_DF16_LN4vllm18Fp8KVCacheDataTypeE0EDF16_Li32ELi64ELi256ELb0ELi2EEvPKT_PKT0_S7_ifPKiS9_S9_iPKfiiiPfSC_PS2_PT2_iSB_SB_,"axG",@progbits,_Z38paged_attention_ll4mi_QKV_mfma4_kernelIDF16_DF16_LN4vllm18Fp8KVCacheDataTypeE0EDF16_Li32ELi64ELi256ELb0ELi2EEvPKT_PKT0_S7_ifPKiS9_S9_iPKfiiiPfSC_PS2_PT2_iSB_SB_,comdat
	.protected	_Z38paged_attention_ll4mi_QKV_mfma4_kernelIDF16_DF16_LN4vllm18Fp8KVCacheDataTypeE0EDF16_Li32ELi64ELi256ELb0ELi2EEvPKT_PKT0_S7_ifPKiS9_S9_iPKfiiiPfSC_PS2_PT2_iSB_SB_ ; -- Begin function _Z38paged_attention_ll4mi_QKV_mfma4_kernelIDF16_DF16_LN4vllm18Fp8KVCacheDataTypeE0EDF16_Li32ELi64ELi256ELb0ELi2EEvPKT_PKT0_S7_ifPKiS9_S9_iPKfiiiPfSC_PS2_PT2_iSB_SB_
	.globl	_Z38paged_attention_ll4mi_QKV_mfma4_kernelIDF16_DF16_LN4vllm18Fp8KVCacheDataTypeE0EDF16_Li32ELi64ELi256ELb0ELi2EEvPKT_PKT0_S7_ifPKiS9_S9_iPKfiiiPfSC_PS2_PT2_iSB_SB_
	.p2align	8
	.type	_Z38paged_attention_ll4mi_QKV_mfma4_kernelIDF16_DF16_LN4vllm18Fp8KVCacheDataTypeE0EDF16_Li32ELi64ELi256ELb0ELi2EEvPKT_PKT0_S7_ifPKiS9_S9_iPKfiiiPfSC_PS2_PT2_iSB_SB_,@function
_Z38paged_attention_ll4mi_QKV_mfma4_kernelIDF16_DF16_LN4vllm18Fp8KVCacheDataTypeE0EDF16_Li32ELi64ELi256ELb0ELi2EEvPKT_PKT0_S7_ifPKiS9_S9_iPKfiiiPfSC_PS2_PT2_iSB_SB_: ; @_Z38paged_attention_ll4mi_QKV_mfma4_kernelIDF16_DF16_LN4vllm18Fp8KVCacheDataTypeE0EDF16_Li32ELi64ELi256ELb0ELi2EEvPKT_PKT0_S7_ifPKiS9_S9_iPKfiiiPfSC_PS2_PT2_iSB_SB_
; %bb.0:
	s_get_pc_i64 s[2:3]
	s_add_nc_u64 s[2:3], s[2:3], __PRETTY_FUNCTION__._Z38paged_attention_ll4mi_QKV_mfma4_kernelIDF16_DF16_LN4vllm18Fp8KVCacheDataTypeE0EDF16_Li32ELi64ELi256ELb0ELi2EEvPKT_PKT0_S7_ifPKiS9_S9_iPKfiiiPfSC_PS2_PT2_iSB_SB_@rel64+4
	s_delay_alu instid0(SALU_CYCLE_1)
	v_dual_mov_b32 v0, 0xbce :: v_dual_mov_b32 v1, s2
	v_mov_b32_e32 v2, s3
	s_add_nc_u64 s[8:9], s[0:1], 0x90
	s_get_pc_i64 s[0:1]
	s_add_nc_u64 s[0:1], s[0:1], __assert_fail@rel64+4
	s_mov_b32 s32, 0
	s_swap_pc_i64 s[30:31], s[0:1]
	.section	.rodata,"a",@progbits
	.p2align	6, 0x0
	.amdhsa_kernel _Z38paged_attention_ll4mi_QKV_mfma4_kernelIDF16_DF16_LN4vllm18Fp8KVCacheDataTypeE0EDF16_Li32ELi64ELi256ELb0ELi2EEvPKT_PKT0_S7_ifPKiS9_S9_iPKfiiiPfSC_PS2_PT2_iSB_SB_
		.amdhsa_group_segment_fixed_size 0
		.amdhsa_private_segment_fixed_size 64
		.amdhsa_kernarg_size 400
		.amdhsa_user_sgpr_count 2
		.amdhsa_user_sgpr_dispatch_ptr 0
		.amdhsa_user_sgpr_queue_ptr 0
		.amdhsa_user_sgpr_kernarg_segment_ptr 1
		.amdhsa_user_sgpr_dispatch_id 0
		.amdhsa_user_sgpr_kernarg_preload_length 0
		.amdhsa_user_sgpr_kernarg_preload_offset 0
		.amdhsa_user_sgpr_private_segment_size 0
		.amdhsa_wavefront_size32 1
		.amdhsa_uses_dynamic_stack 0
		.amdhsa_enable_private_segment 1
		.amdhsa_system_sgpr_workgroup_id_x 1
		.amdhsa_system_sgpr_workgroup_id_y 0
		.amdhsa_system_sgpr_workgroup_id_z 0
		.amdhsa_system_sgpr_workgroup_info 0
		.amdhsa_system_vgpr_workitem_id 0
		.amdhsa_next_free_vgpr 51
		.amdhsa_next_free_sgpr 34
		.amdhsa_named_barrier_count 0
		.amdhsa_reserve_vcc 1
		.amdhsa_float_round_mode_32 0
		.amdhsa_float_round_mode_16_64 0
		.amdhsa_float_denorm_mode_32 3
		.amdhsa_float_denorm_mode_16_64 3
		.amdhsa_fp16_overflow 0
		.amdhsa_memory_ordered 1
		.amdhsa_forward_progress 1
		.amdhsa_inst_pref_size 1
		.amdhsa_round_robin_scheduling 0
		.amdhsa_exception_fp_ieee_invalid_op 0
		.amdhsa_exception_fp_denorm_src 0
		.amdhsa_exception_fp_ieee_div_zero 0
		.amdhsa_exception_fp_ieee_overflow 0
		.amdhsa_exception_fp_ieee_underflow 0
		.amdhsa_exception_fp_ieee_inexact 0
		.amdhsa_exception_int_div_zero 0
	.end_amdhsa_kernel
	.section	.text._Z38paged_attention_ll4mi_QKV_mfma4_kernelIDF16_DF16_LN4vllm18Fp8KVCacheDataTypeE0EDF16_Li32ELi64ELi256ELb0ELi2EEvPKT_PKT0_S7_ifPKiS9_S9_iPKfiiiPfSC_PS2_PT2_iSB_SB_,"axG",@progbits,_Z38paged_attention_ll4mi_QKV_mfma4_kernelIDF16_DF16_LN4vllm18Fp8KVCacheDataTypeE0EDF16_Li32ELi64ELi256ELb0ELi2EEvPKT_PKT0_S7_ifPKiS9_S9_iPKfiiiPfSC_PS2_PT2_iSB_SB_,comdat
.Lfunc_end175:
	.size	_Z38paged_attention_ll4mi_QKV_mfma4_kernelIDF16_DF16_LN4vllm18Fp8KVCacheDataTypeE0EDF16_Li32ELi64ELi256ELb0ELi2EEvPKT_PKT0_S7_ifPKiS9_S9_iPKfiiiPfSC_PS2_PT2_iSB_SB_, .Lfunc_end175-_Z38paged_attention_ll4mi_QKV_mfma4_kernelIDF16_DF16_LN4vllm18Fp8KVCacheDataTypeE0EDF16_Li32ELi64ELi256ELb0ELi2EEvPKT_PKT0_S7_ifPKiS9_S9_iPKfiiiPfSC_PS2_PT2_iSB_SB_
                                        ; -- End function
	.set _Z38paged_attention_ll4mi_QKV_mfma4_kernelIDF16_DF16_LN4vllm18Fp8KVCacheDataTypeE0EDF16_Li32ELi64ELi256ELb0ELi2EEvPKT_PKT0_S7_ifPKiS9_S9_iPKfiiiPfSC_PS2_PT2_iSB_SB_.num_vgpr, max(3, .L__assert_fail.num_vgpr)
	.set _Z38paged_attention_ll4mi_QKV_mfma4_kernelIDF16_DF16_LN4vllm18Fp8KVCacheDataTypeE0EDF16_Li32ELi64ELi256ELb0ELi2EEvPKT_PKT0_S7_ifPKiS9_S9_iPKfiiiPfSC_PS2_PT2_iSB_SB_.num_agpr, max(0, .L__assert_fail.num_agpr)
	.set _Z38paged_attention_ll4mi_QKV_mfma4_kernelIDF16_DF16_LN4vllm18Fp8KVCacheDataTypeE0EDF16_Li32ELi64ELi256ELb0ELi2EEvPKT_PKT0_S7_ifPKiS9_S9_iPKfiiiPfSC_PS2_PT2_iSB_SB_.numbered_sgpr, max(33, .L__assert_fail.numbered_sgpr)
	.set _Z38paged_attention_ll4mi_QKV_mfma4_kernelIDF16_DF16_LN4vllm18Fp8KVCacheDataTypeE0EDF16_Li32ELi64ELi256ELb0ELi2EEvPKT_PKT0_S7_ifPKiS9_S9_iPKfiiiPfSC_PS2_PT2_iSB_SB_.num_named_barrier, max(0, .L__assert_fail.num_named_barrier)
	.set _Z38paged_attention_ll4mi_QKV_mfma4_kernelIDF16_DF16_LN4vllm18Fp8KVCacheDataTypeE0EDF16_Li32ELi64ELi256ELb0ELi2EEvPKT_PKT0_S7_ifPKiS9_S9_iPKfiiiPfSC_PS2_PT2_iSB_SB_.private_seg_size, 0+max(.L__assert_fail.private_seg_size)
	.set _Z38paged_attention_ll4mi_QKV_mfma4_kernelIDF16_DF16_LN4vllm18Fp8KVCacheDataTypeE0EDF16_Li32ELi64ELi256ELb0ELi2EEvPKT_PKT0_S7_ifPKiS9_S9_iPKfiiiPfSC_PS2_PT2_iSB_SB_.uses_vcc, or(1, .L__assert_fail.uses_vcc)
	.set _Z38paged_attention_ll4mi_QKV_mfma4_kernelIDF16_DF16_LN4vllm18Fp8KVCacheDataTypeE0EDF16_Li32ELi64ELi256ELb0ELi2EEvPKT_PKT0_S7_ifPKiS9_S9_iPKfiiiPfSC_PS2_PT2_iSB_SB_.uses_flat_scratch, or(0, .L__assert_fail.uses_flat_scratch)
	.set _Z38paged_attention_ll4mi_QKV_mfma4_kernelIDF16_DF16_LN4vllm18Fp8KVCacheDataTypeE0EDF16_Li32ELi64ELi256ELb0ELi2EEvPKT_PKT0_S7_ifPKiS9_S9_iPKfiiiPfSC_PS2_PT2_iSB_SB_.has_dyn_sized_stack, or(0, .L__assert_fail.has_dyn_sized_stack)
	.set _Z38paged_attention_ll4mi_QKV_mfma4_kernelIDF16_DF16_LN4vllm18Fp8KVCacheDataTypeE0EDF16_Li32ELi64ELi256ELb0ELi2EEvPKT_PKT0_S7_ifPKiS9_S9_iPKfiiiPfSC_PS2_PT2_iSB_SB_.has_recursion, or(0, .L__assert_fail.has_recursion)
	.set _Z38paged_attention_ll4mi_QKV_mfma4_kernelIDF16_DF16_LN4vllm18Fp8KVCacheDataTypeE0EDF16_Li32ELi64ELi256ELb0ELi2EEvPKT_PKT0_S7_ifPKiS9_S9_iPKfiiiPfSC_PS2_PT2_iSB_SB_.has_indirect_call, or(0, .L__assert_fail.has_indirect_call)
	.section	.AMDGPU.csdata,"",@progbits
; Kernel info:
; codeLenInByte = 68
; TotalNumSgprs: 36
; NumVgprs: 51
; ScratchSize: 64
; MemoryBound: 0
; FloatMode: 240
; IeeeMode: 1
; LDSByteSize: 0 bytes/workgroup (compile time only)
; SGPRBlocks: 0
; VGPRBlocks: 3
; NumSGPRsForWavesPerEU: 36
; NumVGPRsForWavesPerEU: 51
; NamedBarCnt: 0
; Occupancy: 16
; WaveLimiterHint : 1
; COMPUTE_PGM_RSRC2:SCRATCH_EN: 1
; COMPUTE_PGM_RSRC2:USER_SGPR: 2
; COMPUTE_PGM_RSRC2:TRAP_HANDLER: 0
; COMPUTE_PGM_RSRC2:TGID_X_EN: 1
; COMPUTE_PGM_RSRC2:TGID_Y_EN: 0
; COMPUTE_PGM_RSRC2:TGID_Z_EN: 0
; COMPUTE_PGM_RSRC2:TIDIG_COMP_CNT: 0
	.section	.text._Z38paged_attention_ll4mi_QKV_mfma4_kernelIDF16_DF16_LN4vllm18Fp8KVCacheDataTypeE0EDF16_Li32ELi64ELi256ELb0ELi3EEvPKT_PKT0_S7_ifPKiS9_S9_iPKfiiiPfSC_PS2_PT2_iSB_SB_,"axG",@progbits,_Z38paged_attention_ll4mi_QKV_mfma4_kernelIDF16_DF16_LN4vllm18Fp8KVCacheDataTypeE0EDF16_Li32ELi64ELi256ELb0ELi3EEvPKT_PKT0_S7_ifPKiS9_S9_iPKfiiiPfSC_PS2_PT2_iSB_SB_,comdat
	.protected	_Z38paged_attention_ll4mi_QKV_mfma4_kernelIDF16_DF16_LN4vllm18Fp8KVCacheDataTypeE0EDF16_Li32ELi64ELi256ELb0ELi3EEvPKT_PKT0_S7_ifPKiS9_S9_iPKfiiiPfSC_PS2_PT2_iSB_SB_ ; -- Begin function _Z38paged_attention_ll4mi_QKV_mfma4_kernelIDF16_DF16_LN4vllm18Fp8KVCacheDataTypeE0EDF16_Li32ELi64ELi256ELb0ELi3EEvPKT_PKT0_S7_ifPKiS9_S9_iPKfiiiPfSC_PS2_PT2_iSB_SB_
	.globl	_Z38paged_attention_ll4mi_QKV_mfma4_kernelIDF16_DF16_LN4vllm18Fp8KVCacheDataTypeE0EDF16_Li32ELi64ELi256ELb0ELi3EEvPKT_PKT0_S7_ifPKiS9_S9_iPKfiiiPfSC_PS2_PT2_iSB_SB_
	.p2align	8
	.type	_Z38paged_attention_ll4mi_QKV_mfma4_kernelIDF16_DF16_LN4vllm18Fp8KVCacheDataTypeE0EDF16_Li32ELi64ELi256ELb0ELi3EEvPKT_PKT0_S7_ifPKiS9_S9_iPKfiiiPfSC_PS2_PT2_iSB_SB_,@function
_Z38paged_attention_ll4mi_QKV_mfma4_kernelIDF16_DF16_LN4vllm18Fp8KVCacheDataTypeE0EDF16_Li32ELi64ELi256ELb0ELi3EEvPKT_PKT0_S7_ifPKiS9_S9_iPKfiiiPfSC_PS2_PT2_iSB_SB_: ; @_Z38paged_attention_ll4mi_QKV_mfma4_kernelIDF16_DF16_LN4vllm18Fp8KVCacheDataTypeE0EDF16_Li32ELi64ELi256ELb0ELi3EEvPKT_PKT0_S7_ifPKiS9_S9_iPKfiiiPfSC_PS2_PT2_iSB_SB_
; %bb.0:
	s_get_pc_i64 s[2:3]
	s_add_nc_u64 s[2:3], s[2:3], __PRETTY_FUNCTION__._Z38paged_attention_ll4mi_QKV_mfma4_kernelIDF16_DF16_LN4vllm18Fp8KVCacheDataTypeE0EDF16_Li32ELi64ELi256ELb0ELi3EEvPKT_PKT0_S7_ifPKiS9_S9_iPKfiiiPfSC_PS2_PT2_iSB_SB_@rel64+4
	s_delay_alu instid0(SALU_CYCLE_1)
	v_dual_mov_b32 v0, 0xbce :: v_dual_mov_b32 v1, s2
	v_mov_b32_e32 v2, s3
	s_add_nc_u64 s[8:9], s[0:1], 0x90
	s_get_pc_i64 s[0:1]
	s_add_nc_u64 s[0:1], s[0:1], __assert_fail@rel64+4
	s_mov_b32 s32, 0
	s_swap_pc_i64 s[30:31], s[0:1]
	.section	.rodata,"a",@progbits
	.p2align	6, 0x0
	.amdhsa_kernel _Z38paged_attention_ll4mi_QKV_mfma4_kernelIDF16_DF16_LN4vllm18Fp8KVCacheDataTypeE0EDF16_Li32ELi64ELi256ELb0ELi3EEvPKT_PKT0_S7_ifPKiS9_S9_iPKfiiiPfSC_PS2_PT2_iSB_SB_
		.amdhsa_group_segment_fixed_size 0
		.amdhsa_private_segment_fixed_size 64
		.amdhsa_kernarg_size 400
		.amdhsa_user_sgpr_count 2
		.amdhsa_user_sgpr_dispatch_ptr 0
		.amdhsa_user_sgpr_queue_ptr 0
		.amdhsa_user_sgpr_kernarg_segment_ptr 1
		.amdhsa_user_sgpr_dispatch_id 0
		.amdhsa_user_sgpr_kernarg_preload_length 0
		.amdhsa_user_sgpr_kernarg_preload_offset 0
		.amdhsa_user_sgpr_private_segment_size 0
		.amdhsa_wavefront_size32 1
		.amdhsa_uses_dynamic_stack 0
		.amdhsa_enable_private_segment 1
		.amdhsa_system_sgpr_workgroup_id_x 1
		.amdhsa_system_sgpr_workgroup_id_y 0
		.amdhsa_system_sgpr_workgroup_id_z 0
		.amdhsa_system_sgpr_workgroup_info 0
		.amdhsa_system_vgpr_workitem_id 0
		.amdhsa_next_free_vgpr 51
		.amdhsa_next_free_sgpr 34
		.amdhsa_named_barrier_count 0
		.amdhsa_reserve_vcc 1
		.amdhsa_float_round_mode_32 0
		.amdhsa_float_round_mode_16_64 0
		.amdhsa_float_denorm_mode_32 3
		.amdhsa_float_denorm_mode_16_64 3
		.amdhsa_fp16_overflow 0
		.amdhsa_memory_ordered 1
		.amdhsa_forward_progress 1
		.amdhsa_inst_pref_size 1
		.amdhsa_round_robin_scheduling 0
		.amdhsa_exception_fp_ieee_invalid_op 0
		.amdhsa_exception_fp_denorm_src 0
		.amdhsa_exception_fp_ieee_div_zero 0
		.amdhsa_exception_fp_ieee_overflow 0
		.amdhsa_exception_fp_ieee_underflow 0
		.amdhsa_exception_fp_ieee_inexact 0
		.amdhsa_exception_int_div_zero 0
	.end_amdhsa_kernel
	.section	.text._Z38paged_attention_ll4mi_QKV_mfma4_kernelIDF16_DF16_LN4vllm18Fp8KVCacheDataTypeE0EDF16_Li32ELi64ELi256ELb0ELi3EEvPKT_PKT0_S7_ifPKiS9_S9_iPKfiiiPfSC_PS2_PT2_iSB_SB_,"axG",@progbits,_Z38paged_attention_ll4mi_QKV_mfma4_kernelIDF16_DF16_LN4vllm18Fp8KVCacheDataTypeE0EDF16_Li32ELi64ELi256ELb0ELi3EEvPKT_PKT0_S7_ifPKiS9_S9_iPKfiiiPfSC_PS2_PT2_iSB_SB_,comdat
.Lfunc_end176:
	.size	_Z38paged_attention_ll4mi_QKV_mfma4_kernelIDF16_DF16_LN4vllm18Fp8KVCacheDataTypeE0EDF16_Li32ELi64ELi256ELb0ELi3EEvPKT_PKT0_S7_ifPKiS9_S9_iPKfiiiPfSC_PS2_PT2_iSB_SB_, .Lfunc_end176-_Z38paged_attention_ll4mi_QKV_mfma4_kernelIDF16_DF16_LN4vllm18Fp8KVCacheDataTypeE0EDF16_Li32ELi64ELi256ELb0ELi3EEvPKT_PKT0_S7_ifPKiS9_S9_iPKfiiiPfSC_PS2_PT2_iSB_SB_
                                        ; -- End function
	.set _Z38paged_attention_ll4mi_QKV_mfma4_kernelIDF16_DF16_LN4vllm18Fp8KVCacheDataTypeE0EDF16_Li32ELi64ELi256ELb0ELi3EEvPKT_PKT0_S7_ifPKiS9_S9_iPKfiiiPfSC_PS2_PT2_iSB_SB_.num_vgpr, max(3, .L__assert_fail.num_vgpr)
	.set _Z38paged_attention_ll4mi_QKV_mfma4_kernelIDF16_DF16_LN4vllm18Fp8KVCacheDataTypeE0EDF16_Li32ELi64ELi256ELb0ELi3EEvPKT_PKT0_S7_ifPKiS9_S9_iPKfiiiPfSC_PS2_PT2_iSB_SB_.num_agpr, max(0, .L__assert_fail.num_agpr)
	.set _Z38paged_attention_ll4mi_QKV_mfma4_kernelIDF16_DF16_LN4vllm18Fp8KVCacheDataTypeE0EDF16_Li32ELi64ELi256ELb0ELi3EEvPKT_PKT0_S7_ifPKiS9_S9_iPKfiiiPfSC_PS2_PT2_iSB_SB_.numbered_sgpr, max(33, .L__assert_fail.numbered_sgpr)
	.set _Z38paged_attention_ll4mi_QKV_mfma4_kernelIDF16_DF16_LN4vllm18Fp8KVCacheDataTypeE0EDF16_Li32ELi64ELi256ELb0ELi3EEvPKT_PKT0_S7_ifPKiS9_S9_iPKfiiiPfSC_PS2_PT2_iSB_SB_.num_named_barrier, max(0, .L__assert_fail.num_named_barrier)
	.set _Z38paged_attention_ll4mi_QKV_mfma4_kernelIDF16_DF16_LN4vllm18Fp8KVCacheDataTypeE0EDF16_Li32ELi64ELi256ELb0ELi3EEvPKT_PKT0_S7_ifPKiS9_S9_iPKfiiiPfSC_PS2_PT2_iSB_SB_.private_seg_size, 0+max(.L__assert_fail.private_seg_size)
	.set _Z38paged_attention_ll4mi_QKV_mfma4_kernelIDF16_DF16_LN4vllm18Fp8KVCacheDataTypeE0EDF16_Li32ELi64ELi256ELb0ELi3EEvPKT_PKT0_S7_ifPKiS9_S9_iPKfiiiPfSC_PS2_PT2_iSB_SB_.uses_vcc, or(1, .L__assert_fail.uses_vcc)
	.set _Z38paged_attention_ll4mi_QKV_mfma4_kernelIDF16_DF16_LN4vllm18Fp8KVCacheDataTypeE0EDF16_Li32ELi64ELi256ELb0ELi3EEvPKT_PKT0_S7_ifPKiS9_S9_iPKfiiiPfSC_PS2_PT2_iSB_SB_.uses_flat_scratch, or(0, .L__assert_fail.uses_flat_scratch)
	.set _Z38paged_attention_ll4mi_QKV_mfma4_kernelIDF16_DF16_LN4vllm18Fp8KVCacheDataTypeE0EDF16_Li32ELi64ELi256ELb0ELi3EEvPKT_PKT0_S7_ifPKiS9_S9_iPKfiiiPfSC_PS2_PT2_iSB_SB_.has_dyn_sized_stack, or(0, .L__assert_fail.has_dyn_sized_stack)
	.set _Z38paged_attention_ll4mi_QKV_mfma4_kernelIDF16_DF16_LN4vllm18Fp8KVCacheDataTypeE0EDF16_Li32ELi64ELi256ELb0ELi3EEvPKT_PKT0_S7_ifPKiS9_S9_iPKfiiiPfSC_PS2_PT2_iSB_SB_.has_recursion, or(0, .L__assert_fail.has_recursion)
	.set _Z38paged_attention_ll4mi_QKV_mfma4_kernelIDF16_DF16_LN4vllm18Fp8KVCacheDataTypeE0EDF16_Li32ELi64ELi256ELb0ELi3EEvPKT_PKT0_S7_ifPKiS9_S9_iPKfiiiPfSC_PS2_PT2_iSB_SB_.has_indirect_call, or(0, .L__assert_fail.has_indirect_call)
	.section	.AMDGPU.csdata,"",@progbits
; Kernel info:
; codeLenInByte = 68
; TotalNumSgprs: 36
; NumVgprs: 51
; ScratchSize: 64
; MemoryBound: 0
; FloatMode: 240
; IeeeMode: 1
; LDSByteSize: 0 bytes/workgroup (compile time only)
; SGPRBlocks: 0
; VGPRBlocks: 3
; NumSGPRsForWavesPerEU: 36
; NumVGPRsForWavesPerEU: 51
; NamedBarCnt: 0
; Occupancy: 16
; WaveLimiterHint : 1
; COMPUTE_PGM_RSRC2:SCRATCH_EN: 1
; COMPUTE_PGM_RSRC2:USER_SGPR: 2
; COMPUTE_PGM_RSRC2:TRAP_HANDLER: 0
; COMPUTE_PGM_RSRC2:TGID_X_EN: 1
; COMPUTE_PGM_RSRC2:TGID_Y_EN: 0
; COMPUTE_PGM_RSRC2:TGID_Z_EN: 0
; COMPUTE_PGM_RSRC2:TIDIG_COMP_CNT: 0
	.section	.text._Z38paged_attention_ll4mi_QKV_mfma4_kernelIDF16_DF16_LN4vllm18Fp8KVCacheDataTypeE0EDF16_Li32ELi64ELi256ELb0ELi4EEvPKT_PKT0_S7_ifPKiS9_S9_iPKfiiiPfSC_PS2_PT2_iSB_SB_,"axG",@progbits,_Z38paged_attention_ll4mi_QKV_mfma4_kernelIDF16_DF16_LN4vllm18Fp8KVCacheDataTypeE0EDF16_Li32ELi64ELi256ELb0ELi4EEvPKT_PKT0_S7_ifPKiS9_S9_iPKfiiiPfSC_PS2_PT2_iSB_SB_,comdat
	.protected	_Z38paged_attention_ll4mi_QKV_mfma4_kernelIDF16_DF16_LN4vllm18Fp8KVCacheDataTypeE0EDF16_Li32ELi64ELi256ELb0ELi4EEvPKT_PKT0_S7_ifPKiS9_S9_iPKfiiiPfSC_PS2_PT2_iSB_SB_ ; -- Begin function _Z38paged_attention_ll4mi_QKV_mfma4_kernelIDF16_DF16_LN4vllm18Fp8KVCacheDataTypeE0EDF16_Li32ELi64ELi256ELb0ELi4EEvPKT_PKT0_S7_ifPKiS9_S9_iPKfiiiPfSC_PS2_PT2_iSB_SB_
	.globl	_Z38paged_attention_ll4mi_QKV_mfma4_kernelIDF16_DF16_LN4vllm18Fp8KVCacheDataTypeE0EDF16_Li32ELi64ELi256ELb0ELi4EEvPKT_PKT0_S7_ifPKiS9_S9_iPKfiiiPfSC_PS2_PT2_iSB_SB_
	.p2align	8
	.type	_Z38paged_attention_ll4mi_QKV_mfma4_kernelIDF16_DF16_LN4vllm18Fp8KVCacheDataTypeE0EDF16_Li32ELi64ELi256ELb0ELi4EEvPKT_PKT0_S7_ifPKiS9_S9_iPKfiiiPfSC_PS2_PT2_iSB_SB_,@function
_Z38paged_attention_ll4mi_QKV_mfma4_kernelIDF16_DF16_LN4vllm18Fp8KVCacheDataTypeE0EDF16_Li32ELi64ELi256ELb0ELi4EEvPKT_PKT0_S7_ifPKiS9_S9_iPKfiiiPfSC_PS2_PT2_iSB_SB_: ; @_Z38paged_attention_ll4mi_QKV_mfma4_kernelIDF16_DF16_LN4vllm18Fp8KVCacheDataTypeE0EDF16_Li32ELi64ELi256ELb0ELi4EEvPKT_PKT0_S7_ifPKiS9_S9_iPKfiiiPfSC_PS2_PT2_iSB_SB_
; %bb.0:
	s_get_pc_i64 s[2:3]
	s_add_nc_u64 s[2:3], s[2:3], __PRETTY_FUNCTION__._Z38paged_attention_ll4mi_QKV_mfma4_kernelIDF16_DF16_LN4vllm18Fp8KVCacheDataTypeE0EDF16_Li32ELi64ELi256ELb0ELi4EEvPKT_PKT0_S7_ifPKiS9_S9_iPKfiiiPfSC_PS2_PT2_iSB_SB_@rel64+4
	s_delay_alu instid0(SALU_CYCLE_1)
	v_dual_mov_b32 v0, 0xbce :: v_dual_mov_b32 v1, s2
	v_mov_b32_e32 v2, s3
	s_add_nc_u64 s[8:9], s[0:1], 0x90
	s_get_pc_i64 s[0:1]
	s_add_nc_u64 s[0:1], s[0:1], __assert_fail@rel64+4
	s_mov_b32 s32, 0
	s_swap_pc_i64 s[30:31], s[0:1]
	.section	.rodata,"a",@progbits
	.p2align	6, 0x0
	.amdhsa_kernel _Z38paged_attention_ll4mi_QKV_mfma4_kernelIDF16_DF16_LN4vllm18Fp8KVCacheDataTypeE0EDF16_Li32ELi64ELi256ELb0ELi4EEvPKT_PKT0_S7_ifPKiS9_S9_iPKfiiiPfSC_PS2_PT2_iSB_SB_
		.amdhsa_group_segment_fixed_size 0
		.amdhsa_private_segment_fixed_size 64
		.amdhsa_kernarg_size 400
		.amdhsa_user_sgpr_count 2
		.amdhsa_user_sgpr_dispatch_ptr 0
		.amdhsa_user_sgpr_queue_ptr 0
		.amdhsa_user_sgpr_kernarg_segment_ptr 1
		.amdhsa_user_sgpr_dispatch_id 0
		.amdhsa_user_sgpr_kernarg_preload_length 0
		.amdhsa_user_sgpr_kernarg_preload_offset 0
		.amdhsa_user_sgpr_private_segment_size 0
		.amdhsa_wavefront_size32 1
		.amdhsa_uses_dynamic_stack 0
		.amdhsa_enable_private_segment 1
		.amdhsa_system_sgpr_workgroup_id_x 1
		.amdhsa_system_sgpr_workgroup_id_y 0
		.amdhsa_system_sgpr_workgroup_id_z 0
		.amdhsa_system_sgpr_workgroup_info 0
		.amdhsa_system_vgpr_workitem_id 0
		.amdhsa_next_free_vgpr 51
		.amdhsa_next_free_sgpr 34
		.amdhsa_named_barrier_count 0
		.amdhsa_reserve_vcc 1
		.amdhsa_float_round_mode_32 0
		.amdhsa_float_round_mode_16_64 0
		.amdhsa_float_denorm_mode_32 3
		.amdhsa_float_denorm_mode_16_64 3
		.amdhsa_fp16_overflow 0
		.amdhsa_memory_ordered 1
		.amdhsa_forward_progress 1
		.amdhsa_inst_pref_size 1
		.amdhsa_round_robin_scheduling 0
		.amdhsa_exception_fp_ieee_invalid_op 0
		.amdhsa_exception_fp_denorm_src 0
		.amdhsa_exception_fp_ieee_div_zero 0
		.amdhsa_exception_fp_ieee_overflow 0
		.amdhsa_exception_fp_ieee_underflow 0
		.amdhsa_exception_fp_ieee_inexact 0
		.amdhsa_exception_int_div_zero 0
	.end_amdhsa_kernel
	.section	.text._Z38paged_attention_ll4mi_QKV_mfma4_kernelIDF16_DF16_LN4vllm18Fp8KVCacheDataTypeE0EDF16_Li32ELi64ELi256ELb0ELi4EEvPKT_PKT0_S7_ifPKiS9_S9_iPKfiiiPfSC_PS2_PT2_iSB_SB_,"axG",@progbits,_Z38paged_attention_ll4mi_QKV_mfma4_kernelIDF16_DF16_LN4vllm18Fp8KVCacheDataTypeE0EDF16_Li32ELi64ELi256ELb0ELi4EEvPKT_PKT0_S7_ifPKiS9_S9_iPKfiiiPfSC_PS2_PT2_iSB_SB_,comdat
.Lfunc_end177:
	.size	_Z38paged_attention_ll4mi_QKV_mfma4_kernelIDF16_DF16_LN4vllm18Fp8KVCacheDataTypeE0EDF16_Li32ELi64ELi256ELb0ELi4EEvPKT_PKT0_S7_ifPKiS9_S9_iPKfiiiPfSC_PS2_PT2_iSB_SB_, .Lfunc_end177-_Z38paged_attention_ll4mi_QKV_mfma4_kernelIDF16_DF16_LN4vllm18Fp8KVCacheDataTypeE0EDF16_Li32ELi64ELi256ELb0ELi4EEvPKT_PKT0_S7_ifPKiS9_S9_iPKfiiiPfSC_PS2_PT2_iSB_SB_
                                        ; -- End function
	.set _Z38paged_attention_ll4mi_QKV_mfma4_kernelIDF16_DF16_LN4vllm18Fp8KVCacheDataTypeE0EDF16_Li32ELi64ELi256ELb0ELi4EEvPKT_PKT0_S7_ifPKiS9_S9_iPKfiiiPfSC_PS2_PT2_iSB_SB_.num_vgpr, max(3, .L__assert_fail.num_vgpr)
	.set _Z38paged_attention_ll4mi_QKV_mfma4_kernelIDF16_DF16_LN4vllm18Fp8KVCacheDataTypeE0EDF16_Li32ELi64ELi256ELb0ELi4EEvPKT_PKT0_S7_ifPKiS9_S9_iPKfiiiPfSC_PS2_PT2_iSB_SB_.num_agpr, max(0, .L__assert_fail.num_agpr)
	.set _Z38paged_attention_ll4mi_QKV_mfma4_kernelIDF16_DF16_LN4vllm18Fp8KVCacheDataTypeE0EDF16_Li32ELi64ELi256ELb0ELi4EEvPKT_PKT0_S7_ifPKiS9_S9_iPKfiiiPfSC_PS2_PT2_iSB_SB_.numbered_sgpr, max(33, .L__assert_fail.numbered_sgpr)
	.set _Z38paged_attention_ll4mi_QKV_mfma4_kernelIDF16_DF16_LN4vllm18Fp8KVCacheDataTypeE0EDF16_Li32ELi64ELi256ELb0ELi4EEvPKT_PKT0_S7_ifPKiS9_S9_iPKfiiiPfSC_PS2_PT2_iSB_SB_.num_named_barrier, max(0, .L__assert_fail.num_named_barrier)
	.set _Z38paged_attention_ll4mi_QKV_mfma4_kernelIDF16_DF16_LN4vllm18Fp8KVCacheDataTypeE0EDF16_Li32ELi64ELi256ELb0ELi4EEvPKT_PKT0_S7_ifPKiS9_S9_iPKfiiiPfSC_PS2_PT2_iSB_SB_.private_seg_size, 0+max(.L__assert_fail.private_seg_size)
	.set _Z38paged_attention_ll4mi_QKV_mfma4_kernelIDF16_DF16_LN4vllm18Fp8KVCacheDataTypeE0EDF16_Li32ELi64ELi256ELb0ELi4EEvPKT_PKT0_S7_ifPKiS9_S9_iPKfiiiPfSC_PS2_PT2_iSB_SB_.uses_vcc, or(1, .L__assert_fail.uses_vcc)
	.set _Z38paged_attention_ll4mi_QKV_mfma4_kernelIDF16_DF16_LN4vllm18Fp8KVCacheDataTypeE0EDF16_Li32ELi64ELi256ELb0ELi4EEvPKT_PKT0_S7_ifPKiS9_S9_iPKfiiiPfSC_PS2_PT2_iSB_SB_.uses_flat_scratch, or(0, .L__assert_fail.uses_flat_scratch)
	.set _Z38paged_attention_ll4mi_QKV_mfma4_kernelIDF16_DF16_LN4vllm18Fp8KVCacheDataTypeE0EDF16_Li32ELi64ELi256ELb0ELi4EEvPKT_PKT0_S7_ifPKiS9_S9_iPKfiiiPfSC_PS2_PT2_iSB_SB_.has_dyn_sized_stack, or(0, .L__assert_fail.has_dyn_sized_stack)
	.set _Z38paged_attention_ll4mi_QKV_mfma4_kernelIDF16_DF16_LN4vllm18Fp8KVCacheDataTypeE0EDF16_Li32ELi64ELi256ELb0ELi4EEvPKT_PKT0_S7_ifPKiS9_S9_iPKfiiiPfSC_PS2_PT2_iSB_SB_.has_recursion, or(0, .L__assert_fail.has_recursion)
	.set _Z38paged_attention_ll4mi_QKV_mfma4_kernelIDF16_DF16_LN4vllm18Fp8KVCacheDataTypeE0EDF16_Li32ELi64ELi256ELb0ELi4EEvPKT_PKT0_S7_ifPKiS9_S9_iPKfiiiPfSC_PS2_PT2_iSB_SB_.has_indirect_call, or(0, .L__assert_fail.has_indirect_call)
	.section	.AMDGPU.csdata,"",@progbits
; Kernel info:
; codeLenInByte = 68
; TotalNumSgprs: 36
; NumVgprs: 51
; ScratchSize: 64
; MemoryBound: 0
; FloatMode: 240
; IeeeMode: 1
; LDSByteSize: 0 bytes/workgroup (compile time only)
; SGPRBlocks: 0
; VGPRBlocks: 3
; NumSGPRsForWavesPerEU: 36
; NumVGPRsForWavesPerEU: 51
; NamedBarCnt: 0
; Occupancy: 16
; WaveLimiterHint : 1
; COMPUTE_PGM_RSRC2:SCRATCH_EN: 1
; COMPUTE_PGM_RSRC2:USER_SGPR: 2
; COMPUTE_PGM_RSRC2:TRAP_HANDLER: 0
; COMPUTE_PGM_RSRC2:TGID_X_EN: 1
; COMPUTE_PGM_RSRC2:TGID_Y_EN: 0
; COMPUTE_PGM_RSRC2:TGID_Z_EN: 0
; COMPUTE_PGM_RSRC2:TIDIG_COMP_CNT: 0
	.section	.text._Z39paged_attention_ll4mi_QKV_mfma16_kernelIDF16_DF16_LN4vllm18Fp8KVCacheDataTypeE0EDF16_Li32ELi64ELi256ELb0ELi5EEvPKT_PKT0_S7_ifPKiS9_S9_iPKfiiiPfSC_PS2_PT2_iSB_SB_,"axG",@progbits,_Z39paged_attention_ll4mi_QKV_mfma16_kernelIDF16_DF16_LN4vllm18Fp8KVCacheDataTypeE0EDF16_Li32ELi64ELi256ELb0ELi5EEvPKT_PKT0_S7_ifPKiS9_S9_iPKfiiiPfSC_PS2_PT2_iSB_SB_,comdat
	.protected	_Z39paged_attention_ll4mi_QKV_mfma16_kernelIDF16_DF16_LN4vllm18Fp8KVCacheDataTypeE0EDF16_Li32ELi64ELi256ELb0ELi5EEvPKT_PKT0_S7_ifPKiS9_S9_iPKfiiiPfSC_PS2_PT2_iSB_SB_ ; -- Begin function _Z39paged_attention_ll4mi_QKV_mfma16_kernelIDF16_DF16_LN4vllm18Fp8KVCacheDataTypeE0EDF16_Li32ELi64ELi256ELb0ELi5EEvPKT_PKT0_S7_ifPKiS9_S9_iPKfiiiPfSC_PS2_PT2_iSB_SB_
	.globl	_Z39paged_attention_ll4mi_QKV_mfma16_kernelIDF16_DF16_LN4vllm18Fp8KVCacheDataTypeE0EDF16_Li32ELi64ELi256ELb0ELi5EEvPKT_PKT0_S7_ifPKiS9_S9_iPKfiiiPfSC_PS2_PT2_iSB_SB_
	.p2align	8
	.type	_Z39paged_attention_ll4mi_QKV_mfma16_kernelIDF16_DF16_LN4vllm18Fp8KVCacheDataTypeE0EDF16_Li32ELi64ELi256ELb0ELi5EEvPKT_PKT0_S7_ifPKiS9_S9_iPKfiiiPfSC_PS2_PT2_iSB_SB_,@function
_Z39paged_attention_ll4mi_QKV_mfma16_kernelIDF16_DF16_LN4vllm18Fp8KVCacheDataTypeE0EDF16_Li32ELi64ELi256ELb0ELi5EEvPKT_PKT0_S7_ifPKiS9_S9_iPKfiiiPfSC_PS2_PT2_iSB_SB_: ; @_Z39paged_attention_ll4mi_QKV_mfma16_kernelIDF16_DF16_LN4vllm18Fp8KVCacheDataTypeE0EDF16_Li32ELi64ELi256ELb0ELi5EEvPKT_PKT0_S7_ifPKiS9_S9_iPKfiiiPfSC_PS2_PT2_iSB_SB_
; %bb.0:
	s_get_pc_i64 s[2:3]
	s_add_nc_u64 s[2:3], s[2:3], __PRETTY_FUNCTION__._Z39paged_attention_ll4mi_QKV_mfma16_kernelIDF16_DF16_LN4vllm18Fp8KVCacheDataTypeE0EDF16_Li32ELi64ELi256ELb0ELi5EEvPKT_PKT0_S7_ifPKiS9_S9_iPKfiiiPfSC_PS2_PT2_iSB_SB_@rel64+4
	s_delay_alu instid0(SALU_CYCLE_1)
	v_dual_mov_b32 v0, 0xbb3 :: v_dual_mov_b32 v1, s2
	v_mov_b32_e32 v2, s3
	s_add_nc_u64 s[8:9], s[0:1], 0x90
	s_get_pc_i64 s[0:1]
	s_add_nc_u64 s[0:1], s[0:1], __assert_fail@rel64+4
	s_mov_b32 s32, 0
	s_swap_pc_i64 s[30:31], s[0:1]
	.section	.rodata,"a",@progbits
	.p2align	6, 0x0
	.amdhsa_kernel _Z39paged_attention_ll4mi_QKV_mfma16_kernelIDF16_DF16_LN4vllm18Fp8KVCacheDataTypeE0EDF16_Li32ELi64ELi256ELb0ELi5EEvPKT_PKT0_S7_ifPKiS9_S9_iPKfiiiPfSC_PS2_PT2_iSB_SB_
		.amdhsa_group_segment_fixed_size 0
		.amdhsa_private_segment_fixed_size 64
		.amdhsa_kernarg_size 400
		.amdhsa_user_sgpr_count 2
		.amdhsa_user_sgpr_dispatch_ptr 0
		.amdhsa_user_sgpr_queue_ptr 0
		.amdhsa_user_sgpr_kernarg_segment_ptr 1
		.amdhsa_user_sgpr_dispatch_id 0
		.amdhsa_user_sgpr_kernarg_preload_length 0
		.amdhsa_user_sgpr_kernarg_preload_offset 0
		.amdhsa_user_sgpr_private_segment_size 0
		.amdhsa_wavefront_size32 1
		.amdhsa_uses_dynamic_stack 0
		.amdhsa_enable_private_segment 1
		.amdhsa_system_sgpr_workgroup_id_x 1
		.amdhsa_system_sgpr_workgroup_id_y 0
		.amdhsa_system_sgpr_workgroup_id_z 0
		.amdhsa_system_sgpr_workgroup_info 0
		.amdhsa_system_vgpr_workitem_id 0
		.amdhsa_next_free_vgpr 51
		.amdhsa_next_free_sgpr 34
		.amdhsa_named_barrier_count 0
		.amdhsa_reserve_vcc 1
		.amdhsa_float_round_mode_32 0
		.amdhsa_float_round_mode_16_64 0
		.amdhsa_float_denorm_mode_32 3
		.amdhsa_float_denorm_mode_16_64 3
		.amdhsa_fp16_overflow 0
		.amdhsa_memory_ordered 1
		.amdhsa_forward_progress 1
		.amdhsa_inst_pref_size 1
		.amdhsa_round_robin_scheduling 0
		.amdhsa_exception_fp_ieee_invalid_op 0
		.amdhsa_exception_fp_denorm_src 0
		.amdhsa_exception_fp_ieee_div_zero 0
		.amdhsa_exception_fp_ieee_overflow 0
		.amdhsa_exception_fp_ieee_underflow 0
		.amdhsa_exception_fp_ieee_inexact 0
		.amdhsa_exception_int_div_zero 0
	.end_amdhsa_kernel
	.section	.text._Z39paged_attention_ll4mi_QKV_mfma16_kernelIDF16_DF16_LN4vllm18Fp8KVCacheDataTypeE0EDF16_Li32ELi64ELi256ELb0ELi5EEvPKT_PKT0_S7_ifPKiS9_S9_iPKfiiiPfSC_PS2_PT2_iSB_SB_,"axG",@progbits,_Z39paged_attention_ll4mi_QKV_mfma16_kernelIDF16_DF16_LN4vllm18Fp8KVCacheDataTypeE0EDF16_Li32ELi64ELi256ELb0ELi5EEvPKT_PKT0_S7_ifPKiS9_S9_iPKfiiiPfSC_PS2_PT2_iSB_SB_,comdat
.Lfunc_end178:
	.size	_Z39paged_attention_ll4mi_QKV_mfma16_kernelIDF16_DF16_LN4vllm18Fp8KVCacheDataTypeE0EDF16_Li32ELi64ELi256ELb0ELi5EEvPKT_PKT0_S7_ifPKiS9_S9_iPKfiiiPfSC_PS2_PT2_iSB_SB_, .Lfunc_end178-_Z39paged_attention_ll4mi_QKV_mfma16_kernelIDF16_DF16_LN4vllm18Fp8KVCacheDataTypeE0EDF16_Li32ELi64ELi256ELb0ELi5EEvPKT_PKT0_S7_ifPKiS9_S9_iPKfiiiPfSC_PS2_PT2_iSB_SB_
                                        ; -- End function
	.set _Z39paged_attention_ll4mi_QKV_mfma16_kernelIDF16_DF16_LN4vllm18Fp8KVCacheDataTypeE0EDF16_Li32ELi64ELi256ELb0ELi5EEvPKT_PKT0_S7_ifPKiS9_S9_iPKfiiiPfSC_PS2_PT2_iSB_SB_.num_vgpr, max(3, .L__assert_fail.num_vgpr)
	.set _Z39paged_attention_ll4mi_QKV_mfma16_kernelIDF16_DF16_LN4vllm18Fp8KVCacheDataTypeE0EDF16_Li32ELi64ELi256ELb0ELi5EEvPKT_PKT0_S7_ifPKiS9_S9_iPKfiiiPfSC_PS2_PT2_iSB_SB_.num_agpr, max(0, .L__assert_fail.num_agpr)
	.set _Z39paged_attention_ll4mi_QKV_mfma16_kernelIDF16_DF16_LN4vllm18Fp8KVCacheDataTypeE0EDF16_Li32ELi64ELi256ELb0ELi5EEvPKT_PKT0_S7_ifPKiS9_S9_iPKfiiiPfSC_PS2_PT2_iSB_SB_.numbered_sgpr, max(33, .L__assert_fail.numbered_sgpr)
	.set _Z39paged_attention_ll4mi_QKV_mfma16_kernelIDF16_DF16_LN4vllm18Fp8KVCacheDataTypeE0EDF16_Li32ELi64ELi256ELb0ELi5EEvPKT_PKT0_S7_ifPKiS9_S9_iPKfiiiPfSC_PS2_PT2_iSB_SB_.num_named_barrier, max(0, .L__assert_fail.num_named_barrier)
	.set _Z39paged_attention_ll4mi_QKV_mfma16_kernelIDF16_DF16_LN4vllm18Fp8KVCacheDataTypeE0EDF16_Li32ELi64ELi256ELb0ELi5EEvPKT_PKT0_S7_ifPKiS9_S9_iPKfiiiPfSC_PS2_PT2_iSB_SB_.private_seg_size, 0+max(.L__assert_fail.private_seg_size)
	.set _Z39paged_attention_ll4mi_QKV_mfma16_kernelIDF16_DF16_LN4vllm18Fp8KVCacheDataTypeE0EDF16_Li32ELi64ELi256ELb0ELi5EEvPKT_PKT0_S7_ifPKiS9_S9_iPKfiiiPfSC_PS2_PT2_iSB_SB_.uses_vcc, or(1, .L__assert_fail.uses_vcc)
	.set _Z39paged_attention_ll4mi_QKV_mfma16_kernelIDF16_DF16_LN4vllm18Fp8KVCacheDataTypeE0EDF16_Li32ELi64ELi256ELb0ELi5EEvPKT_PKT0_S7_ifPKiS9_S9_iPKfiiiPfSC_PS2_PT2_iSB_SB_.uses_flat_scratch, or(0, .L__assert_fail.uses_flat_scratch)
	.set _Z39paged_attention_ll4mi_QKV_mfma16_kernelIDF16_DF16_LN4vllm18Fp8KVCacheDataTypeE0EDF16_Li32ELi64ELi256ELb0ELi5EEvPKT_PKT0_S7_ifPKiS9_S9_iPKfiiiPfSC_PS2_PT2_iSB_SB_.has_dyn_sized_stack, or(0, .L__assert_fail.has_dyn_sized_stack)
	.set _Z39paged_attention_ll4mi_QKV_mfma16_kernelIDF16_DF16_LN4vllm18Fp8KVCacheDataTypeE0EDF16_Li32ELi64ELi256ELb0ELi5EEvPKT_PKT0_S7_ifPKiS9_S9_iPKfiiiPfSC_PS2_PT2_iSB_SB_.has_recursion, or(0, .L__assert_fail.has_recursion)
	.set _Z39paged_attention_ll4mi_QKV_mfma16_kernelIDF16_DF16_LN4vllm18Fp8KVCacheDataTypeE0EDF16_Li32ELi64ELi256ELb0ELi5EEvPKT_PKT0_S7_ifPKiS9_S9_iPKfiiiPfSC_PS2_PT2_iSB_SB_.has_indirect_call, or(0, .L__assert_fail.has_indirect_call)
	.section	.AMDGPU.csdata,"",@progbits
; Kernel info:
; codeLenInByte = 68
; TotalNumSgprs: 36
; NumVgprs: 51
; ScratchSize: 64
; MemoryBound: 0
; FloatMode: 240
; IeeeMode: 1
; LDSByteSize: 0 bytes/workgroup (compile time only)
; SGPRBlocks: 0
; VGPRBlocks: 3
; NumSGPRsForWavesPerEU: 36
; NumVGPRsForWavesPerEU: 51
; NamedBarCnt: 0
; Occupancy: 16
; WaveLimiterHint : 1
; COMPUTE_PGM_RSRC2:SCRATCH_EN: 1
; COMPUTE_PGM_RSRC2:USER_SGPR: 2
; COMPUTE_PGM_RSRC2:TRAP_HANDLER: 0
; COMPUTE_PGM_RSRC2:TGID_X_EN: 1
; COMPUTE_PGM_RSRC2:TGID_Y_EN: 0
; COMPUTE_PGM_RSRC2:TGID_Z_EN: 0
; COMPUTE_PGM_RSRC2:TIDIG_COMP_CNT: 0
	.section	.text._Z39paged_attention_ll4mi_QKV_mfma16_kernelIDF16_DF16_LN4vllm18Fp8KVCacheDataTypeE0EDF16_Li32ELi64ELi256ELb0ELi6EEvPKT_PKT0_S7_ifPKiS9_S9_iPKfiiiPfSC_PS2_PT2_iSB_SB_,"axG",@progbits,_Z39paged_attention_ll4mi_QKV_mfma16_kernelIDF16_DF16_LN4vllm18Fp8KVCacheDataTypeE0EDF16_Li32ELi64ELi256ELb0ELi6EEvPKT_PKT0_S7_ifPKiS9_S9_iPKfiiiPfSC_PS2_PT2_iSB_SB_,comdat
	.protected	_Z39paged_attention_ll4mi_QKV_mfma16_kernelIDF16_DF16_LN4vllm18Fp8KVCacheDataTypeE0EDF16_Li32ELi64ELi256ELb0ELi6EEvPKT_PKT0_S7_ifPKiS9_S9_iPKfiiiPfSC_PS2_PT2_iSB_SB_ ; -- Begin function _Z39paged_attention_ll4mi_QKV_mfma16_kernelIDF16_DF16_LN4vllm18Fp8KVCacheDataTypeE0EDF16_Li32ELi64ELi256ELb0ELi6EEvPKT_PKT0_S7_ifPKiS9_S9_iPKfiiiPfSC_PS2_PT2_iSB_SB_
	.globl	_Z39paged_attention_ll4mi_QKV_mfma16_kernelIDF16_DF16_LN4vllm18Fp8KVCacheDataTypeE0EDF16_Li32ELi64ELi256ELb0ELi6EEvPKT_PKT0_S7_ifPKiS9_S9_iPKfiiiPfSC_PS2_PT2_iSB_SB_
	.p2align	8
	.type	_Z39paged_attention_ll4mi_QKV_mfma16_kernelIDF16_DF16_LN4vllm18Fp8KVCacheDataTypeE0EDF16_Li32ELi64ELi256ELb0ELi6EEvPKT_PKT0_S7_ifPKiS9_S9_iPKfiiiPfSC_PS2_PT2_iSB_SB_,@function
_Z39paged_attention_ll4mi_QKV_mfma16_kernelIDF16_DF16_LN4vllm18Fp8KVCacheDataTypeE0EDF16_Li32ELi64ELi256ELb0ELi6EEvPKT_PKT0_S7_ifPKiS9_S9_iPKfiiiPfSC_PS2_PT2_iSB_SB_: ; @_Z39paged_attention_ll4mi_QKV_mfma16_kernelIDF16_DF16_LN4vllm18Fp8KVCacheDataTypeE0EDF16_Li32ELi64ELi256ELb0ELi6EEvPKT_PKT0_S7_ifPKiS9_S9_iPKfiiiPfSC_PS2_PT2_iSB_SB_
; %bb.0:
	s_get_pc_i64 s[2:3]
	s_add_nc_u64 s[2:3], s[2:3], __PRETTY_FUNCTION__._Z39paged_attention_ll4mi_QKV_mfma16_kernelIDF16_DF16_LN4vllm18Fp8KVCacheDataTypeE0EDF16_Li32ELi64ELi256ELb0ELi6EEvPKT_PKT0_S7_ifPKiS9_S9_iPKfiiiPfSC_PS2_PT2_iSB_SB_@rel64+4
	s_delay_alu instid0(SALU_CYCLE_1)
	v_dual_mov_b32 v0, 0xbb3 :: v_dual_mov_b32 v1, s2
	v_mov_b32_e32 v2, s3
	s_add_nc_u64 s[8:9], s[0:1], 0x90
	s_get_pc_i64 s[0:1]
	s_add_nc_u64 s[0:1], s[0:1], __assert_fail@rel64+4
	s_mov_b32 s32, 0
	s_swap_pc_i64 s[30:31], s[0:1]
	.section	.rodata,"a",@progbits
	.p2align	6, 0x0
	.amdhsa_kernel _Z39paged_attention_ll4mi_QKV_mfma16_kernelIDF16_DF16_LN4vllm18Fp8KVCacheDataTypeE0EDF16_Li32ELi64ELi256ELb0ELi6EEvPKT_PKT0_S7_ifPKiS9_S9_iPKfiiiPfSC_PS2_PT2_iSB_SB_
		.amdhsa_group_segment_fixed_size 0
		.amdhsa_private_segment_fixed_size 64
		.amdhsa_kernarg_size 400
		.amdhsa_user_sgpr_count 2
		.amdhsa_user_sgpr_dispatch_ptr 0
		.amdhsa_user_sgpr_queue_ptr 0
		.amdhsa_user_sgpr_kernarg_segment_ptr 1
		.amdhsa_user_sgpr_dispatch_id 0
		.amdhsa_user_sgpr_kernarg_preload_length 0
		.amdhsa_user_sgpr_kernarg_preload_offset 0
		.amdhsa_user_sgpr_private_segment_size 0
		.amdhsa_wavefront_size32 1
		.amdhsa_uses_dynamic_stack 0
		.amdhsa_enable_private_segment 1
		.amdhsa_system_sgpr_workgroup_id_x 1
		.amdhsa_system_sgpr_workgroup_id_y 0
		.amdhsa_system_sgpr_workgroup_id_z 0
		.amdhsa_system_sgpr_workgroup_info 0
		.amdhsa_system_vgpr_workitem_id 0
		.amdhsa_next_free_vgpr 51
		.amdhsa_next_free_sgpr 34
		.amdhsa_named_barrier_count 0
		.amdhsa_reserve_vcc 1
		.amdhsa_float_round_mode_32 0
		.amdhsa_float_round_mode_16_64 0
		.amdhsa_float_denorm_mode_32 3
		.amdhsa_float_denorm_mode_16_64 3
		.amdhsa_fp16_overflow 0
		.amdhsa_memory_ordered 1
		.amdhsa_forward_progress 1
		.amdhsa_inst_pref_size 1
		.amdhsa_round_robin_scheduling 0
		.amdhsa_exception_fp_ieee_invalid_op 0
		.amdhsa_exception_fp_denorm_src 0
		.amdhsa_exception_fp_ieee_div_zero 0
		.amdhsa_exception_fp_ieee_overflow 0
		.amdhsa_exception_fp_ieee_underflow 0
		.amdhsa_exception_fp_ieee_inexact 0
		.amdhsa_exception_int_div_zero 0
	.end_amdhsa_kernel
	.section	.text._Z39paged_attention_ll4mi_QKV_mfma16_kernelIDF16_DF16_LN4vllm18Fp8KVCacheDataTypeE0EDF16_Li32ELi64ELi256ELb0ELi6EEvPKT_PKT0_S7_ifPKiS9_S9_iPKfiiiPfSC_PS2_PT2_iSB_SB_,"axG",@progbits,_Z39paged_attention_ll4mi_QKV_mfma16_kernelIDF16_DF16_LN4vllm18Fp8KVCacheDataTypeE0EDF16_Li32ELi64ELi256ELb0ELi6EEvPKT_PKT0_S7_ifPKiS9_S9_iPKfiiiPfSC_PS2_PT2_iSB_SB_,comdat
.Lfunc_end179:
	.size	_Z39paged_attention_ll4mi_QKV_mfma16_kernelIDF16_DF16_LN4vllm18Fp8KVCacheDataTypeE0EDF16_Li32ELi64ELi256ELb0ELi6EEvPKT_PKT0_S7_ifPKiS9_S9_iPKfiiiPfSC_PS2_PT2_iSB_SB_, .Lfunc_end179-_Z39paged_attention_ll4mi_QKV_mfma16_kernelIDF16_DF16_LN4vllm18Fp8KVCacheDataTypeE0EDF16_Li32ELi64ELi256ELb0ELi6EEvPKT_PKT0_S7_ifPKiS9_S9_iPKfiiiPfSC_PS2_PT2_iSB_SB_
                                        ; -- End function
	.set _Z39paged_attention_ll4mi_QKV_mfma16_kernelIDF16_DF16_LN4vllm18Fp8KVCacheDataTypeE0EDF16_Li32ELi64ELi256ELb0ELi6EEvPKT_PKT0_S7_ifPKiS9_S9_iPKfiiiPfSC_PS2_PT2_iSB_SB_.num_vgpr, max(3, .L__assert_fail.num_vgpr)
	.set _Z39paged_attention_ll4mi_QKV_mfma16_kernelIDF16_DF16_LN4vllm18Fp8KVCacheDataTypeE0EDF16_Li32ELi64ELi256ELb0ELi6EEvPKT_PKT0_S7_ifPKiS9_S9_iPKfiiiPfSC_PS2_PT2_iSB_SB_.num_agpr, max(0, .L__assert_fail.num_agpr)
	.set _Z39paged_attention_ll4mi_QKV_mfma16_kernelIDF16_DF16_LN4vllm18Fp8KVCacheDataTypeE0EDF16_Li32ELi64ELi256ELb0ELi6EEvPKT_PKT0_S7_ifPKiS9_S9_iPKfiiiPfSC_PS2_PT2_iSB_SB_.numbered_sgpr, max(33, .L__assert_fail.numbered_sgpr)
	.set _Z39paged_attention_ll4mi_QKV_mfma16_kernelIDF16_DF16_LN4vllm18Fp8KVCacheDataTypeE0EDF16_Li32ELi64ELi256ELb0ELi6EEvPKT_PKT0_S7_ifPKiS9_S9_iPKfiiiPfSC_PS2_PT2_iSB_SB_.num_named_barrier, max(0, .L__assert_fail.num_named_barrier)
	.set _Z39paged_attention_ll4mi_QKV_mfma16_kernelIDF16_DF16_LN4vllm18Fp8KVCacheDataTypeE0EDF16_Li32ELi64ELi256ELb0ELi6EEvPKT_PKT0_S7_ifPKiS9_S9_iPKfiiiPfSC_PS2_PT2_iSB_SB_.private_seg_size, 0+max(.L__assert_fail.private_seg_size)
	.set _Z39paged_attention_ll4mi_QKV_mfma16_kernelIDF16_DF16_LN4vllm18Fp8KVCacheDataTypeE0EDF16_Li32ELi64ELi256ELb0ELi6EEvPKT_PKT0_S7_ifPKiS9_S9_iPKfiiiPfSC_PS2_PT2_iSB_SB_.uses_vcc, or(1, .L__assert_fail.uses_vcc)
	.set _Z39paged_attention_ll4mi_QKV_mfma16_kernelIDF16_DF16_LN4vllm18Fp8KVCacheDataTypeE0EDF16_Li32ELi64ELi256ELb0ELi6EEvPKT_PKT0_S7_ifPKiS9_S9_iPKfiiiPfSC_PS2_PT2_iSB_SB_.uses_flat_scratch, or(0, .L__assert_fail.uses_flat_scratch)
	.set _Z39paged_attention_ll4mi_QKV_mfma16_kernelIDF16_DF16_LN4vllm18Fp8KVCacheDataTypeE0EDF16_Li32ELi64ELi256ELb0ELi6EEvPKT_PKT0_S7_ifPKiS9_S9_iPKfiiiPfSC_PS2_PT2_iSB_SB_.has_dyn_sized_stack, or(0, .L__assert_fail.has_dyn_sized_stack)
	.set _Z39paged_attention_ll4mi_QKV_mfma16_kernelIDF16_DF16_LN4vllm18Fp8KVCacheDataTypeE0EDF16_Li32ELi64ELi256ELb0ELi6EEvPKT_PKT0_S7_ifPKiS9_S9_iPKfiiiPfSC_PS2_PT2_iSB_SB_.has_recursion, or(0, .L__assert_fail.has_recursion)
	.set _Z39paged_attention_ll4mi_QKV_mfma16_kernelIDF16_DF16_LN4vllm18Fp8KVCacheDataTypeE0EDF16_Li32ELi64ELi256ELb0ELi6EEvPKT_PKT0_S7_ifPKiS9_S9_iPKfiiiPfSC_PS2_PT2_iSB_SB_.has_indirect_call, or(0, .L__assert_fail.has_indirect_call)
	.section	.AMDGPU.csdata,"",@progbits
; Kernel info:
; codeLenInByte = 68
; TotalNumSgprs: 36
; NumVgprs: 51
; ScratchSize: 64
; MemoryBound: 0
; FloatMode: 240
; IeeeMode: 1
; LDSByteSize: 0 bytes/workgroup (compile time only)
; SGPRBlocks: 0
; VGPRBlocks: 3
; NumSGPRsForWavesPerEU: 36
; NumVGPRsForWavesPerEU: 51
; NamedBarCnt: 0
; Occupancy: 16
; WaveLimiterHint : 1
; COMPUTE_PGM_RSRC2:SCRATCH_EN: 1
; COMPUTE_PGM_RSRC2:USER_SGPR: 2
; COMPUTE_PGM_RSRC2:TRAP_HANDLER: 0
; COMPUTE_PGM_RSRC2:TGID_X_EN: 1
; COMPUTE_PGM_RSRC2:TGID_Y_EN: 0
; COMPUTE_PGM_RSRC2:TGID_Z_EN: 0
; COMPUTE_PGM_RSRC2:TIDIG_COMP_CNT: 0
	.section	.text._Z39paged_attention_ll4mi_QKV_mfma16_kernelIDF16_DF16_LN4vllm18Fp8KVCacheDataTypeE0EDF16_Li32ELi64ELi256ELb0ELi7EEvPKT_PKT0_S7_ifPKiS9_S9_iPKfiiiPfSC_PS2_PT2_iSB_SB_,"axG",@progbits,_Z39paged_attention_ll4mi_QKV_mfma16_kernelIDF16_DF16_LN4vllm18Fp8KVCacheDataTypeE0EDF16_Li32ELi64ELi256ELb0ELi7EEvPKT_PKT0_S7_ifPKiS9_S9_iPKfiiiPfSC_PS2_PT2_iSB_SB_,comdat
	.protected	_Z39paged_attention_ll4mi_QKV_mfma16_kernelIDF16_DF16_LN4vllm18Fp8KVCacheDataTypeE0EDF16_Li32ELi64ELi256ELb0ELi7EEvPKT_PKT0_S7_ifPKiS9_S9_iPKfiiiPfSC_PS2_PT2_iSB_SB_ ; -- Begin function _Z39paged_attention_ll4mi_QKV_mfma16_kernelIDF16_DF16_LN4vllm18Fp8KVCacheDataTypeE0EDF16_Li32ELi64ELi256ELb0ELi7EEvPKT_PKT0_S7_ifPKiS9_S9_iPKfiiiPfSC_PS2_PT2_iSB_SB_
	.globl	_Z39paged_attention_ll4mi_QKV_mfma16_kernelIDF16_DF16_LN4vllm18Fp8KVCacheDataTypeE0EDF16_Li32ELi64ELi256ELb0ELi7EEvPKT_PKT0_S7_ifPKiS9_S9_iPKfiiiPfSC_PS2_PT2_iSB_SB_
	.p2align	8
	.type	_Z39paged_attention_ll4mi_QKV_mfma16_kernelIDF16_DF16_LN4vllm18Fp8KVCacheDataTypeE0EDF16_Li32ELi64ELi256ELb0ELi7EEvPKT_PKT0_S7_ifPKiS9_S9_iPKfiiiPfSC_PS2_PT2_iSB_SB_,@function
_Z39paged_attention_ll4mi_QKV_mfma16_kernelIDF16_DF16_LN4vllm18Fp8KVCacheDataTypeE0EDF16_Li32ELi64ELi256ELb0ELi7EEvPKT_PKT0_S7_ifPKiS9_S9_iPKfiiiPfSC_PS2_PT2_iSB_SB_: ; @_Z39paged_attention_ll4mi_QKV_mfma16_kernelIDF16_DF16_LN4vllm18Fp8KVCacheDataTypeE0EDF16_Li32ELi64ELi256ELb0ELi7EEvPKT_PKT0_S7_ifPKiS9_S9_iPKfiiiPfSC_PS2_PT2_iSB_SB_
; %bb.0:
	s_get_pc_i64 s[2:3]
	s_add_nc_u64 s[2:3], s[2:3], __PRETTY_FUNCTION__._Z39paged_attention_ll4mi_QKV_mfma16_kernelIDF16_DF16_LN4vllm18Fp8KVCacheDataTypeE0EDF16_Li32ELi64ELi256ELb0ELi7EEvPKT_PKT0_S7_ifPKiS9_S9_iPKfiiiPfSC_PS2_PT2_iSB_SB_@rel64+4
	s_delay_alu instid0(SALU_CYCLE_1)
	v_dual_mov_b32 v0, 0xbb3 :: v_dual_mov_b32 v1, s2
	v_mov_b32_e32 v2, s3
	s_add_nc_u64 s[8:9], s[0:1], 0x90
	s_get_pc_i64 s[0:1]
	s_add_nc_u64 s[0:1], s[0:1], __assert_fail@rel64+4
	s_mov_b32 s32, 0
	s_swap_pc_i64 s[30:31], s[0:1]
	.section	.rodata,"a",@progbits
	.p2align	6, 0x0
	.amdhsa_kernel _Z39paged_attention_ll4mi_QKV_mfma16_kernelIDF16_DF16_LN4vllm18Fp8KVCacheDataTypeE0EDF16_Li32ELi64ELi256ELb0ELi7EEvPKT_PKT0_S7_ifPKiS9_S9_iPKfiiiPfSC_PS2_PT2_iSB_SB_
		.amdhsa_group_segment_fixed_size 0
		.amdhsa_private_segment_fixed_size 64
		.amdhsa_kernarg_size 400
		.amdhsa_user_sgpr_count 2
		.amdhsa_user_sgpr_dispatch_ptr 0
		.amdhsa_user_sgpr_queue_ptr 0
		.amdhsa_user_sgpr_kernarg_segment_ptr 1
		.amdhsa_user_sgpr_dispatch_id 0
		.amdhsa_user_sgpr_kernarg_preload_length 0
		.amdhsa_user_sgpr_kernarg_preload_offset 0
		.amdhsa_user_sgpr_private_segment_size 0
		.amdhsa_wavefront_size32 1
		.amdhsa_uses_dynamic_stack 0
		.amdhsa_enable_private_segment 1
		.amdhsa_system_sgpr_workgroup_id_x 1
		.amdhsa_system_sgpr_workgroup_id_y 0
		.amdhsa_system_sgpr_workgroup_id_z 0
		.amdhsa_system_sgpr_workgroup_info 0
		.amdhsa_system_vgpr_workitem_id 0
		.amdhsa_next_free_vgpr 51
		.amdhsa_next_free_sgpr 34
		.amdhsa_named_barrier_count 0
		.amdhsa_reserve_vcc 1
		.amdhsa_float_round_mode_32 0
		.amdhsa_float_round_mode_16_64 0
		.amdhsa_float_denorm_mode_32 3
		.amdhsa_float_denorm_mode_16_64 3
		.amdhsa_fp16_overflow 0
		.amdhsa_memory_ordered 1
		.amdhsa_forward_progress 1
		.amdhsa_inst_pref_size 1
		.amdhsa_round_robin_scheduling 0
		.amdhsa_exception_fp_ieee_invalid_op 0
		.amdhsa_exception_fp_denorm_src 0
		.amdhsa_exception_fp_ieee_div_zero 0
		.amdhsa_exception_fp_ieee_overflow 0
		.amdhsa_exception_fp_ieee_underflow 0
		.amdhsa_exception_fp_ieee_inexact 0
		.amdhsa_exception_int_div_zero 0
	.end_amdhsa_kernel
	.section	.text._Z39paged_attention_ll4mi_QKV_mfma16_kernelIDF16_DF16_LN4vllm18Fp8KVCacheDataTypeE0EDF16_Li32ELi64ELi256ELb0ELi7EEvPKT_PKT0_S7_ifPKiS9_S9_iPKfiiiPfSC_PS2_PT2_iSB_SB_,"axG",@progbits,_Z39paged_attention_ll4mi_QKV_mfma16_kernelIDF16_DF16_LN4vllm18Fp8KVCacheDataTypeE0EDF16_Li32ELi64ELi256ELb0ELi7EEvPKT_PKT0_S7_ifPKiS9_S9_iPKfiiiPfSC_PS2_PT2_iSB_SB_,comdat
.Lfunc_end180:
	.size	_Z39paged_attention_ll4mi_QKV_mfma16_kernelIDF16_DF16_LN4vllm18Fp8KVCacheDataTypeE0EDF16_Li32ELi64ELi256ELb0ELi7EEvPKT_PKT0_S7_ifPKiS9_S9_iPKfiiiPfSC_PS2_PT2_iSB_SB_, .Lfunc_end180-_Z39paged_attention_ll4mi_QKV_mfma16_kernelIDF16_DF16_LN4vllm18Fp8KVCacheDataTypeE0EDF16_Li32ELi64ELi256ELb0ELi7EEvPKT_PKT0_S7_ifPKiS9_S9_iPKfiiiPfSC_PS2_PT2_iSB_SB_
                                        ; -- End function
	.set _Z39paged_attention_ll4mi_QKV_mfma16_kernelIDF16_DF16_LN4vllm18Fp8KVCacheDataTypeE0EDF16_Li32ELi64ELi256ELb0ELi7EEvPKT_PKT0_S7_ifPKiS9_S9_iPKfiiiPfSC_PS2_PT2_iSB_SB_.num_vgpr, max(3, .L__assert_fail.num_vgpr)
	.set _Z39paged_attention_ll4mi_QKV_mfma16_kernelIDF16_DF16_LN4vllm18Fp8KVCacheDataTypeE0EDF16_Li32ELi64ELi256ELb0ELi7EEvPKT_PKT0_S7_ifPKiS9_S9_iPKfiiiPfSC_PS2_PT2_iSB_SB_.num_agpr, max(0, .L__assert_fail.num_agpr)
	.set _Z39paged_attention_ll4mi_QKV_mfma16_kernelIDF16_DF16_LN4vllm18Fp8KVCacheDataTypeE0EDF16_Li32ELi64ELi256ELb0ELi7EEvPKT_PKT0_S7_ifPKiS9_S9_iPKfiiiPfSC_PS2_PT2_iSB_SB_.numbered_sgpr, max(33, .L__assert_fail.numbered_sgpr)
	.set _Z39paged_attention_ll4mi_QKV_mfma16_kernelIDF16_DF16_LN4vllm18Fp8KVCacheDataTypeE0EDF16_Li32ELi64ELi256ELb0ELi7EEvPKT_PKT0_S7_ifPKiS9_S9_iPKfiiiPfSC_PS2_PT2_iSB_SB_.num_named_barrier, max(0, .L__assert_fail.num_named_barrier)
	.set _Z39paged_attention_ll4mi_QKV_mfma16_kernelIDF16_DF16_LN4vllm18Fp8KVCacheDataTypeE0EDF16_Li32ELi64ELi256ELb0ELi7EEvPKT_PKT0_S7_ifPKiS9_S9_iPKfiiiPfSC_PS2_PT2_iSB_SB_.private_seg_size, 0+max(.L__assert_fail.private_seg_size)
	.set _Z39paged_attention_ll4mi_QKV_mfma16_kernelIDF16_DF16_LN4vllm18Fp8KVCacheDataTypeE0EDF16_Li32ELi64ELi256ELb0ELi7EEvPKT_PKT0_S7_ifPKiS9_S9_iPKfiiiPfSC_PS2_PT2_iSB_SB_.uses_vcc, or(1, .L__assert_fail.uses_vcc)
	.set _Z39paged_attention_ll4mi_QKV_mfma16_kernelIDF16_DF16_LN4vllm18Fp8KVCacheDataTypeE0EDF16_Li32ELi64ELi256ELb0ELi7EEvPKT_PKT0_S7_ifPKiS9_S9_iPKfiiiPfSC_PS2_PT2_iSB_SB_.uses_flat_scratch, or(0, .L__assert_fail.uses_flat_scratch)
	.set _Z39paged_attention_ll4mi_QKV_mfma16_kernelIDF16_DF16_LN4vllm18Fp8KVCacheDataTypeE0EDF16_Li32ELi64ELi256ELb0ELi7EEvPKT_PKT0_S7_ifPKiS9_S9_iPKfiiiPfSC_PS2_PT2_iSB_SB_.has_dyn_sized_stack, or(0, .L__assert_fail.has_dyn_sized_stack)
	.set _Z39paged_attention_ll4mi_QKV_mfma16_kernelIDF16_DF16_LN4vllm18Fp8KVCacheDataTypeE0EDF16_Li32ELi64ELi256ELb0ELi7EEvPKT_PKT0_S7_ifPKiS9_S9_iPKfiiiPfSC_PS2_PT2_iSB_SB_.has_recursion, or(0, .L__assert_fail.has_recursion)
	.set _Z39paged_attention_ll4mi_QKV_mfma16_kernelIDF16_DF16_LN4vllm18Fp8KVCacheDataTypeE0EDF16_Li32ELi64ELi256ELb0ELi7EEvPKT_PKT0_S7_ifPKiS9_S9_iPKfiiiPfSC_PS2_PT2_iSB_SB_.has_indirect_call, or(0, .L__assert_fail.has_indirect_call)
	.section	.AMDGPU.csdata,"",@progbits
; Kernel info:
; codeLenInByte = 68
; TotalNumSgprs: 36
; NumVgprs: 51
; ScratchSize: 64
; MemoryBound: 0
; FloatMode: 240
; IeeeMode: 1
; LDSByteSize: 0 bytes/workgroup (compile time only)
; SGPRBlocks: 0
; VGPRBlocks: 3
; NumSGPRsForWavesPerEU: 36
; NumVGPRsForWavesPerEU: 51
; NamedBarCnt: 0
; Occupancy: 16
; WaveLimiterHint : 1
; COMPUTE_PGM_RSRC2:SCRATCH_EN: 1
; COMPUTE_PGM_RSRC2:USER_SGPR: 2
; COMPUTE_PGM_RSRC2:TRAP_HANDLER: 0
; COMPUTE_PGM_RSRC2:TGID_X_EN: 1
; COMPUTE_PGM_RSRC2:TGID_Y_EN: 0
; COMPUTE_PGM_RSRC2:TGID_Z_EN: 0
; COMPUTE_PGM_RSRC2:TIDIG_COMP_CNT: 0
	.section	.text._Z39paged_attention_ll4mi_QKV_mfma16_kernelIDF16_DF16_LN4vllm18Fp8KVCacheDataTypeE0EDF16_Li32ELi64ELi256ELb0ELi8EEvPKT_PKT0_S7_ifPKiS9_S9_iPKfiiiPfSC_PS2_PT2_iSB_SB_,"axG",@progbits,_Z39paged_attention_ll4mi_QKV_mfma16_kernelIDF16_DF16_LN4vllm18Fp8KVCacheDataTypeE0EDF16_Li32ELi64ELi256ELb0ELi8EEvPKT_PKT0_S7_ifPKiS9_S9_iPKfiiiPfSC_PS2_PT2_iSB_SB_,comdat
	.protected	_Z39paged_attention_ll4mi_QKV_mfma16_kernelIDF16_DF16_LN4vllm18Fp8KVCacheDataTypeE0EDF16_Li32ELi64ELi256ELb0ELi8EEvPKT_PKT0_S7_ifPKiS9_S9_iPKfiiiPfSC_PS2_PT2_iSB_SB_ ; -- Begin function _Z39paged_attention_ll4mi_QKV_mfma16_kernelIDF16_DF16_LN4vllm18Fp8KVCacheDataTypeE0EDF16_Li32ELi64ELi256ELb0ELi8EEvPKT_PKT0_S7_ifPKiS9_S9_iPKfiiiPfSC_PS2_PT2_iSB_SB_
	.globl	_Z39paged_attention_ll4mi_QKV_mfma16_kernelIDF16_DF16_LN4vllm18Fp8KVCacheDataTypeE0EDF16_Li32ELi64ELi256ELb0ELi8EEvPKT_PKT0_S7_ifPKiS9_S9_iPKfiiiPfSC_PS2_PT2_iSB_SB_
	.p2align	8
	.type	_Z39paged_attention_ll4mi_QKV_mfma16_kernelIDF16_DF16_LN4vllm18Fp8KVCacheDataTypeE0EDF16_Li32ELi64ELi256ELb0ELi8EEvPKT_PKT0_S7_ifPKiS9_S9_iPKfiiiPfSC_PS2_PT2_iSB_SB_,@function
_Z39paged_attention_ll4mi_QKV_mfma16_kernelIDF16_DF16_LN4vllm18Fp8KVCacheDataTypeE0EDF16_Li32ELi64ELi256ELb0ELi8EEvPKT_PKT0_S7_ifPKiS9_S9_iPKfiiiPfSC_PS2_PT2_iSB_SB_: ; @_Z39paged_attention_ll4mi_QKV_mfma16_kernelIDF16_DF16_LN4vllm18Fp8KVCacheDataTypeE0EDF16_Li32ELi64ELi256ELb0ELi8EEvPKT_PKT0_S7_ifPKiS9_S9_iPKfiiiPfSC_PS2_PT2_iSB_SB_
; %bb.0:
	s_get_pc_i64 s[2:3]
	s_add_nc_u64 s[2:3], s[2:3], __PRETTY_FUNCTION__._Z39paged_attention_ll4mi_QKV_mfma16_kernelIDF16_DF16_LN4vllm18Fp8KVCacheDataTypeE0EDF16_Li32ELi64ELi256ELb0ELi8EEvPKT_PKT0_S7_ifPKiS9_S9_iPKfiiiPfSC_PS2_PT2_iSB_SB_@rel64+4
	s_delay_alu instid0(SALU_CYCLE_1)
	v_dual_mov_b32 v0, 0xbb3 :: v_dual_mov_b32 v1, s2
	v_mov_b32_e32 v2, s3
	s_add_nc_u64 s[8:9], s[0:1], 0x90
	s_get_pc_i64 s[0:1]
	s_add_nc_u64 s[0:1], s[0:1], __assert_fail@rel64+4
	s_mov_b32 s32, 0
	s_swap_pc_i64 s[30:31], s[0:1]
	.section	.rodata,"a",@progbits
	.p2align	6, 0x0
	.amdhsa_kernel _Z39paged_attention_ll4mi_QKV_mfma16_kernelIDF16_DF16_LN4vllm18Fp8KVCacheDataTypeE0EDF16_Li32ELi64ELi256ELb0ELi8EEvPKT_PKT0_S7_ifPKiS9_S9_iPKfiiiPfSC_PS2_PT2_iSB_SB_
		.amdhsa_group_segment_fixed_size 0
		.amdhsa_private_segment_fixed_size 64
		.amdhsa_kernarg_size 400
		.amdhsa_user_sgpr_count 2
		.amdhsa_user_sgpr_dispatch_ptr 0
		.amdhsa_user_sgpr_queue_ptr 0
		.amdhsa_user_sgpr_kernarg_segment_ptr 1
		.amdhsa_user_sgpr_dispatch_id 0
		.amdhsa_user_sgpr_kernarg_preload_length 0
		.amdhsa_user_sgpr_kernarg_preload_offset 0
		.amdhsa_user_sgpr_private_segment_size 0
		.amdhsa_wavefront_size32 1
		.amdhsa_uses_dynamic_stack 0
		.amdhsa_enable_private_segment 1
		.amdhsa_system_sgpr_workgroup_id_x 1
		.amdhsa_system_sgpr_workgroup_id_y 0
		.amdhsa_system_sgpr_workgroup_id_z 0
		.amdhsa_system_sgpr_workgroup_info 0
		.amdhsa_system_vgpr_workitem_id 0
		.amdhsa_next_free_vgpr 51
		.amdhsa_next_free_sgpr 34
		.amdhsa_named_barrier_count 0
		.amdhsa_reserve_vcc 1
		.amdhsa_float_round_mode_32 0
		.amdhsa_float_round_mode_16_64 0
		.amdhsa_float_denorm_mode_32 3
		.amdhsa_float_denorm_mode_16_64 3
		.amdhsa_fp16_overflow 0
		.amdhsa_memory_ordered 1
		.amdhsa_forward_progress 1
		.amdhsa_inst_pref_size 1
		.amdhsa_round_robin_scheduling 0
		.amdhsa_exception_fp_ieee_invalid_op 0
		.amdhsa_exception_fp_denorm_src 0
		.amdhsa_exception_fp_ieee_div_zero 0
		.amdhsa_exception_fp_ieee_overflow 0
		.amdhsa_exception_fp_ieee_underflow 0
		.amdhsa_exception_fp_ieee_inexact 0
		.amdhsa_exception_int_div_zero 0
	.end_amdhsa_kernel
	.section	.text._Z39paged_attention_ll4mi_QKV_mfma16_kernelIDF16_DF16_LN4vllm18Fp8KVCacheDataTypeE0EDF16_Li32ELi64ELi256ELb0ELi8EEvPKT_PKT0_S7_ifPKiS9_S9_iPKfiiiPfSC_PS2_PT2_iSB_SB_,"axG",@progbits,_Z39paged_attention_ll4mi_QKV_mfma16_kernelIDF16_DF16_LN4vllm18Fp8KVCacheDataTypeE0EDF16_Li32ELi64ELi256ELb0ELi8EEvPKT_PKT0_S7_ifPKiS9_S9_iPKfiiiPfSC_PS2_PT2_iSB_SB_,comdat
.Lfunc_end181:
	.size	_Z39paged_attention_ll4mi_QKV_mfma16_kernelIDF16_DF16_LN4vllm18Fp8KVCacheDataTypeE0EDF16_Li32ELi64ELi256ELb0ELi8EEvPKT_PKT0_S7_ifPKiS9_S9_iPKfiiiPfSC_PS2_PT2_iSB_SB_, .Lfunc_end181-_Z39paged_attention_ll4mi_QKV_mfma16_kernelIDF16_DF16_LN4vllm18Fp8KVCacheDataTypeE0EDF16_Li32ELi64ELi256ELb0ELi8EEvPKT_PKT0_S7_ifPKiS9_S9_iPKfiiiPfSC_PS2_PT2_iSB_SB_
                                        ; -- End function
	.set _Z39paged_attention_ll4mi_QKV_mfma16_kernelIDF16_DF16_LN4vllm18Fp8KVCacheDataTypeE0EDF16_Li32ELi64ELi256ELb0ELi8EEvPKT_PKT0_S7_ifPKiS9_S9_iPKfiiiPfSC_PS2_PT2_iSB_SB_.num_vgpr, max(3, .L__assert_fail.num_vgpr)
	.set _Z39paged_attention_ll4mi_QKV_mfma16_kernelIDF16_DF16_LN4vllm18Fp8KVCacheDataTypeE0EDF16_Li32ELi64ELi256ELb0ELi8EEvPKT_PKT0_S7_ifPKiS9_S9_iPKfiiiPfSC_PS2_PT2_iSB_SB_.num_agpr, max(0, .L__assert_fail.num_agpr)
	.set _Z39paged_attention_ll4mi_QKV_mfma16_kernelIDF16_DF16_LN4vllm18Fp8KVCacheDataTypeE0EDF16_Li32ELi64ELi256ELb0ELi8EEvPKT_PKT0_S7_ifPKiS9_S9_iPKfiiiPfSC_PS2_PT2_iSB_SB_.numbered_sgpr, max(33, .L__assert_fail.numbered_sgpr)
	.set _Z39paged_attention_ll4mi_QKV_mfma16_kernelIDF16_DF16_LN4vllm18Fp8KVCacheDataTypeE0EDF16_Li32ELi64ELi256ELb0ELi8EEvPKT_PKT0_S7_ifPKiS9_S9_iPKfiiiPfSC_PS2_PT2_iSB_SB_.num_named_barrier, max(0, .L__assert_fail.num_named_barrier)
	.set _Z39paged_attention_ll4mi_QKV_mfma16_kernelIDF16_DF16_LN4vllm18Fp8KVCacheDataTypeE0EDF16_Li32ELi64ELi256ELb0ELi8EEvPKT_PKT0_S7_ifPKiS9_S9_iPKfiiiPfSC_PS2_PT2_iSB_SB_.private_seg_size, 0+max(.L__assert_fail.private_seg_size)
	.set _Z39paged_attention_ll4mi_QKV_mfma16_kernelIDF16_DF16_LN4vllm18Fp8KVCacheDataTypeE0EDF16_Li32ELi64ELi256ELb0ELi8EEvPKT_PKT0_S7_ifPKiS9_S9_iPKfiiiPfSC_PS2_PT2_iSB_SB_.uses_vcc, or(1, .L__assert_fail.uses_vcc)
	.set _Z39paged_attention_ll4mi_QKV_mfma16_kernelIDF16_DF16_LN4vllm18Fp8KVCacheDataTypeE0EDF16_Li32ELi64ELi256ELb0ELi8EEvPKT_PKT0_S7_ifPKiS9_S9_iPKfiiiPfSC_PS2_PT2_iSB_SB_.uses_flat_scratch, or(0, .L__assert_fail.uses_flat_scratch)
	.set _Z39paged_attention_ll4mi_QKV_mfma16_kernelIDF16_DF16_LN4vllm18Fp8KVCacheDataTypeE0EDF16_Li32ELi64ELi256ELb0ELi8EEvPKT_PKT0_S7_ifPKiS9_S9_iPKfiiiPfSC_PS2_PT2_iSB_SB_.has_dyn_sized_stack, or(0, .L__assert_fail.has_dyn_sized_stack)
	.set _Z39paged_attention_ll4mi_QKV_mfma16_kernelIDF16_DF16_LN4vllm18Fp8KVCacheDataTypeE0EDF16_Li32ELi64ELi256ELb0ELi8EEvPKT_PKT0_S7_ifPKiS9_S9_iPKfiiiPfSC_PS2_PT2_iSB_SB_.has_recursion, or(0, .L__assert_fail.has_recursion)
	.set _Z39paged_attention_ll4mi_QKV_mfma16_kernelIDF16_DF16_LN4vllm18Fp8KVCacheDataTypeE0EDF16_Li32ELi64ELi256ELb0ELi8EEvPKT_PKT0_S7_ifPKiS9_S9_iPKfiiiPfSC_PS2_PT2_iSB_SB_.has_indirect_call, or(0, .L__assert_fail.has_indirect_call)
	.section	.AMDGPU.csdata,"",@progbits
; Kernel info:
; codeLenInByte = 68
; TotalNumSgprs: 36
; NumVgprs: 51
; ScratchSize: 64
; MemoryBound: 0
; FloatMode: 240
; IeeeMode: 1
; LDSByteSize: 0 bytes/workgroup (compile time only)
; SGPRBlocks: 0
; VGPRBlocks: 3
; NumSGPRsForWavesPerEU: 36
; NumVGPRsForWavesPerEU: 51
; NamedBarCnt: 0
; Occupancy: 16
; WaveLimiterHint : 1
; COMPUTE_PGM_RSRC2:SCRATCH_EN: 1
; COMPUTE_PGM_RSRC2:USER_SGPR: 2
; COMPUTE_PGM_RSRC2:TRAP_HANDLER: 0
; COMPUTE_PGM_RSRC2:TGID_X_EN: 1
; COMPUTE_PGM_RSRC2:TGID_Y_EN: 0
; COMPUTE_PGM_RSRC2:TGID_Z_EN: 0
; COMPUTE_PGM_RSRC2:TIDIG_COMP_CNT: 0
	.section	.text._Z39paged_attention_ll4mi_QKV_mfma16_kernelIDF16_DF16_LN4vllm18Fp8KVCacheDataTypeE0EDF16_Li32ELi64ELi256ELb0ELi9EEvPKT_PKT0_S7_ifPKiS9_S9_iPKfiiiPfSC_PS2_PT2_iSB_SB_,"axG",@progbits,_Z39paged_attention_ll4mi_QKV_mfma16_kernelIDF16_DF16_LN4vllm18Fp8KVCacheDataTypeE0EDF16_Li32ELi64ELi256ELb0ELi9EEvPKT_PKT0_S7_ifPKiS9_S9_iPKfiiiPfSC_PS2_PT2_iSB_SB_,comdat
	.protected	_Z39paged_attention_ll4mi_QKV_mfma16_kernelIDF16_DF16_LN4vllm18Fp8KVCacheDataTypeE0EDF16_Li32ELi64ELi256ELb0ELi9EEvPKT_PKT0_S7_ifPKiS9_S9_iPKfiiiPfSC_PS2_PT2_iSB_SB_ ; -- Begin function _Z39paged_attention_ll4mi_QKV_mfma16_kernelIDF16_DF16_LN4vllm18Fp8KVCacheDataTypeE0EDF16_Li32ELi64ELi256ELb0ELi9EEvPKT_PKT0_S7_ifPKiS9_S9_iPKfiiiPfSC_PS2_PT2_iSB_SB_
	.globl	_Z39paged_attention_ll4mi_QKV_mfma16_kernelIDF16_DF16_LN4vllm18Fp8KVCacheDataTypeE0EDF16_Li32ELi64ELi256ELb0ELi9EEvPKT_PKT0_S7_ifPKiS9_S9_iPKfiiiPfSC_PS2_PT2_iSB_SB_
	.p2align	8
	.type	_Z39paged_attention_ll4mi_QKV_mfma16_kernelIDF16_DF16_LN4vllm18Fp8KVCacheDataTypeE0EDF16_Li32ELi64ELi256ELb0ELi9EEvPKT_PKT0_S7_ifPKiS9_S9_iPKfiiiPfSC_PS2_PT2_iSB_SB_,@function
_Z39paged_attention_ll4mi_QKV_mfma16_kernelIDF16_DF16_LN4vllm18Fp8KVCacheDataTypeE0EDF16_Li32ELi64ELi256ELb0ELi9EEvPKT_PKT0_S7_ifPKiS9_S9_iPKfiiiPfSC_PS2_PT2_iSB_SB_: ; @_Z39paged_attention_ll4mi_QKV_mfma16_kernelIDF16_DF16_LN4vllm18Fp8KVCacheDataTypeE0EDF16_Li32ELi64ELi256ELb0ELi9EEvPKT_PKT0_S7_ifPKiS9_S9_iPKfiiiPfSC_PS2_PT2_iSB_SB_
; %bb.0:
	s_get_pc_i64 s[2:3]
	s_add_nc_u64 s[2:3], s[2:3], __PRETTY_FUNCTION__._Z39paged_attention_ll4mi_QKV_mfma16_kernelIDF16_DF16_LN4vllm18Fp8KVCacheDataTypeE0EDF16_Li32ELi64ELi256ELb0ELi9EEvPKT_PKT0_S7_ifPKiS9_S9_iPKfiiiPfSC_PS2_PT2_iSB_SB_@rel64+4
	s_delay_alu instid0(SALU_CYCLE_1)
	v_dual_mov_b32 v0, 0xbb3 :: v_dual_mov_b32 v1, s2
	v_mov_b32_e32 v2, s3
	s_add_nc_u64 s[8:9], s[0:1], 0x90
	s_get_pc_i64 s[0:1]
	s_add_nc_u64 s[0:1], s[0:1], __assert_fail@rel64+4
	s_mov_b32 s32, 0
	s_swap_pc_i64 s[30:31], s[0:1]
	.section	.rodata,"a",@progbits
	.p2align	6, 0x0
	.amdhsa_kernel _Z39paged_attention_ll4mi_QKV_mfma16_kernelIDF16_DF16_LN4vllm18Fp8KVCacheDataTypeE0EDF16_Li32ELi64ELi256ELb0ELi9EEvPKT_PKT0_S7_ifPKiS9_S9_iPKfiiiPfSC_PS2_PT2_iSB_SB_
		.amdhsa_group_segment_fixed_size 0
		.amdhsa_private_segment_fixed_size 64
		.amdhsa_kernarg_size 400
		.amdhsa_user_sgpr_count 2
		.amdhsa_user_sgpr_dispatch_ptr 0
		.amdhsa_user_sgpr_queue_ptr 0
		.amdhsa_user_sgpr_kernarg_segment_ptr 1
		.amdhsa_user_sgpr_dispatch_id 0
		.amdhsa_user_sgpr_kernarg_preload_length 0
		.amdhsa_user_sgpr_kernarg_preload_offset 0
		.amdhsa_user_sgpr_private_segment_size 0
		.amdhsa_wavefront_size32 1
		.amdhsa_uses_dynamic_stack 0
		.amdhsa_enable_private_segment 1
		.amdhsa_system_sgpr_workgroup_id_x 1
		.amdhsa_system_sgpr_workgroup_id_y 0
		.amdhsa_system_sgpr_workgroup_id_z 0
		.amdhsa_system_sgpr_workgroup_info 0
		.amdhsa_system_vgpr_workitem_id 0
		.amdhsa_next_free_vgpr 51
		.amdhsa_next_free_sgpr 34
		.amdhsa_named_barrier_count 0
		.amdhsa_reserve_vcc 1
		.amdhsa_float_round_mode_32 0
		.amdhsa_float_round_mode_16_64 0
		.amdhsa_float_denorm_mode_32 3
		.amdhsa_float_denorm_mode_16_64 3
		.amdhsa_fp16_overflow 0
		.amdhsa_memory_ordered 1
		.amdhsa_forward_progress 1
		.amdhsa_inst_pref_size 1
		.amdhsa_round_robin_scheduling 0
		.amdhsa_exception_fp_ieee_invalid_op 0
		.amdhsa_exception_fp_denorm_src 0
		.amdhsa_exception_fp_ieee_div_zero 0
		.amdhsa_exception_fp_ieee_overflow 0
		.amdhsa_exception_fp_ieee_underflow 0
		.amdhsa_exception_fp_ieee_inexact 0
		.amdhsa_exception_int_div_zero 0
	.end_amdhsa_kernel
	.section	.text._Z39paged_attention_ll4mi_QKV_mfma16_kernelIDF16_DF16_LN4vllm18Fp8KVCacheDataTypeE0EDF16_Li32ELi64ELi256ELb0ELi9EEvPKT_PKT0_S7_ifPKiS9_S9_iPKfiiiPfSC_PS2_PT2_iSB_SB_,"axG",@progbits,_Z39paged_attention_ll4mi_QKV_mfma16_kernelIDF16_DF16_LN4vllm18Fp8KVCacheDataTypeE0EDF16_Li32ELi64ELi256ELb0ELi9EEvPKT_PKT0_S7_ifPKiS9_S9_iPKfiiiPfSC_PS2_PT2_iSB_SB_,comdat
.Lfunc_end182:
	.size	_Z39paged_attention_ll4mi_QKV_mfma16_kernelIDF16_DF16_LN4vllm18Fp8KVCacheDataTypeE0EDF16_Li32ELi64ELi256ELb0ELi9EEvPKT_PKT0_S7_ifPKiS9_S9_iPKfiiiPfSC_PS2_PT2_iSB_SB_, .Lfunc_end182-_Z39paged_attention_ll4mi_QKV_mfma16_kernelIDF16_DF16_LN4vllm18Fp8KVCacheDataTypeE0EDF16_Li32ELi64ELi256ELb0ELi9EEvPKT_PKT0_S7_ifPKiS9_S9_iPKfiiiPfSC_PS2_PT2_iSB_SB_
                                        ; -- End function
	.set _Z39paged_attention_ll4mi_QKV_mfma16_kernelIDF16_DF16_LN4vllm18Fp8KVCacheDataTypeE0EDF16_Li32ELi64ELi256ELb0ELi9EEvPKT_PKT0_S7_ifPKiS9_S9_iPKfiiiPfSC_PS2_PT2_iSB_SB_.num_vgpr, max(3, .L__assert_fail.num_vgpr)
	.set _Z39paged_attention_ll4mi_QKV_mfma16_kernelIDF16_DF16_LN4vllm18Fp8KVCacheDataTypeE0EDF16_Li32ELi64ELi256ELb0ELi9EEvPKT_PKT0_S7_ifPKiS9_S9_iPKfiiiPfSC_PS2_PT2_iSB_SB_.num_agpr, max(0, .L__assert_fail.num_agpr)
	.set _Z39paged_attention_ll4mi_QKV_mfma16_kernelIDF16_DF16_LN4vllm18Fp8KVCacheDataTypeE0EDF16_Li32ELi64ELi256ELb0ELi9EEvPKT_PKT0_S7_ifPKiS9_S9_iPKfiiiPfSC_PS2_PT2_iSB_SB_.numbered_sgpr, max(33, .L__assert_fail.numbered_sgpr)
	.set _Z39paged_attention_ll4mi_QKV_mfma16_kernelIDF16_DF16_LN4vllm18Fp8KVCacheDataTypeE0EDF16_Li32ELi64ELi256ELb0ELi9EEvPKT_PKT0_S7_ifPKiS9_S9_iPKfiiiPfSC_PS2_PT2_iSB_SB_.num_named_barrier, max(0, .L__assert_fail.num_named_barrier)
	.set _Z39paged_attention_ll4mi_QKV_mfma16_kernelIDF16_DF16_LN4vllm18Fp8KVCacheDataTypeE0EDF16_Li32ELi64ELi256ELb0ELi9EEvPKT_PKT0_S7_ifPKiS9_S9_iPKfiiiPfSC_PS2_PT2_iSB_SB_.private_seg_size, 0+max(.L__assert_fail.private_seg_size)
	.set _Z39paged_attention_ll4mi_QKV_mfma16_kernelIDF16_DF16_LN4vllm18Fp8KVCacheDataTypeE0EDF16_Li32ELi64ELi256ELb0ELi9EEvPKT_PKT0_S7_ifPKiS9_S9_iPKfiiiPfSC_PS2_PT2_iSB_SB_.uses_vcc, or(1, .L__assert_fail.uses_vcc)
	.set _Z39paged_attention_ll4mi_QKV_mfma16_kernelIDF16_DF16_LN4vllm18Fp8KVCacheDataTypeE0EDF16_Li32ELi64ELi256ELb0ELi9EEvPKT_PKT0_S7_ifPKiS9_S9_iPKfiiiPfSC_PS2_PT2_iSB_SB_.uses_flat_scratch, or(0, .L__assert_fail.uses_flat_scratch)
	.set _Z39paged_attention_ll4mi_QKV_mfma16_kernelIDF16_DF16_LN4vllm18Fp8KVCacheDataTypeE0EDF16_Li32ELi64ELi256ELb0ELi9EEvPKT_PKT0_S7_ifPKiS9_S9_iPKfiiiPfSC_PS2_PT2_iSB_SB_.has_dyn_sized_stack, or(0, .L__assert_fail.has_dyn_sized_stack)
	.set _Z39paged_attention_ll4mi_QKV_mfma16_kernelIDF16_DF16_LN4vllm18Fp8KVCacheDataTypeE0EDF16_Li32ELi64ELi256ELb0ELi9EEvPKT_PKT0_S7_ifPKiS9_S9_iPKfiiiPfSC_PS2_PT2_iSB_SB_.has_recursion, or(0, .L__assert_fail.has_recursion)
	.set _Z39paged_attention_ll4mi_QKV_mfma16_kernelIDF16_DF16_LN4vllm18Fp8KVCacheDataTypeE0EDF16_Li32ELi64ELi256ELb0ELi9EEvPKT_PKT0_S7_ifPKiS9_S9_iPKfiiiPfSC_PS2_PT2_iSB_SB_.has_indirect_call, or(0, .L__assert_fail.has_indirect_call)
	.section	.AMDGPU.csdata,"",@progbits
; Kernel info:
; codeLenInByte = 68
; TotalNumSgprs: 36
; NumVgprs: 51
; ScratchSize: 64
; MemoryBound: 0
; FloatMode: 240
; IeeeMode: 1
; LDSByteSize: 0 bytes/workgroup (compile time only)
; SGPRBlocks: 0
; VGPRBlocks: 3
; NumSGPRsForWavesPerEU: 36
; NumVGPRsForWavesPerEU: 51
; NamedBarCnt: 0
; Occupancy: 16
; WaveLimiterHint : 1
; COMPUTE_PGM_RSRC2:SCRATCH_EN: 1
; COMPUTE_PGM_RSRC2:USER_SGPR: 2
; COMPUTE_PGM_RSRC2:TRAP_HANDLER: 0
; COMPUTE_PGM_RSRC2:TGID_X_EN: 1
; COMPUTE_PGM_RSRC2:TGID_Y_EN: 0
; COMPUTE_PGM_RSRC2:TGID_Z_EN: 0
; COMPUTE_PGM_RSRC2:TIDIG_COMP_CNT: 0
	.section	.text._Z39paged_attention_ll4mi_QKV_mfma16_kernelIDF16_DF16_LN4vllm18Fp8KVCacheDataTypeE0EDF16_Li32ELi64ELi256ELb0ELi10EEvPKT_PKT0_S7_ifPKiS9_S9_iPKfiiiPfSC_PS2_PT2_iSB_SB_,"axG",@progbits,_Z39paged_attention_ll4mi_QKV_mfma16_kernelIDF16_DF16_LN4vllm18Fp8KVCacheDataTypeE0EDF16_Li32ELi64ELi256ELb0ELi10EEvPKT_PKT0_S7_ifPKiS9_S9_iPKfiiiPfSC_PS2_PT2_iSB_SB_,comdat
	.protected	_Z39paged_attention_ll4mi_QKV_mfma16_kernelIDF16_DF16_LN4vllm18Fp8KVCacheDataTypeE0EDF16_Li32ELi64ELi256ELb0ELi10EEvPKT_PKT0_S7_ifPKiS9_S9_iPKfiiiPfSC_PS2_PT2_iSB_SB_ ; -- Begin function _Z39paged_attention_ll4mi_QKV_mfma16_kernelIDF16_DF16_LN4vllm18Fp8KVCacheDataTypeE0EDF16_Li32ELi64ELi256ELb0ELi10EEvPKT_PKT0_S7_ifPKiS9_S9_iPKfiiiPfSC_PS2_PT2_iSB_SB_
	.globl	_Z39paged_attention_ll4mi_QKV_mfma16_kernelIDF16_DF16_LN4vllm18Fp8KVCacheDataTypeE0EDF16_Li32ELi64ELi256ELb0ELi10EEvPKT_PKT0_S7_ifPKiS9_S9_iPKfiiiPfSC_PS2_PT2_iSB_SB_
	.p2align	8
	.type	_Z39paged_attention_ll4mi_QKV_mfma16_kernelIDF16_DF16_LN4vllm18Fp8KVCacheDataTypeE0EDF16_Li32ELi64ELi256ELb0ELi10EEvPKT_PKT0_S7_ifPKiS9_S9_iPKfiiiPfSC_PS2_PT2_iSB_SB_,@function
_Z39paged_attention_ll4mi_QKV_mfma16_kernelIDF16_DF16_LN4vllm18Fp8KVCacheDataTypeE0EDF16_Li32ELi64ELi256ELb0ELi10EEvPKT_PKT0_S7_ifPKiS9_S9_iPKfiiiPfSC_PS2_PT2_iSB_SB_: ; @_Z39paged_attention_ll4mi_QKV_mfma16_kernelIDF16_DF16_LN4vllm18Fp8KVCacheDataTypeE0EDF16_Li32ELi64ELi256ELb0ELi10EEvPKT_PKT0_S7_ifPKiS9_S9_iPKfiiiPfSC_PS2_PT2_iSB_SB_
; %bb.0:
	s_get_pc_i64 s[2:3]
	s_add_nc_u64 s[2:3], s[2:3], __PRETTY_FUNCTION__._Z39paged_attention_ll4mi_QKV_mfma16_kernelIDF16_DF16_LN4vllm18Fp8KVCacheDataTypeE0EDF16_Li32ELi64ELi256ELb0ELi10EEvPKT_PKT0_S7_ifPKiS9_S9_iPKfiiiPfSC_PS2_PT2_iSB_SB_@rel64+4
	s_delay_alu instid0(SALU_CYCLE_1)
	v_dual_mov_b32 v0, 0xbb3 :: v_dual_mov_b32 v1, s2
	v_mov_b32_e32 v2, s3
	s_add_nc_u64 s[8:9], s[0:1], 0x90
	s_get_pc_i64 s[0:1]
	s_add_nc_u64 s[0:1], s[0:1], __assert_fail@rel64+4
	s_mov_b32 s32, 0
	s_swap_pc_i64 s[30:31], s[0:1]
	.section	.rodata,"a",@progbits
	.p2align	6, 0x0
	.amdhsa_kernel _Z39paged_attention_ll4mi_QKV_mfma16_kernelIDF16_DF16_LN4vllm18Fp8KVCacheDataTypeE0EDF16_Li32ELi64ELi256ELb0ELi10EEvPKT_PKT0_S7_ifPKiS9_S9_iPKfiiiPfSC_PS2_PT2_iSB_SB_
		.amdhsa_group_segment_fixed_size 0
		.amdhsa_private_segment_fixed_size 64
		.amdhsa_kernarg_size 400
		.amdhsa_user_sgpr_count 2
		.amdhsa_user_sgpr_dispatch_ptr 0
		.amdhsa_user_sgpr_queue_ptr 0
		.amdhsa_user_sgpr_kernarg_segment_ptr 1
		.amdhsa_user_sgpr_dispatch_id 0
		.amdhsa_user_sgpr_kernarg_preload_length 0
		.amdhsa_user_sgpr_kernarg_preload_offset 0
		.amdhsa_user_sgpr_private_segment_size 0
		.amdhsa_wavefront_size32 1
		.amdhsa_uses_dynamic_stack 0
		.amdhsa_enable_private_segment 1
		.amdhsa_system_sgpr_workgroup_id_x 1
		.amdhsa_system_sgpr_workgroup_id_y 0
		.amdhsa_system_sgpr_workgroup_id_z 0
		.amdhsa_system_sgpr_workgroup_info 0
		.amdhsa_system_vgpr_workitem_id 0
		.amdhsa_next_free_vgpr 51
		.amdhsa_next_free_sgpr 34
		.amdhsa_named_barrier_count 0
		.amdhsa_reserve_vcc 1
		.amdhsa_float_round_mode_32 0
		.amdhsa_float_round_mode_16_64 0
		.amdhsa_float_denorm_mode_32 3
		.amdhsa_float_denorm_mode_16_64 3
		.amdhsa_fp16_overflow 0
		.amdhsa_memory_ordered 1
		.amdhsa_forward_progress 1
		.amdhsa_inst_pref_size 1
		.amdhsa_round_robin_scheduling 0
		.amdhsa_exception_fp_ieee_invalid_op 0
		.amdhsa_exception_fp_denorm_src 0
		.amdhsa_exception_fp_ieee_div_zero 0
		.amdhsa_exception_fp_ieee_overflow 0
		.amdhsa_exception_fp_ieee_underflow 0
		.amdhsa_exception_fp_ieee_inexact 0
		.amdhsa_exception_int_div_zero 0
	.end_amdhsa_kernel
	.section	.text._Z39paged_attention_ll4mi_QKV_mfma16_kernelIDF16_DF16_LN4vllm18Fp8KVCacheDataTypeE0EDF16_Li32ELi64ELi256ELb0ELi10EEvPKT_PKT0_S7_ifPKiS9_S9_iPKfiiiPfSC_PS2_PT2_iSB_SB_,"axG",@progbits,_Z39paged_attention_ll4mi_QKV_mfma16_kernelIDF16_DF16_LN4vllm18Fp8KVCacheDataTypeE0EDF16_Li32ELi64ELi256ELb0ELi10EEvPKT_PKT0_S7_ifPKiS9_S9_iPKfiiiPfSC_PS2_PT2_iSB_SB_,comdat
.Lfunc_end183:
	.size	_Z39paged_attention_ll4mi_QKV_mfma16_kernelIDF16_DF16_LN4vllm18Fp8KVCacheDataTypeE0EDF16_Li32ELi64ELi256ELb0ELi10EEvPKT_PKT0_S7_ifPKiS9_S9_iPKfiiiPfSC_PS2_PT2_iSB_SB_, .Lfunc_end183-_Z39paged_attention_ll4mi_QKV_mfma16_kernelIDF16_DF16_LN4vllm18Fp8KVCacheDataTypeE0EDF16_Li32ELi64ELi256ELb0ELi10EEvPKT_PKT0_S7_ifPKiS9_S9_iPKfiiiPfSC_PS2_PT2_iSB_SB_
                                        ; -- End function
	.set _Z39paged_attention_ll4mi_QKV_mfma16_kernelIDF16_DF16_LN4vllm18Fp8KVCacheDataTypeE0EDF16_Li32ELi64ELi256ELb0ELi10EEvPKT_PKT0_S7_ifPKiS9_S9_iPKfiiiPfSC_PS2_PT2_iSB_SB_.num_vgpr, max(3, .L__assert_fail.num_vgpr)
	.set _Z39paged_attention_ll4mi_QKV_mfma16_kernelIDF16_DF16_LN4vllm18Fp8KVCacheDataTypeE0EDF16_Li32ELi64ELi256ELb0ELi10EEvPKT_PKT0_S7_ifPKiS9_S9_iPKfiiiPfSC_PS2_PT2_iSB_SB_.num_agpr, max(0, .L__assert_fail.num_agpr)
	.set _Z39paged_attention_ll4mi_QKV_mfma16_kernelIDF16_DF16_LN4vllm18Fp8KVCacheDataTypeE0EDF16_Li32ELi64ELi256ELb0ELi10EEvPKT_PKT0_S7_ifPKiS9_S9_iPKfiiiPfSC_PS2_PT2_iSB_SB_.numbered_sgpr, max(33, .L__assert_fail.numbered_sgpr)
	.set _Z39paged_attention_ll4mi_QKV_mfma16_kernelIDF16_DF16_LN4vllm18Fp8KVCacheDataTypeE0EDF16_Li32ELi64ELi256ELb0ELi10EEvPKT_PKT0_S7_ifPKiS9_S9_iPKfiiiPfSC_PS2_PT2_iSB_SB_.num_named_barrier, max(0, .L__assert_fail.num_named_barrier)
	.set _Z39paged_attention_ll4mi_QKV_mfma16_kernelIDF16_DF16_LN4vllm18Fp8KVCacheDataTypeE0EDF16_Li32ELi64ELi256ELb0ELi10EEvPKT_PKT0_S7_ifPKiS9_S9_iPKfiiiPfSC_PS2_PT2_iSB_SB_.private_seg_size, 0+max(.L__assert_fail.private_seg_size)
	.set _Z39paged_attention_ll4mi_QKV_mfma16_kernelIDF16_DF16_LN4vllm18Fp8KVCacheDataTypeE0EDF16_Li32ELi64ELi256ELb0ELi10EEvPKT_PKT0_S7_ifPKiS9_S9_iPKfiiiPfSC_PS2_PT2_iSB_SB_.uses_vcc, or(1, .L__assert_fail.uses_vcc)
	.set _Z39paged_attention_ll4mi_QKV_mfma16_kernelIDF16_DF16_LN4vllm18Fp8KVCacheDataTypeE0EDF16_Li32ELi64ELi256ELb0ELi10EEvPKT_PKT0_S7_ifPKiS9_S9_iPKfiiiPfSC_PS2_PT2_iSB_SB_.uses_flat_scratch, or(0, .L__assert_fail.uses_flat_scratch)
	.set _Z39paged_attention_ll4mi_QKV_mfma16_kernelIDF16_DF16_LN4vllm18Fp8KVCacheDataTypeE0EDF16_Li32ELi64ELi256ELb0ELi10EEvPKT_PKT0_S7_ifPKiS9_S9_iPKfiiiPfSC_PS2_PT2_iSB_SB_.has_dyn_sized_stack, or(0, .L__assert_fail.has_dyn_sized_stack)
	.set _Z39paged_attention_ll4mi_QKV_mfma16_kernelIDF16_DF16_LN4vllm18Fp8KVCacheDataTypeE0EDF16_Li32ELi64ELi256ELb0ELi10EEvPKT_PKT0_S7_ifPKiS9_S9_iPKfiiiPfSC_PS2_PT2_iSB_SB_.has_recursion, or(0, .L__assert_fail.has_recursion)
	.set _Z39paged_attention_ll4mi_QKV_mfma16_kernelIDF16_DF16_LN4vllm18Fp8KVCacheDataTypeE0EDF16_Li32ELi64ELi256ELb0ELi10EEvPKT_PKT0_S7_ifPKiS9_S9_iPKfiiiPfSC_PS2_PT2_iSB_SB_.has_indirect_call, or(0, .L__assert_fail.has_indirect_call)
	.section	.AMDGPU.csdata,"",@progbits
; Kernel info:
; codeLenInByte = 68
; TotalNumSgprs: 36
; NumVgprs: 51
; ScratchSize: 64
; MemoryBound: 0
; FloatMode: 240
; IeeeMode: 1
; LDSByteSize: 0 bytes/workgroup (compile time only)
; SGPRBlocks: 0
; VGPRBlocks: 3
; NumSGPRsForWavesPerEU: 36
; NumVGPRsForWavesPerEU: 51
; NamedBarCnt: 0
; Occupancy: 16
; WaveLimiterHint : 1
; COMPUTE_PGM_RSRC2:SCRATCH_EN: 1
; COMPUTE_PGM_RSRC2:USER_SGPR: 2
; COMPUTE_PGM_RSRC2:TRAP_HANDLER: 0
; COMPUTE_PGM_RSRC2:TGID_X_EN: 1
; COMPUTE_PGM_RSRC2:TGID_Y_EN: 0
; COMPUTE_PGM_RSRC2:TGID_Z_EN: 0
; COMPUTE_PGM_RSRC2:TIDIG_COMP_CNT: 0
	.section	.text._Z39paged_attention_ll4mi_QKV_mfma16_kernelIDF16_DF16_LN4vllm18Fp8KVCacheDataTypeE0EDF16_Li32ELi64ELi256ELb0ELi11EEvPKT_PKT0_S7_ifPKiS9_S9_iPKfiiiPfSC_PS2_PT2_iSB_SB_,"axG",@progbits,_Z39paged_attention_ll4mi_QKV_mfma16_kernelIDF16_DF16_LN4vllm18Fp8KVCacheDataTypeE0EDF16_Li32ELi64ELi256ELb0ELi11EEvPKT_PKT0_S7_ifPKiS9_S9_iPKfiiiPfSC_PS2_PT2_iSB_SB_,comdat
	.protected	_Z39paged_attention_ll4mi_QKV_mfma16_kernelIDF16_DF16_LN4vllm18Fp8KVCacheDataTypeE0EDF16_Li32ELi64ELi256ELb0ELi11EEvPKT_PKT0_S7_ifPKiS9_S9_iPKfiiiPfSC_PS2_PT2_iSB_SB_ ; -- Begin function _Z39paged_attention_ll4mi_QKV_mfma16_kernelIDF16_DF16_LN4vllm18Fp8KVCacheDataTypeE0EDF16_Li32ELi64ELi256ELb0ELi11EEvPKT_PKT0_S7_ifPKiS9_S9_iPKfiiiPfSC_PS2_PT2_iSB_SB_
	.globl	_Z39paged_attention_ll4mi_QKV_mfma16_kernelIDF16_DF16_LN4vllm18Fp8KVCacheDataTypeE0EDF16_Li32ELi64ELi256ELb0ELi11EEvPKT_PKT0_S7_ifPKiS9_S9_iPKfiiiPfSC_PS2_PT2_iSB_SB_
	.p2align	8
	.type	_Z39paged_attention_ll4mi_QKV_mfma16_kernelIDF16_DF16_LN4vllm18Fp8KVCacheDataTypeE0EDF16_Li32ELi64ELi256ELb0ELi11EEvPKT_PKT0_S7_ifPKiS9_S9_iPKfiiiPfSC_PS2_PT2_iSB_SB_,@function
_Z39paged_attention_ll4mi_QKV_mfma16_kernelIDF16_DF16_LN4vllm18Fp8KVCacheDataTypeE0EDF16_Li32ELi64ELi256ELb0ELi11EEvPKT_PKT0_S7_ifPKiS9_S9_iPKfiiiPfSC_PS2_PT2_iSB_SB_: ; @_Z39paged_attention_ll4mi_QKV_mfma16_kernelIDF16_DF16_LN4vllm18Fp8KVCacheDataTypeE0EDF16_Li32ELi64ELi256ELb0ELi11EEvPKT_PKT0_S7_ifPKiS9_S9_iPKfiiiPfSC_PS2_PT2_iSB_SB_
; %bb.0:
	s_get_pc_i64 s[2:3]
	s_add_nc_u64 s[2:3], s[2:3], __PRETTY_FUNCTION__._Z39paged_attention_ll4mi_QKV_mfma16_kernelIDF16_DF16_LN4vllm18Fp8KVCacheDataTypeE0EDF16_Li32ELi64ELi256ELb0ELi11EEvPKT_PKT0_S7_ifPKiS9_S9_iPKfiiiPfSC_PS2_PT2_iSB_SB_@rel64+4
	s_delay_alu instid0(SALU_CYCLE_1)
	v_dual_mov_b32 v0, 0xbb3 :: v_dual_mov_b32 v1, s2
	v_mov_b32_e32 v2, s3
	s_add_nc_u64 s[8:9], s[0:1], 0x90
	s_get_pc_i64 s[0:1]
	s_add_nc_u64 s[0:1], s[0:1], __assert_fail@rel64+4
	s_mov_b32 s32, 0
	s_swap_pc_i64 s[30:31], s[0:1]
	.section	.rodata,"a",@progbits
	.p2align	6, 0x0
	.amdhsa_kernel _Z39paged_attention_ll4mi_QKV_mfma16_kernelIDF16_DF16_LN4vllm18Fp8KVCacheDataTypeE0EDF16_Li32ELi64ELi256ELb0ELi11EEvPKT_PKT0_S7_ifPKiS9_S9_iPKfiiiPfSC_PS2_PT2_iSB_SB_
		.amdhsa_group_segment_fixed_size 0
		.amdhsa_private_segment_fixed_size 64
		.amdhsa_kernarg_size 400
		.amdhsa_user_sgpr_count 2
		.amdhsa_user_sgpr_dispatch_ptr 0
		.amdhsa_user_sgpr_queue_ptr 0
		.amdhsa_user_sgpr_kernarg_segment_ptr 1
		.amdhsa_user_sgpr_dispatch_id 0
		.amdhsa_user_sgpr_kernarg_preload_length 0
		.amdhsa_user_sgpr_kernarg_preload_offset 0
		.amdhsa_user_sgpr_private_segment_size 0
		.amdhsa_wavefront_size32 1
		.amdhsa_uses_dynamic_stack 0
		.amdhsa_enable_private_segment 1
		.amdhsa_system_sgpr_workgroup_id_x 1
		.amdhsa_system_sgpr_workgroup_id_y 0
		.amdhsa_system_sgpr_workgroup_id_z 0
		.amdhsa_system_sgpr_workgroup_info 0
		.amdhsa_system_vgpr_workitem_id 0
		.amdhsa_next_free_vgpr 51
		.amdhsa_next_free_sgpr 34
		.amdhsa_named_barrier_count 0
		.amdhsa_reserve_vcc 1
		.amdhsa_float_round_mode_32 0
		.amdhsa_float_round_mode_16_64 0
		.amdhsa_float_denorm_mode_32 3
		.amdhsa_float_denorm_mode_16_64 3
		.amdhsa_fp16_overflow 0
		.amdhsa_memory_ordered 1
		.amdhsa_forward_progress 1
		.amdhsa_inst_pref_size 1
		.amdhsa_round_robin_scheduling 0
		.amdhsa_exception_fp_ieee_invalid_op 0
		.amdhsa_exception_fp_denorm_src 0
		.amdhsa_exception_fp_ieee_div_zero 0
		.amdhsa_exception_fp_ieee_overflow 0
		.amdhsa_exception_fp_ieee_underflow 0
		.amdhsa_exception_fp_ieee_inexact 0
		.amdhsa_exception_int_div_zero 0
	.end_amdhsa_kernel
	.section	.text._Z39paged_attention_ll4mi_QKV_mfma16_kernelIDF16_DF16_LN4vllm18Fp8KVCacheDataTypeE0EDF16_Li32ELi64ELi256ELb0ELi11EEvPKT_PKT0_S7_ifPKiS9_S9_iPKfiiiPfSC_PS2_PT2_iSB_SB_,"axG",@progbits,_Z39paged_attention_ll4mi_QKV_mfma16_kernelIDF16_DF16_LN4vllm18Fp8KVCacheDataTypeE0EDF16_Li32ELi64ELi256ELb0ELi11EEvPKT_PKT0_S7_ifPKiS9_S9_iPKfiiiPfSC_PS2_PT2_iSB_SB_,comdat
.Lfunc_end184:
	.size	_Z39paged_attention_ll4mi_QKV_mfma16_kernelIDF16_DF16_LN4vllm18Fp8KVCacheDataTypeE0EDF16_Li32ELi64ELi256ELb0ELi11EEvPKT_PKT0_S7_ifPKiS9_S9_iPKfiiiPfSC_PS2_PT2_iSB_SB_, .Lfunc_end184-_Z39paged_attention_ll4mi_QKV_mfma16_kernelIDF16_DF16_LN4vllm18Fp8KVCacheDataTypeE0EDF16_Li32ELi64ELi256ELb0ELi11EEvPKT_PKT0_S7_ifPKiS9_S9_iPKfiiiPfSC_PS2_PT2_iSB_SB_
                                        ; -- End function
	.set _Z39paged_attention_ll4mi_QKV_mfma16_kernelIDF16_DF16_LN4vllm18Fp8KVCacheDataTypeE0EDF16_Li32ELi64ELi256ELb0ELi11EEvPKT_PKT0_S7_ifPKiS9_S9_iPKfiiiPfSC_PS2_PT2_iSB_SB_.num_vgpr, max(3, .L__assert_fail.num_vgpr)
	.set _Z39paged_attention_ll4mi_QKV_mfma16_kernelIDF16_DF16_LN4vllm18Fp8KVCacheDataTypeE0EDF16_Li32ELi64ELi256ELb0ELi11EEvPKT_PKT0_S7_ifPKiS9_S9_iPKfiiiPfSC_PS2_PT2_iSB_SB_.num_agpr, max(0, .L__assert_fail.num_agpr)
	.set _Z39paged_attention_ll4mi_QKV_mfma16_kernelIDF16_DF16_LN4vllm18Fp8KVCacheDataTypeE0EDF16_Li32ELi64ELi256ELb0ELi11EEvPKT_PKT0_S7_ifPKiS9_S9_iPKfiiiPfSC_PS2_PT2_iSB_SB_.numbered_sgpr, max(33, .L__assert_fail.numbered_sgpr)
	.set _Z39paged_attention_ll4mi_QKV_mfma16_kernelIDF16_DF16_LN4vllm18Fp8KVCacheDataTypeE0EDF16_Li32ELi64ELi256ELb0ELi11EEvPKT_PKT0_S7_ifPKiS9_S9_iPKfiiiPfSC_PS2_PT2_iSB_SB_.num_named_barrier, max(0, .L__assert_fail.num_named_barrier)
	.set _Z39paged_attention_ll4mi_QKV_mfma16_kernelIDF16_DF16_LN4vllm18Fp8KVCacheDataTypeE0EDF16_Li32ELi64ELi256ELb0ELi11EEvPKT_PKT0_S7_ifPKiS9_S9_iPKfiiiPfSC_PS2_PT2_iSB_SB_.private_seg_size, 0+max(.L__assert_fail.private_seg_size)
	.set _Z39paged_attention_ll4mi_QKV_mfma16_kernelIDF16_DF16_LN4vllm18Fp8KVCacheDataTypeE0EDF16_Li32ELi64ELi256ELb0ELi11EEvPKT_PKT0_S7_ifPKiS9_S9_iPKfiiiPfSC_PS2_PT2_iSB_SB_.uses_vcc, or(1, .L__assert_fail.uses_vcc)
	.set _Z39paged_attention_ll4mi_QKV_mfma16_kernelIDF16_DF16_LN4vllm18Fp8KVCacheDataTypeE0EDF16_Li32ELi64ELi256ELb0ELi11EEvPKT_PKT0_S7_ifPKiS9_S9_iPKfiiiPfSC_PS2_PT2_iSB_SB_.uses_flat_scratch, or(0, .L__assert_fail.uses_flat_scratch)
	.set _Z39paged_attention_ll4mi_QKV_mfma16_kernelIDF16_DF16_LN4vllm18Fp8KVCacheDataTypeE0EDF16_Li32ELi64ELi256ELb0ELi11EEvPKT_PKT0_S7_ifPKiS9_S9_iPKfiiiPfSC_PS2_PT2_iSB_SB_.has_dyn_sized_stack, or(0, .L__assert_fail.has_dyn_sized_stack)
	.set _Z39paged_attention_ll4mi_QKV_mfma16_kernelIDF16_DF16_LN4vllm18Fp8KVCacheDataTypeE0EDF16_Li32ELi64ELi256ELb0ELi11EEvPKT_PKT0_S7_ifPKiS9_S9_iPKfiiiPfSC_PS2_PT2_iSB_SB_.has_recursion, or(0, .L__assert_fail.has_recursion)
	.set _Z39paged_attention_ll4mi_QKV_mfma16_kernelIDF16_DF16_LN4vllm18Fp8KVCacheDataTypeE0EDF16_Li32ELi64ELi256ELb0ELi11EEvPKT_PKT0_S7_ifPKiS9_S9_iPKfiiiPfSC_PS2_PT2_iSB_SB_.has_indirect_call, or(0, .L__assert_fail.has_indirect_call)
	.section	.AMDGPU.csdata,"",@progbits
; Kernel info:
; codeLenInByte = 68
; TotalNumSgprs: 36
; NumVgprs: 51
; ScratchSize: 64
; MemoryBound: 0
; FloatMode: 240
; IeeeMode: 1
; LDSByteSize: 0 bytes/workgroup (compile time only)
; SGPRBlocks: 0
; VGPRBlocks: 3
; NumSGPRsForWavesPerEU: 36
; NumVGPRsForWavesPerEU: 51
; NamedBarCnt: 0
; Occupancy: 16
; WaveLimiterHint : 1
; COMPUTE_PGM_RSRC2:SCRATCH_EN: 1
; COMPUTE_PGM_RSRC2:USER_SGPR: 2
; COMPUTE_PGM_RSRC2:TRAP_HANDLER: 0
; COMPUTE_PGM_RSRC2:TGID_X_EN: 1
; COMPUTE_PGM_RSRC2:TGID_Y_EN: 0
; COMPUTE_PGM_RSRC2:TGID_Z_EN: 0
; COMPUTE_PGM_RSRC2:TIDIG_COMP_CNT: 0
	.section	.text._Z39paged_attention_ll4mi_QKV_mfma16_kernelIDF16_DF16_LN4vllm18Fp8KVCacheDataTypeE0EDF16_Li32ELi64ELi256ELb0ELi12EEvPKT_PKT0_S7_ifPKiS9_S9_iPKfiiiPfSC_PS2_PT2_iSB_SB_,"axG",@progbits,_Z39paged_attention_ll4mi_QKV_mfma16_kernelIDF16_DF16_LN4vllm18Fp8KVCacheDataTypeE0EDF16_Li32ELi64ELi256ELb0ELi12EEvPKT_PKT0_S7_ifPKiS9_S9_iPKfiiiPfSC_PS2_PT2_iSB_SB_,comdat
	.protected	_Z39paged_attention_ll4mi_QKV_mfma16_kernelIDF16_DF16_LN4vllm18Fp8KVCacheDataTypeE0EDF16_Li32ELi64ELi256ELb0ELi12EEvPKT_PKT0_S7_ifPKiS9_S9_iPKfiiiPfSC_PS2_PT2_iSB_SB_ ; -- Begin function _Z39paged_attention_ll4mi_QKV_mfma16_kernelIDF16_DF16_LN4vllm18Fp8KVCacheDataTypeE0EDF16_Li32ELi64ELi256ELb0ELi12EEvPKT_PKT0_S7_ifPKiS9_S9_iPKfiiiPfSC_PS2_PT2_iSB_SB_
	.globl	_Z39paged_attention_ll4mi_QKV_mfma16_kernelIDF16_DF16_LN4vllm18Fp8KVCacheDataTypeE0EDF16_Li32ELi64ELi256ELb0ELi12EEvPKT_PKT0_S7_ifPKiS9_S9_iPKfiiiPfSC_PS2_PT2_iSB_SB_
	.p2align	8
	.type	_Z39paged_attention_ll4mi_QKV_mfma16_kernelIDF16_DF16_LN4vllm18Fp8KVCacheDataTypeE0EDF16_Li32ELi64ELi256ELb0ELi12EEvPKT_PKT0_S7_ifPKiS9_S9_iPKfiiiPfSC_PS2_PT2_iSB_SB_,@function
_Z39paged_attention_ll4mi_QKV_mfma16_kernelIDF16_DF16_LN4vllm18Fp8KVCacheDataTypeE0EDF16_Li32ELi64ELi256ELb0ELi12EEvPKT_PKT0_S7_ifPKiS9_S9_iPKfiiiPfSC_PS2_PT2_iSB_SB_: ; @_Z39paged_attention_ll4mi_QKV_mfma16_kernelIDF16_DF16_LN4vllm18Fp8KVCacheDataTypeE0EDF16_Li32ELi64ELi256ELb0ELi12EEvPKT_PKT0_S7_ifPKiS9_S9_iPKfiiiPfSC_PS2_PT2_iSB_SB_
; %bb.0:
	s_get_pc_i64 s[2:3]
	s_add_nc_u64 s[2:3], s[2:3], __PRETTY_FUNCTION__._Z39paged_attention_ll4mi_QKV_mfma16_kernelIDF16_DF16_LN4vllm18Fp8KVCacheDataTypeE0EDF16_Li32ELi64ELi256ELb0ELi12EEvPKT_PKT0_S7_ifPKiS9_S9_iPKfiiiPfSC_PS2_PT2_iSB_SB_@rel64+4
	s_delay_alu instid0(SALU_CYCLE_1)
	v_dual_mov_b32 v0, 0xbb3 :: v_dual_mov_b32 v1, s2
	v_mov_b32_e32 v2, s3
	s_add_nc_u64 s[8:9], s[0:1], 0x90
	s_get_pc_i64 s[0:1]
	s_add_nc_u64 s[0:1], s[0:1], __assert_fail@rel64+4
	s_mov_b32 s32, 0
	s_swap_pc_i64 s[30:31], s[0:1]
	.section	.rodata,"a",@progbits
	.p2align	6, 0x0
	.amdhsa_kernel _Z39paged_attention_ll4mi_QKV_mfma16_kernelIDF16_DF16_LN4vllm18Fp8KVCacheDataTypeE0EDF16_Li32ELi64ELi256ELb0ELi12EEvPKT_PKT0_S7_ifPKiS9_S9_iPKfiiiPfSC_PS2_PT2_iSB_SB_
		.amdhsa_group_segment_fixed_size 0
		.amdhsa_private_segment_fixed_size 64
		.amdhsa_kernarg_size 400
		.amdhsa_user_sgpr_count 2
		.amdhsa_user_sgpr_dispatch_ptr 0
		.amdhsa_user_sgpr_queue_ptr 0
		.amdhsa_user_sgpr_kernarg_segment_ptr 1
		.amdhsa_user_sgpr_dispatch_id 0
		.amdhsa_user_sgpr_kernarg_preload_length 0
		.amdhsa_user_sgpr_kernarg_preload_offset 0
		.amdhsa_user_sgpr_private_segment_size 0
		.amdhsa_wavefront_size32 1
		.amdhsa_uses_dynamic_stack 0
		.amdhsa_enable_private_segment 1
		.amdhsa_system_sgpr_workgroup_id_x 1
		.amdhsa_system_sgpr_workgroup_id_y 0
		.amdhsa_system_sgpr_workgroup_id_z 0
		.amdhsa_system_sgpr_workgroup_info 0
		.amdhsa_system_vgpr_workitem_id 0
		.amdhsa_next_free_vgpr 51
		.amdhsa_next_free_sgpr 34
		.amdhsa_named_barrier_count 0
		.amdhsa_reserve_vcc 1
		.amdhsa_float_round_mode_32 0
		.amdhsa_float_round_mode_16_64 0
		.amdhsa_float_denorm_mode_32 3
		.amdhsa_float_denorm_mode_16_64 3
		.amdhsa_fp16_overflow 0
		.amdhsa_memory_ordered 1
		.amdhsa_forward_progress 1
		.amdhsa_inst_pref_size 1
		.amdhsa_round_robin_scheduling 0
		.amdhsa_exception_fp_ieee_invalid_op 0
		.amdhsa_exception_fp_denorm_src 0
		.amdhsa_exception_fp_ieee_div_zero 0
		.amdhsa_exception_fp_ieee_overflow 0
		.amdhsa_exception_fp_ieee_underflow 0
		.amdhsa_exception_fp_ieee_inexact 0
		.amdhsa_exception_int_div_zero 0
	.end_amdhsa_kernel
	.section	.text._Z39paged_attention_ll4mi_QKV_mfma16_kernelIDF16_DF16_LN4vllm18Fp8KVCacheDataTypeE0EDF16_Li32ELi64ELi256ELb0ELi12EEvPKT_PKT0_S7_ifPKiS9_S9_iPKfiiiPfSC_PS2_PT2_iSB_SB_,"axG",@progbits,_Z39paged_attention_ll4mi_QKV_mfma16_kernelIDF16_DF16_LN4vllm18Fp8KVCacheDataTypeE0EDF16_Li32ELi64ELi256ELb0ELi12EEvPKT_PKT0_S7_ifPKiS9_S9_iPKfiiiPfSC_PS2_PT2_iSB_SB_,comdat
.Lfunc_end185:
	.size	_Z39paged_attention_ll4mi_QKV_mfma16_kernelIDF16_DF16_LN4vllm18Fp8KVCacheDataTypeE0EDF16_Li32ELi64ELi256ELb0ELi12EEvPKT_PKT0_S7_ifPKiS9_S9_iPKfiiiPfSC_PS2_PT2_iSB_SB_, .Lfunc_end185-_Z39paged_attention_ll4mi_QKV_mfma16_kernelIDF16_DF16_LN4vllm18Fp8KVCacheDataTypeE0EDF16_Li32ELi64ELi256ELb0ELi12EEvPKT_PKT0_S7_ifPKiS9_S9_iPKfiiiPfSC_PS2_PT2_iSB_SB_
                                        ; -- End function
	.set _Z39paged_attention_ll4mi_QKV_mfma16_kernelIDF16_DF16_LN4vllm18Fp8KVCacheDataTypeE0EDF16_Li32ELi64ELi256ELb0ELi12EEvPKT_PKT0_S7_ifPKiS9_S9_iPKfiiiPfSC_PS2_PT2_iSB_SB_.num_vgpr, max(3, .L__assert_fail.num_vgpr)
	.set _Z39paged_attention_ll4mi_QKV_mfma16_kernelIDF16_DF16_LN4vllm18Fp8KVCacheDataTypeE0EDF16_Li32ELi64ELi256ELb0ELi12EEvPKT_PKT0_S7_ifPKiS9_S9_iPKfiiiPfSC_PS2_PT2_iSB_SB_.num_agpr, max(0, .L__assert_fail.num_agpr)
	.set _Z39paged_attention_ll4mi_QKV_mfma16_kernelIDF16_DF16_LN4vllm18Fp8KVCacheDataTypeE0EDF16_Li32ELi64ELi256ELb0ELi12EEvPKT_PKT0_S7_ifPKiS9_S9_iPKfiiiPfSC_PS2_PT2_iSB_SB_.numbered_sgpr, max(33, .L__assert_fail.numbered_sgpr)
	.set _Z39paged_attention_ll4mi_QKV_mfma16_kernelIDF16_DF16_LN4vllm18Fp8KVCacheDataTypeE0EDF16_Li32ELi64ELi256ELb0ELi12EEvPKT_PKT0_S7_ifPKiS9_S9_iPKfiiiPfSC_PS2_PT2_iSB_SB_.num_named_barrier, max(0, .L__assert_fail.num_named_barrier)
	.set _Z39paged_attention_ll4mi_QKV_mfma16_kernelIDF16_DF16_LN4vllm18Fp8KVCacheDataTypeE0EDF16_Li32ELi64ELi256ELb0ELi12EEvPKT_PKT0_S7_ifPKiS9_S9_iPKfiiiPfSC_PS2_PT2_iSB_SB_.private_seg_size, 0+max(.L__assert_fail.private_seg_size)
	.set _Z39paged_attention_ll4mi_QKV_mfma16_kernelIDF16_DF16_LN4vllm18Fp8KVCacheDataTypeE0EDF16_Li32ELi64ELi256ELb0ELi12EEvPKT_PKT0_S7_ifPKiS9_S9_iPKfiiiPfSC_PS2_PT2_iSB_SB_.uses_vcc, or(1, .L__assert_fail.uses_vcc)
	.set _Z39paged_attention_ll4mi_QKV_mfma16_kernelIDF16_DF16_LN4vllm18Fp8KVCacheDataTypeE0EDF16_Li32ELi64ELi256ELb0ELi12EEvPKT_PKT0_S7_ifPKiS9_S9_iPKfiiiPfSC_PS2_PT2_iSB_SB_.uses_flat_scratch, or(0, .L__assert_fail.uses_flat_scratch)
	.set _Z39paged_attention_ll4mi_QKV_mfma16_kernelIDF16_DF16_LN4vllm18Fp8KVCacheDataTypeE0EDF16_Li32ELi64ELi256ELb0ELi12EEvPKT_PKT0_S7_ifPKiS9_S9_iPKfiiiPfSC_PS2_PT2_iSB_SB_.has_dyn_sized_stack, or(0, .L__assert_fail.has_dyn_sized_stack)
	.set _Z39paged_attention_ll4mi_QKV_mfma16_kernelIDF16_DF16_LN4vllm18Fp8KVCacheDataTypeE0EDF16_Li32ELi64ELi256ELb0ELi12EEvPKT_PKT0_S7_ifPKiS9_S9_iPKfiiiPfSC_PS2_PT2_iSB_SB_.has_recursion, or(0, .L__assert_fail.has_recursion)
	.set _Z39paged_attention_ll4mi_QKV_mfma16_kernelIDF16_DF16_LN4vllm18Fp8KVCacheDataTypeE0EDF16_Li32ELi64ELi256ELb0ELi12EEvPKT_PKT0_S7_ifPKiS9_S9_iPKfiiiPfSC_PS2_PT2_iSB_SB_.has_indirect_call, or(0, .L__assert_fail.has_indirect_call)
	.section	.AMDGPU.csdata,"",@progbits
; Kernel info:
; codeLenInByte = 68
; TotalNumSgprs: 36
; NumVgprs: 51
; ScratchSize: 64
; MemoryBound: 0
; FloatMode: 240
; IeeeMode: 1
; LDSByteSize: 0 bytes/workgroup (compile time only)
; SGPRBlocks: 0
; VGPRBlocks: 3
; NumSGPRsForWavesPerEU: 36
; NumVGPRsForWavesPerEU: 51
; NamedBarCnt: 0
; Occupancy: 16
; WaveLimiterHint : 1
; COMPUTE_PGM_RSRC2:SCRATCH_EN: 1
; COMPUTE_PGM_RSRC2:USER_SGPR: 2
; COMPUTE_PGM_RSRC2:TRAP_HANDLER: 0
; COMPUTE_PGM_RSRC2:TGID_X_EN: 1
; COMPUTE_PGM_RSRC2:TGID_Y_EN: 0
; COMPUTE_PGM_RSRC2:TGID_Z_EN: 0
; COMPUTE_PGM_RSRC2:TIDIG_COMP_CNT: 0
	.section	.text._Z39paged_attention_ll4mi_QKV_mfma16_kernelIDF16_DF16_LN4vllm18Fp8KVCacheDataTypeE0EDF16_Li32ELi64ELi256ELb0ELi13EEvPKT_PKT0_S7_ifPKiS9_S9_iPKfiiiPfSC_PS2_PT2_iSB_SB_,"axG",@progbits,_Z39paged_attention_ll4mi_QKV_mfma16_kernelIDF16_DF16_LN4vllm18Fp8KVCacheDataTypeE0EDF16_Li32ELi64ELi256ELb0ELi13EEvPKT_PKT0_S7_ifPKiS9_S9_iPKfiiiPfSC_PS2_PT2_iSB_SB_,comdat
	.protected	_Z39paged_attention_ll4mi_QKV_mfma16_kernelIDF16_DF16_LN4vllm18Fp8KVCacheDataTypeE0EDF16_Li32ELi64ELi256ELb0ELi13EEvPKT_PKT0_S7_ifPKiS9_S9_iPKfiiiPfSC_PS2_PT2_iSB_SB_ ; -- Begin function _Z39paged_attention_ll4mi_QKV_mfma16_kernelIDF16_DF16_LN4vllm18Fp8KVCacheDataTypeE0EDF16_Li32ELi64ELi256ELb0ELi13EEvPKT_PKT0_S7_ifPKiS9_S9_iPKfiiiPfSC_PS2_PT2_iSB_SB_
	.globl	_Z39paged_attention_ll4mi_QKV_mfma16_kernelIDF16_DF16_LN4vllm18Fp8KVCacheDataTypeE0EDF16_Li32ELi64ELi256ELb0ELi13EEvPKT_PKT0_S7_ifPKiS9_S9_iPKfiiiPfSC_PS2_PT2_iSB_SB_
	.p2align	8
	.type	_Z39paged_attention_ll4mi_QKV_mfma16_kernelIDF16_DF16_LN4vllm18Fp8KVCacheDataTypeE0EDF16_Li32ELi64ELi256ELb0ELi13EEvPKT_PKT0_S7_ifPKiS9_S9_iPKfiiiPfSC_PS2_PT2_iSB_SB_,@function
_Z39paged_attention_ll4mi_QKV_mfma16_kernelIDF16_DF16_LN4vllm18Fp8KVCacheDataTypeE0EDF16_Li32ELi64ELi256ELb0ELi13EEvPKT_PKT0_S7_ifPKiS9_S9_iPKfiiiPfSC_PS2_PT2_iSB_SB_: ; @_Z39paged_attention_ll4mi_QKV_mfma16_kernelIDF16_DF16_LN4vllm18Fp8KVCacheDataTypeE0EDF16_Li32ELi64ELi256ELb0ELi13EEvPKT_PKT0_S7_ifPKiS9_S9_iPKfiiiPfSC_PS2_PT2_iSB_SB_
; %bb.0:
	s_get_pc_i64 s[2:3]
	s_add_nc_u64 s[2:3], s[2:3], __PRETTY_FUNCTION__._Z39paged_attention_ll4mi_QKV_mfma16_kernelIDF16_DF16_LN4vllm18Fp8KVCacheDataTypeE0EDF16_Li32ELi64ELi256ELb0ELi13EEvPKT_PKT0_S7_ifPKiS9_S9_iPKfiiiPfSC_PS2_PT2_iSB_SB_@rel64+4
	s_delay_alu instid0(SALU_CYCLE_1)
	v_dual_mov_b32 v0, 0xbb3 :: v_dual_mov_b32 v1, s2
	v_mov_b32_e32 v2, s3
	s_add_nc_u64 s[8:9], s[0:1], 0x90
	s_get_pc_i64 s[0:1]
	s_add_nc_u64 s[0:1], s[0:1], __assert_fail@rel64+4
	s_mov_b32 s32, 0
	s_swap_pc_i64 s[30:31], s[0:1]
	.section	.rodata,"a",@progbits
	.p2align	6, 0x0
	.amdhsa_kernel _Z39paged_attention_ll4mi_QKV_mfma16_kernelIDF16_DF16_LN4vllm18Fp8KVCacheDataTypeE0EDF16_Li32ELi64ELi256ELb0ELi13EEvPKT_PKT0_S7_ifPKiS9_S9_iPKfiiiPfSC_PS2_PT2_iSB_SB_
		.amdhsa_group_segment_fixed_size 0
		.amdhsa_private_segment_fixed_size 64
		.amdhsa_kernarg_size 400
		.amdhsa_user_sgpr_count 2
		.amdhsa_user_sgpr_dispatch_ptr 0
		.amdhsa_user_sgpr_queue_ptr 0
		.amdhsa_user_sgpr_kernarg_segment_ptr 1
		.amdhsa_user_sgpr_dispatch_id 0
		.amdhsa_user_sgpr_kernarg_preload_length 0
		.amdhsa_user_sgpr_kernarg_preload_offset 0
		.amdhsa_user_sgpr_private_segment_size 0
		.amdhsa_wavefront_size32 1
		.amdhsa_uses_dynamic_stack 0
		.amdhsa_enable_private_segment 1
		.amdhsa_system_sgpr_workgroup_id_x 1
		.amdhsa_system_sgpr_workgroup_id_y 0
		.amdhsa_system_sgpr_workgroup_id_z 0
		.amdhsa_system_sgpr_workgroup_info 0
		.amdhsa_system_vgpr_workitem_id 0
		.amdhsa_next_free_vgpr 51
		.amdhsa_next_free_sgpr 34
		.amdhsa_named_barrier_count 0
		.amdhsa_reserve_vcc 1
		.amdhsa_float_round_mode_32 0
		.amdhsa_float_round_mode_16_64 0
		.amdhsa_float_denorm_mode_32 3
		.amdhsa_float_denorm_mode_16_64 3
		.amdhsa_fp16_overflow 0
		.amdhsa_memory_ordered 1
		.amdhsa_forward_progress 1
		.amdhsa_inst_pref_size 1
		.amdhsa_round_robin_scheduling 0
		.amdhsa_exception_fp_ieee_invalid_op 0
		.amdhsa_exception_fp_denorm_src 0
		.amdhsa_exception_fp_ieee_div_zero 0
		.amdhsa_exception_fp_ieee_overflow 0
		.amdhsa_exception_fp_ieee_underflow 0
		.amdhsa_exception_fp_ieee_inexact 0
		.amdhsa_exception_int_div_zero 0
	.end_amdhsa_kernel
	.section	.text._Z39paged_attention_ll4mi_QKV_mfma16_kernelIDF16_DF16_LN4vllm18Fp8KVCacheDataTypeE0EDF16_Li32ELi64ELi256ELb0ELi13EEvPKT_PKT0_S7_ifPKiS9_S9_iPKfiiiPfSC_PS2_PT2_iSB_SB_,"axG",@progbits,_Z39paged_attention_ll4mi_QKV_mfma16_kernelIDF16_DF16_LN4vllm18Fp8KVCacheDataTypeE0EDF16_Li32ELi64ELi256ELb0ELi13EEvPKT_PKT0_S7_ifPKiS9_S9_iPKfiiiPfSC_PS2_PT2_iSB_SB_,comdat
.Lfunc_end186:
	.size	_Z39paged_attention_ll4mi_QKV_mfma16_kernelIDF16_DF16_LN4vllm18Fp8KVCacheDataTypeE0EDF16_Li32ELi64ELi256ELb0ELi13EEvPKT_PKT0_S7_ifPKiS9_S9_iPKfiiiPfSC_PS2_PT2_iSB_SB_, .Lfunc_end186-_Z39paged_attention_ll4mi_QKV_mfma16_kernelIDF16_DF16_LN4vllm18Fp8KVCacheDataTypeE0EDF16_Li32ELi64ELi256ELb0ELi13EEvPKT_PKT0_S7_ifPKiS9_S9_iPKfiiiPfSC_PS2_PT2_iSB_SB_
                                        ; -- End function
	.set _Z39paged_attention_ll4mi_QKV_mfma16_kernelIDF16_DF16_LN4vllm18Fp8KVCacheDataTypeE0EDF16_Li32ELi64ELi256ELb0ELi13EEvPKT_PKT0_S7_ifPKiS9_S9_iPKfiiiPfSC_PS2_PT2_iSB_SB_.num_vgpr, max(3, .L__assert_fail.num_vgpr)
	.set _Z39paged_attention_ll4mi_QKV_mfma16_kernelIDF16_DF16_LN4vllm18Fp8KVCacheDataTypeE0EDF16_Li32ELi64ELi256ELb0ELi13EEvPKT_PKT0_S7_ifPKiS9_S9_iPKfiiiPfSC_PS2_PT2_iSB_SB_.num_agpr, max(0, .L__assert_fail.num_agpr)
	.set _Z39paged_attention_ll4mi_QKV_mfma16_kernelIDF16_DF16_LN4vllm18Fp8KVCacheDataTypeE0EDF16_Li32ELi64ELi256ELb0ELi13EEvPKT_PKT0_S7_ifPKiS9_S9_iPKfiiiPfSC_PS2_PT2_iSB_SB_.numbered_sgpr, max(33, .L__assert_fail.numbered_sgpr)
	.set _Z39paged_attention_ll4mi_QKV_mfma16_kernelIDF16_DF16_LN4vllm18Fp8KVCacheDataTypeE0EDF16_Li32ELi64ELi256ELb0ELi13EEvPKT_PKT0_S7_ifPKiS9_S9_iPKfiiiPfSC_PS2_PT2_iSB_SB_.num_named_barrier, max(0, .L__assert_fail.num_named_barrier)
	.set _Z39paged_attention_ll4mi_QKV_mfma16_kernelIDF16_DF16_LN4vllm18Fp8KVCacheDataTypeE0EDF16_Li32ELi64ELi256ELb0ELi13EEvPKT_PKT0_S7_ifPKiS9_S9_iPKfiiiPfSC_PS2_PT2_iSB_SB_.private_seg_size, 0+max(.L__assert_fail.private_seg_size)
	.set _Z39paged_attention_ll4mi_QKV_mfma16_kernelIDF16_DF16_LN4vllm18Fp8KVCacheDataTypeE0EDF16_Li32ELi64ELi256ELb0ELi13EEvPKT_PKT0_S7_ifPKiS9_S9_iPKfiiiPfSC_PS2_PT2_iSB_SB_.uses_vcc, or(1, .L__assert_fail.uses_vcc)
	.set _Z39paged_attention_ll4mi_QKV_mfma16_kernelIDF16_DF16_LN4vllm18Fp8KVCacheDataTypeE0EDF16_Li32ELi64ELi256ELb0ELi13EEvPKT_PKT0_S7_ifPKiS9_S9_iPKfiiiPfSC_PS2_PT2_iSB_SB_.uses_flat_scratch, or(0, .L__assert_fail.uses_flat_scratch)
	.set _Z39paged_attention_ll4mi_QKV_mfma16_kernelIDF16_DF16_LN4vllm18Fp8KVCacheDataTypeE0EDF16_Li32ELi64ELi256ELb0ELi13EEvPKT_PKT0_S7_ifPKiS9_S9_iPKfiiiPfSC_PS2_PT2_iSB_SB_.has_dyn_sized_stack, or(0, .L__assert_fail.has_dyn_sized_stack)
	.set _Z39paged_attention_ll4mi_QKV_mfma16_kernelIDF16_DF16_LN4vllm18Fp8KVCacheDataTypeE0EDF16_Li32ELi64ELi256ELb0ELi13EEvPKT_PKT0_S7_ifPKiS9_S9_iPKfiiiPfSC_PS2_PT2_iSB_SB_.has_recursion, or(0, .L__assert_fail.has_recursion)
	.set _Z39paged_attention_ll4mi_QKV_mfma16_kernelIDF16_DF16_LN4vllm18Fp8KVCacheDataTypeE0EDF16_Li32ELi64ELi256ELb0ELi13EEvPKT_PKT0_S7_ifPKiS9_S9_iPKfiiiPfSC_PS2_PT2_iSB_SB_.has_indirect_call, or(0, .L__assert_fail.has_indirect_call)
	.section	.AMDGPU.csdata,"",@progbits
; Kernel info:
; codeLenInByte = 68
; TotalNumSgprs: 36
; NumVgprs: 51
; ScratchSize: 64
; MemoryBound: 0
; FloatMode: 240
; IeeeMode: 1
; LDSByteSize: 0 bytes/workgroup (compile time only)
; SGPRBlocks: 0
; VGPRBlocks: 3
; NumSGPRsForWavesPerEU: 36
; NumVGPRsForWavesPerEU: 51
; NamedBarCnt: 0
; Occupancy: 16
; WaveLimiterHint : 1
; COMPUTE_PGM_RSRC2:SCRATCH_EN: 1
; COMPUTE_PGM_RSRC2:USER_SGPR: 2
; COMPUTE_PGM_RSRC2:TRAP_HANDLER: 0
; COMPUTE_PGM_RSRC2:TGID_X_EN: 1
; COMPUTE_PGM_RSRC2:TGID_Y_EN: 0
; COMPUTE_PGM_RSRC2:TGID_Z_EN: 0
; COMPUTE_PGM_RSRC2:TIDIG_COMP_CNT: 0
	.section	.text._Z39paged_attention_ll4mi_QKV_mfma16_kernelIDF16_DF16_LN4vllm18Fp8KVCacheDataTypeE0EDF16_Li32ELi64ELi256ELb0ELi14EEvPKT_PKT0_S7_ifPKiS9_S9_iPKfiiiPfSC_PS2_PT2_iSB_SB_,"axG",@progbits,_Z39paged_attention_ll4mi_QKV_mfma16_kernelIDF16_DF16_LN4vllm18Fp8KVCacheDataTypeE0EDF16_Li32ELi64ELi256ELb0ELi14EEvPKT_PKT0_S7_ifPKiS9_S9_iPKfiiiPfSC_PS2_PT2_iSB_SB_,comdat
	.protected	_Z39paged_attention_ll4mi_QKV_mfma16_kernelIDF16_DF16_LN4vllm18Fp8KVCacheDataTypeE0EDF16_Li32ELi64ELi256ELb0ELi14EEvPKT_PKT0_S7_ifPKiS9_S9_iPKfiiiPfSC_PS2_PT2_iSB_SB_ ; -- Begin function _Z39paged_attention_ll4mi_QKV_mfma16_kernelIDF16_DF16_LN4vllm18Fp8KVCacheDataTypeE0EDF16_Li32ELi64ELi256ELb0ELi14EEvPKT_PKT0_S7_ifPKiS9_S9_iPKfiiiPfSC_PS2_PT2_iSB_SB_
	.globl	_Z39paged_attention_ll4mi_QKV_mfma16_kernelIDF16_DF16_LN4vllm18Fp8KVCacheDataTypeE0EDF16_Li32ELi64ELi256ELb0ELi14EEvPKT_PKT0_S7_ifPKiS9_S9_iPKfiiiPfSC_PS2_PT2_iSB_SB_
	.p2align	8
	.type	_Z39paged_attention_ll4mi_QKV_mfma16_kernelIDF16_DF16_LN4vllm18Fp8KVCacheDataTypeE0EDF16_Li32ELi64ELi256ELb0ELi14EEvPKT_PKT0_S7_ifPKiS9_S9_iPKfiiiPfSC_PS2_PT2_iSB_SB_,@function
_Z39paged_attention_ll4mi_QKV_mfma16_kernelIDF16_DF16_LN4vllm18Fp8KVCacheDataTypeE0EDF16_Li32ELi64ELi256ELb0ELi14EEvPKT_PKT0_S7_ifPKiS9_S9_iPKfiiiPfSC_PS2_PT2_iSB_SB_: ; @_Z39paged_attention_ll4mi_QKV_mfma16_kernelIDF16_DF16_LN4vllm18Fp8KVCacheDataTypeE0EDF16_Li32ELi64ELi256ELb0ELi14EEvPKT_PKT0_S7_ifPKiS9_S9_iPKfiiiPfSC_PS2_PT2_iSB_SB_
; %bb.0:
	s_get_pc_i64 s[2:3]
	s_add_nc_u64 s[2:3], s[2:3], __PRETTY_FUNCTION__._Z39paged_attention_ll4mi_QKV_mfma16_kernelIDF16_DF16_LN4vllm18Fp8KVCacheDataTypeE0EDF16_Li32ELi64ELi256ELb0ELi14EEvPKT_PKT0_S7_ifPKiS9_S9_iPKfiiiPfSC_PS2_PT2_iSB_SB_@rel64+4
	s_delay_alu instid0(SALU_CYCLE_1)
	v_dual_mov_b32 v0, 0xbb3 :: v_dual_mov_b32 v1, s2
	v_mov_b32_e32 v2, s3
	s_add_nc_u64 s[8:9], s[0:1], 0x90
	s_get_pc_i64 s[0:1]
	s_add_nc_u64 s[0:1], s[0:1], __assert_fail@rel64+4
	s_mov_b32 s32, 0
	s_swap_pc_i64 s[30:31], s[0:1]
	.section	.rodata,"a",@progbits
	.p2align	6, 0x0
	.amdhsa_kernel _Z39paged_attention_ll4mi_QKV_mfma16_kernelIDF16_DF16_LN4vllm18Fp8KVCacheDataTypeE0EDF16_Li32ELi64ELi256ELb0ELi14EEvPKT_PKT0_S7_ifPKiS9_S9_iPKfiiiPfSC_PS2_PT2_iSB_SB_
		.amdhsa_group_segment_fixed_size 0
		.amdhsa_private_segment_fixed_size 64
		.amdhsa_kernarg_size 400
		.amdhsa_user_sgpr_count 2
		.amdhsa_user_sgpr_dispatch_ptr 0
		.amdhsa_user_sgpr_queue_ptr 0
		.amdhsa_user_sgpr_kernarg_segment_ptr 1
		.amdhsa_user_sgpr_dispatch_id 0
		.amdhsa_user_sgpr_kernarg_preload_length 0
		.amdhsa_user_sgpr_kernarg_preload_offset 0
		.amdhsa_user_sgpr_private_segment_size 0
		.amdhsa_wavefront_size32 1
		.amdhsa_uses_dynamic_stack 0
		.amdhsa_enable_private_segment 1
		.amdhsa_system_sgpr_workgroup_id_x 1
		.amdhsa_system_sgpr_workgroup_id_y 0
		.amdhsa_system_sgpr_workgroup_id_z 0
		.amdhsa_system_sgpr_workgroup_info 0
		.amdhsa_system_vgpr_workitem_id 0
		.amdhsa_next_free_vgpr 51
		.amdhsa_next_free_sgpr 34
		.amdhsa_named_barrier_count 0
		.amdhsa_reserve_vcc 1
		.amdhsa_float_round_mode_32 0
		.amdhsa_float_round_mode_16_64 0
		.amdhsa_float_denorm_mode_32 3
		.amdhsa_float_denorm_mode_16_64 3
		.amdhsa_fp16_overflow 0
		.amdhsa_memory_ordered 1
		.amdhsa_forward_progress 1
		.amdhsa_inst_pref_size 1
		.amdhsa_round_robin_scheduling 0
		.amdhsa_exception_fp_ieee_invalid_op 0
		.amdhsa_exception_fp_denorm_src 0
		.amdhsa_exception_fp_ieee_div_zero 0
		.amdhsa_exception_fp_ieee_overflow 0
		.amdhsa_exception_fp_ieee_underflow 0
		.amdhsa_exception_fp_ieee_inexact 0
		.amdhsa_exception_int_div_zero 0
	.end_amdhsa_kernel
	.section	.text._Z39paged_attention_ll4mi_QKV_mfma16_kernelIDF16_DF16_LN4vllm18Fp8KVCacheDataTypeE0EDF16_Li32ELi64ELi256ELb0ELi14EEvPKT_PKT0_S7_ifPKiS9_S9_iPKfiiiPfSC_PS2_PT2_iSB_SB_,"axG",@progbits,_Z39paged_attention_ll4mi_QKV_mfma16_kernelIDF16_DF16_LN4vllm18Fp8KVCacheDataTypeE0EDF16_Li32ELi64ELi256ELb0ELi14EEvPKT_PKT0_S7_ifPKiS9_S9_iPKfiiiPfSC_PS2_PT2_iSB_SB_,comdat
.Lfunc_end187:
	.size	_Z39paged_attention_ll4mi_QKV_mfma16_kernelIDF16_DF16_LN4vllm18Fp8KVCacheDataTypeE0EDF16_Li32ELi64ELi256ELb0ELi14EEvPKT_PKT0_S7_ifPKiS9_S9_iPKfiiiPfSC_PS2_PT2_iSB_SB_, .Lfunc_end187-_Z39paged_attention_ll4mi_QKV_mfma16_kernelIDF16_DF16_LN4vllm18Fp8KVCacheDataTypeE0EDF16_Li32ELi64ELi256ELb0ELi14EEvPKT_PKT0_S7_ifPKiS9_S9_iPKfiiiPfSC_PS2_PT2_iSB_SB_
                                        ; -- End function
	.set _Z39paged_attention_ll4mi_QKV_mfma16_kernelIDF16_DF16_LN4vllm18Fp8KVCacheDataTypeE0EDF16_Li32ELi64ELi256ELb0ELi14EEvPKT_PKT0_S7_ifPKiS9_S9_iPKfiiiPfSC_PS2_PT2_iSB_SB_.num_vgpr, max(3, .L__assert_fail.num_vgpr)
	.set _Z39paged_attention_ll4mi_QKV_mfma16_kernelIDF16_DF16_LN4vllm18Fp8KVCacheDataTypeE0EDF16_Li32ELi64ELi256ELb0ELi14EEvPKT_PKT0_S7_ifPKiS9_S9_iPKfiiiPfSC_PS2_PT2_iSB_SB_.num_agpr, max(0, .L__assert_fail.num_agpr)
	.set _Z39paged_attention_ll4mi_QKV_mfma16_kernelIDF16_DF16_LN4vllm18Fp8KVCacheDataTypeE0EDF16_Li32ELi64ELi256ELb0ELi14EEvPKT_PKT0_S7_ifPKiS9_S9_iPKfiiiPfSC_PS2_PT2_iSB_SB_.numbered_sgpr, max(33, .L__assert_fail.numbered_sgpr)
	.set _Z39paged_attention_ll4mi_QKV_mfma16_kernelIDF16_DF16_LN4vllm18Fp8KVCacheDataTypeE0EDF16_Li32ELi64ELi256ELb0ELi14EEvPKT_PKT0_S7_ifPKiS9_S9_iPKfiiiPfSC_PS2_PT2_iSB_SB_.num_named_barrier, max(0, .L__assert_fail.num_named_barrier)
	.set _Z39paged_attention_ll4mi_QKV_mfma16_kernelIDF16_DF16_LN4vllm18Fp8KVCacheDataTypeE0EDF16_Li32ELi64ELi256ELb0ELi14EEvPKT_PKT0_S7_ifPKiS9_S9_iPKfiiiPfSC_PS2_PT2_iSB_SB_.private_seg_size, 0+max(.L__assert_fail.private_seg_size)
	.set _Z39paged_attention_ll4mi_QKV_mfma16_kernelIDF16_DF16_LN4vllm18Fp8KVCacheDataTypeE0EDF16_Li32ELi64ELi256ELb0ELi14EEvPKT_PKT0_S7_ifPKiS9_S9_iPKfiiiPfSC_PS2_PT2_iSB_SB_.uses_vcc, or(1, .L__assert_fail.uses_vcc)
	.set _Z39paged_attention_ll4mi_QKV_mfma16_kernelIDF16_DF16_LN4vllm18Fp8KVCacheDataTypeE0EDF16_Li32ELi64ELi256ELb0ELi14EEvPKT_PKT0_S7_ifPKiS9_S9_iPKfiiiPfSC_PS2_PT2_iSB_SB_.uses_flat_scratch, or(0, .L__assert_fail.uses_flat_scratch)
	.set _Z39paged_attention_ll4mi_QKV_mfma16_kernelIDF16_DF16_LN4vllm18Fp8KVCacheDataTypeE0EDF16_Li32ELi64ELi256ELb0ELi14EEvPKT_PKT0_S7_ifPKiS9_S9_iPKfiiiPfSC_PS2_PT2_iSB_SB_.has_dyn_sized_stack, or(0, .L__assert_fail.has_dyn_sized_stack)
	.set _Z39paged_attention_ll4mi_QKV_mfma16_kernelIDF16_DF16_LN4vllm18Fp8KVCacheDataTypeE0EDF16_Li32ELi64ELi256ELb0ELi14EEvPKT_PKT0_S7_ifPKiS9_S9_iPKfiiiPfSC_PS2_PT2_iSB_SB_.has_recursion, or(0, .L__assert_fail.has_recursion)
	.set _Z39paged_attention_ll4mi_QKV_mfma16_kernelIDF16_DF16_LN4vllm18Fp8KVCacheDataTypeE0EDF16_Li32ELi64ELi256ELb0ELi14EEvPKT_PKT0_S7_ifPKiS9_S9_iPKfiiiPfSC_PS2_PT2_iSB_SB_.has_indirect_call, or(0, .L__assert_fail.has_indirect_call)
	.section	.AMDGPU.csdata,"",@progbits
; Kernel info:
; codeLenInByte = 68
; TotalNumSgprs: 36
; NumVgprs: 51
; ScratchSize: 64
; MemoryBound: 0
; FloatMode: 240
; IeeeMode: 1
; LDSByteSize: 0 bytes/workgroup (compile time only)
; SGPRBlocks: 0
; VGPRBlocks: 3
; NumSGPRsForWavesPerEU: 36
; NumVGPRsForWavesPerEU: 51
; NamedBarCnt: 0
; Occupancy: 16
; WaveLimiterHint : 1
; COMPUTE_PGM_RSRC2:SCRATCH_EN: 1
; COMPUTE_PGM_RSRC2:USER_SGPR: 2
; COMPUTE_PGM_RSRC2:TRAP_HANDLER: 0
; COMPUTE_PGM_RSRC2:TGID_X_EN: 1
; COMPUTE_PGM_RSRC2:TGID_Y_EN: 0
; COMPUTE_PGM_RSRC2:TGID_Z_EN: 0
; COMPUTE_PGM_RSRC2:TIDIG_COMP_CNT: 0
	.section	.text._Z39paged_attention_ll4mi_QKV_mfma16_kernelIDF16_DF16_LN4vllm18Fp8KVCacheDataTypeE0EDF16_Li32ELi64ELi256ELb0ELi15EEvPKT_PKT0_S7_ifPKiS9_S9_iPKfiiiPfSC_PS2_PT2_iSB_SB_,"axG",@progbits,_Z39paged_attention_ll4mi_QKV_mfma16_kernelIDF16_DF16_LN4vllm18Fp8KVCacheDataTypeE0EDF16_Li32ELi64ELi256ELb0ELi15EEvPKT_PKT0_S7_ifPKiS9_S9_iPKfiiiPfSC_PS2_PT2_iSB_SB_,comdat
	.protected	_Z39paged_attention_ll4mi_QKV_mfma16_kernelIDF16_DF16_LN4vllm18Fp8KVCacheDataTypeE0EDF16_Li32ELi64ELi256ELb0ELi15EEvPKT_PKT0_S7_ifPKiS9_S9_iPKfiiiPfSC_PS2_PT2_iSB_SB_ ; -- Begin function _Z39paged_attention_ll4mi_QKV_mfma16_kernelIDF16_DF16_LN4vllm18Fp8KVCacheDataTypeE0EDF16_Li32ELi64ELi256ELb0ELi15EEvPKT_PKT0_S7_ifPKiS9_S9_iPKfiiiPfSC_PS2_PT2_iSB_SB_
	.globl	_Z39paged_attention_ll4mi_QKV_mfma16_kernelIDF16_DF16_LN4vllm18Fp8KVCacheDataTypeE0EDF16_Li32ELi64ELi256ELb0ELi15EEvPKT_PKT0_S7_ifPKiS9_S9_iPKfiiiPfSC_PS2_PT2_iSB_SB_
	.p2align	8
	.type	_Z39paged_attention_ll4mi_QKV_mfma16_kernelIDF16_DF16_LN4vllm18Fp8KVCacheDataTypeE0EDF16_Li32ELi64ELi256ELb0ELi15EEvPKT_PKT0_S7_ifPKiS9_S9_iPKfiiiPfSC_PS2_PT2_iSB_SB_,@function
_Z39paged_attention_ll4mi_QKV_mfma16_kernelIDF16_DF16_LN4vllm18Fp8KVCacheDataTypeE0EDF16_Li32ELi64ELi256ELb0ELi15EEvPKT_PKT0_S7_ifPKiS9_S9_iPKfiiiPfSC_PS2_PT2_iSB_SB_: ; @_Z39paged_attention_ll4mi_QKV_mfma16_kernelIDF16_DF16_LN4vllm18Fp8KVCacheDataTypeE0EDF16_Li32ELi64ELi256ELb0ELi15EEvPKT_PKT0_S7_ifPKiS9_S9_iPKfiiiPfSC_PS2_PT2_iSB_SB_
; %bb.0:
	s_get_pc_i64 s[2:3]
	s_add_nc_u64 s[2:3], s[2:3], __PRETTY_FUNCTION__._Z39paged_attention_ll4mi_QKV_mfma16_kernelIDF16_DF16_LN4vllm18Fp8KVCacheDataTypeE0EDF16_Li32ELi64ELi256ELb0ELi15EEvPKT_PKT0_S7_ifPKiS9_S9_iPKfiiiPfSC_PS2_PT2_iSB_SB_@rel64+4
	s_delay_alu instid0(SALU_CYCLE_1)
	v_dual_mov_b32 v0, 0xbb3 :: v_dual_mov_b32 v1, s2
	v_mov_b32_e32 v2, s3
	s_add_nc_u64 s[8:9], s[0:1], 0x90
	s_get_pc_i64 s[0:1]
	s_add_nc_u64 s[0:1], s[0:1], __assert_fail@rel64+4
	s_mov_b32 s32, 0
	s_swap_pc_i64 s[30:31], s[0:1]
	.section	.rodata,"a",@progbits
	.p2align	6, 0x0
	.amdhsa_kernel _Z39paged_attention_ll4mi_QKV_mfma16_kernelIDF16_DF16_LN4vllm18Fp8KVCacheDataTypeE0EDF16_Li32ELi64ELi256ELb0ELi15EEvPKT_PKT0_S7_ifPKiS9_S9_iPKfiiiPfSC_PS2_PT2_iSB_SB_
		.amdhsa_group_segment_fixed_size 0
		.amdhsa_private_segment_fixed_size 64
		.amdhsa_kernarg_size 400
		.amdhsa_user_sgpr_count 2
		.amdhsa_user_sgpr_dispatch_ptr 0
		.amdhsa_user_sgpr_queue_ptr 0
		.amdhsa_user_sgpr_kernarg_segment_ptr 1
		.amdhsa_user_sgpr_dispatch_id 0
		.amdhsa_user_sgpr_kernarg_preload_length 0
		.amdhsa_user_sgpr_kernarg_preload_offset 0
		.amdhsa_user_sgpr_private_segment_size 0
		.amdhsa_wavefront_size32 1
		.amdhsa_uses_dynamic_stack 0
		.amdhsa_enable_private_segment 1
		.amdhsa_system_sgpr_workgroup_id_x 1
		.amdhsa_system_sgpr_workgroup_id_y 0
		.amdhsa_system_sgpr_workgroup_id_z 0
		.amdhsa_system_sgpr_workgroup_info 0
		.amdhsa_system_vgpr_workitem_id 0
		.amdhsa_next_free_vgpr 51
		.amdhsa_next_free_sgpr 34
		.amdhsa_named_barrier_count 0
		.amdhsa_reserve_vcc 1
		.amdhsa_float_round_mode_32 0
		.amdhsa_float_round_mode_16_64 0
		.amdhsa_float_denorm_mode_32 3
		.amdhsa_float_denorm_mode_16_64 3
		.amdhsa_fp16_overflow 0
		.amdhsa_memory_ordered 1
		.amdhsa_forward_progress 1
		.amdhsa_inst_pref_size 1
		.amdhsa_round_robin_scheduling 0
		.amdhsa_exception_fp_ieee_invalid_op 0
		.amdhsa_exception_fp_denorm_src 0
		.amdhsa_exception_fp_ieee_div_zero 0
		.amdhsa_exception_fp_ieee_overflow 0
		.amdhsa_exception_fp_ieee_underflow 0
		.amdhsa_exception_fp_ieee_inexact 0
		.amdhsa_exception_int_div_zero 0
	.end_amdhsa_kernel
	.section	.text._Z39paged_attention_ll4mi_QKV_mfma16_kernelIDF16_DF16_LN4vllm18Fp8KVCacheDataTypeE0EDF16_Li32ELi64ELi256ELb0ELi15EEvPKT_PKT0_S7_ifPKiS9_S9_iPKfiiiPfSC_PS2_PT2_iSB_SB_,"axG",@progbits,_Z39paged_attention_ll4mi_QKV_mfma16_kernelIDF16_DF16_LN4vllm18Fp8KVCacheDataTypeE0EDF16_Li32ELi64ELi256ELb0ELi15EEvPKT_PKT0_S7_ifPKiS9_S9_iPKfiiiPfSC_PS2_PT2_iSB_SB_,comdat
.Lfunc_end188:
	.size	_Z39paged_attention_ll4mi_QKV_mfma16_kernelIDF16_DF16_LN4vllm18Fp8KVCacheDataTypeE0EDF16_Li32ELi64ELi256ELb0ELi15EEvPKT_PKT0_S7_ifPKiS9_S9_iPKfiiiPfSC_PS2_PT2_iSB_SB_, .Lfunc_end188-_Z39paged_attention_ll4mi_QKV_mfma16_kernelIDF16_DF16_LN4vllm18Fp8KVCacheDataTypeE0EDF16_Li32ELi64ELi256ELb0ELi15EEvPKT_PKT0_S7_ifPKiS9_S9_iPKfiiiPfSC_PS2_PT2_iSB_SB_
                                        ; -- End function
	.set _Z39paged_attention_ll4mi_QKV_mfma16_kernelIDF16_DF16_LN4vllm18Fp8KVCacheDataTypeE0EDF16_Li32ELi64ELi256ELb0ELi15EEvPKT_PKT0_S7_ifPKiS9_S9_iPKfiiiPfSC_PS2_PT2_iSB_SB_.num_vgpr, max(3, .L__assert_fail.num_vgpr)
	.set _Z39paged_attention_ll4mi_QKV_mfma16_kernelIDF16_DF16_LN4vllm18Fp8KVCacheDataTypeE0EDF16_Li32ELi64ELi256ELb0ELi15EEvPKT_PKT0_S7_ifPKiS9_S9_iPKfiiiPfSC_PS2_PT2_iSB_SB_.num_agpr, max(0, .L__assert_fail.num_agpr)
	.set _Z39paged_attention_ll4mi_QKV_mfma16_kernelIDF16_DF16_LN4vllm18Fp8KVCacheDataTypeE0EDF16_Li32ELi64ELi256ELb0ELi15EEvPKT_PKT0_S7_ifPKiS9_S9_iPKfiiiPfSC_PS2_PT2_iSB_SB_.numbered_sgpr, max(33, .L__assert_fail.numbered_sgpr)
	.set _Z39paged_attention_ll4mi_QKV_mfma16_kernelIDF16_DF16_LN4vllm18Fp8KVCacheDataTypeE0EDF16_Li32ELi64ELi256ELb0ELi15EEvPKT_PKT0_S7_ifPKiS9_S9_iPKfiiiPfSC_PS2_PT2_iSB_SB_.num_named_barrier, max(0, .L__assert_fail.num_named_barrier)
	.set _Z39paged_attention_ll4mi_QKV_mfma16_kernelIDF16_DF16_LN4vllm18Fp8KVCacheDataTypeE0EDF16_Li32ELi64ELi256ELb0ELi15EEvPKT_PKT0_S7_ifPKiS9_S9_iPKfiiiPfSC_PS2_PT2_iSB_SB_.private_seg_size, 0+max(.L__assert_fail.private_seg_size)
	.set _Z39paged_attention_ll4mi_QKV_mfma16_kernelIDF16_DF16_LN4vllm18Fp8KVCacheDataTypeE0EDF16_Li32ELi64ELi256ELb0ELi15EEvPKT_PKT0_S7_ifPKiS9_S9_iPKfiiiPfSC_PS2_PT2_iSB_SB_.uses_vcc, or(1, .L__assert_fail.uses_vcc)
	.set _Z39paged_attention_ll4mi_QKV_mfma16_kernelIDF16_DF16_LN4vllm18Fp8KVCacheDataTypeE0EDF16_Li32ELi64ELi256ELb0ELi15EEvPKT_PKT0_S7_ifPKiS9_S9_iPKfiiiPfSC_PS2_PT2_iSB_SB_.uses_flat_scratch, or(0, .L__assert_fail.uses_flat_scratch)
	.set _Z39paged_attention_ll4mi_QKV_mfma16_kernelIDF16_DF16_LN4vllm18Fp8KVCacheDataTypeE0EDF16_Li32ELi64ELi256ELb0ELi15EEvPKT_PKT0_S7_ifPKiS9_S9_iPKfiiiPfSC_PS2_PT2_iSB_SB_.has_dyn_sized_stack, or(0, .L__assert_fail.has_dyn_sized_stack)
	.set _Z39paged_attention_ll4mi_QKV_mfma16_kernelIDF16_DF16_LN4vllm18Fp8KVCacheDataTypeE0EDF16_Li32ELi64ELi256ELb0ELi15EEvPKT_PKT0_S7_ifPKiS9_S9_iPKfiiiPfSC_PS2_PT2_iSB_SB_.has_recursion, or(0, .L__assert_fail.has_recursion)
	.set _Z39paged_attention_ll4mi_QKV_mfma16_kernelIDF16_DF16_LN4vllm18Fp8KVCacheDataTypeE0EDF16_Li32ELi64ELi256ELb0ELi15EEvPKT_PKT0_S7_ifPKiS9_S9_iPKfiiiPfSC_PS2_PT2_iSB_SB_.has_indirect_call, or(0, .L__assert_fail.has_indirect_call)
	.section	.AMDGPU.csdata,"",@progbits
; Kernel info:
; codeLenInByte = 68
; TotalNumSgprs: 36
; NumVgprs: 51
; ScratchSize: 64
; MemoryBound: 0
; FloatMode: 240
; IeeeMode: 1
; LDSByteSize: 0 bytes/workgroup (compile time only)
; SGPRBlocks: 0
; VGPRBlocks: 3
; NumSGPRsForWavesPerEU: 36
; NumVGPRsForWavesPerEU: 51
; NamedBarCnt: 0
; Occupancy: 16
; WaveLimiterHint : 1
; COMPUTE_PGM_RSRC2:SCRATCH_EN: 1
; COMPUTE_PGM_RSRC2:USER_SGPR: 2
; COMPUTE_PGM_RSRC2:TRAP_HANDLER: 0
; COMPUTE_PGM_RSRC2:TGID_X_EN: 1
; COMPUTE_PGM_RSRC2:TGID_Y_EN: 0
; COMPUTE_PGM_RSRC2:TGID_Z_EN: 0
; COMPUTE_PGM_RSRC2:TIDIG_COMP_CNT: 0
	.section	.text._Z39paged_attention_ll4mi_QKV_mfma16_kernelIDF16_DF16_LN4vllm18Fp8KVCacheDataTypeE0EDF16_Li32ELi64ELi256ELb0ELi16EEvPKT_PKT0_S7_ifPKiS9_S9_iPKfiiiPfSC_PS2_PT2_iSB_SB_,"axG",@progbits,_Z39paged_attention_ll4mi_QKV_mfma16_kernelIDF16_DF16_LN4vllm18Fp8KVCacheDataTypeE0EDF16_Li32ELi64ELi256ELb0ELi16EEvPKT_PKT0_S7_ifPKiS9_S9_iPKfiiiPfSC_PS2_PT2_iSB_SB_,comdat
	.protected	_Z39paged_attention_ll4mi_QKV_mfma16_kernelIDF16_DF16_LN4vllm18Fp8KVCacheDataTypeE0EDF16_Li32ELi64ELi256ELb0ELi16EEvPKT_PKT0_S7_ifPKiS9_S9_iPKfiiiPfSC_PS2_PT2_iSB_SB_ ; -- Begin function _Z39paged_attention_ll4mi_QKV_mfma16_kernelIDF16_DF16_LN4vllm18Fp8KVCacheDataTypeE0EDF16_Li32ELi64ELi256ELb0ELi16EEvPKT_PKT0_S7_ifPKiS9_S9_iPKfiiiPfSC_PS2_PT2_iSB_SB_
	.globl	_Z39paged_attention_ll4mi_QKV_mfma16_kernelIDF16_DF16_LN4vllm18Fp8KVCacheDataTypeE0EDF16_Li32ELi64ELi256ELb0ELi16EEvPKT_PKT0_S7_ifPKiS9_S9_iPKfiiiPfSC_PS2_PT2_iSB_SB_
	.p2align	8
	.type	_Z39paged_attention_ll4mi_QKV_mfma16_kernelIDF16_DF16_LN4vllm18Fp8KVCacheDataTypeE0EDF16_Li32ELi64ELi256ELb0ELi16EEvPKT_PKT0_S7_ifPKiS9_S9_iPKfiiiPfSC_PS2_PT2_iSB_SB_,@function
_Z39paged_attention_ll4mi_QKV_mfma16_kernelIDF16_DF16_LN4vllm18Fp8KVCacheDataTypeE0EDF16_Li32ELi64ELi256ELb0ELi16EEvPKT_PKT0_S7_ifPKiS9_S9_iPKfiiiPfSC_PS2_PT2_iSB_SB_: ; @_Z39paged_attention_ll4mi_QKV_mfma16_kernelIDF16_DF16_LN4vllm18Fp8KVCacheDataTypeE0EDF16_Li32ELi64ELi256ELb0ELi16EEvPKT_PKT0_S7_ifPKiS9_S9_iPKfiiiPfSC_PS2_PT2_iSB_SB_
; %bb.0:
	s_get_pc_i64 s[2:3]
	s_add_nc_u64 s[2:3], s[2:3], __PRETTY_FUNCTION__._Z39paged_attention_ll4mi_QKV_mfma16_kernelIDF16_DF16_LN4vllm18Fp8KVCacheDataTypeE0EDF16_Li32ELi64ELi256ELb0ELi16EEvPKT_PKT0_S7_ifPKiS9_S9_iPKfiiiPfSC_PS2_PT2_iSB_SB_@rel64+4
	s_delay_alu instid0(SALU_CYCLE_1)
	v_dual_mov_b32 v0, 0xbb3 :: v_dual_mov_b32 v1, s2
	v_mov_b32_e32 v2, s3
	s_add_nc_u64 s[8:9], s[0:1], 0x90
	s_get_pc_i64 s[0:1]
	s_add_nc_u64 s[0:1], s[0:1], __assert_fail@rel64+4
	s_mov_b32 s32, 0
	s_swap_pc_i64 s[30:31], s[0:1]
	.section	.rodata,"a",@progbits
	.p2align	6, 0x0
	.amdhsa_kernel _Z39paged_attention_ll4mi_QKV_mfma16_kernelIDF16_DF16_LN4vllm18Fp8KVCacheDataTypeE0EDF16_Li32ELi64ELi256ELb0ELi16EEvPKT_PKT0_S7_ifPKiS9_S9_iPKfiiiPfSC_PS2_PT2_iSB_SB_
		.amdhsa_group_segment_fixed_size 0
		.amdhsa_private_segment_fixed_size 64
		.amdhsa_kernarg_size 400
		.amdhsa_user_sgpr_count 2
		.amdhsa_user_sgpr_dispatch_ptr 0
		.amdhsa_user_sgpr_queue_ptr 0
		.amdhsa_user_sgpr_kernarg_segment_ptr 1
		.amdhsa_user_sgpr_dispatch_id 0
		.amdhsa_user_sgpr_kernarg_preload_length 0
		.amdhsa_user_sgpr_kernarg_preload_offset 0
		.amdhsa_user_sgpr_private_segment_size 0
		.amdhsa_wavefront_size32 1
		.amdhsa_uses_dynamic_stack 0
		.amdhsa_enable_private_segment 1
		.amdhsa_system_sgpr_workgroup_id_x 1
		.amdhsa_system_sgpr_workgroup_id_y 0
		.amdhsa_system_sgpr_workgroup_id_z 0
		.amdhsa_system_sgpr_workgroup_info 0
		.amdhsa_system_vgpr_workitem_id 0
		.amdhsa_next_free_vgpr 51
		.amdhsa_next_free_sgpr 34
		.amdhsa_named_barrier_count 0
		.amdhsa_reserve_vcc 1
		.amdhsa_float_round_mode_32 0
		.amdhsa_float_round_mode_16_64 0
		.amdhsa_float_denorm_mode_32 3
		.amdhsa_float_denorm_mode_16_64 3
		.amdhsa_fp16_overflow 0
		.amdhsa_memory_ordered 1
		.amdhsa_forward_progress 1
		.amdhsa_inst_pref_size 1
		.amdhsa_round_robin_scheduling 0
		.amdhsa_exception_fp_ieee_invalid_op 0
		.amdhsa_exception_fp_denorm_src 0
		.amdhsa_exception_fp_ieee_div_zero 0
		.amdhsa_exception_fp_ieee_overflow 0
		.amdhsa_exception_fp_ieee_underflow 0
		.amdhsa_exception_fp_ieee_inexact 0
		.amdhsa_exception_int_div_zero 0
	.end_amdhsa_kernel
	.section	.text._Z39paged_attention_ll4mi_QKV_mfma16_kernelIDF16_DF16_LN4vllm18Fp8KVCacheDataTypeE0EDF16_Li32ELi64ELi256ELb0ELi16EEvPKT_PKT0_S7_ifPKiS9_S9_iPKfiiiPfSC_PS2_PT2_iSB_SB_,"axG",@progbits,_Z39paged_attention_ll4mi_QKV_mfma16_kernelIDF16_DF16_LN4vllm18Fp8KVCacheDataTypeE0EDF16_Li32ELi64ELi256ELb0ELi16EEvPKT_PKT0_S7_ifPKiS9_S9_iPKfiiiPfSC_PS2_PT2_iSB_SB_,comdat
.Lfunc_end189:
	.size	_Z39paged_attention_ll4mi_QKV_mfma16_kernelIDF16_DF16_LN4vllm18Fp8KVCacheDataTypeE0EDF16_Li32ELi64ELi256ELb0ELi16EEvPKT_PKT0_S7_ifPKiS9_S9_iPKfiiiPfSC_PS2_PT2_iSB_SB_, .Lfunc_end189-_Z39paged_attention_ll4mi_QKV_mfma16_kernelIDF16_DF16_LN4vllm18Fp8KVCacheDataTypeE0EDF16_Li32ELi64ELi256ELb0ELi16EEvPKT_PKT0_S7_ifPKiS9_S9_iPKfiiiPfSC_PS2_PT2_iSB_SB_
                                        ; -- End function
	.set _Z39paged_attention_ll4mi_QKV_mfma16_kernelIDF16_DF16_LN4vllm18Fp8KVCacheDataTypeE0EDF16_Li32ELi64ELi256ELb0ELi16EEvPKT_PKT0_S7_ifPKiS9_S9_iPKfiiiPfSC_PS2_PT2_iSB_SB_.num_vgpr, max(3, .L__assert_fail.num_vgpr)
	.set _Z39paged_attention_ll4mi_QKV_mfma16_kernelIDF16_DF16_LN4vllm18Fp8KVCacheDataTypeE0EDF16_Li32ELi64ELi256ELb0ELi16EEvPKT_PKT0_S7_ifPKiS9_S9_iPKfiiiPfSC_PS2_PT2_iSB_SB_.num_agpr, max(0, .L__assert_fail.num_agpr)
	.set _Z39paged_attention_ll4mi_QKV_mfma16_kernelIDF16_DF16_LN4vllm18Fp8KVCacheDataTypeE0EDF16_Li32ELi64ELi256ELb0ELi16EEvPKT_PKT0_S7_ifPKiS9_S9_iPKfiiiPfSC_PS2_PT2_iSB_SB_.numbered_sgpr, max(33, .L__assert_fail.numbered_sgpr)
	.set _Z39paged_attention_ll4mi_QKV_mfma16_kernelIDF16_DF16_LN4vllm18Fp8KVCacheDataTypeE0EDF16_Li32ELi64ELi256ELb0ELi16EEvPKT_PKT0_S7_ifPKiS9_S9_iPKfiiiPfSC_PS2_PT2_iSB_SB_.num_named_barrier, max(0, .L__assert_fail.num_named_barrier)
	.set _Z39paged_attention_ll4mi_QKV_mfma16_kernelIDF16_DF16_LN4vllm18Fp8KVCacheDataTypeE0EDF16_Li32ELi64ELi256ELb0ELi16EEvPKT_PKT0_S7_ifPKiS9_S9_iPKfiiiPfSC_PS2_PT2_iSB_SB_.private_seg_size, 0+max(.L__assert_fail.private_seg_size)
	.set _Z39paged_attention_ll4mi_QKV_mfma16_kernelIDF16_DF16_LN4vllm18Fp8KVCacheDataTypeE0EDF16_Li32ELi64ELi256ELb0ELi16EEvPKT_PKT0_S7_ifPKiS9_S9_iPKfiiiPfSC_PS2_PT2_iSB_SB_.uses_vcc, or(1, .L__assert_fail.uses_vcc)
	.set _Z39paged_attention_ll4mi_QKV_mfma16_kernelIDF16_DF16_LN4vllm18Fp8KVCacheDataTypeE0EDF16_Li32ELi64ELi256ELb0ELi16EEvPKT_PKT0_S7_ifPKiS9_S9_iPKfiiiPfSC_PS2_PT2_iSB_SB_.uses_flat_scratch, or(0, .L__assert_fail.uses_flat_scratch)
	.set _Z39paged_attention_ll4mi_QKV_mfma16_kernelIDF16_DF16_LN4vllm18Fp8KVCacheDataTypeE0EDF16_Li32ELi64ELi256ELb0ELi16EEvPKT_PKT0_S7_ifPKiS9_S9_iPKfiiiPfSC_PS2_PT2_iSB_SB_.has_dyn_sized_stack, or(0, .L__assert_fail.has_dyn_sized_stack)
	.set _Z39paged_attention_ll4mi_QKV_mfma16_kernelIDF16_DF16_LN4vllm18Fp8KVCacheDataTypeE0EDF16_Li32ELi64ELi256ELb0ELi16EEvPKT_PKT0_S7_ifPKiS9_S9_iPKfiiiPfSC_PS2_PT2_iSB_SB_.has_recursion, or(0, .L__assert_fail.has_recursion)
	.set _Z39paged_attention_ll4mi_QKV_mfma16_kernelIDF16_DF16_LN4vllm18Fp8KVCacheDataTypeE0EDF16_Li32ELi64ELi256ELb0ELi16EEvPKT_PKT0_S7_ifPKiS9_S9_iPKfiiiPfSC_PS2_PT2_iSB_SB_.has_indirect_call, or(0, .L__assert_fail.has_indirect_call)
	.section	.AMDGPU.csdata,"",@progbits
; Kernel info:
; codeLenInByte = 68
; TotalNumSgprs: 36
; NumVgprs: 51
; ScratchSize: 64
; MemoryBound: 0
; FloatMode: 240
; IeeeMode: 1
; LDSByteSize: 0 bytes/workgroup (compile time only)
; SGPRBlocks: 0
; VGPRBlocks: 3
; NumSGPRsForWavesPerEU: 36
; NumVGPRsForWavesPerEU: 51
; NamedBarCnt: 0
; Occupancy: 16
; WaveLimiterHint : 1
; COMPUTE_PGM_RSRC2:SCRATCH_EN: 1
; COMPUTE_PGM_RSRC2:USER_SGPR: 2
; COMPUTE_PGM_RSRC2:TRAP_HANDLER: 0
; COMPUTE_PGM_RSRC2:TGID_X_EN: 1
; COMPUTE_PGM_RSRC2:TGID_Y_EN: 0
; COMPUTE_PGM_RSRC2:TGID_Z_EN: 0
; COMPUTE_PGM_RSRC2:TIDIG_COMP_CNT: 0
	.section	.text._Z39paged_attention_ll4mi_QKV_mfma16_kernelIDF16_DF16_LN4vllm18Fp8KVCacheDataTypeE0EDF16_Li32ELi64ELi256ELb0ELi1EEvPKT_PKT0_S7_ifPKiS9_S9_iPKfiiiPfSC_PS2_PT2_iSB_SB_,"axG",@progbits,_Z39paged_attention_ll4mi_QKV_mfma16_kernelIDF16_DF16_LN4vllm18Fp8KVCacheDataTypeE0EDF16_Li32ELi64ELi256ELb0ELi1EEvPKT_PKT0_S7_ifPKiS9_S9_iPKfiiiPfSC_PS2_PT2_iSB_SB_,comdat
	.protected	_Z39paged_attention_ll4mi_QKV_mfma16_kernelIDF16_DF16_LN4vllm18Fp8KVCacheDataTypeE0EDF16_Li32ELi64ELi256ELb0ELi1EEvPKT_PKT0_S7_ifPKiS9_S9_iPKfiiiPfSC_PS2_PT2_iSB_SB_ ; -- Begin function _Z39paged_attention_ll4mi_QKV_mfma16_kernelIDF16_DF16_LN4vllm18Fp8KVCacheDataTypeE0EDF16_Li32ELi64ELi256ELb0ELi1EEvPKT_PKT0_S7_ifPKiS9_S9_iPKfiiiPfSC_PS2_PT2_iSB_SB_
	.globl	_Z39paged_attention_ll4mi_QKV_mfma16_kernelIDF16_DF16_LN4vllm18Fp8KVCacheDataTypeE0EDF16_Li32ELi64ELi256ELb0ELi1EEvPKT_PKT0_S7_ifPKiS9_S9_iPKfiiiPfSC_PS2_PT2_iSB_SB_
	.p2align	8
	.type	_Z39paged_attention_ll4mi_QKV_mfma16_kernelIDF16_DF16_LN4vllm18Fp8KVCacheDataTypeE0EDF16_Li32ELi64ELi256ELb0ELi1EEvPKT_PKT0_S7_ifPKiS9_S9_iPKfiiiPfSC_PS2_PT2_iSB_SB_,@function
_Z39paged_attention_ll4mi_QKV_mfma16_kernelIDF16_DF16_LN4vllm18Fp8KVCacheDataTypeE0EDF16_Li32ELi64ELi256ELb0ELi1EEvPKT_PKT0_S7_ifPKiS9_S9_iPKfiiiPfSC_PS2_PT2_iSB_SB_: ; @_Z39paged_attention_ll4mi_QKV_mfma16_kernelIDF16_DF16_LN4vllm18Fp8KVCacheDataTypeE0EDF16_Li32ELi64ELi256ELb0ELi1EEvPKT_PKT0_S7_ifPKiS9_S9_iPKfiiiPfSC_PS2_PT2_iSB_SB_
; %bb.0:
	s_get_pc_i64 s[2:3]
	s_add_nc_u64 s[2:3], s[2:3], __PRETTY_FUNCTION__._Z39paged_attention_ll4mi_QKV_mfma16_kernelIDF16_DF16_LN4vllm18Fp8KVCacheDataTypeE0EDF16_Li32ELi64ELi256ELb0ELi1EEvPKT_PKT0_S7_ifPKiS9_S9_iPKfiiiPfSC_PS2_PT2_iSB_SB_@rel64+4
	s_delay_alu instid0(SALU_CYCLE_1)
	v_dual_mov_b32 v0, 0xbb3 :: v_dual_mov_b32 v1, s2
	v_mov_b32_e32 v2, s3
	s_add_nc_u64 s[8:9], s[0:1], 0x90
	s_get_pc_i64 s[0:1]
	s_add_nc_u64 s[0:1], s[0:1], __assert_fail@rel64+4
	s_mov_b32 s32, 0
	s_swap_pc_i64 s[30:31], s[0:1]
	.section	.rodata,"a",@progbits
	.p2align	6, 0x0
	.amdhsa_kernel _Z39paged_attention_ll4mi_QKV_mfma16_kernelIDF16_DF16_LN4vllm18Fp8KVCacheDataTypeE0EDF16_Li32ELi64ELi256ELb0ELi1EEvPKT_PKT0_S7_ifPKiS9_S9_iPKfiiiPfSC_PS2_PT2_iSB_SB_
		.amdhsa_group_segment_fixed_size 0
		.amdhsa_private_segment_fixed_size 64
		.amdhsa_kernarg_size 400
		.amdhsa_user_sgpr_count 2
		.amdhsa_user_sgpr_dispatch_ptr 0
		.amdhsa_user_sgpr_queue_ptr 0
		.amdhsa_user_sgpr_kernarg_segment_ptr 1
		.amdhsa_user_sgpr_dispatch_id 0
		.amdhsa_user_sgpr_kernarg_preload_length 0
		.amdhsa_user_sgpr_kernarg_preload_offset 0
		.amdhsa_user_sgpr_private_segment_size 0
		.amdhsa_wavefront_size32 1
		.amdhsa_uses_dynamic_stack 0
		.amdhsa_enable_private_segment 1
		.amdhsa_system_sgpr_workgroup_id_x 1
		.amdhsa_system_sgpr_workgroup_id_y 0
		.amdhsa_system_sgpr_workgroup_id_z 0
		.amdhsa_system_sgpr_workgroup_info 0
		.amdhsa_system_vgpr_workitem_id 0
		.amdhsa_next_free_vgpr 51
		.amdhsa_next_free_sgpr 34
		.amdhsa_named_barrier_count 0
		.amdhsa_reserve_vcc 1
		.amdhsa_float_round_mode_32 0
		.amdhsa_float_round_mode_16_64 0
		.amdhsa_float_denorm_mode_32 3
		.amdhsa_float_denorm_mode_16_64 3
		.amdhsa_fp16_overflow 0
		.amdhsa_memory_ordered 1
		.amdhsa_forward_progress 1
		.amdhsa_inst_pref_size 1
		.amdhsa_round_robin_scheduling 0
		.amdhsa_exception_fp_ieee_invalid_op 0
		.amdhsa_exception_fp_denorm_src 0
		.amdhsa_exception_fp_ieee_div_zero 0
		.amdhsa_exception_fp_ieee_overflow 0
		.amdhsa_exception_fp_ieee_underflow 0
		.amdhsa_exception_fp_ieee_inexact 0
		.amdhsa_exception_int_div_zero 0
	.end_amdhsa_kernel
	.section	.text._Z39paged_attention_ll4mi_QKV_mfma16_kernelIDF16_DF16_LN4vllm18Fp8KVCacheDataTypeE0EDF16_Li32ELi64ELi256ELb0ELi1EEvPKT_PKT0_S7_ifPKiS9_S9_iPKfiiiPfSC_PS2_PT2_iSB_SB_,"axG",@progbits,_Z39paged_attention_ll4mi_QKV_mfma16_kernelIDF16_DF16_LN4vllm18Fp8KVCacheDataTypeE0EDF16_Li32ELi64ELi256ELb0ELi1EEvPKT_PKT0_S7_ifPKiS9_S9_iPKfiiiPfSC_PS2_PT2_iSB_SB_,comdat
.Lfunc_end190:
	.size	_Z39paged_attention_ll4mi_QKV_mfma16_kernelIDF16_DF16_LN4vllm18Fp8KVCacheDataTypeE0EDF16_Li32ELi64ELi256ELb0ELi1EEvPKT_PKT0_S7_ifPKiS9_S9_iPKfiiiPfSC_PS2_PT2_iSB_SB_, .Lfunc_end190-_Z39paged_attention_ll4mi_QKV_mfma16_kernelIDF16_DF16_LN4vllm18Fp8KVCacheDataTypeE0EDF16_Li32ELi64ELi256ELb0ELi1EEvPKT_PKT0_S7_ifPKiS9_S9_iPKfiiiPfSC_PS2_PT2_iSB_SB_
                                        ; -- End function
	.set _Z39paged_attention_ll4mi_QKV_mfma16_kernelIDF16_DF16_LN4vllm18Fp8KVCacheDataTypeE0EDF16_Li32ELi64ELi256ELb0ELi1EEvPKT_PKT0_S7_ifPKiS9_S9_iPKfiiiPfSC_PS2_PT2_iSB_SB_.num_vgpr, max(3, .L__assert_fail.num_vgpr)
	.set _Z39paged_attention_ll4mi_QKV_mfma16_kernelIDF16_DF16_LN4vllm18Fp8KVCacheDataTypeE0EDF16_Li32ELi64ELi256ELb0ELi1EEvPKT_PKT0_S7_ifPKiS9_S9_iPKfiiiPfSC_PS2_PT2_iSB_SB_.num_agpr, max(0, .L__assert_fail.num_agpr)
	.set _Z39paged_attention_ll4mi_QKV_mfma16_kernelIDF16_DF16_LN4vllm18Fp8KVCacheDataTypeE0EDF16_Li32ELi64ELi256ELb0ELi1EEvPKT_PKT0_S7_ifPKiS9_S9_iPKfiiiPfSC_PS2_PT2_iSB_SB_.numbered_sgpr, max(33, .L__assert_fail.numbered_sgpr)
	.set _Z39paged_attention_ll4mi_QKV_mfma16_kernelIDF16_DF16_LN4vllm18Fp8KVCacheDataTypeE0EDF16_Li32ELi64ELi256ELb0ELi1EEvPKT_PKT0_S7_ifPKiS9_S9_iPKfiiiPfSC_PS2_PT2_iSB_SB_.num_named_barrier, max(0, .L__assert_fail.num_named_barrier)
	.set _Z39paged_attention_ll4mi_QKV_mfma16_kernelIDF16_DF16_LN4vllm18Fp8KVCacheDataTypeE0EDF16_Li32ELi64ELi256ELb0ELi1EEvPKT_PKT0_S7_ifPKiS9_S9_iPKfiiiPfSC_PS2_PT2_iSB_SB_.private_seg_size, 0+max(.L__assert_fail.private_seg_size)
	.set _Z39paged_attention_ll4mi_QKV_mfma16_kernelIDF16_DF16_LN4vllm18Fp8KVCacheDataTypeE0EDF16_Li32ELi64ELi256ELb0ELi1EEvPKT_PKT0_S7_ifPKiS9_S9_iPKfiiiPfSC_PS2_PT2_iSB_SB_.uses_vcc, or(1, .L__assert_fail.uses_vcc)
	.set _Z39paged_attention_ll4mi_QKV_mfma16_kernelIDF16_DF16_LN4vllm18Fp8KVCacheDataTypeE0EDF16_Li32ELi64ELi256ELb0ELi1EEvPKT_PKT0_S7_ifPKiS9_S9_iPKfiiiPfSC_PS2_PT2_iSB_SB_.uses_flat_scratch, or(0, .L__assert_fail.uses_flat_scratch)
	.set _Z39paged_attention_ll4mi_QKV_mfma16_kernelIDF16_DF16_LN4vllm18Fp8KVCacheDataTypeE0EDF16_Li32ELi64ELi256ELb0ELi1EEvPKT_PKT0_S7_ifPKiS9_S9_iPKfiiiPfSC_PS2_PT2_iSB_SB_.has_dyn_sized_stack, or(0, .L__assert_fail.has_dyn_sized_stack)
	.set _Z39paged_attention_ll4mi_QKV_mfma16_kernelIDF16_DF16_LN4vllm18Fp8KVCacheDataTypeE0EDF16_Li32ELi64ELi256ELb0ELi1EEvPKT_PKT0_S7_ifPKiS9_S9_iPKfiiiPfSC_PS2_PT2_iSB_SB_.has_recursion, or(0, .L__assert_fail.has_recursion)
	.set _Z39paged_attention_ll4mi_QKV_mfma16_kernelIDF16_DF16_LN4vllm18Fp8KVCacheDataTypeE0EDF16_Li32ELi64ELi256ELb0ELi1EEvPKT_PKT0_S7_ifPKiS9_S9_iPKfiiiPfSC_PS2_PT2_iSB_SB_.has_indirect_call, or(0, .L__assert_fail.has_indirect_call)
	.section	.AMDGPU.csdata,"",@progbits
; Kernel info:
; codeLenInByte = 68
; TotalNumSgprs: 36
; NumVgprs: 51
; ScratchSize: 64
; MemoryBound: 0
; FloatMode: 240
; IeeeMode: 1
; LDSByteSize: 0 bytes/workgroup (compile time only)
; SGPRBlocks: 0
; VGPRBlocks: 3
; NumSGPRsForWavesPerEU: 36
; NumVGPRsForWavesPerEU: 51
; NamedBarCnt: 0
; Occupancy: 16
; WaveLimiterHint : 1
; COMPUTE_PGM_RSRC2:SCRATCH_EN: 1
; COMPUTE_PGM_RSRC2:USER_SGPR: 2
; COMPUTE_PGM_RSRC2:TRAP_HANDLER: 0
; COMPUTE_PGM_RSRC2:TGID_X_EN: 1
; COMPUTE_PGM_RSRC2:TGID_Y_EN: 0
; COMPUTE_PGM_RSRC2:TGID_Z_EN: 0
; COMPUTE_PGM_RSRC2:TIDIG_COMP_CNT: 0
	.section	.text._Z39paged_attention_ll4mi_QKV_mfma16_kernelIDF16_DF16_LN4vllm18Fp8KVCacheDataTypeE0EDF16_Li32ELi64ELi256ELb0ELi2EEvPKT_PKT0_S7_ifPKiS9_S9_iPKfiiiPfSC_PS2_PT2_iSB_SB_,"axG",@progbits,_Z39paged_attention_ll4mi_QKV_mfma16_kernelIDF16_DF16_LN4vllm18Fp8KVCacheDataTypeE0EDF16_Li32ELi64ELi256ELb0ELi2EEvPKT_PKT0_S7_ifPKiS9_S9_iPKfiiiPfSC_PS2_PT2_iSB_SB_,comdat
	.protected	_Z39paged_attention_ll4mi_QKV_mfma16_kernelIDF16_DF16_LN4vllm18Fp8KVCacheDataTypeE0EDF16_Li32ELi64ELi256ELb0ELi2EEvPKT_PKT0_S7_ifPKiS9_S9_iPKfiiiPfSC_PS2_PT2_iSB_SB_ ; -- Begin function _Z39paged_attention_ll4mi_QKV_mfma16_kernelIDF16_DF16_LN4vllm18Fp8KVCacheDataTypeE0EDF16_Li32ELi64ELi256ELb0ELi2EEvPKT_PKT0_S7_ifPKiS9_S9_iPKfiiiPfSC_PS2_PT2_iSB_SB_
	.globl	_Z39paged_attention_ll4mi_QKV_mfma16_kernelIDF16_DF16_LN4vllm18Fp8KVCacheDataTypeE0EDF16_Li32ELi64ELi256ELb0ELi2EEvPKT_PKT0_S7_ifPKiS9_S9_iPKfiiiPfSC_PS2_PT2_iSB_SB_
	.p2align	8
	.type	_Z39paged_attention_ll4mi_QKV_mfma16_kernelIDF16_DF16_LN4vllm18Fp8KVCacheDataTypeE0EDF16_Li32ELi64ELi256ELb0ELi2EEvPKT_PKT0_S7_ifPKiS9_S9_iPKfiiiPfSC_PS2_PT2_iSB_SB_,@function
_Z39paged_attention_ll4mi_QKV_mfma16_kernelIDF16_DF16_LN4vllm18Fp8KVCacheDataTypeE0EDF16_Li32ELi64ELi256ELb0ELi2EEvPKT_PKT0_S7_ifPKiS9_S9_iPKfiiiPfSC_PS2_PT2_iSB_SB_: ; @_Z39paged_attention_ll4mi_QKV_mfma16_kernelIDF16_DF16_LN4vllm18Fp8KVCacheDataTypeE0EDF16_Li32ELi64ELi256ELb0ELi2EEvPKT_PKT0_S7_ifPKiS9_S9_iPKfiiiPfSC_PS2_PT2_iSB_SB_
; %bb.0:
	s_get_pc_i64 s[2:3]
	s_add_nc_u64 s[2:3], s[2:3], __PRETTY_FUNCTION__._Z39paged_attention_ll4mi_QKV_mfma16_kernelIDF16_DF16_LN4vllm18Fp8KVCacheDataTypeE0EDF16_Li32ELi64ELi256ELb0ELi2EEvPKT_PKT0_S7_ifPKiS9_S9_iPKfiiiPfSC_PS2_PT2_iSB_SB_@rel64+4
	s_delay_alu instid0(SALU_CYCLE_1)
	v_dual_mov_b32 v0, 0xbb3 :: v_dual_mov_b32 v1, s2
	v_mov_b32_e32 v2, s3
	s_add_nc_u64 s[8:9], s[0:1], 0x90
	s_get_pc_i64 s[0:1]
	s_add_nc_u64 s[0:1], s[0:1], __assert_fail@rel64+4
	s_mov_b32 s32, 0
	s_swap_pc_i64 s[30:31], s[0:1]
	.section	.rodata,"a",@progbits
	.p2align	6, 0x0
	.amdhsa_kernel _Z39paged_attention_ll4mi_QKV_mfma16_kernelIDF16_DF16_LN4vllm18Fp8KVCacheDataTypeE0EDF16_Li32ELi64ELi256ELb0ELi2EEvPKT_PKT0_S7_ifPKiS9_S9_iPKfiiiPfSC_PS2_PT2_iSB_SB_
		.amdhsa_group_segment_fixed_size 0
		.amdhsa_private_segment_fixed_size 64
		.amdhsa_kernarg_size 400
		.amdhsa_user_sgpr_count 2
		.amdhsa_user_sgpr_dispatch_ptr 0
		.amdhsa_user_sgpr_queue_ptr 0
		.amdhsa_user_sgpr_kernarg_segment_ptr 1
		.amdhsa_user_sgpr_dispatch_id 0
		.amdhsa_user_sgpr_kernarg_preload_length 0
		.amdhsa_user_sgpr_kernarg_preload_offset 0
		.amdhsa_user_sgpr_private_segment_size 0
		.amdhsa_wavefront_size32 1
		.amdhsa_uses_dynamic_stack 0
		.amdhsa_enable_private_segment 1
		.amdhsa_system_sgpr_workgroup_id_x 1
		.amdhsa_system_sgpr_workgroup_id_y 0
		.amdhsa_system_sgpr_workgroup_id_z 0
		.amdhsa_system_sgpr_workgroup_info 0
		.amdhsa_system_vgpr_workitem_id 0
		.amdhsa_next_free_vgpr 51
		.amdhsa_next_free_sgpr 34
		.amdhsa_named_barrier_count 0
		.amdhsa_reserve_vcc 1
		.amdhsa_float_round_mode_32 0
		.amdhsa_float_round_mode_16_64 0
		.amdhsa_float_denorm_mode_32 3
		.amdhsa_float_denorm_mode_16_64 3
		.amdhsa_fp16_overflow 0
		.amdhsa_memory_ordered 1
		.amdhsa_forward_progress 1
		.amdhsa_inst_pref_size 1
		.amdhsa_round_robin_scheduling 0
		.amdhsa_exception_fp_ieee_invalid_op 0
		.amdhsa_exception_fp_denorm_src 0
		.amdhsa_exception_fp_ieee_div_zero 0
		.amdhsa_exception_fp_ieee_overflow 0
		.amdhsa_exception_fp_ieee_underflow 0
		.amdhsa_exception_fp_ieee_inexact 0
		.amdhsa_exception_int_div_zero 0
	.end_amdhsa_kernel
	.section	.text._Z39paged_attention_ll4mi_QKV_mfma16_kernelIDF16_DF16_LN4vllm18Fp8KVCacheDataTypeE0EDF16_Li32ELi64ELi256ELb0ELi2EEvPKT_PKT0_S7_ifPKiS9_S9_iPKfiiiPfSC_PS2_PT2_iSB_SB_,"axG",@progbits,_Z39paged_attention_ll4mi_QKV_mfma16_kernelIDF16_DF16_LN4vllm18Fp8KVCacheDataTypeE0EDF16_Li32ELi64ELi256ELb0ELi2EEvPKT_PKT0_S7_ifPKiS9_S9_iPKfiiiPfSC_PS2_PT2_iSB_SB_,comdat
.Lfunc_end191:
	.size	_Z39paged_attention_ll4mi_QKV_mfma16_kernelIDF16_DF16_LN4vllm18Fp8KVCacheDataTypeE0EDF16_Li32ELi64ELi256ELb0ELi2EEvPKT_PKT0_S7_ifPKiS9_S9_iPKfiiiPfSC_PS2_PT2_iSB_SB_, .Lfunc_end191-_Z39paged_attention_ll4mi_QKV_mfma16_kernelIDF16_DF16_LN4vllm18Fp8KVCacheDataTypeE0EDF16_Li32ELi64ELi256ELb0ELi2EEvPKT_PKT0_S7_ifPKiS9_S9_iPKfiiiPfSC_PS2_PT2_iSB_SB_
                                        ; -- End function
	.set _Z39paged_attention_ll4mi_QKV_mfma16_kernelIDF16_DF16_LN4vllm18Fp8KVCacheDataTypeE0EDF16_Li32ELi64ELi256ELb0ELi2EEvPKT_PKT0_S7_ifPKiS9_S9_iPKfiiiPfSC_PS2_PT2_iSB_SB_.num_vgpr, max(3, .L__assert_fail.num_vgpr)
	.set _Z39paged_attention_ll4mi_QKV_mfma16_kernelIDF16_DF16_LN4vllm18Fp8KVCacheDataTypeE0EDF16_Li32ELi64ELi256ELb0ELi2EEvPKT_PKT0_S7_ifPKiS9_S9_iPKfiiiPfSC_PS2_PT2_iSB_SB_.num_agpr, max(0, .L__assert_fail.num_agpr)
	.set _Z39paged_attention_ll4mi_QKV_mfma16_kernelIDF16_DF16_LN4vllm18Fp8KVCacheDataTypeE0EDF16_Li32ELi64ELi256ELb0ELi2EEvPKT_PKT0_S7_ifPKiS9_S9_iPKfiiiPfSC_PS2_PT2_iSB_SB_.numbered_sgpr, max(33, .L__assert_fail.numbered_sgpr)
	.set _Z39paged_attention_ll4mi_QKV_mfma16_kernelIDF16_DF16_LN4vllm18Fp8KVCacheDataTypeE0EDF16_Li32ELi64ELi256ELb0ELi2EEvPKT_PKT0_S7_ifPKiS9_S9_iPKfiiiPfSC_PS2_PT2_iSB_SB_.num_named_barrier, max(0, .L__assert_fail.num_named_barrier)
	.set _Z39paged_attention_ll4mi_QKV_mfma16_kernelIDF16_DF16_LN4vllm18Fp8KVCacheDataTypeE0EDF16_Li32ELi64ELi256ELb0ELi2EEvPKT_PKT0_S7_ifPKiS9_S9_iPKfiiiPfSC_PS2_PT2_iSB_SB_.private_seg_size, 0+max(.L__assert_fail.private_seg_size)
	.set _Z39paged_attention_ll4mi_QKV_mfma16_kernelIDF16_DF16_LN4vllm18Fp8KVCacheDataTypeE0EDF16_Li32ELi64ELi256ELb0ELi2EEvPKT_PKT0_S7_ifPKiS9_S9_iPKfiiiPfSC_PS2_PT2_iSB_SB_.uses_vcc, or(1, .L__assert_fail.uses_vcc)
	.set _Z39paged_attention_ll4mi_QKV_mfma16_kernelIDF16_DF16_LN4vllm18Fp8KVCacheDataTypeE0EDF16_Li32ELi64ELi256ELb0ELi2EEvPKT_PKT0_S7_ifPKiS9_S9_iPKfiiiPfSC_PS2_PT2_iSB_SB_.uses_flat_scratch, or(0, .L__assert_fail.uses_flat_scratch)
	.set _Z39paged_attention_ll4mi_QKV_mfma16_kernelIDF16_DF16_LN4vllm18Fp8KVCacheDataTypeE0EDF16_Li32ELi64ELi256ELb0ELi2EEvPKT_PKT0_S7_ifPKiS9_S9_iPKfiiiPfSC_PS2_PT2_iSB_SB_.has_dyn_sized_stack, or(0, .L__assert_fail.has_dyn_sized_stack)
	.set _Z39paged_attention_ll4mi_QKV_mfma16_kernelIDF16_DF16_LN4vllm18Fp8KVCacheDataTypeE0EDF16_Li32ELi64ELi256ELb0ELi2EEvPKT_PKT0_S7_ifPKiS9_S9_iPKfiiiPfSC_PS2_PT2_iSB_SB_.has_recursion, or(0, .L__assert_fail.has_recursion)
	.set _Z39paged_attention_ll4mi_QKV_mfma16_kernelIDF16_DF16_LN4vllm18Fp8KVCacheDataTypeE0EDF16_Li32ELi64ELi256ELb0ELi2EEvPKT_PKT0_S7_ifPKiS9_S9_iPKfiiiPfSC_PS2_PT2_iSB_SB_.has_indirect_call, or(0, .L__assert_fail.has_indirect_call)
	.section	.AMDGPU.csdata,"",@progbits
; Kernel info:
; codeLenInByte = 68
; TotalNumSgprs: 36
; NumVgprs: 51
; ScratchSize: 64
; MemoryBound: 0
; FloatMode: 240
; IeeeMode: 1
; LDSByteSize: 0 bytes/workgroup (compile time only)
; SGPRBlocks: 0
; VGPRBlocks: 3
; NumSGPRsForWavesPerEU: 36
; NumVGPRsForWavesPerEU: 51
; NamedBarCnt: 0
; Occupancy: 16
; WaveLimiterHint : 1
; COMPUTE_PGM_RSRC2:SCRATCH_EN: 1
; COMPUTE_PGM_RSRC2:USER_SGPR: 2
; COMPUTE_PGM_RSRC2:TRAP_HANDLER: 0
; COMPUTE_PGM_RSRC2:TGID_X_EN: 1
; COMPUTE_PGM_RSRC2:TGID_Y_EN: 0
; COMPUTE_PGM_RSRC2:TGID_Z_EN: 0
; COMPUTE_PGM_RSRC2:TIDIG_COMP_CNT: 0
	.section	.text._Z39paged_attention_ll4mi_QKV_mfma16_kernelIDF16_DF16_LN4vllm18Fp8KVCacheDataTypeE0EDF16_Li32ELi64ELi256ELb0ELi3EEvPKT_PKT0_S7_ifPKiS9_S9_iPKfiiiPfSC_PS2_PT2_iSB_SB_,"axG",@progbits,_Z39paged_attention_ll4mi_QKV_mfma16_kernelIDF16_DF16_LN4vllm18Fp8KVCacheDataTypeE0EDF16_Li32ELi64ELi256ELb0ELi3EEvPKT_PKT0_S7_ifPKiS9_S9_iPKfiiiPfSC_PS2_PT2_iSB_SB_,comdat
	.protected	_Z39paged_attention_ll4mi_QKV_mfma16_kernelIDF16_DF16_LN4vllm18Fp8KVCacheDataTypeE0EDF16_Li32ELi64ELi256ELb0ELi3EEvPKT_PKT0_S7_ifPKiS9_S9_iPKfiiiPfSC_PS2_PT2_iSB_SB_ ; -- Begin function _Z39paged_attention_ll4mi_QKV_mfma16_kernelIDF16_DF16_LN4vllm18Fp8KVCacheDataTypeE0EDF16_Li32ELi64ELi256ELb0ELi3EEvPKT_PKT0_S7_ifPKiS9_S9_iPKfiiiPfSC_PS2_PT2_iSB_SB_
	.globl	_Z39paged_attention_ll4mi_QKV_mfma16_kernelIDF16_DF16_LN4vllm18Fp8KVCacheDataTypeE0EDF16_Li32ELi64ELi256ELb0ELi3EEvPKT_PKT0_S7_ifPKiS9_S9_iPKfiiiPfSC_PS2_PT2_iSB_SB_
	.p2align	8
	.type	_Z39paged_attention_ll4mi_QKV_mfma16_kernelIDF16_DF16_LN4vllm18Fp8KVCacheDataTypeE0EDF16_Li32ELi64ELi256ELb0ELi3EEvPKT_PKT0_S7_ifPKiS9_S9_iPKfiiiPfSC_PS2_PT2_iSB_SB_,@function
_Z39paged_attention_ll4mi_QKV_mfma16_kernelIDF16_DF16_LN4vllm18Fp8KVCacheDataTypeE0EDF16_Li32ELi64ELi256ELb0ELi3EEvPKT_PKT0_S7_ifPKiS9_S9_iPKfiiiPfSC_PS2_PT2_iSB_SB_: ; @_Z39paged_attention_ll4mi_QKV_mfma16_kernelIDF16_DF16_LN4vllm18Fp8KVCacheDataTypeE0EDF16_Li32ELi64ELi256ELb0ELi3EEvPKT_PKT0_S7_ifPKiS9_S9_iPKfiiiPfSC_PS2_PT2_iSB_SB_
; %bb.0:
	s_get_pc_i64 s[2:3]
	s_add_nc_u64 s[2:3], s[2:3], __PRETTY_FUNCTION__._Z39paged_attention_ll4mi_QKV_mfma16_kernelIDF16_DF16_LN4vllm18Fp8KVCacheDataTypeE0EDF16_Li32ELi64ELi256ELb0ELi3EEvPKT_PKT0_S7_ifPKiS9_S9_iPKfiiiPfSC_PS2_PT2_iSB_SB_@rel64+4
	s_delay_alu instid0(SALU_CYCLE_1)
	v_dual_mov_b32 v0, 0xbb3 :: v_dual_mov_b32 v1, s2
	v_mov_b32_e32 v2, s3
	s_add_nc_u64 s[8:9], s[0:1], 0x90
	s_get_pc_i64 s[0:1]
	s_add_nc_u64 s[0:1], s[0:1], __assert_fail@rel64+4
	s_mov_b32 s32, 0
	s_swap_pc_i64 s[30:31], s[0:1]
	.section	.rodata,"a",@progbits
	.p2align	6, 0x0
	.amdhsa_kernel _Z39paged_attention_ll4mi_QKV_mfma16_kernelIDF16_DF16_LN4vllm18Fp8KVCacheDataTypeE0EDF16_Li32ELi64ELi256ELb0ELi3EEvPKT_PKT0_S7_ifPKiS9_S9_iPKfiiiPfSC_PS2_PT2_iSB_SB_
		.amdhsa_group_segment_fixed_size 0
		.amdhsa_private_segment_fixed_size 64
		.amdhsa_kernarg_size 400
		.amdhsa_user_sgpr_count 2
		.amdhsa_user_sgpr_dispatch_ptr 0
		.amdhsa_user_sgpr_queue_ptr 0
		.amdhsa_user_sgpr_kernarg_segment_ptr 1
		.amdhsa_user_sgpr_dispatch_id 0
		.amdhsa_user_sgpr_kernarg_preload_length 0
		.amdhsa_user_sgpr_kernarg_preload_offset 0
		.amdhsa_user_sgpr_private_segment_size 0
		.amdhsa_wavefront_size32 1
		.amdhsa_uses_dynamic_stack 0
		.amdhsa_enable_private_segment 1
		.amdhsa_system_sgpr_workgroup_id_x 1
		.amdhsa_system_sgpr_workgroup_id_y 0
		.amdhsa_system_sgpr_workgroup_id_z 0
		.amdhsa_system_sgpr_workgroup_info 0
		.amdhsa_system_vgpr_workitem_id 0
		.amdhsa_next_free_vgpr 51
		.amdhsa_next_free_sgpr 34
		.amdhsa_named_barrier_count 0
		.amdhsa_reserve_vcc 1
		.amdhsa_float_round_mode_32 0
		.amdhsa_float_round_mode_16_64 0
		.amdhsa_float_denorm_mode_32 3
		.amdhsa_float_denorm_mode_16_64 3
		.amdhsa_fp16_overflow 0
		.amdhsa_memory_ordered 1
		.amdhsa_forward_progress 1
		.amdhsa_inst_pref_size 1
		.amdhsa_round_robin_scheduling 0
		.amdhsa_exception_fp_ieee_invalid_op 0
		.amdhsa_exception_fp_denorm_src 0
		.amdhsa_exception_fp_ieee_div_zero 0
		.amdhsa_exception_fp_ieee_overflow 0
		.amdhsa_exception_fp_ieee_underflow 0
		.amdhsa_exception_fp_ieee_inexact 0
		.amdhsa_exception_int_div_zero 0
	.end_amdhsa_kernel
	.section	.text._Z39paged_attention_ll4mi_QKV_mfma16_kernelIDF16_DF16_LN4vllm18Fp8KVCacheDataTypeE0EDF16_Li32ELi64ELi256ELb0ELi3EEvPKT_PKT0_S7_ifPKiS9_S9_iPKfiiiPfSC_PS2_PT2_iSB_SB_,"axG",@progbits,_Z39paged_attention_ll4mi_QKV_mfma16_kernelIDF16_DF16_LN4vllm18Fp8KVCacheDataTypeE0EDF16_Li32ELi64ELi256ELb0ELi3EEvPKT_PKT0_S7_ifPKiS9_S9_iPKfiiiPfSC_PS2_PT2_iSB_SB_,comdat
.Lfunc_end192:
	.size	_Z39paged_attention_ll4mi_QKV_mfma16_kernelIDF16_DF16_LN4vllm18Fp8KVCacheDataTypeE0EDF16_Li32ELi64ELi256ELb0ELi3EEvPKT_PKT0_S7_ifPKiS9_S9_iPKfiiiPfSC_PS2_PT2_iSB_SB_, .Lfunc_end192-_Z39paged_attention_ll4mi_QKV_mfma16_kernelIDF16_DF16_LN4vllm18Fp8KVCacheDataTypeE0EDF16_Li32ELi64ELi256ELb0ELi3EEvPKT_PKT0_S7_ifPKiS9_S9_iPKfiiiPfSC_PS2_PT2_iSB_SB_
                                        ; -- End function
	.set _Z39paged_attention_ll4mi_QKV_mfma16_kernelIDF16_DF16_LN4vllm18Fp8KVCacheDataTypeE0EDF16_Li32ELi64ELi256ELb0ELi3EEvPKT_PKT0_S7_ifPKiS9_S9_iPKfiiiPfSC_PS2_PT2_iSB_SB_.num_vgpr, max(3, .L__assert_fail.num_vgpr)
	.set _Z39paged_attention_ll4mi_QKV_mfma16_kernelIDF16_DF16_LN4vllm18Fp8KVCacheDataTypeE0EDF16_Li32ELi64ELi256ELb0ELi3EEvPKT_PKT0_S7_ifPKiS9_S9_iPKfiiiPfSC_PS2_PT2_iSB_SB_.num_agpr, max(0, .L__assert_fail.num_agpr)
	.set _Z39paged_attention_ll4mi_QKV_mfma16_kernelIDF16_DF16_LN4vllm18Fp8KVCacheDataTypeE0EDF16_Li32ELi64ELi256ELb0ELi3EEvPKT_PKT0_S7_ifPKiS9_S9_iPKfiiiPfSC_PS2_PT2_iSB_SB_.numbered_sgpr, max(33, .L__assert_fail.numbered_sgpr)
	.set _Z39paged_attention_ll4mi_QKV_mfma16_kernelIDF16_DF16_LN4vllm18Fp8KVCacheDataTypeE0EDF16_Li32ELi64ELi256ELb0ELi3EEvPKT_PKT0_S7_ifPKiS9_S9_iPKfiiiPfSC_PS2_PT2_iSB_SB_.num_named_barrier, max(0, .L__assert_fail.num_named_barrier)
	.set _Z39paged_attention_ll4mi_QKV_mfma16_kernelIDF16_DF16_LN4vllm18Fp8KVCacheDataTypeE0EDF16_Li32ELi64ELi256ELb0ELi3EEvPKT_PKT0_S7_ifPKiS9_S9_iPKfiiiPfSC_PS2_PT2_iSB_SB_.private_seg_size, 0+max(.L__assert_fail.private_seg_size)
	.set _Z39paged_attention_ll4mi_QKV_mfma16_kernelIDF16_DF16_LN4vllm18Fp8KVCacheDataTypeE0EDF16_Li32ELi64ELi256ELb0ELi3EEvPKT_PKT0_S7_ifPKiS9_S9_iPKfiiiPfSC_PS2_PT2_iSB_SB_.uses_vcc, or(1, .L__assert_fail.uses_vcc)
	.set _Z39paged_attention_ll4mi_QKV_mfma16_kernelIDF16_DF16_LN4vllm18Fp8KVCacheDataTypeE0EDF16_Li32ELi64ELi256ELb0ELi3EEvPKT_PKT0_S7_ifPKiS9_S9_iPKfiiiPfSC_PS2_PT2_iSB_SB_.uses_flat_scratch, or(0, .L__assert_fail.uses_flat_scratch)
	.set _Z39paged_attention_ll4mi_QKV_mfma16_kernelIDF16_DF16_LN4vllm18Fp8KVCacheDataTypeE0EDF16_Li32ELi64ELi256ELb0ELi3EEvPKT_PKT0_S7_ifPKiS9_S9_iPKfiiiPfSC_PS2_PT2_iSB_SB_.has_dyn_sized_stack, or(0, .L__assert_fail.has_dyn_sized_stack)
	.set _Z39paged_attention_ll4mi_QKV_mfma16_kernelIDF16_DF16_LN4vllm18Fp8KVCacheDataTypeE0EDF16_Li32ELi64ELi256ELb0ELi3EEvPKT_PKT0_S7_ifPKiS9_S9_iPKfiiiPfSC_PS2_PT2_iSB_SB_.has_recursion, or(0, .L__assert_fail.has_recursion)
	.set _Z39paged_attention_ll4mi_QKV_mfma16_kernelIDF16_DF16_LN4vllm18Fp8KVCacheDataTypeE0EDF16_Li32ELi64ELi256ELb0ELi3EEvPKT_PKT0_S7_ifPKiS9_S9_iPKfiiiPfSC_PS2_PT2_iSB_SB_.has_indirect_call, or(0, .L__assert_fail.has_indirect_call)
	.section	.AMDGPU.csdata,"",@progbits
; Kernel info:
; codeLenInByte = 68
; TotalNumSgprs: 36
; NumVgprs: 51
; ScratchSize: 64
; MemoryBound: 0
; FloatMode: 240
; IeeeMode: 1
; LDSByteSize: 0 bytes/workgroup (compile time only)
; SGPRBlocks: 0
; VGPRBlocks: 3
; NumSGPRsForWavesPerEU: 36
; NumVGPRsForWavesPerEU: 51
; NamedBarCnt: 0
; Occupancy: 16
; WaveLimiterHint : 1
; COMPUTE_PGM_RSRC2:SCRATCH_EN: 1
; COMPUTE_PGM_RSRC2:USER_SGPR: 2
; COMPUTE_PGM_RSRC2:TRAP_HANDLER: 0
; COMPUTE_PGM_RSRC2:TGID_X_EN: 1
; COMPUTE_PGM_RSRC2:TGID_Y_EN: 0
; COMPUTE_PGM_RSRC2:TGID_Z_EN: 0
; COMPUTE_PGM_RSRC2:TIDIG_COMP_CNT: 0
	.section	.text._Z39paged_attention_ll4mi_QKV_mfma16_kernelIDF16_DF16_LN4vllm18Fp8KVCacheDataTypeE0EDF16_Li32ELi64ELi256ELb0ELi4EEvPKT_PKT0_S7_ifPKiS9_S9_iPKfiiiPfSC_PS2_PT2_iSB_SB_,"axG",@progbits,_Z39paged_attention_ll4mi_QKV_mfma16_kernelIDF16_DF16_LN4vllm18Fp8KVCacheDataTypeE0EDF16_Li32ELi64ELi256ELb0ELi4EEvPKT_PKT0_S7_ifPKiS9_S9_iPKfiiiPfSC_PS2_PT2_iSB_SB_,comdat
	.protected	_Z39paged_attention_ll4mi_QKV_mfma16_kernelIDF16_DF16_LN4vllm18Fp8KVCacheDataTypeE0EDF16_Li32ELi64ELi256ELb0ELi4EEvPKT_PKT0_S7_ifPKiS9_S9_iPKfiiiPfSC_PS2_PT2_iSB_SB_ ; -- Begin function _Z39paged_attention_ll4mi_QKV_mfma16_kernelIDF16_DF16_LN4vllm18Fp8KVCacheDataTypeE0EDF16_Li32ELi64ELi256ELb0ELi4EEvPKT_PKT0_S7_ifPKiS9_S9_iPKfiiiPfSC_PS2_PT2_iSB_SB_
	.globl	_Z39paged_attention_ll4mi_QKV_mfma16_kernelIDF16_DF16_LN4vllm18Fp8KVCacheDataTypeE0EDF16_Li32ELi64ELi256ELb0ELi4EEvPKT_PKT0_S7_ifPKiS9_S9_iPKfiiiPfSC_PS2_PT2_iSB_SB_
	.p2align	8
	.type	_Z39paged_attention_ll4mi_QKV_mfma16_kernelIDF16_DF16_LN4vllm18Fp8KVCacheDataTypeE0EDF16_Li32ELi64ELi256ELb0ELi4EEvPKT_PKT0_S7_ifPKiS9_S9_iPKfiiiPfSC_PS2_PT2_iSB_SB_,@function
_Z39paged_attention_ll4mi_QKV_mfma16_kernelIDF16_DF16_LN4vllm18Fp8KVCacheDataTypeE0EDF16_Li32ELi64ELi256ELb0ELi4EEvPKT_PKT0_S7_ifPKiS9_S9_iPKfiiiPfSC_PS2_PT2_iSB_SB_: ; @_Z39paged_attention_ll4mi_QKV_mfma16_kernelIDF16_DF16_LN4vllm18Fp8KVCacheDataTypeE0EDF16_Li32ELi64ELi256ELb0ELi4EEvPKT_PKT0_S7_ifPKiS9_S9_iPKfiiiPfSC_PS2_PT2_iSB_SB_
; %bb.0:
	s_get_pc_i64 s[2:3]
	s_add_nc_u64 s[2:3], s[2:3], __PRETTY_FUNCTION__._Z39paged_attention_ll4mi_QKV_mfma16_kernelIDF16_DF16_LN4vllm18Fp8KVCacheDataTypeE0EDF16_Li32ELi64ELi256ELb0ELi4EEvPKT_PKT0_S7_ifPKiS9_S9_iPKfiiiPfSC_PS2_PT2_iSB_SB_@rel64+4
	s_delay_alu instid0(SALU_CYCLE_1)
	v_dual_mov_b32 v0, 0xbb3 :: v_dual_mov_b32 v1, s2
	v_mov_b32_e32 v2, s3
	s_add_nc_u64 s[8:9], s[0:1], 0x90
	s_get_pc_i64 s[0:1]
	s_add_nc_u64 s[0:1], s[0:1], __assert_fail@rel64+4
	s_mov_b32 s32, 0
	s_swap_pc_i64 s[30:31], s[0:1]
	.section	.rodata,"a",@progbits
	.p2align	6, 0x0
	.amdhsa_kernel _Z39paged_attention_ll4mi_QKV_mfma16_kernelIDF16_DF16_LN4vllm18Fp8KVCacheDataTypeE0EDF16_Li32ELi64ELi256ELb0ELi4EEvPKT_PKT0_S7_ifPKiS9_S9_iPKfiiiPfSC_PS2_PT2_iSB_SB_
		.amdhsa_group_segment_fixed_size 0
		.amdhsa_private_segment_fixed_size 64
		.amdhsa_kernarg_size 400
		.amdhsa_user_sgpr_count 2
		.amdhsa_user_sgpr_dispatch_ptr 0
		.amdhsa_user_sgpr_queue_ptr 0
		.amdhsa_user_sgpr_kernarg_segment_ptr 1
		.amdhsa_user_sgpr_dispatch_id 0
		.amdhsa_user_sgpr_kernarg_preload_length 0
		.amdhsa_user_sgpr_kernarg_preload_offset 0
		.amdhsa_user_sgpr_private_segment_size 0
		.amdhsa_wavefront_size32 1
		.amdhsa_uses_dynamic_stack 0
		.amdhsa_enable_private_segment 1
		.amdhsa_system_sgpr_workgroup_id_x 1
		.amdhsa_system_sgpr_workgroup_id_y 0
		.amdhsa_system_sgpr_workgroup_id_z 0
		.amdhsa_system_sgpr_workgroup_info 0
		.amdhsa_system_vgpr_workitem_id 0
		.amdhsa_next_free_vgpr 51
		.amdhsa_next_free_sgpr 34
		.amdhsa_named_barrier_count 0
		.amdhsa_reserve_vcc 1
		.amdhsa_float_round_mode_32 0
		.amdhsa_float_round_mode_16_64 0
		.amdhsa_float_denorm_mode_32 3
		.amdhsa_float_denorm_mode_16_64 3
		.amdhsa_fp16_overflow 0
		.amdhsa_memory_ordered 1
		.amdhsa_forward_progress 1
		.amdhsa_inst_pref_size 1
		.amdhsa_round_robin_scheduling 0
		.amdhsa_exception_fp_ieee_invalid_op 0
		.amdhsa_exception_fp_denorm_src 0
		.amdhsa_exception_fp_ieee_div_zero 0
		.amdhsa_exception_fp_ieee_overflow 0
		.amdhsa_exception_fp_ieee_underflow 0
		.amdhsa_exception_fp_ieee_inexact 0
		.amdhsa_exception_int_div_zero 0
	.end_amdhsa_kernel
	.section	.text._Z39paged_attention_ll4mi_QKV_mfma16_kernelIDF16_DF16_LN4vllm18Fp8KVCacheDataTypeE0EDF16_Li32ELi64ELi256ELb0ELi4EEvPKT_PKT0_S7_ifPKiS9_S9_iPKfiiiPfSC_PS2_PT2_iSB_SB_,"axG",@progbits,_Z39paged_attention_ll4mi_QKV_mfma16_kernelIDF16_DF16_LN4vllm18Fp8KVCacheDataTypeE0EDF16_Li32ELi64ELi256ELb0ELi4EEvPKT_PKT0_S7_ifPKiS9_S9_iPKfiiiPfSC_PS2_PT2_iSB_SB_,comdat
.Lfunc_end193:
	.size	_Z39paged_attention_ll4mi_QKV_mfma16_kernelIDF16_DF16_LN4vllm18Fp8KVCacheDataTypeE0EDF16_Li32ELi64ELi256ELb0ELi4EEvPKT_PKT0_S7_ifPKiS9_S9_iPKfiiiPfSC_PS2_PT2_iSB_SB_, .Lfunc_end193-_Z39paged_attention_ll4mi_QKV_mfma16_kernelIDF16_DF16_LN4vllm18Fp8KVCacheDataTypeE0EDF16_Li32ELi64ELi256ELb0ELi4EEvPKT_PKT0_S7_ifPKiS9_S9_iPKfiiiPfSC_PS2_PT2_iSB_SB_
                                        ; -- End function
	.set _Z39paged_attention_ll4mi_QKV_mfma16_kernelIDF16_DF16_LN4vllm18Fp8KVCacheDataTypeE0EDF16_Li32ELi64ELi256ELb0ELi4EEvPKT_PKT0_S7_ifPKiS9_S9_iPKfiiiPfSC_PS2_PT2_iSB_SB_.num_vgpr, max(3, .L__assert_fail.num_vgpr)
	.set _Z39paged_attention_ll4mi_QKV_mfma16_kernelIDF16_DF16_LN4vllm18Fp8KVCacheDataTypeE0EDF16_Li32ELi64ELi256ELb0ELi4EEvPKT_PKT0_S7_ifPKiS9_S9_iPKfiiiPfSC_PS2_PT2_iSB_SB_.num_agpr, max(0, .L__assert_fail.num_agpr)
	.set _Z39paged_attention_ll4mi_QKV_mfma16_kernelIDF16_DF16_LN4vllm18Fp8KVCacheDataTypeE0EDF16_Li32ELi64ELi256ELb0ELi4EEvPKT_PKT0_S7_ifPKiS9_S9_iPKfiiiPfSC_PS2_PT2_iSB_SB_.numbered_sgpr, max(33, .L__assert_fail.numbered_sgpr)
	.set _Z39paged_attention_ll4mi_QKV_mfma16_kernelIDF16_DF16_LN4vllm18Fp8KVCacheDataTypeE0EDF16_Li32ELi64ELi256ELb0ELi4EEvPKT_PKT0_S7_ifPKiS9_S9_iPKfiiiPfSC_PS2_PT2_iSB_SB_.num_named_barrier, max(0, .L__assert_fail.num_named_barrier)
	.set _Z39paged_attention_ll4mi_QKV_mfma16_kernelIDF16_DF16_LN4vllm18Fp8KVCacheDataTypeE0EDF16_Li32ELi64ELi256ELb0ELi4EEvPKT_PKT0_S7_ifPKiS9_S9_iPKfiiiPfSC_PS2_PT2_iSB_SB_.private_seg_size, 0+max(.L__assert_fail.private_seg_size)
	.set _Z39paged_attention_ll4mi_QKV_mfma16_kernelIDF16_DF16_LN4vllm18Fp8KVCacheDataTypeE0EDF16_Li32ELi64ELi256ELb0ELi4EEvPKT_PKT0_S7_ifPKiS9_S9_iPKfiiiPfSC_PS2_PT2_iSB_SB_.uses_vcc, or(1, .L__assert_fail.uses_vcc)
	.set _Z39paged_attention_ll4mi_QKV_mfma16_kernelIDF16_DF16_LN4vllm18Fp8KVCacheDataTypeE0EDF16_Li32ELi64ELi256ELb0ELi4EEvPKT_PKT0_S7_ifPKiS9_S9_iPKfiiiPfSC_PS2_PT2_iSB_SB_.uses_flat_scratch, or(0, .L__assert_fail.uses_flat_scratch)
	.set _Z39paged_attention_ll4mi_QKV_mfma16_kernelIDF16_DF16_LN4vllm18Fp8KVCacheDataTypeE0EDF16_Li32ELi64ELi256ELb0ELi4EEvPKT_PKT0_S7_ifPKiS9_S9_iPKfiiiPfSC_PS2_PT2_iSB_SB_.has_dyn_sized_stack, or(0, .L__assert_fail.has_dyn_sized_stack)
	.set _Z39paged_attention_ll4mi_QKV_mfma16_kernelIDF16_DF16_LN4vllm18Fp8KVCacheDataTypeE0EDF16_Li32ELi64ELi256ELb0ELi4EEvPKT_PKT0_S7_ifPKiS9_S9_iPKfiiiPfSC_PS2_PT2_iSB_SB_.has_recursion, or(0, .L__assert_fail.has_recursion)
	.set _Z39paged_attention_ll4mi_QKV_mfma16_kernelIDF16_DF16_LN4vllm18Fp8KVCacheDataTypeE0EDF16_Li32ELi64ELi256ELb0ELi4EEvPKT_PKT0_S7_ifPKiS9_S9_iPKfiiiPfSC_PS2_PT2_iSB_SB_.has_indirect_call, or(0, .L__assert_fail.has_indirect_call)
	.section	.AMDGPU.csdata,"",@progbits
; Kernel info:
; codeLenInByte = 68
; TotalNumSgprs: 36
; NumVgprs: 51
; ScratchSize: 64
; MemoryBound: 0
; FloatMode: 240
; IeeeMode: 1
; LDSByteSize: 0 bytes/workgroup (compile time only)
; SGPRBlocks: 0
; VGPRBlocks: 3
; NumSGPRsForWavesPerEU: 36
; NumVGPRsForWavesPerEU: 51
; NamedBarCnt: 0
; Occupancy: 16
; WaveLimiterHint : 1
; COMPUTE_PGM_RSRC2:SCRATCH_EN: 1
; COMPUTE_PGM_RSRC2:USER_SGPR: 2
; COMPUTE_PGM_RSRC2:TRAP_HANDLER: 0
; COMPUTE_PGM_RSRC2:TGID_X_EN: 1
; COMPUTE_PGM_RSRC2:TGID_Y_EN: 0
; COMPUTE_PGM_RSRC2:TGID_Z_EN: 0
; COMPUTE_PGM_RSRC2:TIDIG_COMP_CNT: 0
	.section	.text._Z38paged_attention_ll4mi_QKV_mfma4_kernelIDF16_DF16_LN4vllm18Fp8KVCacheDataTypeE0EhLi16ELi128ELi256ELb1ELi1EEvPKT_PKT0_S7_ifPKiS9_S9_iPKfiiiPfSC_PS2_PT2_iSB_SB_,"axG",@progbits,_Z38paged_attention_ll4mi_QKV_mfma4_kernelIDF16_DF16_LN4vllm18Fp8KVCacheDataTypeE0EhLi16ELi128ELi256ELb1ELi1EEvPKT_PKT0_S7_ifPKiS9_S9_iPKfiiiPfSC_PS2_PT2_iSB_SB_,comdat
	.protected	_Z38paged_attention_ll4mi_QKV_mfma4_kernelIDF16_DF16_LN4vllm18Fp8KVCacheDataTypeE0EhLi16ELi128ELi256ELb1ELi1EEvPKT_PKT0_S7_ifPKiS9_S9_iPKfiiiPfSC_PS2_PT2_iSB_SB_ ; -- Begin function _Z38paged_attention_ll4mi_QKV_mfma4_kernelIDF16_DF16_LN4vllm18Fp8KVCacheDataTypeE0EhLi16ELi128ELi256ELb1ELi1EEvPKT_PKT0_S7_ifPKiS9_S9_iPKfiiiPfSC_PS2_PT2_iSB_SB_
	.globl	_Z38paged_attention_ll4mi_QKV_mfma4_kernelIDF16_DF16_LN4vllm18Fp8KVCacheDataTypeE0EhLi16ELi128ELi256ELb1ELi1EEvPKT_PKT0_S7_ifPKiS9_S9_iPKfiiiPfSC_PS2_PT2_iSB_SB_
	.p2align	8
	.type	_Z38paged_attention_ll4mi_QKV_mfma4_kernelIDF16_DF16_LN4vllm18Fp8KVCacheDataTypeE0EhLi16ELi128ELi256ELb1ELi1EEvPKT_PKT0_S7_ifPKiS9_S9_iPKfiiiPfSC_PS2_PT2_iSB_SB_,@function
_Z38paged_attention_ll4mi_QKV_mfma4_kernelIDF16_DF16_LN4vllm18Fp8KVCacheDataTypeE0EhLi16ELi128ELi256ELb1ELi1EEvPKT_PKT0_S7_ifPKiS9_S9_iPKfiiiPfSC_PS2_PT2_iSB_SB_: ; @_Z38paged_attention_ll4mi_QKV_mfma4_kernelIDF16_DF16_LN4vllm18Fp8KVCacheDataTypeE0EhLi16ELi128ELi256ELb1ELi1EEvPKT_PKT0_S7_ifPKiS9_S9_iPKfiiiPfSC_PS2_PT2_iSB_SB_
; %bb.0:
	s_get_pc_i64 s[2:3]
	s_add_nc_u64 s[2:3], s[2:3], __PRETTY_FUNCTION__._Z38paged_attention_ll4mi_QKV_mfma4_kernelIDF16_DF16_LN4vllm18Fp8KVCacheDataTypeE0EhLi16ELi128ELi256ELb1ELi1EEvPKT_PKT0_S7_ifPKiS9_S9_iPKfiiiPfSC_PS2_PT2_iSB_SB_@rel64+4
	s_delay_alu instid0(SALU_CYCLE_1)
	v_dual_mov_b32 v0, 0xbce :: v_dual_mov_b32 v1, s2
	v_mov_b32_e32 v2, s3
	s_add_nc_u64 s[8:9], s[0:1], 0x90
	s_get_pc_i64 s[0:1]
	s_add_nc_u64 s[0:1], s[0:1], __assert_fail@rel64+4
	s_mov_b32 s32, 0
	s_swap_pc_i64 s[30:31], s[0:1]
	.section	.rodata,"a",@progbits
	.p2align	6, 0x0
	.amdhsa_kernel _Z38paged_attention_ll4mi_QKV_mfma4_kernelIDF16_DF16_LN4vllm18Fp8KVCacheDataTypeE0EhLi16ELi128ELi256ELb1ELi1EEvPKT_PKT0_S7_ifPKiS9_S9_iPKfiiiPfSC_PS2_PT2_iSB_SB_
		.amdhsa_group_segment_fixed_size 0
		.amdhsa_private_segment_fixed_size 64
		.amdhsa_kernarg_size 400
		.amdhsa_user_sgpr_count 2
		.amdhsa_user_sgpr_dispatch_ptr 0
		.amdhsa_user_sgpr_queue_ptr 0
		.amdhsa_user_sgpr_kernarg_segment_ptr 1
		.amdhsa_user_sgpr_dispatch_id 0
		.amdhsa_user_sgpr_kernarg_preload_length 0
		.amdhsa_user_sgpr_kernarg_preload_offset 0
		.amdhsa_user_sgpr_private_segment_size 0
		.amdhsa_wavefront_size32 1
		.amdhsa_uses_dynamic_stack 0
		.amdhsa_enable_private_segment 1
		.amdhsa_system_sgpr_workgroup_id_x 1
		.amdhsa_system_sgpr_workgroup_id_y 0
		.amdhsa_system_sgpr_workgroup_id_z 0
		.amdhsa_system_sgpr_workgroup_info 0
		.amdhsa_system_vgpr_workitem_id 0
		.amdhsa_next_free_vgpr 51
		.amdhsa_next_free_sgpr 34
		.amdhsa_named_barrier_count 0
		.amdhsa_reserve_vcc 1
		.amdhsa_float_round_mode_32 0
		.amdhsa_float_round_mode_16_64 0
		.amdhsa_float_denorm_mode_32 3
		.amdhsa_float_denorm_mode_16_64 3
		.amdhsa_fp16_overflow 0
		.amdhsa_memory_ordered 1
		.amdhsa_forward_progress 1
		.amdhsa_inst_pref_size 1
		.amdhsa_round_robin_scheduling 0
		.amdhsa_exception_fp_ieee_invalid_op 0
		.amdhsa_exception_fp_denorm_src 0
		.amdhsa_exception_fp_ieee_div_zero 0
		.amdhsa_exception_fp_ieee_overflow 0
		.amdhsa_exception_fp_ieee_underflow 0
		.amdhsa_exception_fp_ieee_inexact 0
		.amdhsa_exception_int_div_zero 0
	.end_amdhsa_kernel
	.section	.text._Z38paged_attention_ll4mi_QKV_mfma4_kernelIDF16_DF16_LN4vllm18Fp8KVCacheDataTypeE0EhLi16ELi128ELi256ELb1ELi1EEvPKT_PKT0_S7_ifPKiS9_S9_iPKfiiiPfSC_PS2_PT2_iSB_SB_,"axG",@progbits,_Z38paged_attention_ll4mi_QKV_mfma4_kernelIDF16_DF16_LN4vllm18Fp8KVCacheDataTypeE0EhLi16ELi128ELi256ELb1ELi1EEvPKT_PKT0_S7_ifPKiS9_S9_iPKfiiiPfSC_PS2_PT2_iSB_SB_,comdat
.Lfunc_end194:
	.size	_Z38paged_attention_ll4mi_QKV_mfma4_kernelIDF16_DF16_LN4vllm18Fp8KVCacheDataTypeE0EhLi16ELi128ELi256ELb1ELi1EEvPKT_PKT0_S7_ifPKiS9_S9_iPKfiiiPfSC_PS2_PT2_iSB_SB_, .Lfunc_end194-_Z38paged_attention_ll4mi_QKV_mfma4_kernelIDF16_DF16_LN4vllm18Fp8KVCacheDataTypeE0EhLi16ELi128ELi256ELb1ELi1EEvPKT_PKT0_S7_ifPKiS9_S9_iPKfiiiPfSC_PS2_PT2_iSB_SB_
                                        ; -- End function
	.set _Z38paged_attention_ll4mi_QKV_mfma4_kernelIDF16_DF16_LN4vllm18Fp8KVCacheDataTypeE0EhLi16ELi128ELi256ELb1ELi1EEvPKT_PKT0_S7_ifPKiS9_S9_iPKfiiiPfSC_PS2_PT2_iSB_SB_.num_vgpr, max(3, .L__assert_fail.num_vgpr)
	.set _Z38paged_attention_ll4mi_QKV_mfma4_kernelIDF16_DF16_LN4vllm18Fp8KVCacheDataTypeE0EhLi16ELi128ELi256ELb1ELi1EEvPKT_PKT0_S7_ifPKiS9_S9_iPKfiiiPfSC_PS2_PT2_iSB_SB_.num_agpr, max(0, .L__assert_fail.num_agpr)
	.set _Z38paged_attention_ll4mi_QKV_mfma4_kernelIDF16_DF16_LN4vllm18Fp8KVCacheDataTypeE0EhLi16ELi128ELi256ELb1ELi1EEvPKT_PKT0_S7_ifPKiS9_S9_iPKfiiiPfSC_PS2_PT2_iSB_SB_.numbered_sgpr, max(33, .L__assert_fail.numbered_sgpr)
	.set _Z38paged_attention_ll4mi_QKV_mfma4_kernelIDF16_DF16_LN4vllm18Fp8KVCacheDataTypeE0EhLi16ELi128ELi256ELb1ELi1EEvPKT_PKT0_S7_ifPKiS9_S9_iPKfiiiPfSC_PS2_PT2_iSB_SB_.num_named_barrier, max(0, .L__assert_fail.num_named_barrier)
	.set _Z38paged_attention_ll4mi_QKV_mfma4_kernelIDF16_DF16_LN4vllm18Fp8KVCacheDataTypeE0EhLi16ELi128ELi256ELb1ELi1EEvPKT_PKT0_S7_ifPKiS9_S9_iPKfiiiPfSC_PS2_PT2_iSB_SB_.private_seg_size, 0+max(.L__assert_fail.private_seg_size)
	.set _Z38paged_attention_ll4mi_QKV_mfma4_kernelIDF16_DF16_LN4vllm18Fp8KVCacheDataTypeE0EhLi16ELi128ELi256ELb1ELi1EEvPKT_PKT0_S7_ifPKiS9_S9_iPKfiiiPfSC_PS2_PT2_iSB_SB_.uses_vcc, or(1, .L__assert_fail.uses_vcc)
	.set _Z38paged_attention_ll4mi_QKV_mfma4_kernelIDF16_DF16_LN4vllm18Fp8KVCacheDataTypeE0EhLi16ELi128ELi256ELb1ELi1EEvPKT_PKT0_S7_ifPKiS9_S9_iPKfiiiPfSC_PS2_PT2_iSB_SB_.uses_flat_scratch, or(0, .L__assert_fail.uses_flat_scratch)
	.set _Z38paged_attention_ll4mi_QKV_mfma4_kernelIDF16_DF16_LN4vllm18Fp8KVCacheDataTypeE0EhLi16ELi128ELi256ELb1ELi1EEvPKT_PKT0_S7_ifPKiS9_S9_iPKfiiiPfSC_PS2_PT2_iSB_SB_.has_dyn_sized_stack, or(0, .L__assert_fail.has_dyn_sized_stack)
	.set _Z38paged_attention_ll4mi_QKV_mfma4_kernelIDF16_DF16_LN4vllm18Fp8KVCacheDataTypeE0EhLi16ELi128ELi256ELb1ELi1EEvPKT_PKT0_S7_ifPKiS9_S9_iPKfiiiPfSC_PS2_PT2_iSB_SB_.has_recursion, or(0, .L__assert_fail.has_recursion)
	.set _Z38paged_attention_ll4mi_QKV_mfma4_kernelIDF16_DF16_LN4vllm18Fp8KVCacheDataTypeE0EhLi16ELi128ELi256ELb1ELi1EEvPKT_PKT0_S7_ifPKiS9_S9_iPKfiiiPfSC_PS2_PT2_iSB_SB_.has_indirect_call, or(0, .L__assert_fail.has_indirect_call)
	.section	.AMDGPU.csdata,"",@progbits
; Kernel info:
; codeLenInByte = 68
; TotalNumSgprs: 36
; NumVgprs: 51
; ScratchSize: 64
; MemoryBound: 0
; FloatMode: 240
; IeeeMode: 1
; LDSByteSize: 0 bytes/workgroup (compile time only)
; SGPRBlocks: 0
; VGPRBlocks: 3
; NumSGPRsForWavesPerEU: 36
; NumVGPRsForWavesPerEU: 51
; NamedBarCnt: 0
; Occupancy: 16
; WaveLimiterHint : 1
; COMPUTE_PGM_RSRC2:SCRATCH_EN: 1
; COMPUTE_PGM_RSRC2:USER_SGPR: 2
; COMPUTE_PGM_RSRC2:TRAP_HANDLER: 0
; COMPUTE_PGM_RSRC2:TGID_X_EN: 1
; COMPUTE_PGM_RSRC2:TGID_Y_EN: 0
; COMPUTE_PGM_RSRC2:TGID_Z_EN: 0
; COMPUTE_PGM_RSRC2:TIDIG_COMP_CNT: 0
	.section	.text._Z38paged_attention_ll4mi_QKV_mfma4_kernelIDF16_DF16_LN4vllm18Fp8KVCacheDataTypeE0EhLi16ELi128ELi256ELb1ELi2EEvPKT_PKT0_S7_ifPKiS9_S9_iPKfiiiPfSC_PS2_PT2_iSB_SB_,"axG",@progbits,_Z38paged_attention_ll4mi_QKV_mfma4_kernelIDF16_DF16_LN4vllm18Fp8KVCacheDataTypeE0EhLi16ELi128ELi256ELb1ELi2EEvPKT_PKT0_S7_ifPKiS9_S9_iPKfiiiPfSC_PS2_PT2_iSB_SB_,comdat
	.protected	_Z38paged_attention_ll4mi_QKV_mfma4_kernelIDF16_DF16_LN4vllm18Fp8KVCacheDataTypeE0EhLi16ELi128ELi256ELb1ELi2EEvPKT_PKT0_S7_ifPKiS9_S9_iPKfiiiPfSC_PS2_PT2_iSB_SB_ ; -- Begin function _Z38paged_attention_ll4mi_QKV_mfma4_kernelIDF16_DF16_LN4vllm18Fp8KVCacheDataTypeE0EhLi16ELi128ELi256ELb1ELi2EEvPKT_PKT0_S7_ifPKiS9_S9_iPKfiiiPfSC_PS2_PT2_iSB_SB_
	.globl	_Z38paged_attention_ll4mi_QKV_mfma4_kernelIDF16_DF16_LN4vllm18Fp8KVCacheDataTypeE0EhLi16ELi128ELi256ELb1ELi2EEvPKT_PKT0_S7_ifPKiS9_S9_iPKfiiiPfSC_PS2_PT2_iSB_SB_
	.p2align	8
	.type	_Z38paged_attention_ll4mi_QKV_mfma4_kernelIDF16_DF16_LN4vllm18Fp8KVCacheDataTypeE0EhLi16ELi128ELi256ELb1ELi2EEvPKT_PKT0_S7_ifPKiS9_S9_iPKfiiiPfSC_PS2_PT2_iSB_SB_,@function
_Z38paged_attention_ll4mi_QKV_mfma4_kernelIDF16_DF16_LN4vllm18Fp8KVCacheDataTypeE0EhLi16ELi128ELi256ELb1ELi2EEvPKT_PKT0_S7_ifPKiS9_S9_iPKfiiiPfSC_PS2_PT2_iSB_SB_: ; @_Z38paged_attention_ll4mi_QKV_mfma4_kernelIDF16_DF16_LN4vllm18Fp8KVCacheDataTypeE0EhLi16ELi128ELi256ELb1ELi2EEvPKT_PKT0_S7_ifPKiS9_S9_iPKfiiiPfSC_PS2_PT2_iSB_SB_
; %bb.0:
	s_get_pc_i64 s[2:3]
	s_add_nc_u64 s[2:3], s[2:3], __PRETTY_FUNCTION__._Z38paged_attention_ll4mi_QKV_mfma4_kernelIDF16_DF16_LN4vllm18Fp8KVCacheDataTypeE0EhLi16ELi128ELi256ELb1ELi2EEvPKT_PKT0_S7_ifPKiS9_S9_iPKfiiiPfSC_PS2_PT2_iSB_SB_@rel64+4
	s_delay_alu instid0(SALU_CYCLE_1)
	v_dual_mov_b32 v0, 0xbce :: v_dual_mov_b32 v1, s2
	v_mov_b32_e32 v2, s3
	s_add_nc_u64 s[8:9], s[0:1], 0x90
	s_get_pc_i64 s[0:1]
	s_add_nc_u64 s[0:1], s[0:1], __assert_fail@rel64+4
	s_mov_b32 s32, 0
	s_swap_pc_i64 s[30:31], s[0:1]
	.section	.rodata,"a",@progbits
	.p2align	6, 0x0
	.amdhsa_kernel _Z38paged_attention_ll4mi_QKV_mfma4_kernelIDF16_DF16_LN4vllm18Fp8KVCacheDataTypeE0EhLi16ELi128ELi256ELb1ELi2EEvPKT_PKT0_S7_ifPKiS9_S9_iPKfiiiPfSC_PS2_PT2_iSB_SB_
		.amdhsa_group_segment_fixed_size 0
		.amdhsa_private_segment_fixed_size 64
		.amdhsa_kernarg_size 400
		.amdhsa_user_sgpr_count 2
		.amdhsa_user_sgpr_dispatch_ptr 0
		.amdhsa_user_sgpr_queue_ptr 0
		.amdhsa_user_sgpr_kernarg_segment_ptr 1
		.amdhsa_user_sgpr_dispatch_id 0
		.amdhsa_user_sgpr_kernarg_preload_length 0
		.amdhsa_user_sgpr_kernarg_preload_offset 0
		.amdhsa_user_sgpr_private_segment_size 0
		.amdhsa_wavefront_size32 1
		.amdhsa_uses_dynamic_stack 0
		.amdhsa_enable_private_segment 1
		.amdhsa_system_sgpr_workgroup_id_x 1
		.amdhsa_system_sgpr_workgroup_id_y 0
		.amdhsa_system_sgpr_workgroup_id_z 0
		.amdhsa_system_sgpr_workgroup_info 0
		.amdhsa_system_vgpr_workitem_id 0
		.amdhsa_next_free_vgpr 51
		.amdhsa_next_free_sgpr 34
		.amdhsa_named_barrier_count 0
		.amdhsa_reserve_vcc 1
		.amdhsa_float_round_mode_32 0
		.amdhsa_float_round_mode_16_64 0
		.amdhsa_float_denorm_mode_32 3
		.amdhsa_float_denorm_mode_16_64 3
		.amdhsa_fp16_overflow 0
		.amdhsa_memory_ordered 1
		.amdhsa_forward_progress 1
		.amdhsa_inst_pref_size 1
		.amdhsa_round_robin_scheduling 0
		.amdhsa_exception_fp_ieee_invalid_op 0
		.amdhsa_exception_fp_denorm_src 0
		.amdhsa_exception_fp_ieee_div_zero 0
		.amdhsa_exception_fp_ieee_overflow 0
		.amdhsa_exception_fp_ieee_underflow 0
		.amdhsa_exception_fp_ieee_inexact 0
		.amdhsa_exception_int_div_zero 0
	.end_amdhsa_kernel
	.section	.text._Z38paged_attention_ll4mi_QKV_mfma4_kernelIDF16_DF16_LN4vllm18Fp8KVCacheDataTypeE0EhLi16ELi128ELi256ELb1ELi2EEvPKT_PKT0_S7_ifPKiS9_S9_iPKfiiiPfSC_PS2_PT2_iSB_SB_,"axG",@progbits,_Z38paged_attention_ll4mi_QKV_mfma4_kernelIDF16_DF16_LN4vllm18Fp8KVCacheDataTypeE0EhLi16ELi128ELi256ELb1ELi2EEvPKT_PKT0_S7_ifPKiS9_S9_iPKfiiiPfSC_PS2_PT2_iSB_SB_,comdat
.Lfunc_end195:
	.size	_Z38paged_attention_ll4mi_QKV_mfma4_kernelIDF16_DF16_LN4vllm18Fp8KVCacheDataTypeE0EhLi16ELi128ELi256ELb1ELi2EEvPKT_PKT0_S7_ifPKiS9_S9_iPKfiiiPfSC_PS2_PT2_iSB_SB_, .Lfunc_end195-_Z38paged_attention_ll4mi_QKV_mfma4_kernelIDF16_DF16_LN4vllm18Fp8KVCacheDataTypeE0EhLi16ELi128ELi256ELb1ELi2EEvPKT_PKT0_S7_ifPKiS9_S9_iPKfiiiPfSC_PS2_PT2_iSB_SB_
                                        ; -- End function
	.set _Z38paged_attention_ll4mi_QKV_mfma4_kernelIDF16_DF16_LN4vllm18Fp8KVCacheDataTypeE0EhLi16ELi128ELi256ELb1ELi2EEvPKT_PKT0_S7_ifPKiS9_S9_iPKfiiiPfSC_PS2_PT2_iSB_SB_.num_vgpr, max(3, .L__assert_fail.num_vgpr)
	.set _Z38paged_attention_ll4mi_QKV_mfma4_kernelIDF16_DF16_LN4vllm18Fp8KVCacheDataTypeE0EhLi16ELi128ELi256ELb1ELi2EEvPKT_PKT0_S7_ifPKiS9_S9_iPKfiiiPfSC_PS2_PT2_iSB_SB_.num_agpr, max(0, .L__assert_fail.num_agpr)
	.set _Z38paged_attention_ll4mi_QKV_mfma4_kernelIDF16_DF16_LN4vllm18Fp8KVCacheDataTypeE0EhLi16ELi128ELi256ELb1ELi2EEvPKT_PKT0_S7_ifPKiS9_S9_iPKfiiiPfSC_PS2_PT2_iSB_SB_.numbered_sgpr, max(33, .L__assert_fail.numbered_sgpr)
	.set _Z38paged_attention_ll4mi_QKV_mfma4_kernelIDF16_DF16_LN4vllm18Fp8KVCacheDataTypeE0EhLi16ELi128ELi256ELb1ELi2EEvPKT_PKT0_S7_ifPKiS9_S9_iPKfiiiPfSC_PS2_PT2_iSB_SB_.num_named_barrier, max(0, .L__assert_fail.num_named_barrier)
	.set _Z38paged_attention_ll4mi_QKV_mfma4_kernelIDF16_DF16_LN4vllm18Fp8KVCacheDataTypeE0EhLi16ELi128ELi256ELb1ELi2EEvPKT_PKT0_S7_ifPKiS9_S9_iPKfiiiPfSC_PS2_PT2_iSB_SB_.private_seg_size, 0+max(.L__assert_fail.private_seg_size)
	.set _Z38paged_attention_ll4mi_QKV_mfma4_kernelIDF16_DF16_LN4vllm18Fp8KVCacheDataTypeE0EhLi16ELi128ELi256ELb1ELi2EEvPKT_PKT0_S7_ifPKiS9_S9_iPKfiiiPfSC_PS2_PT2_iSB_SB_.uses_vcc, or(1, .L__assert_fail.uses_vcc)
	.set _Z38paged_attention_ll4mi_QKV_mfma4_kernelIDF16_DF16_LN4vllm18Fp8KVCacheDataTypeE0EhLi16ELi128ELi256ELb1ELi2EEvPKT_PKT0_S7_ifPKiS9_S9_iPKfiiiPfSC_PS2_PT2_iSB_SB_.uses_flat_scratch, or(0, .L__assert_fail.uses_flat_scratch)
	.set _Z38paged_attention_ll4mi_QKV_mfma4_kernelIDF16_DF16_LN4vllm18Fp8KVCacheDataTypeE0EhLi16ELi128ELi256ELb1ELi2EEvPKT_PKT0_S7_ifPKiS9_S9_iPKfiiiPfSC_PS2_PT2_iSB_SB_.has_dyn_sized_stack, or(0, .L__assert_fail.has_dyn_sized_stack)
	.set _Z38paged_attention_ll4mi_QKV_mfma4_kernelIDF16_DF16_LN4vllm18Fp8KVCacheDataTypeE0EhLi16ELi128ELi256ELb1ELi2EEvPKT_PKT0_S7_ifPKiS9_S9_iPKfiiiPfSC_PS2_PT2_iSB_SB_.has_recursion, or(0, .L__assert_fail.has_recursion)
	.set _Z38paged_attention_ll4mi_QKV_mfma4_kernelIDF16_DF16_LN4vllm18Fp8KVCacheDataTypeE0EhLi16ELi128ELi256ELb1ELi2EEvPKT_PKT0_S7_ifPKiS9_S9_iPKfiiiPfSC_PS2_PT2_iSB_SB_.has_indirect_call, or(0, .L__assert_fail.has_indirect_call)
	.section	.AMDGPU.csdata,"",@progbits
; Kernel info:
; codeLenInByte = 68
; TotalNumSgprs: 36
; NumVgprs: 51
; ScratchSize: 64
; MemoryBound: 0
; FloatMode: 240
; IeeeMode: 1
; LDSByteSize: 0 bytes/workgroup (compile time only)
; SGPRBlocks: 0
; VGPRBlocks: 3
; NumSGPRsForWavesPerEU: 36
; NumVGPRsForWavesPerEU: 51
; NamedBarCnt: 0
; Occupancy: 16
; WaveLimiterHint : 1
; COMPUTE_PGM_RSRC2:SCRATCH_EN: 1
; COMPUTE_PGM_RSRC2:USER_SGPR: 2
; COMPUTE_PGM_RSRC2:TRAP_HANDLER: 0
; COMPUTE_PGM_RSRC2:TGID_X_EN: 1
; COMPUTE_PGM_RSRC2:TGID_Y_EN: 0
; COMPUTE_PGM_RSRC2:TGID_Z_EN: 0
; COMPUTE_PGM_RSRC2:TIDIG_COMP_CNT: 0
	.section	.text._Z38paged_attention_ll4mi_QKV_mfma4_kernelIDF16_DF16_LN4vllm18Fp8KVCacheDataTypeE0EhLi16ELi128ELi256ELb1ELi3EEvPKT_PKT0_S7_ifPKiS9_S9_iPKfiiiPfSC_PS2_PT2_iSB_SB_,"axG",@progbits,_Z38paged_attention_ll4mi_QKV_mfma4_kernelIDF16_DF16_LN4vllm18Fp8KVCacheDataTypeE0EhLi16ELi128ELi256ELb1ELi3EEvPKT_PKT0_S7_ifPKiS9_S9_iPKfiiiPfSC_PS2_PT2_iSB_SB_,comdat
	.protected	_Z38paged_attention_ll4mi_QKV_mfma4_kernelIDF16_DF16_LN4vllm18Fp8KVCacheDataTypeE0EhLi16ELi128ELi256ELb1ELi3EEvPKT_PKT0_S7_ifPKiS9_S9_iPKfiiiPfSC_PS2_PT2_iSB_SB_ ; -- Begin function _Z38paged_attention_ll4mi_QKV_mfma4_kernelIDF16_DF16_LN4vllm18Fp8KVCacheDataTypeE0EhLi16ELi128ELi256ELb1ELi3EEvPKT_PKT0_S7_ifPKiS9_S9_iPKfiiiPfSC_PS2_PT2_iSB_SB_
	.globl	_Z38paged_attention_ll4mi_QKV_mfma4_kernelIDF16_DF16_LN4vllm18Fp8KVCacheDataTypeE0EhLi16ELi128ELi256ELb1ELi3EEvPKT_PKT0_S7_ifPKiS9_S9_iPKfiiiPfSC_PS2_PT2_iSB_SB_
	.p2align	8
	.type	_Z38paged_attention_ll4mi_QKV_mfma4_kernelIDF16_DF16_LN4vllm18Fp8KVCacheDataTypeE0EhLi16ELi128ELi256ELb1ELi3EEvPKT_PKT0_S7_ifPKiS9_S9_iPKfiiiPfSC_PS2_PT2_iSB_SB_,@function
_Z38paged_attention_ll4mi_QKV_mfma4_kernelIDF16_DF16_LN4vllm18Fp8KVCacheDataTypeE0EhLi16ELi128ELi256ELb1ELi3EEvPKT_PKT0_S7_ifPKiS9_S9_iPKfiiiPfSC_PS2_PT2_iSB_SB_: ; @_Z38paged_attention_ll4mi_QKV_mfma4_kernelIDF16_DF16_LN4vllm18Fp8KVCacheDataTypeE0EhLi16ELi128ELi256ELb1ELi3EEvPKT_PKT0_S7_ifPKiS9_S9_iPKfiiiPfSC_PS2_PT2_iSB_SB_
; %bb.0:
	s_get_pc_i64 s[2:3]
	s_add_nc_u64 s[2:3], s[2:3], __PRETTY_FUNCTION__._Z38paged_attention_ll4mi_QKV_mfma4_kernelIDF16_DF16_LN4vllm18Fp8KVCacheDataTypeE0EhLi16ELi128ELi256ELb1ELi3EEvPKT_PKT0_S7_ifPKiS9_S9_iPKfiiiPfSC_PS2_PT2_iSB_SB_@rel64+4
	s_delay_alu instid0(SALU_CYCLE_1)
	v_dual_mov_b32 v0, 0xbce :: v_dual_mov_b32 v1, s2
	v_mov_b32_e32 v2, s3
	s_add_nc_u64 s[8:9], s[0:1], 0x90
	s_get_pc_i64 s[0:1]
	s_add_nc_u64 s[0:1], s[0:1], __assert_fail@rel64+4
	s_mov_b32 s32, 0
	s_swap_pc_i64 s[30:31], s[0:1]
	.section	.rodata,"a",@progbits
	.p2align	6, 0x0
	.amdhsa_kernel _Z38paged_attention_ll4mi_QKV_mfma4_kernelIDF16_DF16_LN4vllm18Fp8KVCacheDataTypeE0EhLi16ELi128ELi256ELb1ELi3EEvPKT_PKT0_S7_ifPKiS9_S9_iPKfiiiPfSC_PS2_PT2_iSB_SB_
		.amdhsa_group_segment_fixed_size 0
		.amdhsa_private_segment_fixed_size 64
		.amdhsa_kernarg_size 400
		.amdhsa_user_sgpr_count 2
		.amdhsa_user_sgpr_dispatch_ptr 0
		.amdhsa_user_sgpr_queue_ptr 0
		.amdhsa_user_sgpr_kernarg_segment_ptr 1
		.amdhsa_user_sgpr_dispatch_id 0
		.amdhsa_user_sgpr_kernarg_preload_length 0
		.amdhsa_user_sgpr_kernarg_preload_offset 0
		.amdhsa_user_sgpr_private_segment_size 0
		.amdhsa_wavefront_size32 1
		.amdhsa_uses_dynamic_stack 0
		.amdhsa_enable_private_segment 1
		.amdhsa_system_sgpr_workgroup_id_x 1
		.amdhsa_system_sgpr_workgroup_id_y 0
		.amdhsa_system_sgpr_workgroup_id_z 0
		.amdhsa_system_sgpr_workgroup_info 0
		.amdhsa_system_vgpr_workitem_id 0
		.amdhsa_next_free_vgpr 51
		.amdhsa_next_free_sgpr 34
		.amdhsa_named_barrier_count 0
		.amdhsa_reserve_vcc 1
		.amdhsa_float_round_mode_32 0
		.amdhsa_float_round_mode_16_64 0
		.amdhsa_float_denorm_mode_32 3
		.amdhsa_float_denorm_mode_16_64 3
		.amdhsa_fp16_overflow 0
		.amdhsa_memory_ordered 1
		.amdhsa_forward_progress 1
		.amdhsa_inst_pref_size 1
		.amdhsa_round_robin_scheduling 0
		.amdhsa_exception_fp_ieee_invalid_op 0
		.amdhsa_exception_fp_denorm_src 0
		.amdhsa_exception_fp_ieee_div_zero 0
		.amdhsa_exception_fp_ieee_overflow 0
		.amdhsa_exception_fp_ieee_underflow 0
		.amdhsa_exception_fp_ieee_inexact 0
		.amdhsa_exception_int_div_zero 0
	.end_amdhsa_kernel
	.section	.text._Z38paged_attention_ll4mi_QKV_mfma4_kernelIDF16_DF16_LN4vllm18Fp8KVCacheDataTypeE0EhLi16ELi128ELi256ELb1ELi3EEvPKT_PKT0_S7_ifPKiS9_S9_iPKfiiiPfSC_PS2_PT2_iSB_SB_,"axG",@progbits,_Z38paged_attention_ll4mi_QKV_mfma4_kernelIDF16_DF16_LN4vllm18Fp8KVCacheDataTypeE0EhLi16ELi128ELi256ELb1ELi3EEvPKT_PKT0_S7_ifPKiS9_S9_iPKfiiiPfSC_PS2_PT2_iSB_SB_,comdat
.Lfunc_end196:
	.size	_Z38paged_attention_ll4mi_QKV_mfma4_kernelIDF16_DF16_LN4vllm18Fp8KVCacheDataTypeE0EhLi16ELi128ELi256ELb1ELi3EEvPKT_PKT0_S7_ifPKiS9_S9_iPKfiiiPfSC_PS2_PT2_iSB_SB_, .Lfunc_end196-_Z38paged_attention_ll4mi_QKV_mfma4_kernelIDF16_DF16_LN4vllm18Fp8KVCacheDataTypeE0EhLi16ELi128ELi256ELb1ELi3EEvPKT_PKT0_S7_ifPKiS9_S9_iPKfiiiPfSC_PS2_PT2_iSB_SB_
                                        ; -- End function
	.set _Z38paged_attention_ll4mi_QKV_mfma4_kernelIDF16_DF16_LN4vllm18Fp8KVCacheDataTypeE0EhLi16ELi128ELi256ELb1ELi3EEvPKT_PKT0_S7_ifPKiS9_S9_iPKfiiiPfSC_PS2_PT2_iSB_SB_.num_vgpr, max(3, .L__assert_fail.num_vgpr)
	.set _Z38paged_attention_ll4mi_QKV_mfma4_kernelIDF16_DF16_LN4vllm18Fp8KVCacheDataTypeE0EhLi16ELi128ELi256ELb1ELi3EEvPKT_PKT0_S7_ifPKiS9_S9_iPKfiiiPfSC_PS2_PT2_iSB_SB_.num_agpr, max(0, .L__assert_fail.num_agpr)
	.set _Z38paged_attention_ll4mi_QKV_mfma4_kernelIDF16_DF16_LN4vllm18Fp8KVCacheDataTypeE0EhLi16ELi128ELi256ELb1ELi3EEvPKT_PKT0_S7_ifPKiS9_S9_iPKfiiiPfSC_PS2_PT2_iSB_SB_.numbered_sgpr, max(33, .L__assert_fail.numbered_sgpr)
	.set _Z38paged_attention_ll4mi_QKV_mfma4_kernelIDF16_DF16_LN4vllm18Fp8KVCacheDataTypeE0EhLi16ELi128ELi256ELb1ELi3EEvPKT_PKT0_S7_ifPKiS9_S9_iPKfiiiPfSC_PS2_PT2_iSB_SB_.num_named_barrier, max(0, .L__assert_fail.num_named_barrier)
	.set _Z38paged_attention_ll4mi_QKV_mfma4_kernelIDF16_DF16_LN4vllm18Fp8KVCacheDataTypeE0EhLi16ELi128ELi256ELb1ELi3EEvPKT_PKT0_S7_ifPKiS9_S9_iPKfiiiPfSC_PS2_PT2_iSB_SB_.private_seg_size, 0+max(.L__assert_fail.private_seg_size)
	.set _Z38paged_attention_ll4mi_QKV_mfma4_kernelIDF16_DF16_LN4vllm18Fp8KVCacheDataTypeE0EhLi16ELi128ELi256ELb1ELi3EEvPKT_PKT0_S7_ifPKiS9_S9_iPKfiiiPfSC_PS2_PT2_iSB_SB_.uses_vcc, or(1, .L__assert_fail.uses_vcc)
	.set _Z38paged_attention_ll4mi_QKV_mfma4_kernelIDF16_DF16_LN4vllm18Fp8KVCacheDataTypeE0EhLi16ELi128ELi256ELb1ELi3EEvPKT_PKT0_S7_ifPKiS9_S9_iPKfiiiPfSC_PS2_PT2_iSB_SB_.uses_flat_scratch, or(0, .L__assert_fail.uses_flat_scratch)
	.set _Z38paged_attention_ll4mi_QKV_mfma4_kernelIDF16_DF16_LN4vllm18Fp8KVCacheDataTypeE0EhLi16ELi128ELi256ELb1ELi3EEvPKT_PKT0_S7_ifPKiS9_S9_iPKfiiiPfSC_PS2_PT2_iSB_SB_.has_dyn_sized_stack, or(0, .L__assert_fail.has_dyn_sized_stack)
	.set _Z38paged_attention_ll4mi_QKV_mfma4_kernelIDF16_DF16_LN4vllm18Fp8KVCacheDataTypeE0EhLi16ELi128ELi256ELb1ELi3EEvPKT_PKT0_S7_ifPKiS9_S9_iPKfiiiPfSC_PS2_PT2_iSB_SB_.has_recursion, or(0, .L__assert_fail.has_recursion)
	.set _Z38paged_attention_ll4mi_QKV_mfma4_kernelIDF16_DF16_LN4vllm18Fp8KVCacheDataTypeE0EhLi16ELi128ELi256ELb1ELi3EEvPKT_PKT0_S7_ifPKiS9_S9_iPKfiiiPfSC_PS2_PT2_iSB_SB_.has_indirect_call, or(0, .L__assert_fail.has_indirect_call)
	.section	.AMDGPU.csdata,"",@progbits
; Kernel info:
; codeLenInByte = 68
; TotalNumSgprs: 36
; NumVgprs: 51
; ScratchSize: 64
; MemoryBound: 0
; FloatMode: 240
; IeeeMode: 1
; LDSByteSize: 0 bytes/workgroup (compile time only)
; SGPRBlocks: 0
; VGPRBlocks: 3
; NumSGPRsForWavesPerEU: 36
; NumVGPRsForWavesPerEU: 51
; NamedBarCnt: 0
; Occupancy: 16
; WaveLimiterHint : 1
; COMPUTE_PGM_RSRC2:SCRATCH_EN: 1
; COMPUTE_PGM_RSRC2:USER_SGPR: 2
; COMPUTE_PGM_RSRC2:TRAP_HANDLER: 0
; COMPUTE_PGM_RSRC2:TGID_X_EN: 1
; COMPUTE_PGM_RSRC2:TGID_Y_EN: 0
; COMPUTE_PGM_RSRC2:TGID_Z_EN: 0
; COMPUTE_PGM_RSRC2:TIDIG_COMP_CNT: 0
	.section	.text._Z38paged_attention_ll4mi_QKV_mfma4_kernelIDF16_DF16_LN4vllm18Fp8KVCacheDataTypeE0EhLi16ELi128ELi256ELb1ELi4EEvPKT_PKT0_S7_ifPKiS9_S9_iPKfiiiPfSC_PS2_PT2_iSB_SB_,"axG",@progbits,_Z38paged_attention_ll4mi_QKV_mfma4_kernelIDF16_DF16_LN4vllm18Fp8KVCacheDataTypeE0EhLi16ELi128ELi256ELb1ELi4EEvPKT_PKT0_S7_ifPKiS9_S9_iPKfiiiPfSC_PS2_PT2_iSB_SB_,comdat
	.protected	_Z38paged_attention_ll4mi_QKV_mfma4_kernelIDF16_DF16_LN4vllm18Fp8KVCacheDataTypeE0EhLi16ELi128ELi256ELb1ELi4EEvPKT_PKT0_S7_ifPKiS9_S9_iPKfiiiPfSC_PS2_PT2_iSB_SB_ ; -- Begin function _Z38paged_attention_ll4mi_QKV_mfma4_kernelIDF16_DF16_LN4vllm18Fp8KVCacheDataTypeE0EhLi16ELi128ELi256ELb1ELi4EEvPKT_PKT0_S7_ifPKiS9_S9_iPKfiiiPfSC_PS2_PT2_iSB_SB_
	.globl	_Z38paged_attention_ll4mi_QKV_mfma4_kernelIDF16_DF16_LN4vllm18Fp8KVCacheDataTypeE0EhLi16ELi128ELi256ELb1ELi4EEvPKT_PKT0_S7_ifPKiS9_S9_iPKfiiiPfSC_PS2_PT2_iSB_SB_
	.p2align	8
	.type	_Z38paged_attention_ll4mi_QKV_mfma4_kernelIDF16_DF16_LN4vllm18Fp8KVCacheDataTypeE0EhLi16ELi128ELi256ELb1ELi4EEvPKT_PKT0_S7_ifPKiS9_S9_iPKfiiiPfSC_PS2_PT2_iSB_SB_,@function
_Z38paged_attention_ll4mi_QKV_mfma4_kernelIDF16_DF16_LN4vllm18Fp8KVCacheDataTypeE0EhLi16ELi128ELi256ELb1ELi4EEvPKT_PKT0_S7_ifPKiS9_S9_iPKfiiiPfSC_PS2_PT2_iSB_SB_: ; @_Z38paged_attention_ll4mi_QKV_mfma4_kernelIDF16_DF16_LN4vllm18Fp8KVCacheDataTypeE0EhLi16ELi128ELi256ELb1ELi4EEvPKT_PKT0_S7_ifPKiS9_S9_iPKfiiiPfSC_PS2_PT2_iSB_SB_
; %bb.0:
	s_get_pc_i64 s[2:3]
	s_add_nc_u64 s[2:3], s[2:3], __PRETTY_FUNCTION__._Z38paged_attention_ll4mi_QKV_mfma4_kernelIDF16_DF16_LN4vllm18Fp8KVCacheDataTypeE0EhLi16ELi128ELi256ELb1ELi4EEvPKT_PKT0_S7_ifPKiS9_S9_iPKfiiiPfSC_PS2_PT2_iSB_SB_@rel64+4
	s_delay_alu instid0(SALU_CYCLE_1)
	v_dual_mov_b32 v0, 0xbce :: v_dual_mov_b32 v1, s2
	v_mov_b32_e32 v2, s3
	s_add_nc_u64 s[8:9], s[0:1], 0x90
	s_get_pc_i64 s[0:1]
	s_add_nc_u64 s[0:1], s[0:1], __assert_fail@rel64+4
	s_mov_b32 s32, 0
	s_swap_pc_i64 s[30:31], s[0:1]
	.section	.rodata,"a",@progbits
	.p2align	6, 0x0
	.amdhsa_kernel _Z38paged_attention_ll4mi_QKV_mfma4_kernelIDF16_DF16_LN4vllm18Fp8KVCacheDataTypeE0EhLi16ELi128ELi256ELb1ELi4EEvPKT_PKT0_S7_ifPKiS9_S9_iPKfiiiPfSC_PS2_PT2_iSB_SB_
		.amdhsa_group_segment_fixed_size 0
		.amdhsa_private_segment_fixed_size 64
		.amdhsa_kernarg_size 400
		.amdhsa_user_sgpr_count 2
		.amdhsa_user_sgpr_dispatch_ptr 0
		.amdhsa_user_sgpr_queue_ptr 0
		.amdhsa_user_sgpr_kernarg_segment_ptr 1
		.amdhsa_user_sgpr_dispatch_id 0
		.amdhsa_user_sgpr_kernarg_preload_length 0
		.amdhsa_user_sgpr_kernarg_preload_offset 0
		.amdhsa_user_sgpr_private_segment_size 0
		.amdhsa_wavefront_size32 1
		.amdhsa_uses_dynamic_stack 0
		.amdhsa_enable_private_segment 1
		.amdhsa_system_sgpr_workgroup_id_x 1
		.amdhsa_system_sgpr_workgroup_id_y 0
		.amdhsa_system_sgpr_workgroup_id_z 0
		.amdhsa_system_sgpr_workgroup_info 0
		.amdhsa_system_vgpr_workitem_id 0
		.amdhsa_next_free_vgpr 51
		.amdhsa_next_free_sgpr 34
		.amdhsa_named_barrier_count 0
		.amdhsa_reserve_vcc 1
		.amdhsa_float_round_mode_32 0
		.amdhsa_float_round_mode_16_64 0
		.amdhsa_float_denorm_mode_32 3
		.amdhsa_float_denorm_mode_16_64 3
		.amdhsa_fp16_overflow 0
		.amdhsa_memory_ordered 1
		.amdhsa_forward_progress 1
		.amdhsa_inst_pref_size 1
		.amdhsa_round_robin_scheduling 0
		.amdhsa_exception_fp_ieee_invalid_op 0
		.amdhsa_exception_fp_denorm_src 0
		.amdhsa_exception_fp_ieee_div_zero 0
		.amdhsa_exception_fp_ieee_overflow 0
		.amdhsa_exception_fp_ieee_underflow 0
		.amdhsa_exception_fp_ieee_inexact 0
		.amdhsa_exception_int_div_zero 0
	.end_amdhsa_kernel
	.section	.text._Z38paged_attention_ll4mi_QKV_mfma4_kernelIDF16_DF16_LN4vllm18Fp8KVCacheDataTypeE0EhLi16ELi128ELi256ELb1ELi4EEvPKT_PKT0_S7_ifPKiS9_S9_iPKfiiiPfSC_PS2_PT2_iSB_SB_,"axG",@progbits,_Z38paged_attention_ll4mi_QKV_mfma4_kernelIDF16_DF16_LN4vllm18Fp8KVCacheDataTypeE0EhLi16ELi128ELi256ELb1ELi4EEvPKT_PKT0_S7_ifPKiS9_S9_iPKfiiiPfSC_PS2_PT2_iSB_SB_,comdat
.Lfunc_end197:
	.size	_Z38paged_attention_ll4mi_QKV_mfma4_kernelIDF16_DF16_LN4vllm18Fp8KVCacheDataTypeE0EhLi16ELi128ELi256ELb1ELi4EEvPKT_PKT0_S7_ifPKiS9_S9_iPKfiiiPfSC_PS2_PT2_iSB_SB_, .Lfunc_end197-_Z38paged_attention_ll4mi_QKV_mfma4_kernelIDF16_DF16_LN4vllm18Fp8KVCacheDataTypeE0EhLi16ELi128ELi256ELb1ELi4EEvPKT_PKT0_S7_ifPKiS9_S9_iPKfiiiPfSC_PS2_PT2_iSB_SB_
                                        ; -- End function
	.set _Z38paged_attention_ll4mi_QKV_mfma4_kernelIDF16_DF16_LN4vllm18Fp8KVCacheDataTypeE0EhLi16ELi128ELi256ELb1ELi4EEvPKT_PKT0_S7_ifPKiS9_S9_iPKfiiiPfSC_PS2_PT2_iSB_SB_.num_vgpr, max(3, .L__assert_fail.num_vgpr)
	.set _Z38paged_attention_ll4mi_QKV_mfma4_kernelIDF16_DF16_LN4vllm18Fp8KVCacheDataTypeE0EhLi16ELi128ELi256ELb1ELi4EEvPKT_PKT0_S7_ifPKiS9_S9_iPKfiiiPfSC_PS2_PT2_iSB_SB_.num_agpr, max(0, .L__assert_fail.num_agpr)
	.set _Z38paged_attention_ll4mi_QKV_mfma4_kernelIDF16_DF16_LN4vllm18Fp8KVCacheDataTypeE0EhLi16ELi128ELi256ELb1ELi4EEvPKT_PKT0_S7_ifPKiS9_S9_iPKfiiiPfSC_PS2_PT2_iSB_SB_.numbered_sgpr, max(33, .L__assert_fail.numbered_sgpr)
	.set _Z38paged_attention_ll4mi_QKV_mfma4_kernelIDF16_DF16_LN4vllm18Fp8KVCacheDataTypeE0EhLi16ELi128ELi256ELb1ELi4EEvPKT_PKT0_S7_ifPKiS9_S9_iPKfiiiPfSC_PS2_PT2_iSB_SB_.num_named_barrier, max(0, .L__assert_fail.num_named_barrier)
	.set _Z38paged_attention_ll4mi_QKV_mfma4_kernelIDF16_DF16_LN4vllm18Fp8KVCacheDataTypeE0EhLi16ELi128ELi256ELb1ELi4EEvPKT_PKT0_S7_ifPKiS9_S9_iPKfiiiPfSC_PS2_PT2_iSB_SB_.private_seg_size, 0+max(.L__assert_fail.private_seg_size)
	.set _Z38paged_attention_ll4mi_QKV_mfma4_kernelIDF16_DF16_LN4vllm18Fp8KVCacheDataTypeE0EhLi16ELi128ELi256ELb1ELi4EEvPKT_PKT0_S7_ifPKiS9_S9_iPKfiiiPfSC_PS2_PT2_iSB_SB_.uses_vcc, or(1, .L__assert_fail.uses_vcc)
	.set _Z38paged_attention_ll4mi_QKV_mfma4_kernelIDF16_DF16_LN4vllm18Fp8KVCacheDataTypeE0EhLi16ELi128ELi256ELb1ELi4EEvPKT_PKT0_S7_ifPKiS9_S9_iPKfiiiPfSC_PS2_PT2_iSB_SB_.uses_flat_scratch, or(0, .L__assert_fail.uses_flat_scratch)
	.set _Z38paged_attention_ll4mi_QKV_mfma4_kernelIDF16_DF16_LN4vllm18Fp8KVCacheDataTypeE0EhLi16ELi128ELi256ELb1ELi4EEvPKT_PKT0_S7_ifPKiS9_S9_iPKfiiiPfSC_PS2_PT2_iSB_SB_.has_dyn_sized_stack, or(0, .L__assert_fail.has_dyn_sized_stack)
	.set _Z38paged_attention_ll4mi_QKV_mfma4_kernelIDF16_DF16_LN4vllm18Fp8KVCacheDataTypeE0EhLi16ELi128ELi256ELb1ELi4EEvPKT_PKT0_S7_ifPKiS9_S9_iPKfiiiPfSC_PS2_PT2_iSB_SB_.has_recursion, or(0, .L__assert_fail.has_recursion)
	.set _Z38paged_attention_ll4mi_QKV_mfma4_kernelIDF16_DF16_LN4vllm18Fp8KVCacheDataTypeE0EhLi16ELi128ELi256ELb1ELi4EEvPKT_PKT0_S7_ifPKiS9_S9_iPKfiiiPfSC_PS2_PT2_iSB_SB_.has_indirect_call, or(0, .L__assert_fail.has_indirect_call)
	.section	.AMDGPU.csdata,"",@progbits
; Kernel info:
; codeLenInByte = 68
; TotalNumSgprs: 36
; NumVgprs: 51
; ScratchSize: 64
; MemoryBound: 0
; FloatMode: 240
; IeeeMode: 1
; LDSByteSize: 0 bytes/workgroup (compile time only)
; SGPRBlocks: 0
; VGPRBlocks: 3
; NumSGPRsForWavesPerEU: 36
; NumVGPRsForWavesPerEU: 51
; NamedBarCnt: 0
; Occupancy: 16
; WaveLimiterHint : 1
; COMPUTE_PGM_RSRC2:SCRATCH_EN: 1
; COMPUTE_PGM_RSRC2:USER_SGPR: 2
; COMPUTE_PGM_RSRC2:TRAP_HANDLER: 0
; COMPUTE_PGM_RSRC2:TGID_X_EN: 1
; COMPUTE_PGM_RSRC2:TGID_Y_EN: 0
; COMPUTE_PGM_RSRC2:TGID_Z_EN: 0
; COMPUTE_PGM_RSRC2:TIDIG_COMP_CNT: 0
	.section	.text._Z39paged_attention_ll4mi_QKV_mfma16_kernelIDF16_DF16_LN4vllm18Fp8KVCacheDataTypeE0EhLi16ELi128ELi256ELb1ELi5EEvPKT_PKT0_S7_ifPKiS9_S9_iPKfiiiPfSC_PS2_PT2_iSB_SB_,"axG",@progbits,_Z39paged_attention_ll4mi_QKV_mfma16_kernelIDF16_DF16_LN4vllm18Fp8KVCacheDataTypeE0EhLi16ELi128ELi256ELb1ELi5EEvPKT_PKT0_S7_ifPKiS9_S9_iPKfiiiPfSC_PS2_PT2_iSB_SB_,comdat
	.protected	_Z39paged_attention_ll4mi_QKV_mfma16_kernelIDF16_DF16_LN4vllm18Fp8KVCacheDataTypeE0EhLi16ELi128ELi256ELb1ELi5EEvPKT_PKT0_S7_ifPKiS9_S9_iPKfiiiPfSC_PS2_PT2_iSB_SB_ ; -- Begin function _Z39paged_attention_ll4mi_QKV_mfma16_kernelIDF16_DF16_LN4vllm18Fp8KVCacheDataTypeE0EhLi16ELi128ELi256ELb1ELi5EEvPKT_PKT0_S7_ifPKiS9_S9_iPKfiiiPfSC_PS2_PT2_iSB_SB_
	.globl	_Z39paged_attention_ll4mi_QKV_mfma16_kernelIDF16_DF16_LN4vllm18Fp8KVCacheDataTypeE0EhLi16ELi128ELi256ELb1ELi5EEvPKT_PKT0_S7_ifPKiS9_S9_iPKfiiiPfSC_PS2_PT2_iSB_SB_
	.p2align	8
	.type	_Z39paged_attention_ll4mi_QKV_mfma16_kernelIDF16_DF16_LN4vllm18Fp8KVCacheDataTypeE0EhLi16ELi128ELi256ELb1ELi5EEvPKT_PKT0_S7_ifPKiS9_S9_iPKfiiiPfSC_PS2_PT2_iSB_SB_,@function
_Z39paged_attention_ll4mi_QKV_mfma16_kernelIDF16_DF16_LN4vllm18Fp8KVCacheDataTypeE0EhLi16ELi128ELi256ELb1ELi5EEvPKT_PKT0_S7_ifPKiS9_S9_iPKfiiiPfSC_PS2_PT2_iSB_SB_: ; @_Z39paged_attention_ll4mi_QKV_mfma16_kernelIDF16_DF16_LN4vllm18Fp8KVCacheDataTypeE0EhLi16ELi128ELi256ELb1ELi5EEvPKT_PKT0_S7_ifPKiS9_S9_iPKfiiiPfSC_PS2_PT2_iSB_SB_
; %bb.0:
	s_get_pc_i64 s[2:3]
	s_add_nc_u64 s[2:3], s[2:3], __PRETTY_FUNCTION__._Z39paged_attention_ll4mi_QKV_mfma16_kernelIDF16_DF16_LN4vllm18Fp8KVCacheDataTypeE0EhLi16ELi128ELi256ELb1ELi5EEvPKT_PKT0_S7_ifPKiS9_S9_iPKfiiiPfSC_PS2_PT2_iSB_SB_@rel64+4
	s_delay_alu instid0(SALU_CYCLE_1)
	v_dual_mov_b32 v0, 0xbb3 :: v_dual_mov_b32 v1, s2
	v_mov_b32_e32 v2, s3
	s_add_nc_u64 s[8:9], s[0:1], 0x90
	s_get_pc_i64 s[0:1]
	s_add_nc_u64 s[0:1], s[0:1], __assert_fail@rel64+4
	s_mov_b32 s32, 0
	s_swap_pc_i64 s[30:31], s[0:1]
	.section	.rodata,"a",@progbits
	.p2align	6, 0x0
	.amdhsa_kernel _Z39paged_attention_ll4mi_QKV_mfma16_kernelIDF16_DF16_LN4vllm18Fp8KVCacheDataTypeE0EhLi16ELi128ELi256ELb1ELi5EEvPKT_PKT0_S7_ifPKiS9_S9_iPKfiiiPfSC_PS2_PT2_iSB_SB_
		.amdhsa_group_segment_fixed_size 0
		.amdhsa_private_segment_fixed_size 64
		.amdhsa_kernarg_size 400
		.amdhsa_user_sgpr_count 2
		.amdhsa_user_sgpr_dispatch_ptr 0
		.amdhsa_user_sgpr_queue_ptr 0
		.amdhsa_user_sgpr_kernarg_segment_ptr 1
		.amdhsa_user_sgpr_dispatch_id 0
		.amdhsa_user_sgpr_kernarg_preload_length 0
		.amdhsa_user_sgpr_kernarg_preload_offset 0
		.amdhsa_user_sgpr_private_segment_size 0
		.amdhsa_wavefront_size32 1
		.amdhsa_uses_dynamic_stack 0
		.amdhsa_enable_private_segment 1
		.amdhsa_system_sgpr_workgroup_id_x 1
		.amdhsa_system_sgpr_workgroup_id_y 0
		.amdhsa_system_sgpr_workgroup_id_z 0
		.amdhsa_system_sgpr_workgroup_info 0
		.amdhsa_system_vgpr_workitem_id 0
		.amdhsa_next_free_vgpr 51
		.amdhsa_next_free_sgpr 34
		.amdhsa_named_barrier_count 0
		.amdhsa_reserve_vcc 1
		.amdhsa_float_round_mode_32 0
		.amdhsa_float_round_mode_16_64 0
		.amdhsa_float_denorm_mode_32 3
		.amdhsa_float_denorm_mode_16_64 3
		.amdhsa_fp16_overflow 0
		.amdhsa_memory_ordered 1
		.amdhsa_forward_progress 1
		.amdhsa_inst_pref_size 1
		.amdhsa_round_robin_scheduling 0
		.amdhsa_exception_fp_ieee_invalid_op 0
		.amdhsa_exception_fp_denorm_src 0
		.amdhsa_exception_fp_ieee_div_zero 0
		.amdhsa_exception_fp_ieee_overflow 0
		.amdhsa_exception_fp_ieee_underflow 0
		.amdhsa_exception_fp_ieee_inexact 0
		.amdhsa_exception_int_div_zero 0
	.end_amdhsa_kernel
	.section	.text._Z39paged_attention_ll4mi_QKV_mfma16_kernelIDF16_DF16_LN4vllm18Fp8KVCacheDataTypeE0EhLi16ELi128ELi256ELb1ELi5EEvPKT_PKT0_S7_ifPKiS9_S9_iPKfiiiPfSC_PS2_PT2_iSB_SB_,"axG",@progbits,_Z39paged_attention_ll4mi_QKV_mfma16_kernelIDF16_DF16_LN4vllm18Fp8KVCacheDataTypeE0EhLi16ELi128ELi256ELb1ELi5EEvPKT_PKT0_S7_ifPKiS9_S9_iPKfiiiPfSC_PS2_PT2_iSB_SB_,comdat
.Lfunc_end198:
	.size	_Z39paged_attention_ll4mi_QKV_mfma16_kernelIDF16_DF16_LN4vllm18Fp8KVCacheDataTypeE0EhLi16ELi128ELi256ELb1ELi5EEvPKT_PKT0_S7_ifPKiS9_S9_iPKfiiiPfSC_PS2_PT2_iSB_SB_, .Lfunc_end198-_Z39paged_attention_ll4mi_QKV_mfma16_kernelIDF16_DF16_LN4vllm18Fp8KVCacheDataTypeE0EhLi16ELi128ELi256ELb1ELi5EEvPKT_PKT0_S7_ifPKiS9_S9_iPKfiiiPfSC_PS2_PT2_iSB_SB_
                                        ; -- End function
	.set _Z39paged_attention_ll4mi_QKV_mfma16_kernelIDF16_DF16_LN4vllm18Fp8KVCacheDataTypeE0EhLi16ELi128ELi256ELb1ELi5EEvPKT_PKT0_S7_ifPKiS9_S9_iPKfiiiPfSC_PS2_PT2_iSB_SB_.num_vgpr, max(3, .L__assert_fail.num_vgpr)
	.set _Z39paged_attention_ll4mi_QKV_mfma16_kernelIDF16_DF16_LN4vllm18Fp8KVCacheDataTypeE0EhLi16ELi128ELi256ELb1ELi5EEvPKT_PKT0_S7_ifPKiS9_S9_iPKfiiiPfSC_PS2_PT2_iSB_SB_.num_agpr, max(0, .L__assert_fail.num_agpr)
	.set _Z39paged_attention_ll4mi_QKV_mfma16_kernelIDF16_DF16_LN4vllm18Fp8KVCacheDataTypeE0EhLi16ELi128ELi256ELb1ELi5EEvPKT_PKT0_S7_ifPKiS9_S9_iPKfiiiPfSC_PS2_PT2_iSB_SB_.numbered_sgpr, max(33, .L__assert_fail.numbered_sgpr)
	.set _Z39paged_attention_ll4mi_QKV_mfma16_kernelIDF16_DF16_LN4vllm18Fp8KVCacheDataTypeE0EhLi16ELi128ELi256ELb1ELi5EEvPKT_PKT0_S7_ifPKiS9_S9_iPKfiiiPfSC_PS2_PT2_iSB_SB_.num_named_barrier, max(0, .L__assert_fail.num_named_barrier)
	.set _Z39paged_attention_ll4mi_QKV_mfma16_kernelIDF16_DF16_LN4vllm18Fp8KVCacheDataTypeE0EhLi16ELi128ELi256ELb1ELi5EEvPKT_PKT0_S7_ifPKiS9_S9_iPKfiiiPfSC_PS2_PT2_iSB_SB_.private_seg_size, 0+max(.L__assert_fail.private_seg_size)
	.set _Z39paged_attention_ll4mi_QKV_mfma16_kernelIDF16_DF16_LN4vllm18Fp8KVCacheDataTypeE0EhLi16ELi128ELi256ELb1ELi5EEvPKT_PKT0_S7_ifPKiS9_S9_iPKfiiiPfSC_PS2_PT2_iSB_SB_.uses_vcc, or(1, .L__assert_fail.uses_vcc)
	.set _Z39paged_attention_ll4mi_QKV_mfma16_kernelIDF16_DF16_LN4vllm18Fp8KVCacheDataTypeE0EhLi16ELi128ELi256ELb1ELi5EEvPKT_PKT0_S7_ifPKiS9_S9_iPKfiiiPfSC_PS2_PT2_iSB_SB_.uses_flat_scratch, or(0, .L__assert_fail.uses_flat_scratch)
	.set _Z39paged_attention_ll4mi_QKV_mfma16_kernelIDF16_DF16_LN4vllm18Fp8KVCacheDataTypeE0EhLi16ELi128ELi256ELb1ELi5EEvPKT_PKT0_S7_ifPKiS9_S9_iPKfiiiPfSC_PS2_PT2_iSB_SB_.has_dyn_sized_stack, or(0, .L__assert_fail.has_dyn_sized_stack)
	.set _Z39paged_attention_ll4mi_QKV_mfma16_kernelIDF16_DF16_LN4vllm18Fp8KVCacheDataTypeE0EhLi16ELi128ELi256ELb1ELi5EEvPKT_PKT0_S7_ifPKiS9_S9_iPKfiiiPfSC_PS2_PT2_iSB_SB_.has_recursion, or(0, .L__assert_fail.has_recursion)
	.set _Z39paged_attention_ll4mi_QKV_mfma16_kernelIDF16_DF16_LN4vllm18Fp8KVCacheDataTypeE0EhLi16ELi128ELi256ELb1ELi5EEvPKT_PKT0_S7_ifPKiS9_S9_iPKfiiiPfSC_PS2_PT2_iSB_SB_.has_indirect_call, or(0, .L__assert_fail.has_indirect_call)
	.section	.AMDGPU.csdata,"",@progbits
; Kernel info:
; codeLenInByte = 68
; TotalNumSgprs: 36
; NumVgprs: 51
; ScratchSize: 64
; MemoryBound: 0
; FloatMode: 240
; IeeeMode: 1
; LDSByteSize: 0 bytes/workgroup (compile time only)
; SGPRBlocks: 0
; VGPRBlocks: 3
; NumSGPRsForWavesPerEU: 36
; NumVGPRsForWavesPerEU: 51
; NamedBarCnt: 0
; Occupancy: 16
; WaveLimiterHint : 1
; COMPUTE_PGM_RSRC2:SCRATCH_EN: 1
; COMPUTE_PGM_RSRC2:USER_SGPR: 2
; COMPUTE_PGM_RSRC2:TRAP_HANDLER: 0
; COMPUTE_PGM_RSRC2:TGID_X_EN: 1
; COMPUTE_PGM_RSRC2:TGID_Y_EN: 0
; COMPUTE_PGM_RSRC2:TGID_Z_EN: 0
; COMPUTE_PGM_RSRC2:TIDIG_COMP_CNT: 0
	.section	.text._Z39paged_attention_ll4mi_QKV_mfma16_kernelIDF16_DF16_LN4vllm18Fp8KVCacheDataTypeE0EhLi16ELi128ELi256ELb1ELi6EEvPKT_PKT0_S7_ifPKiS9_S9_iPKfiiiPfSC_PS2_PT2_iSB_SB_,"axG",@progbits,_Z39paged_attention_ll4mi_QKV_mfma16_kernelIDF16_DF16_LN4vllm18Fp8KVCacheDataTypeE0EhLi16ELi128ELi256ELb1ELi6EEvPKT_PKT0_S7_ifPKiS9_S9_iPKfiiiPfSC_PS2_PT2_iSB_SB_,comdat
	.protected	_Z39paged_attention_ll4mi_QKV_mfma16_kernelIDF16_DF16_LN4vllm18Fp8KVCacheDataTypeE0EhLi16ELi128ELi256ELb1ELi6EEvPKT_PKT0_S7_ifPKiS9_S9_iPKfiiiPfSC_PS2_PT2_iSB_SB_ ; -- Begin function _Z39paged_attention_ll4mi_QKV_mfma16_kernelIDF16_DF16_LN4vllm18Fp8KVCacheDataTypeE0EhLi16ELi128ELi256ELb1ELi6EEvPKT_PKT0_S7_ifPKiS9_S9_iPKfiiiPfSC_PS2_PT2_iSB_SB_
	.globl	_Z39paged_attention_ll4mi_QKV_mfma16_kernelIDF16_DF16_LN4vllm18Fp8KVCacheDataTypeE0EhLi16ELi128ELi256ELb1ELi6EEvPKT_PKT0_S7_ifPKiS9_S9_iPKfiiiPfSC_PS2_PT2_iSB_SB_
	.p2align	8
	.type	_Z39paged_attention_ll4mi_QKV_mfma16_kernelIDF16_DF16_LN4vllm18Fp8KVCacheDataTypeE0EhLi16ELi128ELi256ELb1ELi6EEvPKT_PKT0_S7_ifPKiS9_S9_iPKfiiiPfSC_PS2_PT2_iSB_SB_,@function
_Z39paged_attention_ll4mi_QKV_mfma16_kernelIDF16_DF16_LN4vllm18Fp8KVCacheDataTypeE0EhLi16ELi128ELi256ELb1ELi6EEvPKT_PKT0_S7_ifPKiS9_S9_iPKfiiiPfSC_PS2_PT2_iSB_SB_: ; @_Z39paged_attention_ll4mi_QKV_mfma16_kernelIDF16_DF16_LN4vllm18Fp8KVCacheDataTypeE0EhLi16ELi128ELi256ELb1ELi6EEvPKT_PKT0_S7_ifPKiS9_S9_iPKfiiiPfSC_PS2_PT2_iSB_SB_
; %bb.0:
	s_get_pc_i64 s[2:3]
	s_add_nc_u64 s[2:3], s[2:3], __PRETTY_FUNCTION__._Z39paged_attention_ll4mi_QKV_mfma16_kernelIDF16_DF16_LN4vllm18Fp8KVCacheDataTypeE0EhLi16ELi128ELi256ELb1ELi6EEvPKT_PKT0_S7_ifPKiS9_S9_iPKfiiiPfSC_PS2_PT2_iSB_SB_@rel64+4
	s_delay_alu instid0(SALU_CYCLE_1)
	v_dual_mov_b32 v0, 0xbb3 :: v_dual_mov_b32 v1, s2
	v_mov_b32_e32 v2, s3
	s_add_nc_u64 s[8:9], s[0:1], 0x90
	s_get_pc_i64 s[0:1]
	s_add_nc_u64 s[0:1], s[0:1], __assert_fail@rel64+4
	s_mov_b32 s32, 0
	s_swap_pc_i64 s[30:31], s[0:1]
	.section	.rodata,"a",@progbits
	.p2align	6, 0x0
	.amdhsa_kernel _Z39paged_attention_ll4mi_QKV_mfma16_kernelIDF16_DF16_LN4vllm18Fp8KVCacheDataTypeE0EhLi16ELi128ELi256ELb1ELi6EEvPKT_PKT0_S7_ifPKiS9_S9_iPKfiiiPfSC_PS2_PT2_iSB_SB_
		.amdhsa_group_segment_fixed_size 0
		.amdhsa_private_segment_fixed_size 64
		.amdhsa_kernarg_size 400
		.amdhsa_user_sgpr_count 2
		.amdhsa_user_sgpr_dispatch_ptr 0
		.amdhsa_user_sgpr_queue_ptr 0
		.amdhsa_user_sgpr_kernarg_segment_ptr 1
		.amdhsa_user_sgpr_dispatch_id 0
		.amdhsa_user_sgpr_kernarg_preload_length 0
		.amdhsa_user_sgpr_kernarg_preload_offset 0
		.amdhsa_user_sgpr_private_segment_size 0
		.amdhsa_wavefront_size32 1
		.amdhsa_uses_dynamic_stack 0
		.amdhsa_enable_private_segment 1
		.amdhsa_system_sgpr_workgroup_id_x 1
		.amdhsa_system_sgpr_workgroup_id_y 0
		.amdhsa_system_sgpr_workgroup_id_z 0
		.amdhsa_system_sgpr_workgroup_info 0
		.amdhsa_system_vgpr_workitem_id 0
		.amdhsa_next_free_vgpr 51
		.amdhsa_next_free_sgpr 34
		.amdhsa_named_barrier_count 0
		.amdhsa_reserve_vcc 1
		.amdhsa_float_round_mode_32 0
		.amdhsa_float_round_mode_16_64 0
		.amdhsa_float_denorm_mode_32 3
		.amdhsa_float_denorm_mode_16_64 3
		.amdhsa_fp16_overflow 0
		.amdhsa_memory_ordered 1
		.amdhsa_forward_progress 1
		.amdhsa_inst_pref_size 1
		.amdhsa_round_robin_scheduling 0
		.amdhsa_exception_fp_ieee_invalid_op 0
		.amdhsa_exception_fp_denorm_src 0
		.amdhsa_exception_fp_ieee_div_zero 0
		.amdhsa_exception_fp_ieee_overflow 0
		.amdhsa_exception_fp_ieee_underflow 0
		.amdhsa_exception_fp_ieee_inexact 0
		.amdhsa_exception_int_div_zero 0
	.end_amdhsa_kernel
	.section	.text._Z39paged_attention_ll4mi_QKV_mfma16_kernelIDF16_DF16_LN4vllm18Fp8KVCacheDataTypeE0EhLi16ELi128ELi256ELb1ELi6EEvPKT_PKT0_S7_ifPKiS9_S9_iPKfiiiPfSC_PS2_PT2_iSB_SB_,"axG",@progbits,_Z39paged_attention_ll4mi_QKV_mfma16_kernelIDF16_DF16_LN4vllm18Fp8KVCacheDataTypeE0EhLi16ELi128ELi256ELb1ELi6EEvPKT_PKT0_S7_ifPKiS9_S9_iPKfiiiPfSC_PS2_PT2_iSB_SB_,comdat
.Lfunc_end199:
	.size	_Z39paged_attention_ll4mi_QKV_mfma16_kernelIDF16_DF16_LN4vllm18Fp8KVCacheDataTypeE0EhLi16ELi128ELi256ELb1ELi6EEvPKT_PKT0_S7_ifPKiS9_S9_iPKfiiiPfSC_PS2_PT2_iSB_SB_, .Lfunc_end199-_Z39paged_attention_ll4mi_QKV_mfma16_kernelIDF16_DF16_LN4vllm18Fp8KVCacheDataTypeE0EhLi16ELi128ELi256ELb1ELi6EEvPKT_PKT0_S7_ifPKiS9_S9_iPKfiiiPfSC_PS2_PT2_iSB_SB_
                                        ; -- End function
	.set _Z39paged_attention_ll4mi_QKV_mfma16_kernelIDF16_DF16_LN4vllm18Fp8KVCacheDataTypeE0EhLi16ELi128ELi256ELb1ELi6EEvPKT_PKT0_S7_ifPKiS9_S9_iPKfiiiPfSC_PS2_PT2_iSB_SB_.num_vgpr, max(3, .L__assert_fail.num_vgpr)
	.set _Z39paged_attention_ll4mi_QKV_mfma16_kernelIDF16_DF16_LN4vllm18Fp8KVCacheDataTypeE0EhLi16ELi128ELi256ELb1ELi6EEvPKT_PKT0_S7_ifPKiS9_S9_iPKfiiiPfSC_PS2_PT2_iSB_SB_.num_agpr, max(0, .L__assert_fail.num_agpr)
	.set _Z39paged_attention_ll4mi_QKV_mfma16_kernelIDF16_DF16_LN4vllm18Fp8KVCacheDataTypeE0EhLi16ELi128ELi256ELb1ELi6EEvPKT_PKT0_S7_ifPKiS9_S9_iPKfiiiPfSC_PS2_PT2_iSB_SB_.numbered_sgpr, max(33, .L__assert_fail.numbered_sgpr)
	.set _Z39paged_attention_ll4mi_QKV_mfma16_kernelIDF16_DF16_LN4vllm18Fp8KVCacheDataTypeE0EhLi16ELi128ELi256ELb1ELi6EEvPKT_PKT0_S7_ifPKiS9_S9_iPKfiiiPfSC_PS2_PT2_iSB_SB_.num_named_barrier, max(0, .L__assert_fail.num_named_barrier)
	.set _Z39paged_attention_ll4mi_QKV_mfma16_kernelIDF16_DF16_LN4vllm18Fp8KVCacheDataTypeE0EhLi16ELi128ELi256ELb1ELi6EEvPKT_PKT0_S7_ifPKiS9_S9_iPKfiiiPfSC_PS2_PT2_iSB_SB_.private_seg_size, 0+max(.L__assert_fail.private_seg_size)
	.set _Z39paged_attention_ll4mi_QKV_mfma16_kernelIDF16_DF16_LN4vllm18Fp8KVCacheDataTypeE0EhLi16ELi128ELi256ELb1ELi6EEvPKT_PKT0_S7_ifPKiS9_S9_iPKfiiiPfSC_PS2_PT2_iSB_SB_.uses_vcc, or(1, .L__assert_fail.uses_vcc)
	.set _Z39paged_attention_ll4mi_QKV_mfma16_kernelIDF16_DF16_LN4vllm18Fp8KVCacheDataTypeE0EhLi16ELi128ELi256ELb1ELi6EEvPKT_PKT0_S7_ifPKiS9_S9_iPKfiiiPfSC_PS2_PT2_iSB_SB_.uses_flat_scratch, or(0, .L__assert_fail.uses_flat_scratch)
	.set _Z39paged_attention_ll4mi_QKV_mfma16_kernelIDF16_DF16_LN4vllm18Fp8KVCacheDataTypeE0EhLi16ELi128ELi256ELb1ELi6EEvPKT_PKT0_S7_ifPKiS9_S9_iPKfiiiPfSC_PS2_PT2_iSB_SB_.has_dyn_sized_stack, or(0, .L__assert_fail.has_dyn_sized_stack)
	.set _Z39paged_attention_ll4mi_QKV_mfma16_kernelIDF16_DF16_LN4vllm18Fp8KVCacheDataTypeE0EhLi16ELi128ELi256ELb1ELi6EEvPKT_PKT0_S7_ifPKiS9_S9_iPKfiiiPfSC_PS2_PT2_iSB_SB_.has_recursion, or(0, .L__assert_fail.has_recursion)
	.set _Z39paged_attention_ll4mi_QKV_mfma16_kernelIDF16_DF16_LN4vllm18Fp8KVCacheDataTypeE0EhLi16ELi128ELi256ELb1ELi6EEvPKT_PKT0_S7_ifPKiS9_S9_iPKfiiiPfSC_PS2_PT2_iSB_SB_.has_indirect_call, or(0, .L__assert_fail.has_indirect_call)
	.section	.AMDGPU.csdata,"",@progbits
; Kernel info:
; codeLenInByte = 68
; TotalNumSgprs: 36
; NumVgprs: 51
; ScratchSize: 64
; MemoryBound: 0
; FloatMode: 240
; IeeeMode: 1
; LDSByteSize: 0 bytes/workgroup (compile time only)
; SGPRBlocks: 0
; VGPRBlocks: 3
; NumSGPRsForWavesPerEU: 36
; NumVGPRsForWavesPerEU: 51
; NamedBarCnt: 0
; Occupancy: 16
; WaveLimiterHint : 1
; COMPUTE_PGM_RSRC2:SCRATCH_EN: 1
; COMPUTE_PGM_RSRC2:USER_SGPR: 2
; COMPUTE_PGM_RSRC2:TRAP_HANDLER: 0
; COMPUTE_PGM_RSRC2:TGID_X_EN: 1
; COMPUTE_PGM_RSRC2:TGID_Y_EN: 0
; COMPUTE_PGM_RSRC2:TGID_Z_EN: 0
; COMPUTE_PGM_RSRC2:TIDIG_COMP_CNT: 0
	.section	.text._Z39paged_attention_ll4mi_QKV_mfma16_kernelIDF16_DF16_LN4vllm18Fp8KVCacheDataTypeE0EhLi16ELi128ELi256ELb1ELi7EEvPKT_PKT0_S7_ifPKiS9_S9_iPKfiiiPfSC_PS2_PT2_iSB_SB_,"axG",@progbits,_Z39paged_attention_ll4mi_QKV_mfma16_kernelIDF16_DF16_LN4vllm18Fp8KVCacheDataTypeE0EhLi16ELi128ELi256ELb1ELi7EEvPKT_PKT0_S7_ifPKiS9_S9_iPKfiiiPfSC_PS2_PT2_iSB_SB_,comdat
	.protected	_Z39paged_attention_ll4mi_QKV_mfma16_kernelIDF16_DF16_LN4vllm18Fp8KVCacheDataTypeE0EhLi16ELi128ELi256ELb1ELi7EEvPKT_PKT0_S7_ifPKiS9_S9_iPKfiiiPfSC_PS2_PT2_iSB_SB_ ; -- Begin function _Z39paged_attention_ll4mi_QKV_mfma16_kernelIDF16_DF16_LN4vllm18Fp8KVCacheDataTypeE0EhLi16ELi128ELi256ELb1ELi7EEvPKT_PKT0_S7_ifPKiS9_S9_iPKfiiiPfSC_PS2_PT2_iSB_SB_
	.globl	_Z39paged_attention_ll4mi_QKV_mfma16_kernelIDF16_DF16_LN4vllm18Fp8KVCacheDataTypeE0EhLi16ELi128ELi256ELb1ELi7EEvPKT_PKT0_S7_ifPKiS9_S9_iPKfiiiPfSC_PS2_PT2_iSB_SB_
	.p2align	8
	.type	_Z39paged_attention_ll4mi_QKV_mfma16_kernelIDF16_DF16_LN4vllm18Fp8KVCacheDataTypeE0EhLi16ELi128ELi256ELb1ELi7EEvPKT_PKT0_S7_ifPKiS9_S9_iPKfiiiPfSC_PS2_PT2_iSB_SB_,@function
_Z39paged_attention_ll4mi_QKV_mfma16_kernelIDF16_DF16_LN4vllm18Fp8KVCacheDataTypeE0EhLi16ELi128ELi256ELb1ELi7EEvPKT_PKT0_S7_ifPKiS9_S9_iPKfiiiPfSC_PS2_PT2_iSB_SB_: ; @_Z39paged_attention_ll4mi_QKV_mfma16_kernelIDF16_DF16_LN4vllm18Fp8KVCacheDataTypeE0EhLi16ELi128ELi256ELb1ELi7EEvPKT_PKT0_S7_ifPKiS9_S9_iPKfiiiPfSC_PS2_PT2_iSB_SB_
; %bb.0:
	s_get_pc_i64 s[2:3]
	s_add_nc_u64 s[2:3], s[2:3], __PRETTY_FUNCTION__._Z39paged_attention_ll4mi_QKV_mfma16_kernelIDF16_DF16_LN4vllm18Fp8KVCacheDataTypeE0EhLi16ELi128ELi256ELb1ELi7EEvPKT_PKT0_S7_ifPKiS9_S9_iPKfiiiPfSC_PS2_PT2_iSB_SB_@rel64+4
	s_delay_alu instid0(SALU_CYCLE_1)
	v_dual_mov_b32 v0, 0xbb3 :: v_dual_mov_b32 v1, s2
	v_mov_b32_e32 v2, s3
	s_add_nc_u64 s[8:9], s[0:1], 0x90
	s_get_pc_i64 s[0:1]
	s_add_nc_u64 s[0:1], s[0:1], __assert_fail@rel64+4
	s_mov_b32 s32, 0
	s_swap_pc_i64 s[30:31], s[0:1]
	.section	.rodata,"a",@progbits
	.p2align	6, 0x0
	.amdhsa_kernel _Z39paged_attention_ll4mi_QKV_mfma16_kernelIDF16_DF16_LN4vllm18Fp8KVCacheDataTypeE0EhLi16ELi128ELi256ELb1ELi7EEvPKT_PKT0_S7_ifPKiS9_S9_iPKfiiiPfSC_PS2_PT2_iSB_SB_
		.amdhsa_group_segment_fixed_size 0
		.amdhsa_private_segment_fixed_size 64
		.amdhsa_kernarg_size 400
		.amdhsa_user_sgpr_count 2
		.amdhsa_user_sgpr_dispatch_ptr 0
		.amdhsa_user_sgpr_queue_ptr 0
		.amdhsa_user_sgpr_kernarg_segment_ptr 1
		.amdhsa_user_sgpr_dispatch_id 0
		.amdhsa_user_sgpr_kernarg_preload_length 0
		.amdhsa_user_sgpr_kernarg_preload_offset 0
		.amdhsa_user_sgpr_private_segment_size 0
		.amdhsa_wavefront_size32 1
		.amdhsa_uses_dynamic_stack 0
		.amdhsa_enable_private_segment 1
		.amdhsa_system_sgpr_workgroup_id_x 1
		.amdhsa_system_sgpr_workgroup_id_y 0
		.amdhsa_system_sgpr_workgroup_id_z 0
		.amdhsa_system_sgpr_workgroup_info 0
		.amdhsa_system_vgpr_workitem_id 0
		.amdhsa_next_free_vgpr 51
		.amdhsa_next_free_sgpr 34
		.amdhsa_named_barrier_count 0
		.amdhsa_reserve_vcc 1
		.amdhsa_float_round_mode_32 0
		.amdhsa_float_round_mode_16_64 0
		.amdhsa_float_denorm_mode_32 3
		.amdhsa_float_denorm_mode_16_64 3
		.amdhsa_fp16_overflow 0
		.amdhsa_memory_ordered 1
		.amdhsa_forward_progress 1
		.amdhsa_inst_pref_size 1
		.amdhsa_round_robin_scheduling 0
		.amdhsa_exception_fp_ieee_invalid_op 0
		.amdhsa_exception_fp_denorm_src 0
		.amdhsa_exception_fp_ieee_div_zero 0
		.amdhsa_exception_fp_ieee_overflow 0
		.amdhsa_exception_fp_ieee_underflow 0
		.amdhsa_exception_fp_ieee_inexact 0
		.amdhsa_exception_int_div_zero 0
	.end_amdhsa_kernel
	.section	.text._Z39paged_attention_ll4mi_QKV_mfma16_kernelIDF16_DF16_LN4vllm18Fp8KVCacheDataTypeE0EhLi16ELi128ELi256ELb1ELi7EEvPKT_PKT0_S7_ifPKiS9_S9_iPKfiiiPfSC_PS2_PT2_iSB_SB_,"axG",@progbits,_Z39paged_attention_ll4mi_QKV_mfma16_kernelIDF16_DF16_LN4vllm18Fp8KVCacheDataTypeE0EhLi16ELi128ELi256ELb1ELi7EEvPKT_PKT0_S7_ifPKiS9_S9_iPKfiiiPfSC_PS2_PT2_iSB_SB_,comdat
.Lfunc_end200:
	.size	_Z39paged_attention_ll4mi_QKV_mfma16_kernelIDF16_DF16_LN4vllm18Fp8KVCacheDataTypeE0EhLi16ELi128ELi256ELb1ELi7EEvPKT_PKT0_S7_ifPKiS9_S9_iPKfiiiPfSC_PS2_PT2_iSB_SB_, .Lfunc_end200-_Z39paged_attention_ll4mi_QKV_mfma16_kernelIDF16_DF16_LN4vllm18Fp8KVCacheDataTypeE0EhLi16ELi128ELi256ELb1ELi7EEvPKT_PKT0_S7_ifPKiS9_S9_iPKfiiiPfSC_PS2_PT2_iSB_SB_
                                        ; -- End function
	.set _Z39paged_attention_ll4mi_QKV_mfma16_kernelIDF16_DF16_LN4vllm18Fp8KVCacheDataTypeE0EhLi16ELi128ELi256ELb1ELi7EEvPKT_PKT0_S7_ifPKiS9_S9_iPKfiiiPfSC_PS2_PT2_iSB_SB_.num_vgpr, max(3, .L__assert_fail.num_vgpr)
	.set _Z39paged_attention_ll4mi_QKV_mfma16_kernelIDF16_DF16_LN4vllm18Fp8KVCacheDataTypeE0EhLi16ELi128ELi256ELb1ELi7EEvPKT_PKT0_S7_ifPKiS9_S9_iPKfiiiPfSC_PS2_PT2_iSB_SB_.num_agpr, max(0, .L__assert_fail.num_agpr)
	.set _Z39paged_attention_ll4mi_QKV_mfma16_kernelIDF16_DF16_LN4vllm18Fp8KVCacheDataTypeE0EhLi16ELi128ELi256ELb1ELi7EEvPKT_PKT0_S7_ifPKiS9_S9_iPKfiiiPfSC_PS2_PT2_iSB_SB_.numbered_sgpr, max(33, .L__assert_fail.numbered_sgpr)
	.set _Z39paged_attention_ll4mi_QKV_mfma16_kernelIDF16_DF16_LN4vllm18Fp8KVCacheDataTypeE0EhLi16ELi128ELi256ELb1ELi7EEvPKT_PKT0_S7_ifPKiS9_S9_iPKfiiiPfSC_PS2_PT2_iSB_SB_.num_named_barrier, max(0, .L__assert_fail.num_named_barrier)
	.set _Z39paged_attention_ll4mi_QKV_mfma16_kernelIDF16_DF16_LN4vllm18Fp8KVCacheDataTypeE0EhLi16ELi128ELi256ELb1ELi7EEvPKT_PKT0_S7_ifPKiS9_S9_iPKfiiiPfSC_PS2_PT2_iSB_SB_.private_seg_size, 0+max(.L__assert_fail.private_seg_size)
	.set _Z39paged_attention_ll4mi_QKV_mfma16_kernelIDF16_DF16_LN4vllm18Fp8KVCacheDataTypeE0EhLi16ELi128ELi256ELb1ELi7EEvPKT_PKT0_S7_ifPKiS9_S9_iPKfiiiPfSC_PS2_PT2_iSB_SB_.uses_vcc, or(1, .L__assert_fail.uses_vcc)
	.set _Z39paged_attention_ll4mi_QKV_mfma16_kernelIDF16_DF16_LN4vllm18Fp8KVCacheDataTypeE0EhLi16ELi128ELi256ELb1ELi7EEvPKT_PKT0_S7_ifPKiS9_S9_iPKfiiiPfSC_PS2_PT2_iSB_SB_.uses_flat_scratch, or(0, .L__assert_fail.uses_flat_scratch)
	.set _Z39paged_attention_ll4mi_QKV_mfma16_kernelIDF16_DF16_LN4vllm18Fp8KVCacheDataTypeE0EhLi16ELi128ELi256ELb1ELi7EEvPKT_PKT0_S7_ifPKiS9_S9_iPKfiiiPfSC_PS2_PT2_iSB_SB_.has_dyn_sized_stack, or(0, .L__assert_fail.has_dyn_sized_stack)
	.set _Z39paged_attention_ll4mi_QKV_mfma16_kernelIDF16_DF16_LN4vllm18Fp8KVCacheDataTypeE0EhLi16ELi128ELi256ELb1ELi7EEvPKT_PKT0_S7_ifPKiS9_S9_iPKfiiiPfSC_PS2_PT2_iSB_SB_.has_recursion, or(0, .L__assert_fail.has_recursion)
	.set _Z39paged_attention_ll4mi_QKV_mfma16_kernelIDF16_DF16_LN4vllm18Fp8KVCacheDataTypeE0EhLi16ELi128ELi256ELb1ELi7EEvPKT_PKT0_S7_ifPKiS9_S9_iPKfiiiPfSC_PS2_PT2_iSB_SB_.has_indirect_call, or(0, .L__assert_fail.has_indirect_call)
	.section	.AMDGPU.csdata,"",@progbits
; Kernel info:
; codeLenInByte = 68
; TotalNumSgprs: 36
; NumVgprs: 51
; ScratchSize: 64
; MemoryBound: 0
; FloatMode: 240
; IeeeMode: 1
; LDSByteSize: 0 bytes/workgroup (compile time only)
; SGPRBlocks: 0
; VGPRBlocks: 3
; NumSGPRsForWavesPerEU: 36
; NumVGPRsForWavesPerEU: 51
; NamedBarCnt: 0
; Occupancy: 16
; WaveLimiterHint : 1
; COMPUTE_PGM_RSRC2:SCRATCH_EN: 1
; COMPUTE_PGM_RSRC2:USER_SGPR: 2
; COMPUTE_PGM_RSRC2:TRAP_HANDLER: 0
; COMPUTE_PGM_RSRC2:TGID_X_EN: 1
; COMPUTE_PGM_RSRC2:TGID_Y_EN: 0
; COMPUTE_PGM_RSRC2:TGID_Z_EN: 0
; COMPUTE_PGM_RSRC2:TIDIG_COMP_CNT: 0
	.section	.text._Z39paged_attention_ll4mi_QKV_mfma16_kernelIDF16_DF16_LN4vllm18Fp8KVCacheDataTypeE0EhLi16ELi128ELi256ELb1ELi8EEvPKT_PKT0_S7_ifPKiS9_S9_iPKfiiiPfSC_PS2_PT2_iSB_SB_,"axG",@progbits,_Z39paged_attention_ll4mi_QKV_mfma16_kernelIDF16_DF16_LN4vllm18Fp8KVCacheDataTypeE0EhLi16ELi128ELi256ELb1ELi8EEvPKT_PKT0_S7_ifPKiS9_S9_iPKfiiiPfSC_PS2_PT2_iSB_SB_,comdat
	.protected	_Z39paged_attention_ll4mi_QKV_mfma16_kernelIDF16_DF16_LN4vllm18Fp8KVCacheDataTypeE0EhLi16ELi128ELi256ELb1ELi8EEvPKT_PKT0_S7_ifPKiS9_S9_iPKfiiiPfSC_PS2_PT2_iSB_SB_ ; -- Begin function _Z39paged_attention_ll4mi_QKV_mfma16_kernelIDF16_DF16_LN4vllm18Fp8KVCacheDataTypeE0EhLi16ELi128ELi256ELb1ELi8EEvPKT_PKT0_S7_ifPKiS9_S9_iPKfiiiPfSC_PS2_PT2_iSB_SB_
	.globl	_Z39paged_attention_ll4mi_QKV_mfma16_kernelIDF16_DF16_LN4vllm18Fp8KVCacheDataTypeE0EhLi16ELi128ELi256ELb1ELi8EEvPKT_PKT0_S7_ifPKiS9_S9_iPKfiiiPfSC_PS2_PT2_iSB_SB_
	.p2align	8
	.type	_Z39paged_attention_ll4mi_QKV_mfma16_kernelIDF16_DF16_LN4vllm18Fp8KVCacheDataTypeE0EhLi16ELi128ELi256ELb1ELi8EEvPKT_PKT0_S7_ifPKiS9_S9_iPKfiiiPfSC_PS2_PT2_iSB_SB_,@function
_Z39paged_attention_ll4mi_QKV_mfma16_kernelIDF16_DF16_LN4vllm18Fp8KVCacheDataTypeE0EhLi16ELi128ELi256ELb1ELi8EEvPKT_PKT0_S7_ifPKiS9_S9_iPKfiiiPfSC_PS2_PT2_iSB_SB_: ; @_Z39paged_attention_ll4mi_QKV_mfma16_kernelIDF16_DF16_LN4vllm18Fp8KVCacheDataTypeE0EhLi16ELi128ELi256ELb1ELi8EEvPKT_PKT0_S7_ifPKiS9_S9_iPKfiiiPfSC_PS2_PT2_iSB_SB_
; %bb.0:
	s_get_pc_i64 s[2:3]
	s_add_nc_u64 s[2:3], s[2:3], __PRETTY_FUNCTION__._Z39paged_attention_ll4mi_QKV_mfma16_kernelIDF16_DF16_LN4vllm18Fp8KVCacheDataTypeE0EhLi16ELi128ELi256ELb1ELi8EEvPKT_PKT0_S7_ifPKiS9_S9_iPKfiiiPfSC_PS2_PT2_iSB_SB_@rel64+4
	s_delay_alu instid0(SALU_CYCLE_1)
	v_dual_mov_b32 v0, 0xbb3 :: v_dual_mov_b32 v1, s2
	v_mov_b32_e32 v2, s3
	s_add_nc_u64 s[8:9], s[0:1], 0x90
	s_get_pc_i64 s[0:1]
	s_add_nc_u64 s[0:1], s[0:1], __assert_fail@rel64+4
	s_mov_b32 s32, 0
	s_swap_pc_i64 s[30:31], s[0:1]
	.section	.rodata,"a",@progbits
	.p2align	6, 0x0
	.amdhsa_kernel _Z39paged_attention_ll4mi_QKV_mfma16_kernelIDF16_DF16_LN4vllm18Fp8KVCacheDataTypeE0EhLi16ELi128ELi256ELb1ELi8EEvPKT_PKT0_S7_ifPKiS9_S9_iPKfiiiPfSC_PS2_PT2_iSB_SB_
		.amdhsa_group_segment_fixed_size 0
		.amdhsa_private_segment_fixed_size 64
		.amdhsa_kernarg_size 400
		.amdhsa_user_sgpr_count 2
		.amdhsa_user_sgpr_dispatch_ptr 0
		.amdhsa_user_sgpr_queue_ptr 0
		.amdhsa_user_sgpr_kernarg_segment_ptr 1
		.amdhsa_user_sgpr_dispatch_id 0
		.amdhsa_user_sgpr_kernarg_preload_length 0
		.amdhsa_user_sgpr_kernarg_preload_offset 0
		.amdhsa_user_sgpr_private_segment_size 0
		.amdhsa_wavefront_size32 1
		.amdhsa_uses_dynamic_stack 0
		.amdhsa_enable_private_segment 1
		.amdhsa_system_sgpr_workgroup_id_x 1
		.amdhsa_system_sgpr_workgroup_id_y 0
		.amdhsa_system_sgpr_workgroup_id_z 0
		.amdhsa_system_sgpr_workgroup_info 0
		.amdhsa_system_vgpr_workitem_id 0
		.amdhsa_next_free_vgpr 51
		.amdhsa_next_free_sgpr 34
		.amdhsa_named_barrier_count 0
		.amdhsa_reserve_vcc 1
		.amdhsa_float_round_mode_32 0
		.amdhsa_float_round_mode_16_64 0
		.amdhsa_float_denorm_mode_32 3
		.amdhsa_float_denorm_mode_16_64 3
		.amdhsa_fp16_overflow 0
		.amdhsa_memory_ordered 1
		.amdhsa_forward_progress 1
		.amdhsa_inst_pref_size 1
		.amdhsa_round_robin_scheduling 0
		.amdhsa_exception_fp_ieee_invalid_op 0
		.amdhsa_exception_fp_denorm_src 0
		.amdhsa_exception_fp_ieee_div_zero 0
		.amdhsa_exception_fp_ieee_overflow 0
		.amdhsa_exception_fp_ieee_underflow 0
		.amdhsa_exception_fp_ieee_inexact 0
		.amdhsa_exception_int_div_zero 0
	.end_amdhsa_kernel
	.section	.text._Z39paged_attention_ll4mi_QKV_mfma16_kernelIDF16_DF16_LN4vllm18Fp8KVCacheDataTypeE0EhLi16ELi128ELi256ELb1ELi8EEvPKT_PKT0_S7_ifPKiS9_S9_iPKfiiiPfSC_PS2_PT2_iSB_SB_,"axG",@progbits,_Z39paged_attention_ll4mi_QKV_mfma16_kernelIDF16_DF16_LN4vllm18Fp8KVCacheDataTypeE0EhLi16ELi128ELi256ELb1ELi8EEvPKT_PKT0_S7_ifPKiS9_S9_iPKfiiiPfSC_PS2_PT2_iSB_SB_,comdat
.Lfunc_end201:
	.size	_Z39paged_attention_ll4mi_QKV_mfma16_kernelIDF16_DF16_LN4vllm18Fp8KVCacheDataTypeE0EhLi16ELi128ELi256ELb1ELi8EEvPKT_PKT0_S7_ifPKiS9_S9_iPKfiiiPfSC_PS2_PT2_iSB_SB_, .Lfunc_end201-_Z39paged_attention_ll4mi_QKV_mfma16_kernelIDF16_DF16_LN4vllm18Fp8KVCacheDataTypeE0EhLi16ELi128ELi256ELb1ELi8EEvPKT_PKT0_S7_ifPKiS9_S9_iPKfiiiPfSC_PS2_PT2_iSB_SB_
                                        ; -- End function
	.set _Z39paged_attention_ll4mi_QKV_mfma16_kernelIDF16_DF16_LN4vllm18Fp8KVCacheDataTypeE0EhLi16ELi128ELi256ELb1ELi8EEvPKT_PKT0_S7_ifPKiS9_S9_iPKfiiiPfSC_PS2_PT2_iSB_SB_.num_vgpr, max(3, .L__assert_fail.num_vgpr)
	.set _Z39paged_attention_ll4mi_QKV_mfma16_kernelIDF16_DF16_LN4vllm18Fp8KVCacheDataTypeE0EhLi16ELi128ELi256ELb1ELi8EEvPKT_PKT0_S7_ifPKiS9_S9_iPKfiiiPfSC_PS2_PT2_iSB_SB_.num_agpr, max(0, .L__assert_fail.num_agpr)
	.set _Z39paged_attention_ll4mi_QKV_mfma16_kernelIDF16_DF16_LN4vllm18Fp8KVCacheDataTypeE0EhLi16ELi128ELi256ELb1ELi8EEvPKT_PKT0_S7_ifPKiS9_S9_iPKfiiiPfSC_PS2_PT2_iSB_SB_.numbered_sgpr, max(33, .L__assert_fail.numbered_sgpr)
	.set _Z39paged_attention_ll4mi_QKV_mfma16_kernelIDF16_DF16_LN4vllm18Fp8KVCacheDataTypeE0EhLi16ELi128ELi256ELb1ELi8EEvPKT_PKT0_S7_ifPKiS9_S9_iPKfiiiPfSC_PS2_PT2_iSB_SB_.num_named_barrier, max(0, .L__assert_fail.num_named_barrier)
	.set _Z39paged_attention_ll4mi_QKV_mfma16_kernelIDF16_DF16_LN4vllm18Fp8KVCacheDataTypeE0EhLi16ELi128ELi256ELb1ELi8EEvPKT_PKT0_S7_ifPKiS9_S9_iPKfiiiPfSC_PS2_PT2_iSB_SB_.private_seg_size, 0+max(.L__assert_fail.private_seg_size)
	.set _Z39paged_attention_ll4mi_QKV_mfma16_kernelIDF16_DF16_LN4vllm18Fp8KVCacheDataTypeE0EhLi16ELi128ELi256ELb1ELi8EEvPKT_PKT0_S7_ifPKiS9_S9_iPKfiiiPfSC_PS2_PT2_iSB_SB_.uses_vcc, or(1, .L__assert_fail.uses_vcc)
	.set _Z39paged_attention_ll4mi_QKV_mfma16_kernelIDF16_DF16_LN4vllm18Fp8KVCacheDataTypeE0EhLi16ELi128ELi256ELb1ELi8EEvPKT_PKT0_S7_ifPKiS9_S9_iPKfiiiPfSC_PS2_PT2_iSB_SB_.uses_flat_scratch, or(0, .L__assert_fail.uses_flat_scratch)
	.set _Z39paged_attention_ll4mi_QKV_mfma16_kernelIDF16_DF16_LN4vllm18Fp8KVCacheDataTypeE0EhLi16ELi128ELi256ELb1ELi8EEvPKT_PKT0_S7_ifPKiS9_S9_iPKfiiiPfSC_PS2_PT2_iSB_SB_.has_dyn_sized_stack, or(0, .L__assert_fail.has_dyn_sized_stack)
	.set _Z39paged_attention_ll4mi_QKV_mfma16_kernelIDF16_DF16_LN4vllm18Fp8KVCacheDataTypeE0EhLi16ELi128ELi256ELb1ELi8EEvPKT_PKT0_S7_ifPKiS9_S9_iPKfiiiPfSC_PS2_PT2_iSB_SB_.has_recursion, or(0, .L__assert_fail.has_recursion)
	.set _Z39paged_attention_ll4mi_QKV_mfma16_kernelIDF16_DF16_LN4vllm18Fp8KVCacheDataTypeE0EhLi16ELi128ELi256ELb1ELi8EEvPKT_PKT0_S7_ifPKiS9_S9_iPKfiiiPfSC_PS2_PT2_iSB_SB_.has_indirect_call, or(0, .L__assert_fail.has_indirect_call)
	.section	.AMDGPU.csdata,"",@progbits
; Kernel info:
; codeLenInByte = 68
; TotalNumSgprs: 36
; NumVgprs: 51
; ScratchSize: 64
; MemoryBound: 0
; FloatMode: 240
; IeeeMode: 1
; LDSByteSize: 0 bytes/workgroup (compile time only)
; SGPRBlocks: 0
; VGPRBlocks: 3
; NumSGPRsForWavesPerEU: 36
; NumVGPRsForWavesPerEU: 51
; NamedBarCnt: 0
; Occupancy: 16
; WaveLimiterHint : 1
; COMPUTE_PGM_RSRC2:SCRATCH_EN: 1
; COMPUTE_PGM_RSRC2:USER_SGPR: 2
; COMPUTE_PGM_RSRC2:TRAP_HANDLER: 0
; COMPUTE_PGM_RSRC2:TGID_X_EN: 1
; COMPUTE_PGM_RSRC2:TGID_Y_EN: 0
; COMPUTE_PGM_RSRC2:TGID_Z_EN: 0
; COMPUTE_PGM_RSRC2:TIDIG_COMP_CNT: 0
	.section	.text._Z39paged_attention_ll4mi_QKV_mfma16_kernelIDF16_DF16_LN4vllm18Fp8KVCacheDataTypeE0EhLi16ELi128ELi256ELb1ELi9EEvPKT_PKT0_S7_ifPKiS9_S9_iPKfiiiPfSC_PS2_PT2_iSB_SB_,"axG",@progbits,_Z39paged_attention_ll4mi_QKV_mfma16_kernelIDF16_DF16_LN4vllm18Fp8KVCacheDataTypeE0EhLi16ELi128ELi256ELb1ELi9EEvPKT_PKT0_S7_ifPKiS9_S9_iPKfiiiPfSC_PS2_PT2_iSB_SB_,comdat
	.protected	_Z39paged_attention_ll4mi_QKV_mfma16_kernelIDF16_DF16_LN4vllm18Fp8KVCacheDataTypeE0EhLi16ELi128ELi256ELb1ELi9EEvPKT_PKT0_S7_ifPKiS9_S9_iPKfiiiPfSC_PS2_PT2_iSB_SB_ ; -- Begin function _Z39paged_attention_ll4mi_QKV_mfma16_kernelIDF16_DF16_LN4vllm18Fp8KVCacheDataTypeE0EhLi16ELi128ELi256ELb1ELi9EEvPKT_PKT0_S7_ifPKiS9_S9_iPKfiiiPfSC_PS2_PT2_iSB_SB_
	.globl	_Z39paged_attention_ll4mi_QKV_mfma16_kernelIDF16_DF16_LN4vllm18Fp8KVCacheDataTypeE0EhLi16ELi128ELi256ELb1ELi9EEvPKT_PKT0_S7_ifPKiS9_S9_iPKfiiiPfSC_PS2_PT2_iSB_SB_
	.p2align	8
	.type	_Z39paged_attention_ll4mi_QKV_mfma16_kernelIDF16_DF16_LN4vllm18Fp8KVCacheDataTypeE0EhLi16ELi128ELi256ELb1ELi9EEvPKT_PKT0_S7_ifPKiS9_S9_iPKfiiiPfSC_PS2_PT2_iSB_SB_,@function
_Z39paged_attention_ll4mi_QKV_mfma16_kernelIDF16_DF16_LN4vllm18Fp8KVCacheDataTypeE0EhLi16ELi128ELi256ELb1ELi9EEvPKT_PKT0_S7_ifPKiS9_S9_iPKfiiiPfSC_PS2_PT2_iSB_SB_: ; @_Z39paged_attention_ll4mi_QKV_mfma16_kernelIDF16_DF16_LN4vllm18Fp8KVCacheDataTypeE0EhLi16ELi128ELi256ELb1ELi9EEvPKT_PKT0_S7_ifPKiS9_S9_iPKfiiiPfSC_PS2_PT2_iSB_SB_
; %bb.0:
	s_get_pc_i64 s[2:3]
	s_add_nc_u64 s[2:3], s[2:3], __PRETTY_FUNCTION__._Z39paged_attention_ll4mi_QKV_mfma16_kernelIDF16_DF16_LN4vllm18Fp8KVCacheDataTypeE0EhLi16ELi128ELi256ELb1ELi9EEvPKT_PKT0_S7_ifPKiS9_S9_iPKfiiiPfSC_PS2_PT2_iSB_SB_@rel64+4
	s_delay_alu instid0(SALU_CYCLE_1)
	v_dual_mov_b32 v0, 0xbb3 :: v_dual_mov_b32 v1, s2
	v_mov_b32_e32 v2, s3
	s_add_nc_u64 s[8:9], s[0:1], 0x90
	s_get_pc_i64 s[0:1]
	s_add_nc_u64 s[0:1], s[0:1], __assert_fail@rel64+4
	s_mov_b32 s32, 0
	s_swap_pc_i64 s[30:31], s[0:1]
	.section	.rodata,"a",@progbits
	.p2align	6, 0x0
	.amdhsa_kernel _Z39paged_attention_ll4mi_QKV_mfma16_kernelIDF16_DF16_LN4vllm18Fp8KVCacheDataTypeE0EhLi16ELi128ELi256ELb1ELi9EEvPKT_PKT0_S7_ifPKiS9_S9_iPKfiiiPfSC_PS2_PT2_iSB_SB_
		.amdhsa_group_segment_fixed_size 0
		.amdhsa_private_segment_fixed_size 64
		.amdhsa_kernarg_size 400
		.amdhsa_user_sgpr_count 2
		.amdhsa_user_sgpr_dispatch_ptr 0
		.amdhsa_user_sgpr_queue_ptr 0
		.amdhsa_user_sgpr_kernarg_segment_ptr 1
		.amdhsa_user_sgpr_dispatch_id 0
		.amdhsa_user_sgpr_kernarg_preload_length 0
		.amdhsa_user_sgpr_kernarg_preload_offset 0
		.amdhsa_user_sgpr_private_segment_size 0
		.amdhsa_wavefront_size32 1
		.amdhsa_uses_dynamic_stack 0
		.amdhsa_enable_private_segment 1
		.amdhsa_system_sgpr_workgroup_id_x 1
		.amdhsa_system_sgpr_workgroup_id_y 0
		.amdhsa_system_sgpr_workgroup_id_z 0
		.amdhsa_system_sgpr_workgroup_info 0
		.amdhsa_system_vgpr_workitem_id 0
		.amdhsa_next_free_vgpr 51
		.amdhsa_next_free_sgpr 34
		.amdhsa_named_barrier_count 0
		.amdhsa_reserve_vcc 1
		.amdhsa_float_round_mode_32 0
		.amdhsa_float_round_mode_16_64 0
		.amdhsa_float_denorm_mode_32 3
		.amdhsa_float_denorm_mode_16_64 3
		.amdhsa_fp16_overflow 0
		.amdhsa_memory_ordered 1
		.amdhsa_forward_progress 1
		.amdhsa_inst_pref_size 1
		.amdhsa_round_robin_scheduling 0
		.amdhsa_exception_fp_ieee_invalid_op 0
		.amdhsa_exception_fp_denorm_src 0
		.amdhsa_exception_fp_ieee_div_zero 0
		.amdhsa_exception_fp_ieee_overflow 0
		.amdhsa_exception_fp_ieee_underflow 0
		.amdhsa_exception_fp_ieee_inexact 0
		.amdhsa_exception_int_div_zero 0
	.end_amdhsa_kernel
	.section	.text._Z39paged_attention_ll4mi_QKV_mfma16_kernelIDF16_DF16_LN4vllm18Fp8KVCacheDataTypeE0EhLi16ELi128ELi256ELb1ELi9EEvPKT_PKT0_S7_ifPKiS9_S9_iPKfiiiPfSC_PS2_PT2_iSB_SB_,"axG",@progbits,_Z39paged_attention_ll4mi_QKV_mfma16_kernelIDF16_DF16_LN4vllm18Fp8KVCacheDataTypeE0EhLi16ELi128ELi256ELb1ELi9EEvPKT_PKT0_S7_ifPKiS9_S9_iPKfiiiPfSC_PS2_PT2_iSB_SB_,comdat
.Lfunc_end202:
	.size	_Z39paged_attention_ll4mi_QKV_mfma16_kernelIDF16_DF16_LN4vllm18Fp8KVCacheDataTypeE0EhLi16ELi128ELi256ELb1ELi9EEvPKT_PKT0_S7_ifPKiS9_S9_iPKfiiiPfSC_PS2_PT2_iSB_SB_, .Lfunc_end202-_Z39paged_attention_ll4mi_QKV_mfma16_kernelIDF16_DF16_LN4vllm18Fp8KVCacheDataTypeE0EhLi16ELi128ELi256ELb1ELi9EEvPKT_PKT0_S7_ifPKiS9_S9_iPKfiiiPfSC_PS2_PT2_iSB_SB_
                                        ; -- End function
	.set _Z39paged_attention_ll4mi_QKV_mfma16_kernelIDF16_DF16_LN4vllm18Fp8KVCacheDataTypeE0EhLi16ELi128ELi256ELb1ELi9EEvPKT_PKT0_S7_ifPKiS9_S9_iPKfiiiPfSC_PS2_PT2_iSB_SB_.num_vgpr, max(3, .L__assert_fail.num_vgpr)
	.set _Z39paged_attention_ll4mi_QKV_mfma16_kernelIDF16_DF16_LN4vllm18Fp8KVCacheDataTypeE0EhLi16ELi128ELi256ELb1ELi9EEvPKT_PKT0_S7_ifPKiS9_S9_iPKfiiiPfSC_PS2_PT2_iSB_SB_.num_agpr, max(0, .L__assert_fail.num_agpr)
	.set _Z39paged_attention_ll4mi_QKV_mfma16_kernelIDF16_DF16_LN4vllm18Fp8KVCacheDataTypeE0EhLi16ELi128ELi256ELb1ELi9EEvPKT_PKT0_S7_ifPKiS9_S9_iPKfiiiPfSC_PS2_PT2_iSB_SB_.numbered_sgpr, max(33, .L__assert_fail.numbered_sgpr)
	.set _Z39paged_attention_ll4mi_QKV_mfma16_kernelIDF16_DF16_LN4vllm18Fp8KVCacheDataTypeE0EhLi16ELi128ELi256ELb1ELi9EEvPKT_PKT0_S7_ifPKiS9_S9_iPKfiiiPfSC_PS2_PT2_iSB_SB_.num_named_barrier, max(0, .L__assert_fail.num_named_barrier)
	.set _Z39paged_attention_ll4mi_QKV_mfma16_kernelIDF16_DF16_LN4vllm18Fp8KVCacheDataTypeE0EhLi16ELi128ELi256ELb1ELi9EEvPKT_PKT0_S7_ifPKiS9_S9_iPKfiiiPfSC_PS2_PT2_iSB_SB_.private_seg_size, 0+max(.L__assert_fail.private_seg_size)
	.set _Z39paged_attention_ll4mi_QKV_mfma16_kernelIDF16_DF16_LN4vllm18Fp8KVCacheDataTypeE0EhLi16ELi128ELi256ELb1ELi9EEvPKT_PKT0_S7_ifPKiS9_S9_iPKfiiiPfSC_PS2_PT2_iSB_SB_.uses_vcc, or(1, .L__assert_fail.uses_vcc)
	.set _Z39paged_attention_ll4mi_QKV_mfma16_kernelIDF16_DF16_LN4vllm18Fp8KVCacheDataTypeE0EhLi16ELi128ELi256ELb1ELi9EEvPKT_PKT0_S7_ifPKiS9_S9_iPKfiiiPfSC_PS2_PT2_iSB_SB_.uses_flat_scratch, or(0, .L__assert_fail.uses_flat_scratch)
	.set _Z39paged_attention_ll4mi_QKV_mfma16_kernelIDF16_DF16_LN4vllm18Fp8KVCacheDataTypeE0EhLi16ELi128ELi256ELb1ELi9EEvPKT_PKT0_S7_ifPKiS9_S9_iPKfiiiPfSC_PS2_PT2_iSB_SB_.has_dyn_sized_stack, or(0, .L__assert_fail.has_dyn_sized_stack)
	.set _Z39paged_attention_ll4mi_QKV_mfma16_kernelIDF16_DF16_LN4vllm18Fp8KVCacheDataTypeE0EhLi16ELi128ELi256ELb1ELi9EEvPKT_PKT0_S7_ifPKiS9_S9_iPKfiiiPfSC_PS2_PT2_iSB_SB_.has_recursion, or(0, .L__assert_fail.has_recursion)
	.set _Z39paged_attention_ll4mi_QKV_mfma16_kernelIDF16_DF16_LN4vllm18Fp8KVCacheDataTypeE0EhLi16ELi128ELi256ELb1ELi9EEvPKT_PKT0_S7_ifPKiS9_S9_iPKfiiiPfSC_PS2_PT2_iSB_SB_.has_indirect_call, or(0, .L__assert_fail.has_indirect_call)
	.section	.AMDGPU.csdata,"",@progbits
; Kernel info:
; codeLenInByte = 68
; TotalNumSgprs: 36
; NumVgprs: 51
; ScratchSize: 64
; MemoryBound: 0
; FloatMode: 240
; IeeeMode: 1
; LDSByteSize: 0 bytes/workgroup (compile time only)
; SGPRBlocks: 0
; VGPRBlocks: 3
; NumSGPRsForWavesPerEU: 36
; NumVGPRsForWavesPerEU: 51
; NamedBarCnt: 0
; Occupancy: 16
; WaveLimiterHint : 1
; COMPUTE_PGM_RSRC2:SCRATCH_EN: 1
; COMPUTE_PGM_RSRC2:USER_SGPR: 2
; COMPUTE_PGM_RSRC2:TRAP_HANDLER: 0
; COMPUTE_PGM_RSRC2:TGID_X_EN: 1
; COMPUTE_PGM_RSRC2:TGID_Y_EN: 0
; COMPUTE_PGM_RSRC2:TGID_Z_EN: 0
; COMPUTE_PGM_RSRC2:TIDIG_COMP_CNT: 0
	.section	.text._Z39paged_attention_ll4mi_QKV_mfma16_kernelIDF16_DF16_LN4vllm18Fp8KVCacheDataTypeE0EhLi16ELi128ELi256ELb1ELi10EEvPKT_PKT0_S7_ifPKiS9_S9_iPKfiiiPfSC_PS2_PT2_iSB_SB_,"axG",@progbits,_Z39paged_attention_ll4mi_QKV_mfma16_kernelIDF16_DF16_LN4vllm18Fp8KVCacheDataTypeE0EhLi16ELi128ELi256ELb1ELi10EEvPKT_PKT0_S7_ifPKiS9_S9_iPKfiiiPfSC_PS2_PT2_iSB_SB_,comdat
	.protected	_Z39paged_attention_ll4mi_QKV_mfma16_kernelIDF16_DF16_LN4vllm18Fp8KVCacheDataTypeE0EhLi16ELi128ELi256ELb1ELi10EEvPKT_PKT0_S7_ifPKiS9_S9_iPKfiiiPfSC_PS2_PT2_iSB_SB_ ; -- Begin function _Z39paged_attention_ll4mi_QKV_mfma16_kernelIDF16_DF16_LN4vllm18Fp8KVCacheDataTypeE0EhLi16ELi128ELi256ELb1ELi10EEvPKT_PKT0_S7_ifPKiS9_S9_iPKfiiiPfSC_PS2_PT2_iSB_SB_
	.globl	_Z39paged_attention_ll4mi_QKV_mfma16_kernelIDF16_DF16_LN4vllm18Fp8KVCacheDataTypeE0EhLi16ELi128ELi256ELb1ELi10EEvPKT_PKT0_S7_ifPKiS9_S9_iPKfiiiPfSC_PS2_PT2_iSB_SB_
	.p2align	8
	.type	_Z39paged_attention_ll4mi_QKV_mfma16_kernelIDF16_DF16_LN4vllm18Fp8KVCacheDataTypeE0EhLi16ELi128ELi256ELb1ELi10EEvPKT_PKT0_S7_ifPKiS9_S9_iPKfiiiPfSC_PS2_PT2_iSB_SB_,@function
_Z39paged_attention_ll4mi_QKV_mfma16_kernelIDF16_DF16_LN4vllm18Fp8KVCacheDataTypeE0EhLi16ELi128ELi256ELb1ELi10EEvPKT_PKT0_S7_ifPKiS9_S9_iPKfiiiPfSC_PS2_PT2_iSB_SB_: ; @_Z39paged_attention_ll4mi_QKV_mfma16_kernelIDF16_DF16_LN4vllm18Fp8KVCacheDataTypeE0EhLi16ELi128ELi256ELb1ELi10EEvPKT_PKT0_S7_ifPKiS9_S9_iPKfiiiPfSC_PS2_PT2_iSB_SB_
; %bb.0:
	s_get_pc_i64 s[2:3]
	s_add_nc_u64 s[2:3], s[2:3], __PRETTY_FUNCTION__._Z39paged_attention_ll4mi_QKV_mfma16_kernelIDF16_DF16_LN4vllm18Fp8KVCacheDataTypeE0EhLi16ELi128ELi256ELb1ELi10EEvPKT_PKT0_S7_ifPKiS9_S9_iPKfiiiPfSC_PS2_PT2_iSB_SB_@rel64+4
	s_delay_alu instid0(SALU_CYCLE_1)
	v_dual_mov_b32 v0, 0xbb3 :: v_dual_mov_b32 v1, s2
	v_mov_b32_e32 v2, s3
	s_add_nc_u64 s[8:9], s[0:1], 0x90
	s_get_pc_i64 s[0:1]
	s_add_nc_u64 s[0:1], s[0:1], __assert_fail@rel64+4
	s_mov_b32 s32, 0
	s_swap_pc_i64 s[30:31], s[0:1]
	.section	.rodata,"a",@progbits
	.p2align	6, 0x0
	.amdhsa_kernel _Z39paged_attention_ll4mi_QKV_mfma16_kernelIDF16_DF16_LN4vllm18Fp8KVCacheDataTypeE0EhLi16ELi128ELi256ELb1ELi10EEvPKT_PKT0_S7_ifPKiS9_S9_iPKfiiiPfSC_PS2_PT2_iSB_SB_
		.amdhsa_group_segment_fixed_size 0
		.amdhsa_private_segment_fixed_size 64
		.amdhsa_kernarg_size 400
		.amdhsa_user_sgpr_count 2
		.amdhsa_user_sgpr_dispatch_ptr 0
		.amdhsa_user_sgpr_queue_ptr 0
		.amdhsa_user_sgpr_kernarg_segment_ptr 1
		.amdhsa_user_sgpr_dispatch_id 0
		.amdhsa_user_sgpr_kernarg_preload_length 0
		.amdhsa_user_sgpr_kernarg_preload_offset 0
		.amdhsa_user_sgpr_private_segment_size 0
		.amdhsa_wavefront_size32 1
		.amdhsa_uses_dynamic_stack 0
		.amdhsa_enable_private_segment 1
		.amdhsa_system_sgpr_workgroup_id_x 1
		.amdhsa_system_sgpr_workgroup_id_y 0
		.amdhsa_system_sgpr_workgroup_id_z 0
		.amdhsa_system_sgpr_workgroup_info 0
		.amdhsa_system_vgpr_workitem_id 0
		.amdhsa_next_free_vgpr 51
		.amdhsa_next_free_sgpr 34
		.amdhsa_named_barrier_count 0
		.amdhsa_reserve_vcc 1
		.amdhsa_float_round_mode_32 0
		.amdhsa_float_round_mode_16_64 0
		.amdhsa_float_denorm_mode_32 3
		.amdhsa_float_denorm_mode_16_64 3
		.amdhsa_fp16_overflow 0
		.amdhsa_memory_ordered 1
		.amdhsa_forward_progress 1
		.amdhsa_inst_pref_size 1
		.amdhsa_round_robin_scheduling 0
		.amdhsa_exception_fp_ieee_invalid_op 0
		.amdhsa_exception_fp_denorm_src 0
		.amdhsa_exception_fp_ieee_div_zero 0
		.amdhsa_exception_fp_ieee_overflow 0
		.amdhsa_exception_fp_ieee_underflow 0
		.amdhsa_exception_fp_ieee_inexact 0
		.amdhsa_exception_int_div_zero 0
	.end_amdhsa_kernel
	.section	.text._Z39paged_attention_ll4mi_QKV_mfma16_kernelIDF16_DF16_LN4vllm18Fp8KVCacheDataTypeE0EhLi16ELi128ELi256ELb1ELi10EEvPKT_PKT0_S7_ifPKiS9_S9_iPKfiiiPfSC_PS2_PT2_iSB_SB_,"axG",@progbits,_Z39paged_attention_ll4mi_QKV_mfma16_kernelIDF16_DF16_LN4vllm18Fp8KVCacheDataTypeE0EhLi16ELi128ELi256ELb1ELi10EEvPKT_PKT0_S7_ifPKiS9_S9_iPKfiiiPfSC_PS2_PT2_iSB_SB_,comdat
.Lfunc_end203:
	.size	_Z39paged_attention_ll4mi_QKV_mfma16_kernelIDF16_DF16_LN4vllm18Fp8KVCacheDataTypeE0EhLi16ELi128ELi256ELb1ELi10EEvPKT_PKT0_S7_ifPKiS9_S9_iPKfiiiPfSC_PS2_PT2_iSB_SB_, .Lfunc_end203-_Z39paged_attention_ll4mi_QKV_mfma16_kernelIDF16_DF16_LN4vllm18Fp8KVCacheDataTypeE0EhLi16ELi128ELi256ELb1ELi10EEvPKT_PKT0_S7_ifPKiS9_S9_iPKfiiiPfSC_PS2_PT2_iSB_SB_
                                        ; -- End function
	.set _Z39paged_attention_ll4mi_QKV_mfma16_kernelIDF16_DF16_LN4vllm18Fp8KVCacheDataTypeE0EhLi16ELi128ELi256ELb1ELi10EEvPKT_PKT0_S7_ifPKiS9_S9_iPKfiiiPfSC_PS2_PT2_iSB_SB_.num_vgpr, max(3, .L__assert_fail.num_vgpr)
	.set _Z39paged_attention_ll4mi_QKV_mfma16_kernelIDF16_DF16_LN4vllm18Fp8KVCacheDataTypeE0EhLi16ELi128ELi256ELb1ELi10EEvPKT_PKT0_S7_ifPKiS9_S9_iPKfiiiPfSC_PS2_PT2_iSB_SB_.num_agpr, max(0, .L__assert_fail.num_agpr)
	.set _Z39paged_attention_ll4mi_QKV_mfma16_kernelIDF16_DF16_LN4vllm18Fp8KVCacheDataTypeE0EhLi16ELi128ELi256ELb1ELi10EEvPKT_PKT0_S7_ifPKiS9_S9_iPKfiiiPfSC_PS2_PT2_iSB_SB_.numbered_sgpr, max(33, .L__assert_fail.numbered_sgpr)
	.set _Z39paged_attention_ll4mi_QKV_mfma16_kernelIDF16_DF16_LN4vllm18Fp8KVCacheDataTypeE0EhLi16ELi128ELi256ELb1ELi10EEvPKT_PKT0_S7_ifPKiS9_S9_iPKfiiiPfSC_PS2_PT2_iSB_SB_.num_named_barrier, max(0, .L__assert_fail.num_named_barrier)
	.set _Z39paged_attention_ll4mi_QKV_mfma16_kernelIDF16_DF16_LN4vllm18Fp8KVCacheDataTypeE0EhLi16ELi128ELi256ELb1ELi10EEvPKT_PKT0_S7_ifPKiS9_S9_iPKfiiiPfSC_PS2_PT2_iSB_SB_.private_seg_size, 0+max(.L__assert_fail.private_seg_size)
	.set _Z39paged_attention_ll4mi_QKV_mfma16_kernelIDF16_DF16_LN4vllm18Fp8KVCacheDataTypeE0EhLi16ELi128ELi256ELb1ELi10EEvPKT_PKT0_S7_ifPKiS9_S9_iPKfiiiPfSC_PS2_PT2_iSB_SB_.uses_vcc, or(1, .L__assert_fail.uses_vcc)
	.set _Z39paged_attention_ll4mi_QKV_mfma16_kernelIDF16_DF16_LN4vllm18Fp8KVCacheDataTypeE0EhLi16ELi128ELi256ELb1ELi10EEvPKT_PKT0_S7_ifPKiS9_S9_iPKfiiiPfSC_PS2_PT2_iSB_SB_.uses_flat_scratch, or(0, .L__assert_fail.uses_flat_scratch)
	.set _Z39paged_attention_ll4mi_QKV_mfma16_kernelIDF16_DF16_LN4vllm18Fp8KVCacheDataTypeE0EhLi16ELi128ELi256ELb1ELi10EEvPKT_PKT0_S7_ifPKiS9_S9_iPKfiiiPfSC_PS2_PT2_iSB_SB_.has_dyn_sized_stack, or(0, .L__assert_fail.has_dyn_sized_stack)
	.set _Z39paged_attention_ll4mi_QKV_mfma16_kernelIDF16_DF16_LN4vllm18Fp8KVCacheDataTypeE0EhLi16ELi128ELi256ELb1ELi10EEvPKT_PKT0_S7_ifPKiS9_S9_iPKfiiiPfSC_PS2_PT2_iSB_SB_.has_recursion, or(0, .L__assert_fail.has_recursion)
	.set _Z39paged_attention_ll4mi_QKV_mfma16_kernelIDF16_DF16_LN4vllm18Fp8KVCacheDataTypeE0EhLi16ELi128ELi256ELb1ELi10EEvPKT_PKT0_S7_ifPKiS9_S9_iPKfiiiPfSC_PS2_PT2_iSB_SB_.has_indirect_call, or(0, .L__assert_fail.has_indirect_call)
	.section	.AMDGPU.csdata,"",@progbits
; Kernel info:
; codeLenInByte = 68
; TotalNumSgprs: 36
; NumVgprs: 51
; ScratchSize: 64
; MemoryBound: 0
; FloatMode: 240
; IeeeMode: 1
; LDSByteSize: 0 bytes/workgroup (compile time only)
; SGPRBlocks: 0
; VGPRBlocks: 3
; NumSGPRsForWavesPerEU: 36
; NumVGPRsForWavesPerEU: 51
; NamedBarCnt: 0
; Occupancy: 16
; WaveLimiterHint : 1
; COMPUTE_PGM_RSRC2:SCRATCH_EN: 1
; COMPUTE_PGM_RSRC2:USER_SGPR: 2
; COMPUTE_PGM_RSRC2:TRAP_HANDLER: 0
; COMPUTE_PGM_RSRC2:TGID_X_EN: 1
; COMPUTE_PGM_RSRC2:TGID_Y_EN: 0
; COMPUTE_PGM_RSRC2:TGID_Z_EN: 0
; COMPUTE_PGM_RSRC2:TIDIG_COMP_CNT: 0
	.section	.text._Z39paged_attention_ll4mi_QKV_mfma16_kernelIDF16_DF16_LN4vllm18Fp8KVCacheDataTypeE0EhLi16ELi128ELi256ELb1ELi11EEvPKT_PKT0_S7_ifPKiS9_S9_iPKfiiiPfSC_PS2_PT2_iSB_SB_,"axG",@progbits,_Z39paged_attention_ll4mi_QKV_mfma16_kernelIDF16_DF16_LN4vllm18Fp8KVCacheDataTypeE0EhLi16ELi128ELi256ELb1ELi11EEvPKT_PKT0_S7_ifPKiS9_S9_iPKfiiiPfSC_PS2_PT2_iSB_SB_,comdat
	.protected	_Z39paged_attention_ll4mi_QKV_mfma16_kernelIDF16_DF16_LN4vllm18Fp8KVCacheDataTypeE0EhLi16ELi128ELi256ELb1ELi11EEvPKT_PKT0_S7_ifPKiS9_S9_iPKfiiiPfSC_PS2_PT2_iSB_SB_ ; -- Begin function _Z39paged_attention_ll4mi_QKV_mfma16_kernelIDF16_DF16_LN4vllm18Fp8KVCacheDataTypeE0EhLi16ELi128ELi256ELb1ELi11EEvPKT_PKT0_S7_ifPKiS9_S9_iPKfiiiPfSC_PS2_PT2_iSB_SB_
	.globl	_Z39paged_attention_ll4mi_QKV_mfma16_kernelIDF16_DF16_LN4vllm18Fp8KVCacheDataTypeE0EhLi16ELi128ELi256ELb1ELi11EEvPKT_PKT0_S7_ifPKiS9_S9_iPKfiiiPfSC_PS2_PT2_iSB_SB_
	.p2align	8
	.type	_Z39paged_attention_ll4mi_QKV_mfma16_kernelIDF16_DF16_LN4vllm18Fp8KVCacheDataTypeE0EhLi16ELi128ELi256ELb1ELi11EEvPKT_PKT0_S7_ifPKiS9_S9_iPKfiiiPfSC_PS2_PT2_iSB_SB_,@function
_Z39paged_attention_ll4mi_QKV_mfma16_kernelIDF16_DF16_LN4vllm18Fp8KVCacheDataTypeE0EhLi16ELi128ELi256ELb1ELi11EEvPKT_PKT0_S7_ifPKiS9_S9_iPKfiiiPfSC_PS2_PT2_iSB_SB_: ; @_Z39paged_attention_ll4mi_QKV_mfma16_kernelIDF16_DF16_LN4vllm18Fp8KVCacheDataTypeE0EhLi16ELi128ELi256ELb1ELi11EEvPKT_PKT0_S7_ifPKiS9_S9_iPKfiiiPfSC_PS2_PT2_iSB_SB_
; %bb.0:
	s_get_pc_i64 s[2:3]
	s_add_nc_u64 s[2:3], s[2:3], __PRETTY_FUNCTION__._Z39paged_attention_ll4mi_QKV_mfma16_kernelIDF16_DF16_LN4vllm18Fp8KVCacheDataTypeE0EhLi16ELi128ELi256ELb1ELi11EEvPKT_PKT0_S7_ifPKiS9_S9_iPKfiiiPfSC_PS2_PT2_iSB_SB_@rel64+4
	s_delay_alu instid0(SALU_CYCLE_1)
	v_dual_mov_b32 v0, 0xbb3 :: v_dual_mov_b32 v1, s2
	v_mov_b32_e32 v2, s3
	s_add_nc_u64 s[8:9], s[0:1], 0x90
	s_get_pc_i64 s[0:1]
	s_add_nc_u64 s[0:1], s[0:1], __assert_fail@rel64+4
	s_mov_b32 s32, 0
	s_swap_pc_i64 s[30:31], s[0:1]
	.section	.rodata,"a",@progbits
	.p2align	6, 0x0
	.amdhsa_kernel _Z39paged_attention_ll4mi_QKV_mfma16_kernelIDF16_DF16_LN4vllm18Fp8KVCacheDataTypeE0EhLi16ELi128ELi256ELb1ELi11EEvPKT_PKT0_S7_ifPKiS9_S9_iPKfiiiPfSC_PS2_PT2_iSB_SB_
		.amdhsa_group_segment_fixed_size 0
		.amdhsa_private_segment_fixed_size 64
		.amdhsa_kernarg_size 400
		.amdhsa_user_sgpr_count 2
		.amdhsa_user_sgpr_dispatch_ptr 0
		.amdhsa_user_sgpr_queue_ptr 0
		.amdhsa_user_sgpr_kernarg_segment_ptr 1
		.amdhsa_user_sgpr_dispatch_id 0
		.amdhsa_user_sgpr_kernarg_preload_length 0
		.amdhsa_user_sgpr_kernarg_preload_offset 0
		.amdhsa_user_sgpr_private_segment_size 0
		.amdhsa_wavefront_size32 1
		.amdhsa_uses_dynamic_stack 0
		.amdhsa_enable_private_segment 1
		.amdhsa_system_sgpr_workgroup_id_x 1
		.amdhsa_system_sgpr_workgroup_id_y 0
		.amdhsa_system_sgpr_workgroup_id_z 0
		.amdhsa_system_sgpr_workgroup_info 0
		.amdhsa_system_vgpr_workitem_id 0
		.amdhsa_next_free_vgpr 51
		.amdhsa_next_free_sgpr 34
		.amdhsa_named_barrier_count 0
		.amdhsa_reserve_vcc 1
		.amdhsa_float_round_mode_32 0
		.amdhsa_float_round_mode_16_64 0
		.amdhsa_float_denorm_mode_32 3
		.amdhsa_float_denorm_mode_16_64 3
		.amdhsa_fp16_overflow 0
		.amdhsa_memory_ordered 1
		.amdhsa_forward_progress 1
		.amdhsa_inst_pref_size 1
		.amdhsa_round_robin_scheduling 0
		.amdhsa_exception_fp_ieee_invalid_op 0
		.amdhsa_exception_fp_denorm_src 0
		.amdhsa_exception_fp_ieee_div_zero 0
		.amdhsa_exception_fp_ieee_overflow 0
		.amdhsa_exception_fp_ieee_underflow 0
		.amdhsa_exception_fp_ieee_inexact 0
		.amdhsa_exception_int_div_zero 0
	.end_amdhsa_kernel
	.section	.text._Z39paged_attention_ll4mi_QKV_mfma16_kernelIDF16_DF16_LN4vllm18Fp8KVCacheDataTypeE0EhLi16ELi128ELi256ELb1ELi11EEvPKT_PKT0_S7_ifPKiS9_S9_iPKfiiiPfSC_PS2_PT2_iSB_SB_,"axG",@progbits,_Z39paged_attention_ll4mi_QKV_mfma16_kernelIDF16_DF16_LN4vllm18Fp8KVCacheDataTypeE0EhLi16ELi128ELi256ELb1ELi11EEvPKT_PKT0_S7_ifPKiS9_S9_iPKfiiiPfSC_PS2_PT2_iSB_SB_,comdat
.Lfunc_end204:
	.size	_Z39paged_attention_ll4mi_QKV_mfma16_kernelIDF16_DF16_LN4vllm18Fp8KVCacheDataTypeE0EhLi16ELi128ELi256ELb1ELi11EEvPKT_PKT0_S7_ifPKiS9_S9_iPKfiiiPfSC_PS2_PT2_iSB_SB_, .Lfunc_end204-_Z39paged_attention_ll4mi_QKV_mfma16_kernelIDF16_DF16_LN4vllm18Fp8KVCacheDataTypeE0EhLi16ELi128ELi256ELb1ELi11EEvPKT_PKT0_S7_ifPKiS9_S9_iPKfiiiPfSC_PS2_PT2_iSB_SB_
                                        ; -- End function
	.set _Z39paged_attention_ll4mi_QKV_mfma16_kernelIDF16_DF16_LN4vllm18Fp8KVCacheDataTypeE0EhLi16ELi128ELi256ELb1ELi11EEvPKT_PKT0_S7_ifPKiS9_S9_iPKfiiiPfSC_PS2_PT2_iSB_SB_.num_vgpr, max(3, .L__assert_fail.num_vgpr)
	.set _Z39paged_attention_ll4mi_QKV_mfma16_kernelIDF16_DF16_LN4vllm18Fp8KVCacheDataTypeE0EhLi16ELi128ELi256ELb1ELi11EEvPKT_PKT0_S7_ifPKiS9_S9_iPKfiiiPfSC_PS2_PT2_iSB_SB_.num_agpr, max(0, .L__assert_fail.num_agpr)
	.set _Z39paged_attention_ll4mi_QKV_mfma16_kernelIDF16_DF16_LN4vllm18Fp8KVCacheDataTypeE0EhLi16ELi128ELi256ELb1ELi11EEvPKT_PKT0_S7_ifPKiS9_S9_iPKfiiiPfSC_PS2_PT2_iSB_SB_.numbered_sgpr, max(33, .L__assert_fail.numbered_sgpr)
	.set _Z39paged_attention_ll4mi_QKV_mfma16_kernelIDF16_DF16_LN4vllm18Fp8KVCacheDataTypeE0EhLi16ELi128ELi256ELb1ELi11EEvPKT_PKT0_S7_ifPKiS9_S9_iPKfiiiPfSC_PS2_PT2_iSB_SB_.num_named_barrier, max(0, .L__assert_fail.num_named_barrier)
	.set _Z39paged_attention_ll4mi_QKV_mfma16_kernelIDF16_DF16_LN4vllm18Fp8KVCacheDataTypeE0EhLi16ELi128ELi256ELb1ELi11EEvPKT_PKT0_S7_ifPKiS9_S9_iPKfiiiPfSC_PS2_PT2_iSB_SB_.private_seg_size, 0+max(.L__assert_fail.private_seg_size)
	.set _Z39paged_attention_ll4mi_QKV_mfma16_kernelIDF16_DF16_LN4vllm18Fp8KVCacheDataTypeE0EhLi16ELi128ELi256ELb1ELi11EEvPKT_PKT0_S7_ifPKiS9_S9_iPKfiiiPfSC_PS2_PT2_iSB_SB_.uses_vcc, or(1, .L__assert_fail.uses_vcc)
	.set _Z39paged_attention_ll4mi_QKV_mfma16_kernelIDF16_DF16_LN4vllm18Fp8KVCacheDataTypeE0EhLi16ELi128ELi256ELb1ELi11EEvPKT_PKT0_S7_ifPKiS9_S9_iPKfiiiPfSC_PS2_PT2_iSB_SB_.uses_flat_scratch, or(0, .L__assert_fail.uses_flat_scratch)
	.set _Z39paged_attention_ll4mi_QKV_mfma16_kernelIDF16_DF16_LN4vllm18Fp8KVCacheDataTypeE0EhLi16ELi128ELi256ELb1ELi11EEvPKT_PKT0_S7_ifPKiS9_S9_iPKfiiiPfSC_PS2_PT2_iSB_SB_.has_dyn_sized_stack, or(0, .L__assert_fail.has_dyn_sized_stack)
	.set _Z39paged_attention_ll4mi_QKV_mfma16_kernelIDF16_DF16_LN4vllm18Fp8KVCacheDataTypeE0EhLi16ELi128ELi256ELb1ELi11EEvPKT_PKT0_S7_ifPKiS9_S9_iPKfiiiPfSC_PS2_PT2_iSB_SB_.has_recursion, or(0, .L__assert_fail.has_recursion)
	.set _Z39paged_attention_ll4mi_QKV_mfma16_kernelIDF16_DF16_LN4vllm18Fp8KVCacheDataTypeE0EhLi16ELi128ELi256ELb1ELi11EEvPKT_PKT0_S7_ifPKiS9_S9_iPKfiiiPfSC_PS2_PT2_iSB_SB_.has_indirect_call, or(0, .L__assert_fail.has_indirect_call)
	.section	.AMDGPU.csdata,"",@progbits
; Kernel info:
; codeLenInByte = 68
; TotalNumSgprs: 36
; NumVgprs: 51
; ScratchSize: 64
; MemoryBound: 0
; FloatMode: 240
; IeeeMode: 1
; LDSByteSize: 0 bytes/workgroup (compile time only)
; SGPRBlocks: 0
; VGPRBlocks: 3
; NumSGPRsForWavesPerEU: 36
; NumVGPRsForWavesPerEU: 51
; NamedBarCnt: 0
; Occupancy: 16
; WaveLimiterHint : 1
; COMPUTE_PGM_RSRC2:SCRATCH_EN: 1
; COMPUTE_PGM_RSRC2:USER_SGPR: 2
; COMPUTE_PGM_RSRC2:TRAP_HANDLER: 0
; COMPUTE_PGM_RSRC2:TGID_X_EN: 1
; COMPUTE_PGM_RSRC2:TGID_Y_EN: 0
; COMPUTE_PGM_RSRC2:TGID_Z_EN: 0
; COMPUTE_PGM_RSRC2:TIDIG_COMP_CNT: 0
	.section	.text._Z39paged_attention_ll4mi_QKV_mfma16_kernelIDF16_DF16_LN4vllm18Fp8KVCacheDataTypeE0EhLi16ELi128ELi256ELb1ELi12EEvPKT_PKT0_S7_ifPKiS9_S9_iPKfiiiPfSC_PS2_PT2_iSB_SB_,"axG",@progbits,_Z39paged_attention_ll4mi_QKV_mfma16_kernelIDF16_DF16_LN4vllm18Fp8KVCacheDataTypeE0EhLi16ELi128ELi256ELb1ELi12EEvPKT_PKT0_S7_ifPKiS9_S9_iPKfiiiPfSC_PS2_PT2_iSB_SB_,comdat
	.protected	_Z39paged_attention_ll4mi_QKV_mfma16_kernelIDF16_DF16_LN4vllm18Fp8KVCacheDataTypeE0EhLi16ELi128ELi256ELb1ELi12EEvPKT_PKT0_S7_ifPKiS9_S9_iPKfiiiPfSC_PS2_PT2_iSB_SB_ ; -- Begin function _Z39paged_attention_ll4mi_QKV_mfma16_kernelIDF16_DF16_LN4vllm18Fp8KVCacheDataTypeE0EhLi16ELi128ELi256ELb1ELi12EEvPKT_PKT0_S7_ifPKiS9_S9_iPKfiiiPfSC_PS2_PT2_iSB_SB_
	.globl	_Z39paged_attention_ll4mi_QKV_mfma16_kernelIDF16_DF16_LN4vllm18Fp8KVCacheDataTypeE0EhLi16ELi128ELi256ELb1ELi12EEvPKT_PKT0_S7_ifPKiS9_S9_iPKfiiiPfSC_PS2_PT2_iSB_SB_
	.p2align	8
	.type	_Z39paged_attention_ll4mi_QKV_mfma16_kernelIDF16_DF16_LN4vllm18Fp8KVCacheDataTypeE0EhLi16ELi128ELi256ELb1ELi12EEvPKT_PKT0_S7_ifPKiS9_S9_iPKfiiiPfSC_PS2_PT2_iSB_SB_,@function
_Z39paged_attention_ll4mi_QKV_mfma16_kernelIDF16_DF16_LN4vllm18Fp8KVCacheDataTypeE0EhLi16ELi128ELi256ELb1ELi12EEvPKT_PKT0_S7_ifPKiS9_S9_iPKfiiiPfSC_PS2_PT2_iSB_SB_: ; @_Z39paged_attention_ll4mi_QKV_mfma16_kernelIDF16_DF16_LN4vllm18Fp8KVCacheDataTypeE0EhLi16ELi128ELi256ELb1ELi12EEvPKT_PKT0_S7_ifPKiS9_S9_iPKfiiiPfSC_PS2_PT2_iSB_SB_
; %bb.0:
	s_get_pc_i64 s[2:3]
	s_add_nc_u64 s[2:3], s[2:3], __PRETTY_FUNCTION__._Z39paged_attention_ll4mi_QKV_mfma16_kernelIDF16_DF16_LN4vllm18Fp8KVCacheDataTypeE0EhLi16ELi128ELi256ELb1ELi12EEvPKT_PKT0_S7_ifPKiS9_S9_iPKfiiiPfSC_PS2_PT2_iSB_SB_@rel64+4
	s_delay_alu instid0(SALU_CYCLE_1)
	v_dual_mov_b32 v0, 0xbb3 :: v_dual_mov_b32 v1, s2
	v_mov_b32_e32 v2, s3
	s_add_nc_u64 s[8:9], s[0:1], 0x90
	s_get_pc_i64 s[0:1]
	s_add_nc_u64 s[0:1], s[0:1], __assert_fail@rel64+4
	s_mov_b32 s32, 0
	s_swap_pc_i64 s[30:31], s[0:1]
	.section	.rodata,"a",@progbits
	.p2align	6, 0x0
	.amdhsa_kernel _Z39paged_attention_ll4mi_QKV_mfma16_kernelIDF16_DF16_LN4vllm18Fp8KVCacheDataTypeE0EhLi16ELi128ELi256ELb1ELi12EEvPKT_PKT0_S7_ifPKiS9_S9_iPKfiiiPfSC_PS2_PT2_iSB_SB_
		.amdhsa_group_segment_fixed_size 0
		.amdhsa_private_segment_fixed_size 64
		.amdhsa_kernarg_size 400
		.amdhsa_user_sgpr_count 2
		.amdhsa_user_sgpr_dispatch_ptr 0
		.amdhsa_user_sgpr_queue_ptr 0
		.amdhsa_user_sgpr_kernarg_segment_ptr 1
		.amdhsa_user_sgpr_dispatch_id 0
		.amdhsa_user_sgpr_kernarg_preload_length 0
		.amdhsa_user_sgpr_kernarg_preload_offset 0
		.amdhsa_user_sgpr_private_segment_size 0
		.amdhsa_wavefront_size32 1
		.amdhsa_uses_dynamic_stack 0
		.amdhsa_enable_private_segment 1
		.amdhsa_system_sgpr_workgroup_id_x 1
		.amdhsa_system_sgpr_workgroup_id_y 0
		.amdhsa_system_sgpr_workgroup_id_z 0
		.amdhsa_system_sgpr_workgroup_info 0
		.amdhsa_system_vgpr_workitem_id 0
		.amdhsa_next_free_vgpr 51
		.amdhsa_next_free_sgpr 34
		.amdhsa_named_barrier_count 0
		.amdhsa_reserve_vcc 1
		.amdhsa_float_round_mode_32 0
		.amdhsa_float_round_mode_16_64 0
		.amdhsa_float_denorm_mode_32 3
		.amdhsa_float_denorm_mode_16_64 3
		.amdhsa_fp16_overflow 0
		.amdhsa_memory_ordered 1
		.amdhsa_forward_progress 1
		.amdhsa_inst_pref_size 1
		.amdhsa_round_robin_scheduling 0
		.amdhsa_exception_fp_ieee_invalid_op 0
		.amdhsa_exception_fp_denorm_src 0
		.amdhsa_exception_fp_ieee_div_zero 0
		.amdhsa_exception_fp_ieee_overflow 0
		.amdhsa_exception_fp_ieee_underflow 0
		.amdhsa_exception_fp_ieee_inexact 0
		.amdhsa_exception_int_div_zero 0
	.end_amdhsa_kernel
	.section	.text._Z39paged_attention_ll4mi_QKV_mfma16_kernelIDF16_DF16_LN4vllm18Fp8KVCacheDataTypeE0EhLi16ELi128ELi256ELb1ELi12EEvPKT_PKT0_S7_ifPKiS9_S9_iPKfiiiPfSC_PS2_PT2_iSB_SB_,"axG",@progbits,_Z39paged_attention_ll4mi_QKV_mfma16_kernelIDF16_DF16_LN4vllm18Fp8KVCacheDataTypeE0EhLi16ELi128ELi256ELb1ELi12EEvPKT_PKT0_S7_ifPKiS9_S9_iPKfiiiPfSC_PS2_PT2_iSB_SB_,comdat
.Lfunc_end205:
	.size	_Z39paged_attention_ll4mi_QKV_mfma16_kernelIDF16_DF16_LN4vllm18Fp8KVCacheDataTypeE0EhLi16ELi128ELi256ELb1ELi12EEvPKT_PKT0_S7_ifPKiS9_S9_iPKfiiiPfSC_PS2_PT2_iSB_SB_, .Lfunc_end205-_Z39paged_attention_ll4mi_QKV_mfma16_kernelIDF16_DF16_LN4vllm18Fp8KVCacheDataTypeE0EhLi16ELi128ELi256ELb1ELi12EEvPKT_PKT0_S7_ifPKiS9_S9_iPKfiiiPfSC_PS2_PT2_iSB_SB_
                                        ; -- End function
	.set _Z39paged_attention_ll4mi_QKV_mfma16_kernelIDF16_DF16_LN4vllm18Fp8KVCacheDataTypeE0EhLi16ELi128ELi256ELb1ELi12EEvPKT_PKT0_S7_ifPKiS9_S9_iPKfiiiPfSC_PS2_PT2_iSB_SB_.num_vgpr, max(3, .L__assert_fail.num_vgpr)
	.set _Z39paged_attention_ll4mi_QKV_mfma16_kernelIDF16_DF16_LN4vllm18Fp8KVCacheDataTypeE0EhLi16ELi128ELi256ELb1ELi12EEvPKT_PKT0_S7_ifPKiS9_S9_iPKfiiiPfSC_PS2_PT2_iSB_SB_.num_agpr, max(0, .L__assert_fail.num_agpr)
	.set _Z39paged_attention_ll4mi_QKV_mfma16_kernelIDF16_DF16_LN4vllm18Fp8KVCacheDataTypeE0EhLi16ELi128ELi256ELb1ELi12EEvPKT_PKT0_S7_ifPKiS9_S9_iPKfiiiPfSC_PS2_PT2_iSB_SB_.numbered_sgpr, max(33, .L__assert_fail.numbered_sgpr)
	.set _Z39paged_attention_ll4mi_QKV_mfma16_kernelIDF16_DF16_LN4vllm18Fp8KVCacheDataTypeE0EhLi16ELi128ELi256ELb1ELi12EEvPKT_PKT0_S7_ifPKiS9_S9_iPKfiiiPfSC_PS2_PT2_iSB_SB_.num_named_barrier, max(0, .L__assert_fail.num_named_barrier)
	.set _Z39paged_attention_ll4mi_QKV_mfma16_kernelIDF16_DF16_LN4vllm18Fp8KVCacheDataTypeE0EhLi16ELi128ELi256ELb1ELi12EEvPKT_PKT0_S7_ifPKiS9_S9_iPKfiiiPfSC_PS2_PT2_iSB_SB_.private_seg_size, 0+max(.L__assert_fail.private_seg_size)
	.set _Z39paged_attention_ll4mi_QKV_mfma16_kernelIDF16_DF16_LN4vllm18Fp8KVCacheDataTypeE0EhLi16ELi128ELi256ELb1ELi12EEvPKT_PKT0_S7_ifPKiS9_S9_iPKfiiiPfSC_PS2_PT2_iSB_SB_.uses_vcc, or(1, .L__assert_fail.uses_vcc)
	.set _Z39paged_attention_ll4mi_QKV_mfma16_kernelIDF16_DF16_LN4vllm18Fp8KVCacheDataTypeE0EhLi16ELi128ELi256ELb1ELi12EEvPKT_PKT0_S7_ifPKiS9_S9_iPKfiiiPfSC_PS2_PT2_iSB_SB_.uses_flat_scratch, or(0, .L__assert_fail.uses_flat_scratch)
	.set _Z39paged_attention_ll4mi_QKV_mfma16_kernelIDF16_DF16_LN4vllm18Fp8KVCacheDataTypeE0EhLi16ELi128ELi256ELb1ELi12EEvPKT_PKT0_S7_ifPKiS9_S9_iPKfiiiPfSC_PS2_PT2_iSB_SB_.has_dyn_sized_stack, or(0, .L__assert_fail.has_dyn_sized_stack)
	.set _Z39paged_attention_ll4mi_QKV_mfma16_kernelIDF16_DF16_LN4vllm18Fp8KVCacheDataTypeE0EhLi16ELi128ELi256ELb1ELi12EEvPKT_PKT0_S7_ifPKiS9_S9_iPKfiiiPfSC_PS2_PT2_iSB_SB_.has_recursion, or(0, .L__assert_fail.has_recursion)
	.set _Z39paged_attention_ll4mi_QKV_mfma16_kernelIDF16_DF16_LN4vllm18Fp8KVCacheDataTypeE0EhLi16ELi128ELi256ELb1ELi12EEvPKT_PKT0_S7_ifPKiS9_S9_iPKfiiiPfSC_PS2_PT2_iSB_SB_.has_indirect_call, or(0, .L__assert_fail.has_indirect_call)
	.section	.AMDGPU.csdata,"",@progbits
; Kernel info:
; codeLenInByte = 68
; TotalNumSgprs: 36
; NumVgprs: 51
; ScratchSize: 64
; MemoryBound: 0
; FloatMode: 240
; IeeeMode: 1
; LDSByteSize: 0 bytes/workgroup (compile time only)
; SGPRBlocks: 0
; VGPRBlocks: 3
; NumSGPRsForWavesPerEU: 36
; NumVGPRsForWavesPerEU: 51
; NamedBarCnt: 0
; Occupancy: 16
; WaveLimiterHint : 1
; COMPUTE_PGM_RSRC2:SCRATCH_EN: 1
; COMPUTE_PGM_RSRC2:USER_SGPR: 2
; COMPUTE_PGM_RSRC2:TRAP_HANDLER: 0
; COMPUTE_PGM_RSRC2:TGID_X_EN: 1
; COMPUTE_PGM_RSRC2:TGID_Y_EN: 0
; COMPUTE_PGM_RSRC2:TGID_Z_EN: 0
; COMPUTE_PGM_RSRC2:TIDIG_COMP_CNT: 0
	.section	.text._Z39paged_attention_ll4mi_QKV_mfma16_kernelIDF16_DF16_LN4vllm18Fp8KVCacheDataTypeE0EhLi16ELi128ELi256ELb1ELi13EEvPKT_PKT0_S7_ifPKiS9_S9_iPKfiiiPfSC_PS2_PT2_iSB_SB_,"axG",@progbits,_Z39paged_attention_ll4mi_QKV_mfma16_kernelIDF16_DF16_LN4vllm18Fp8KVCacheDataTypeE0EhLi16ELi128ELi256ELb1ELi13EEvPKT_PKT0_S7_ifPKiS9_S9_iPKfiiiPfSC_PS2_PT2_iSB_SB_,comdat
	.protected	_Z39paged_attention_ll4mi_QKV_mfma16_kernelIDF16_DF16_LN4vllm18Fp8KVCacheDataTypeE0EhLi16ELi128ELi256ELb1ELi13EEvPKT_PKT0_S7_ifPKiS9_S9_iPKfiiiPfSC_PS2_PT2_iSB_SB_ ; -- Begin function _Z39paged_attention_ll4mi_QKV_mfma16_kernelIDF16_DF16_LN4vllm18Fp8KVCacheDataTypeE0EhLi16ELi128ELi256ELb1ELi13EEvPKT_PKT0_S7_ifPKiS9_S9_iPKfiiiPfSC_PS2_PT2_iSB_SB_
	.globl	_Z39paged_attention_ll4mi_QKV_mfma16_kernelIDF16_DF16_LN4vllm18Fp8KVCacheDataTypeE0EhLi16ELi128ELi256ELb1ELi13EEvPKT_PKT0_S7_ifPKiS9_S9_iPKfiiiPfSC_PS2_PT2_iSB_SB_
	.p2align	8
	.type	_Z39paged_attention_ll4mi_QKV_mfma16_kernelIDF16_DF16_LN4vllm18Fp8KVCacheDataTypeE0EhLi16ELi128ELi256ELb1ELi13EEvPKT_PKT0_S7_ifPKiS9_S9_iPKfiiiPfSC_PS2_PT2_iSB_SB_,@function
_Z39paged_attention_ll4mi_QKV_mfma16_kernelIDF16_DF16_LN4vllm18Fp8KVCacheDataTypeE0EhLi16ELi128ELi256ELb1ELi13EEvPKT_PKT0_S7_ifPKiS9_S9_iPKfiiiPfSC_PS2_PT2_iSB_SB_: ; @_Z39paged_attention_ll4mi_QKV_mfma16_kernelIDF16_DF16_LN4vllm18Fp8KVCacheDataTypeE0EhLi16ELi128ELi256ELb1ELi13EEvPKT_PKT0_S7_ifPKiS9_S9_iPKfiiiPfSC_PS2_PT2_iSB_SB_
; %bb.0:
	s_get_pc_i64 s[2:3]
	s_add_nc_u64 s[2:3], s[2:3], __PRETTY_FUNCTION__._Z39paged_attention_ll4mi_QKV_mfma16_kernelIDF16_DF16_LN4vllm18Fp8KVCacheDataTypeE0EhLi16ELi128ELi256ELb1ELi13EEvPKT_PKT0_S7_ifPKiS9_S9_iPKfiiiPfSC_PS2_PT2_iSB_SB_@rel64+4
	s_delay_alu instid0(SALU_CYCLE_1)
	v_dual_mov_b32 v0, 0xbb3 :: v_dual_mov_b32 v1, s2
	v_mov_b32_e32 v2, s3
	s_add_nc_u64 s[8:9], s[0:1], 0x90
	s_get_pc_i64 s[0:1]
	s_add_nc_u64 s[0:1], s[0:1], __assert_fail@rel64+4
	s_mov_b32 s32, 0
	s_swap_pc_i64 s[30:31], s[0:1]
	.section	.rodata,"a",@progbits
	.p2align	6, 0x0
	.amdhsa_kernel _Z39paged_attention_ll4mi_QKV_mfma16_kernelIDF16_DF16_LN4vllm18Fp8KVCacheDataTypeE0EhLi16ELi128ELi256ELb1ELi13EEvPKT_PKT0_S7_ifPKiS9_S9_iPKfiiiPfSC_PS2_PT2_iSB_SB_
		.amdhsa_group_segment_fixed_size 0
		.amdhsa_private_segment_fixed_size 64
		.amdhsa_kernarg_size 400
		.amdhsa_user_sgpr_count 2
		.amdhsa_user_sgpr_dispatch_ptr 0
		.amdhsa_user_sgpr_queue_ptr 0
		.amdhsa_user_sgpr_kernarg_segment_ptr 1
		.amdhsa_user_sgpr_dispatch_id 0
		.amdhsa_user_sgpr_kernarg_preload_length 0
		.amdhsa_user_sgpr_kernarg_preload_offset 0
		.amdhsa_user_sgpr_private_segment_size 0
		.amdhsa_wavefront_size32 1
		.amdhsa_uses_dynamic_stack 0
		.amdhsa_enable_private_segment 1
		.amdhsa_system_sgpr_workgroup_id_x 1
		.amdhsa_system_sgpr_workgroup_id_y 0
		.amdhsa_system_sgpr_workgroup_id_z 0
		.amdhsa_system_sgpr_workgroup_info 0
		.amdhsa_system_vgpr_workitem_id 0
		.amdhsa_next_free_vgpr 51
		.amdhsa_next_free_sgpr 34
		.amdhsa_named_barrier_count 0
		.amdhsa_reserve_vcc 1
		.amdhsa_float_round_mode_32 0
		.amdhsa_float_round_mode_16_64 0
		.amdhsa_float_denorm_mode_32 3
		.amdhsa_float_denorm_mode_16_64 3
		.amdhsa_fp16_overflow 0
		.amdhsa_memory_ordered 1
		.amdhsa_forward_progress 1
		.amdhsa_inst_pref_size 1
		.amdhsa_round_robin_scheduling 0
		.amdhsa_exception_fp_ieee_invalid_op 0
		.amdhsa_exception_fp_denorm_src 0
		.amdhsa_exception_fp_ieee_div_zero 0
		.amdhsa_exception_fp_ieee_overflow 0
		.amdhsa_exception_fp_ieee_underflow 0
		.amdhsa_exception_fp_ieee_inexact 0
		.amdhsa_exception_int_div_zero 0
	.end_amdhsa_kernel
	.section	.text._Z39paged_attention_ll4mi_QKV_mfma16_kernelIDF16_DF16_LN4vllm18Fp8KVCacheDataTypeE0EhLi16ELi128ELi256ELb1ELi13EEvPKT_PKT0_S7_ifPKiS9_S9_iPKfiiiPfSC_PS2_PT2_iSB_SB_,"axG",@progbits,_Z39paged_attention_ll4mi_QKV_mfma16_kernelIDF16_DF16_LN4vllm18Fp8KVCacheDataTypeE0EhLi16ELi128ELi256ELb1ELi13EEvPKT_PKT0_S7_ifPKiS9_S9_iPKfiiiPfSC_PS2_PT2_iSB_SB_,comdat
.Lfunc_end206:
	.size	_Z39paged_attention_ll4mi_QKV_mfma16_kernelIDF16_DF16_LN4vllm18Fp8KVCacheDataTypeE0EhLi16ELi128ELi256ELb1ELi13EEvPKT_PKT0_S7_ifPKiS9_S9_iPKfiiiPfSC_PS2_PT2_iSB_SB_, .Lfunc_end206-_Z39paged_attention_ll4mi_QKV_mfma16_kernelIDF16_DF16_LN4vllm18Fp8KVCacheDataTypeE0EhLi16ELi128ELi256ELb1ELi13EEvPKT_PKT0_S7_ifPKiS9_S9_iPKfiiiPfSC_PS2_PT2_iSB_SB_
                                        ; -- End function
	.set _Z39paged_attention_ll4mi_QKV_mfma16_kernelIDF16_DF16_LN4vllm18Fp8KVCacheDataTypeE0EhLi16ELi128ELi256ELb1ELi13EEvPKT_PKT0_S7_ifPKiS9_S9_iPKfiiiPfSC_PS2_PT2_iSB_SB_.num_vgpr, max(3, .L__assert_fail.num_vgpr)
	.set _Z39paged_attention_ll4mi_QKV_mfma16_kernelIDF16_DF16_LN4vllm18Fp8KVCacheDataTypeE0EhLi16ELi128ELi256ELb1ELi13EEvPKT_PKT0_S7_ifPKiS9_S9_iPKfiiiPfSC_PS2_PT2_iSB_SB_.num_agpr, max(0, .L__assert_fail.num_agpr)
	.set _Z39paged_attention_ll4mi_QKV_mfma16_kernelIDF16_DF16_LN4vllm18Fp8KVCacheDataTypeE0EhLi16ELi128ELi256ELb1ELi13EEvPKT_PKT0_S7_ifPKiS9_S9_iPKfiiiPfSC_PS2_PT2_iSB_SB_.numbered_sgpr, max(33, .L__assert_fail.numbered_sgpr)
	.set _Z39paged_attention_ll4mi_QKV_mfma16_kernelIDF16_DF16_LN4vllm18Fp8KVCacheDataTypeE0EhLi16ELi128ELi256ELb1ELi13EEvPKT_PKT0_S7_ifPKiS9_S9_iPKfiiiPfSC_PS2_PT2_iSB_SB_.num_named_barrier, max(0, .L__assert_fail.num_named_barrier)
	.set _Z39paged_attention_ll4mi_QKV_mfma16_kernelIDF16_DF16_LN4vllm18Fp8KVCacheDataTypeE0EhLi16ELi128ELi256ELb1ELi13EEvPKT_PKT0_S7_ifPKiS9_S9_iPKfiiiPfSC_PS2_PT2_iSB_SB_.private_seg_size, 0+max(.L__assert_fail.private_seg_size)
	.set _Z39paged_attention_ll4mi_QKV_mfma16_kernelIDF16_DF16_LN4vllm18Fp8KVCacheDataTypeE0EhLi16ELi128ELi256ELb1ELi13EEvPKT_PKT0_S7_ifPKiS9_S9_iPKfiiiPfSC_PS2_PT2_iSB_SB_.uses_vcc, or(1, .L__assert_fail.uses_vcc)
	.set _Z39paged_attention_ll4mi_QKV_mfma16_kernelIDF16_DF16_LN4vllm18Fp8KVCacheDataTypeE0EhLi16ELi128ELi256ELb1ELi13EEvPKT_PKT0_S7_ifPKiS9_S9_iPKfiiiPfSC_PS2_PT2_iSB_SB_.uses_flat_scratch, or(0, .L__assert_fail.uses_flat_scratch)
	.set _Z39paged_attention_ll4mi_QKV_mfma16_kernelIDF16_DF16_LN4vllm18Fp8KVCacheDataTypeE0EhLi16ELi128ELi256ELb1ELi13EEvPKT_PKT0_S7_ifPKiS9_S9_iPKfiiiPfSC_PS2_PT2_iSB_SB_.has_dyn_sized_stack, or(0, .L__assert_fail.has_dyn_sized_stack)
	.set _Z39paged_attention_ll4mi_QKV_mfma16_kernelIDF16_DF16_LN4vllm18Fp8KVCacheDataTypeE0EhLi16ELi128ELi256ELb1ELi13EEvPKT_PKT0_S7_ifPKiS9_S9_iPKfiiiPfSC_PS2_PT2_iSB_SB_.has_recursion, or(0, .L__assert_fail.has_recursion)
	.set _Z39paged_attention_ll4mi_QKV_mfma16_kernelIDF16_DF16_LN4vllm18Fp8KVCacheDataTypeE0EhLi16ELi128ELi256ELb1ELi13EEvPKT_PKT0_S7_ifPKiS9_S9_iPKfiiiPfSC_PS2_PT2_iSB_SB_.has_indirect_call, or(0, .L__assert_fail.has_indirect_call)
	.section	.AMDGPU.csdata,"",@progbits
; Kernel info:
; codeLenInByte = 68
; TotalNumSgprs: 36
; NumVgprs: 51
; ScratchSize: 64
; MemoryBound: 0
; FloatMode: 240
; IeeeMode: 1
; LDSByteSize: 0 bytes/workgroup (compile time only)
; SGPRBlocks: 0
; VGPRBlocks: 3
; NumSGPRsForWavesPerEU: 36
; NumVGPRsForWavesPerEU: 51
; NamedBarCnt: 0
; Occupancy: 16
; WaveLimiterHint : 1
; COMPUTE_PGM_RSRC2:SCRATCH_EN: 1
; COMPUTE_PGM_RSRC2:USER_SGPR: 2
; COMPUTE_PGM_RSRC2:TRAP_HANDLER: 0
; COMPUTE_PGM_RSRC2:TGID_X_EN: 1
; COMPUTE_PGM_RSRC2:TGID_Y_EN: 0
; COMPUTE_PGM_RSRC2:TGID_Z_EN: 0
; COMPUTE_PGM_RSRC2:TIDIG_COMP_CNT: 0
	.section	.text._Z39paged_attention_ll4mi_QKV_mfma16_kernelIDF16_DF16_LN4vllm18Fp8KVCacheDataTypeE0EhLi16ELi128ELi256ELb1ELi14EEvPKT_PKT0_S7_ifPKiS9_S9_iPKfiiiPfSC_PS2_PT2_iSB_SB_,"axG",@progbits,_Z39paged_attention_ll4mi_QKV_mfma16_kernelIDF16_DF16_LN4vllm18Fp8KVCacheDataTypeE0EhLi16ELi128ELi256ELb1ELi14EEvPKT_PKT0_S7_ifPKiS9_S9_iPKfiiiPfSC_PS2_PT2_iSB_SB_,comdat
	.protected	_Z39paged_attention_ll4mi_QKV_mfma16_kernelIDF16_DF16_LN4vllm18Fp8KVCacheDataTypeE0EhLi16ELi128ELi256ELb1ELi14EEvPKT_PKT0_S7_ifPKiS9_S9_iPKfiiiPfSC_PS2_PT2_iSB_SB_ ; -- Begin function _Z39paged_attention_ll4mi_QKV_mfma16_kernelIDF16_DF16_LN4vllm18Fp8KVCacheDataTypeE0EhLi16ELi128ELi256ELb1ELi14EEvPKT_PKT0_S7_ifPKiS9_S9_iPKfiiiPfSC_PS2_PT2_iSB_SB_
	.globl	_Z39paged_attention_ll4mi_QKV_mfma16_kernelIDF16_DF16_LN4vllm18Fp8KVCacheDataTypeE0EhLi16ELi128ELi256ELb1ELi14EEvPKT_PKT0_S7_ifPKiS9_S9_iPKfiiiPfSC_PS2_PT2_iSB_SB_
	.p2align	8
	.type	_Z39paged_attention_ll4mi_QKV_mfma16_kernelIDF16_DF16_LN4vllm18Fp8KVCacheDataTypeE0EhLi16ELi128ELi256ELb1ELi14EEvPKT_PKT0_S7_ifPKiS9_S9_iPKfiiiPfSC_PS2_PT2_iSB_SB_,@function
_Z39paged_attention_ll4mi_QKV_mfma16_kernelIDF16_DF16_LN4vllm18Fp8KVCacheDataTypeE0EhLi16ELi128ELi256ELb1ELi14EEvPKT_PKT0_S7_ifPKiS9_S9_iPKfiiiPfSC_PS2_PT2_iSB_SB_: ; @_Z39paged_attention_ll4mi_QKV_mfma16_kernelIDF16_DF16_LN4vllm18Fp8KVCacheDataTypeE0EhLi16ELi128ELi256ELb1ELi14EEvPKT_PKT0_S7_ifPKiS9_S9_iPKfiiiPfSC_PS2_PT2_iSB_SB_
; %bb.0:
	s_get_pc_i64 s[2:3]
	s_add_nc_u64 s[2:3], s[2:3], __PRETTY_FUNCTION__._Z39paged_attention_ll4mi_QKV_mfma16_kernelIDF16_DF16_LN4vllm18Fp8KVCacheDataTypeE0EhLi16ELi128ELi256ELb1ELi14EEvPKT_PKT0_S7_ifPKiS9_S9_iPKfiiiPfSC_PS2_PT2_iSB_SB_@rel64+4
	s_delay_alu instid0(SALU_CYCLE_1)
	v_dual_mov_b32 v0, 0xbb3 :: v_dual_mov_b32 v1, s2
	v_mov_b32_e32 v2, s3
	s_add_nc_u64 s[8:9], s[0:1], 0x90
	s_get_pc_i64 s[0:1]
	s_add_nc_u64 s[0:1], s[0:1], __assert_fail@rel64+4
	s_mov_b32 s32, 0
	s_swap_pc_i64 s[30:31], s[0:1]
	.section	.rodata,"a",@progbits
	.p2align	6, 0x0
	.amdhsa_kernel _Z39paged_attention_ll4mi_QKV_mfma16_kernelIDF16_DF16_LN4vllm18Fp8KVCacheDataTypeE0EhLi16ELi128ELi256ELb1ELi14EEvPKT_PKT0_S7_ifPKiS9_S9_iPKfiiiPfSC_PS2_PT2_iSB_SB_
		.amdhsa_group_segment_fixed_size 0
		.amdhsa_private_segment_fixed_size 64
		.amdhsa_kernarg_size 400
		.amdhsa_user_sgpr_count 2
		.amdhsa_user_sgpr_dispatch_ptr 0
		.amdhsa_user_sgpr_queue_ptr 0
		.amdhsa_user_sgpr_kernarg_segment_ptr 1
		.amdhsa_user_sgpr_dispatch_id 0
		.amdhsa_user_sgpr_kernarg_preload_length 0
		.amdhsa_user_sgpr_kernarg_preload_offset 0
		.amdhsa_user_sgpr_private_segment_size 0
		.amdhsa_wavefront_size32 1
		.amdhsa_uses_dynamic_stack 0
		.amdhsa_enable_private_segment 1
		.amdhsa_system_sgpr_workgroup_id_x 1
		.amdhsa_system_sgpr_workgroup_id_y 0
		.amdhsa_system_sgpr_workgroup_id_z 0
		.amdhsa_system_sgpr_workgroup_info 0
		.amdhsa_system_vgpr_workitem_id 0
		.amdhsa_next_free_vgpr 51
		.amdhsa_next_free_sgpr 34
		.amdhsa_named_barrier_count 0
		.amdhsa_reserve_vcc 1
		.amdhsa_float_round_mode_32 0
		.amdhsa_float_round_mode_16_64 0
		.amdhsa_float_denorm_mode_32 3
		.amdhsa_float_denorm_mode_16_64 3
		.amdhsa_fp16_overflow 0
		.amdhsa_memory_ordered 1
		.amdhsa_forward_progress 1
		.amdhsa_inst_pref_size 1
		.amdhsa_round_robin_scheduling 0
		.amdhsa_exception_fp_ieee_invalid_op 0
		.amdhsa_exception_fp_denorm_src 0
		.amdhsa_exception_fp_ieee_div_zero 0
		.amdhsa_exception_fp_ieee_overflow 0
		.amdhsa_exception_fp_ieee_underflow 0
		.amdhsa_exception_fp_ieee_inexact 0
		.amdhsa_exception_int_div_zero 0
	.end_amdhsa_kernel
	.section	.text._Z39paged_attention_ll4mi_QKV_mfma16_kernelIDF16_DF16_LN4vllm18Fp8KVCacheDataTypeE0EhLi16ELi128ELi256ELb1ELi14EEvPKT_PKT0_S7_ifPKiS9_S9_iPKfiiiPfSC_PS2_PT2_iSB_SB_,"axG",@progbits,_Z39paged_attention_ll4mi_QKV_mfma16_kernelIDF16_DF16_LN4vllm18Fp8KVCacheDataTypeE0EhLi16ELi128ELi256ELb1ELi14EEvPKT_PKT0_S7_ifPKiS9_S9_iPKfiiiPfSC_PS2_PT2_iSB_SB_,comdat
.Lfunc_end207:
	.size	_Z39paged_attention_ll4mi_QKV_mfma16_kernelIDF16_DF16_LN4vllm18Fp8KVCacheDataTypeE0EhLi16ELi128ELi256ELb1ELi14EEvPKT_PKT0_S7_ifPKiS9_S9_iPKfiiiPfSC_PS2_PT2_iSB_SB_, .Lfunc_end207-_Z39paged_attention_ll4mi_QKV_mfma16_kernelIDF16_DF16_LN4vllm18Fp8KVCacheDataTypeE0EhLi16ELi128ELi256ELb1ELi14EEvPKT_PKT0_S7_ifPKiS9_S9_iPKfiiiPfSC_PS2_PT2_iSB_SB_
                                        ; -- End function
	.set _Z39paged_attention_ll4mi_QKV_mfma16_kernelIDF16_DF16_LN4vllm18Fp8KVCacheDataTypeE0EhLi16ELi128ELi256ELb1ELi14EEvPKT_PKT0_S7_ifPKiS9_S9_iPKfiiiPfSC_PS2_PT2_iSB_SB_.num_vgpr, max(3, .L__assert_fail.num_vgpr)
	.set _Z39paged_attention_ll4mi_QKV_mfma16_kernelIDF16_DF16_LN4vllm18Fp8KVCacheDataTypeE0EhLi16ELi128ELi256ELb1ELi14EEvPKT_PKT0_S7_ifPKiS9_S9_iPKfiiiPfSC_PS2_PT2_iSB_SB_.num_agpr, max(0, .L__assert_fail.num_agpr)
	.set _Z39paged_attention_ll4mi_QKV_mfma16_kernelIDF16_DF16_LN4vllm18Fp8KVCacheDataTypeE0EhLi16ELi128ELi256ELb1ELi14EEvPKT_PKT0_S7_ifPKiS9_S9_iPKfiiiPfSC_PS2_PT2_iSB_SB_.numbered_sgpr, max(33, .L__assert_fail.numbered_sgpr)
	.set _Z39paged_attention_ll4mi_QKV_mfma16_kernelIDF16_DF16_LN4vllm18Fp8KVCacheDataTypeE0EhLi16ELi128ELi256ELb1ELi14EEvPKT_PKT0_S7_ifPKiS9_S9_iPKfiiiPfSC_PS2_PT2_iSB_SB_.num_named_barrier, max(0, .L__assert_fail.num_named_barrier)
	.set _Z39paged_attention_ll4mi_QKV_mfma16_kernelIDF16_DF16_LN4vllm18Fp8KVCacheDataTypeE0EhLi16ELi128ELi256ELb1ELi14EEvPKT_PKT0_S7_ifPKiS9_S9_iPKfiiiPfSC_PS2_PT2_iSB_SB_.private_seg_size, 0+max(.L__assert_fail.private_seg_size)
	.set _Z39paged_attention_ll4mi_QKV_mfma16_kernelIDF16_DF16_LN4vllm18Fp8KVCacheDataTypeE0EhLi16ELi128ELi256ELb1ELi14EEvPKT_PKT0_S7_ifPKiS9_S9_iPKfiiiPfSC_PS2_PT2_iSB_SB_.uses_vcc, or(1, .L__assert_fail.uses_vcc)
	.set _Z39paged_attention_ll4mi_QKV_mfma16_kernelIDF16_DF16_LN4vllm18Fp8KVCacheDataTypeE0EhLi16ELi128ELi256ELb1ELi14EEvPKT_PKT0_S7_ifPKiS9_S9_iPKfiiiPfSC_PS2_PT2_iSB_SB_.uses_flat_scratch, or(0, .L__assert_fail.uses_flat_scratch)
	.set _Z39paged_attention_ll4mi_QKV_mfma16_kernelIDF16_DF16_LN4vllm18Fp8KVCacheDataTypeE0EhLi16ELi128ELi256ELb1ELi14EEvPKT_PKT0_S7_ifPKiS9_S9_iPKfiiiPfSC_PS2_PT2_iSB_SB_.has_dyn_sized_stack, or(0, .L__assert_fail.has_dyn_sized_stack)
	.set _Z39paged_attention_ll4mi_QKV_mfma16_kernelIDF16_DF16_LN4vllm18Fp8KVCacheDataTypeE0EhLi16ELi128ELi256ELb1ELi14EEvPKT_PKT0_S7_ifPKiS9_S9_iPKfiiiPfSC_PS2_PT2_iSB_SB_.has_recursion, or(0, .L__assert_fail.has_recursion)
	.set _Z39paged_attention_ll4mi_QKV_mfma16_kernelIDF16_DF16_LN4vllm18Fp8KVCacheDataTypeE0EhLi16ELi128ELi256ELb1ELi14EEvPKT_PKT0_S7_ifPKiS9_S9_iPKfiiiPfSC_PS2_PT2_iSB_SB_.has_indirect_call, or(0, .L__assert_fail.has_indirect_call)
	.section	.AMDGPU.csdata,"",@progbits
; Kernel info:
; codeLenInByte = 68
; TotalNumSgprs: 36
; NumVgprs: 51
; ScratchSize: 64
; MemoryBound: 0
; FloatMode: 240
; IeeeMode: 1
; LDSByteSize: 0 bytes/workgroup (compile time only)
; SGPRBlocks: 0
; VGPRBlocks: 3
; NumSGPRsForWavesPerEU: 36
; NumVGPRsForWavesPerEU: 51
; NamedBarCnt: 0
; Occupancy: 16
; WaveLimiterHint : 1
; COMPUTE_PGM_RSRC2:SCRATCH_EN: 1
; COMPUTE_PGM_RSRC2:USER_SGPR: 2
; COMPUTE_PGM_RSRC2:TRAP_HANDLER: 0
; COMPUTE_PGM_RSRC2:TGID_X_EN: 1
; COMPUTE_PGM_RSRC2:TGID_Y_EN: 0
; COMPUTE_PGM_RSRC2:TGID_Z_EN: 0
; COMPUTE_PGM_RSRC2:TIDIG_COMP_CNT: 0
	.section	.text._Z39paged_attention_ll4mi_QKV_mfma16_kernelIDF16_DF16_LN4vllm18Fp8KVCacheDataTypeE0EhLi16ELi128ELi256ELb1ELi15EEvPKT_PKT0_S7_ifPKiS9_S9_iPKfiiiPfSC_PS2_PT2_iSB_SB_,"axG",@progbits,_Z39paged_attention_ll4mi_QKV_mfma16_kernelIDF16_DF16_LN4vllm18Fp8KVCacheDataTypeE0EhLi16ELi128ELi256ELb1ELi15EEvPKT_PKT0_S7_ifPKiS9_S9_iPKfiiiPfSC_PS2_PT2_iSB_SB_,comdat
	.protected	_Z39paged_attention_ll4mi_QKV_mfma16_kernelIDF16_DF16_LN4vllm18Fp8KVCacheDataTypeE0EhLi16ELi128ELi256ELb1ELi15EEvPKT_PKT0_S7_ifPKiS9_S9_iPKfiiiPfSC_PS2_PT2_iSB_SB_ ; -- Begin function _Z39paged_attention_ll4mi_QKV_mfma16_kernelIDF16_DF16_LN4vllm18Fp8KVCacheDataTypeE0EhLi16ELi128ELi256ELb1ELi15EEvPKT_PKT0_S7_ifPKiS9_S9_iPKfiiiPfSC_PS2_PT2_iSB_SB_
	.globl	_Z39paged_attention_ll4mi_QKV_mfma16_kernelIDF16_DF16_LN4vllm18Fp8KVCacheDataTypeE0EhLi16ELi128ELi256ELb1ELi15EEvPKT_PKT0_S7_ifPKiS9_S9_iPKfiiiPfSC_PS2_PT2_iSB_SB_
	.p2align	8
	.type	_Z39paged_attention_ll4mi_QKV_mfma16_kernelIDF16_DF16_LN4vllm18Fp8KVCacheDataTypeE0EhLi16ELi128ELi256ELb1ELi15EEvPKT_PKT0_S7_ifPKiS9_S9_iPKfiiiPfSC_PS2_PT2_iSB_SB_,@function
_Z39paged_attention_ll4mi_QKV_mfma16_kernelIDF16_DF16_LN4vllm18Fp8KVCacheDataTypeE0EhLi16ELi128ELi256ELb1ELi15EEvPKT_PKT0_S7_ifPKiS9_S9_iPKfiiiPfSC_PS2_PT2_iSB_SB_: ; @_Z39paged_attention_ll4mi_QKV_mfma16_kernelIDF16_DF16_LN4vllm18Fp8KVCacheDataTypeE0EhLi16ELi128ELi256ELb1ELi15EEvPKT_PKT0_S7_ifPKiS9_S9_iPKfiiiPfSC_PS2_PT2_iSB_SB_
; %bb.0:
	s_get_pc_i64 s[2:3]
	s_add_nc_u64 s[2:3], s[2:3], __PRETTY_FUNCTION__._Z39paged_attention_ll4mi_QKV_mfma16_kernelIDF16_DF16_LN4vllm18Fp8KVCacheDataTypeE0EhLi16ELi128ELi256ELb1ELi15EEvPKT_PKT0_S7_ifPKiS9_S9_iPKfiiiPfSC_PS2_PT2_iSB_SB_@rel64+4
	s_delay_alu instid0(SALU_CYCLE_1)
	v_dual_mov_b32 v0, 0xbb3 :: v_dual_mov_b32 v1, s2
	v_mov_b32_e32 v2, s3
	s_add_nc_u64 s[8:9], s[0:1], 0x90
	s_get_pc_i64 s[0:1]
	s_add_nc_u64 s[0:1], s[0:1], __assert_fail@rel64+4
	s_mov_b32 s32, 0
	s_swap_pc_i64 s[30:31], s[0:1]
	.section	.rodata,"a",@progbits
	.p2align	6, 0x0
	.amdhsa_kernel _Z39paged_attention_ll4mi_QKV_mfma16_kernelIDF16_DF16_LN4vllm18Fp8KVCacheDataTypeE0EhLi16ELi128ELi256ELb1ELi15EEvPKT_PKT0_S7_ifPKiS9_S9_iPKfiiiPfSC_PS2_PT2_iSB_SB_
		.amdhsa_group_segment_fixed_size 0
		.amdhsa_private_segment_fixed_size 64
		.amdhsa_kernarg_size 400
		.amdhsa_user_sgpr_count 2
		.amdhsa_user_sgpr_dispatch_ptr 0
		.amdhsa_user_sgpr_queue_ptr 0
		.amdhsa_user_sgpr_kernarg_segment_ptr 1
		.amdhsa_user_sgpr_dispatch_id 0
		.amdhsa_user_sgpr_kernarg_preload_length 0
		.amdhsa_user_sgpr_kernarg_preload_offset 0
		.amdhsa_user_sgpr_private_segment_size 0
		.amdhsa_wavefront_size32 1
		.amdhsa_uses_dynamic_stack 0
		.amdhsa_enable_private_segment 1
		.amdhsa_system_sgpr_workgroup_id_x 1
		.amdhsa_system_sgpr_workgroup_id_y 0
		.amdhsa_system_sgpr_workgroup_id_z 0
		.amdhsa_system_sgpr_workgroup_info 0
		.amdhsa_system_vgpr_workitem_id 0
		.amdhsa_next_free_vgpr 51
		.amdhsa_next_free_sgpr 34
		.amdhsa_named_barrier_count 0
		.amdhsa_reserve_vcc 1
		.amdhsa_float_round_mode_32 0
		.amdhsa_float_round_mode_16_64 0
		.amdhsa_float_denorm_mode_32 3
		.amdhsa_float_denorm_mode_16_64 3
		.amdhsa_fp16_overflow 0
		.amdhsa_memory_ordered 1
		.amdhsa_forward_progress 1
		.amdhsa_inst_pref_size 1
		.amdhsa_round_robin_scheduling 0
		.amdhsa_exception_fp_ieee_invalid_op 0
		.amdhsa_exception_fp_denorm_src 0
		.amdhsa_exception_fp_ieee_div_zero 0
		.amdhsa_exception_fp_ieee_overflow 0
		.amdhsa_exception_fp_ieee_underflow 0
		.amdhsa_exception_fp_ieee_inexact 0
		.amdhsa_exception_int_div_zero 0
	.end_amdhsa_kernel
	.section	.text._Z39paged_attention_ll4mi_QKV_mfma16_kernelIDF16_DF16_LN4vllm18Fp8KVCacheDataTypeE0EhLi16ELi128ELi256ELb1ELi15EEvPKT_PKT0_S7_ifPKiS9_S9_iPKfiiiPfSC_PS2_PT2_iSB_SB_,"axG",@progbits,_Z39paged_attention_ll4mi_QKV_mfma16_kernelIDF16_DF16_LN4vllm18Fp8KVCacheDataTypeE0EhLi16ELi128ELi256ELb1ELi15EEvPKT_PKT0_S7_ifPKiS9_S9_iPKfiiiPfSC_PS2_PT2_iSB_SB_,comdat
.Lfunc_end208:
	.size	_Z39paged_attention_ll4mi_QKV_mfma16_kernelIDF16_DF16_LN4vllm18Fp8KVCacheDataTypeE0EhLi16ELi128ELi256ELb1ELi15EEvPKT_PKT0_S7_ifPKiS9_S9_iPKfiiiPfSC_PS2_PT2_iSB_SB_, .Lfunc_end208-_Z39paged_attention_ll4mi_QKV_mfma16_kernelIDF16_DF16_LN4vllm18Fp8KVCacheDataTypeE0EhLi16ELi128ELi256ELb1ELi15EEvPKT_PKT0_S7_ifPKiS9_S9_iPKfiiiPfSC_PS2_PT2_iSB_SB_
                                        ; -- End function
	.set _Z39paged_attention_ll4mi_QKV_mfma16_kernelIDF16_DF16_LN4vllm18Fp8KVCacheDataTypeE0EhLi16ELi128ELi256ELb1ELi15EEvPKT_PKT0_S7_ifPKiS9_S9_iPKfiiiPfSC_PS2_PT2_iSB_SB_.num_vgpr, max(3, .L__assert_fail.num_vgpr)
	.set _Z39paged_attention_ll4mi_QKV_mfma16_kernelIDF16_DF16_LN4vllm18Fp8KVCacheDataTypeE0EhLi16ELi128ELi256ELb1ELi15EEvPKT_PKT0_S7_ifPKiS9_S9_iPKfiiiPfSC_PS2_PT2_iSB_SB_.num_agpr, max(0, .L__assert_fail.num_agpr)
	.set _Z39paged_attention_ll4mi_QKV_mfma16_kernelIDF16_DF16_LN4vllm18Fp8KVCacheDataTypeE0EhLi16ELi128ELi256ELb1ELi15EEvPKT_PKT0_S7_ifPKiS9_S9_iPKfiiiPfSC_PS2_PT2_iSB_SB_.numbered_sgpr, max(33, .L__assert_fail.numbered_sgpr)
	.set _Z39paged_attention_ll4mi_QKV_mfma16_kernelIDF16_DF16_LN4vllm18Fp8KVCacheDataTypeE0EhLi16ELi128ELi256ELb1ELi15EEvPKT_PKT0_S7_ifPKiS9_S9_iPKfiiiPfSC_PS2_PT2_iSB_SB_.num_named_barrier, max(0, .L__assert_fail.num_named_barrier)
	.set _Z39paged_attention_ll4mi_QKV_mfma16_kernelIDF16_DF16_LN4vllm18Fp8KVCacheDataTypeE0EhLi16ELi128ELi256ELb1ELi15EEvPKT_PKT0_S7_ifPKiS9_S9_iPKfiiiPfSC_PS2_PT2_iSB_SB_.private_seg_size, 0+max(.L__assert_fail.private_seg_size)
	.set _Z39paged_attention_ll4mi_QKV_mfma16_kernelIDF16_DF16_LN4vllm18Fp8KVCacheDataTypeE0EhLi16ELi128ELi256ELb1ELi15EEvPKT_PKT0_S7_ifPKiS9_S9_iPKfiiiPfSC_PS2_PT2_iSB_SB_.uses_vcc, or(1, .L__assert_fail.uses_vcc)
	.set _Z39paged_attention_ll4mi_QKV_mfma16_kernelIDF16_DF16_LN4vllm18Fp8KVCacheDataTypeE0EhLi16ELi128ELi256ELb1ELi15EEvPKT_PKT0_S7_ifPKiS9_S9_iPKfiiiPfSC_PS2_PT2_iSB_SB_.uses_flat_scratch, or(0, .L__assert_fail.uses_flat_scratch)
	.set _Z39paged_attention_ll4mi_QKV_mfma16_kernelIDF16_DF16_LN4vllm18Fp8KVCacheDataTypeE0EhLi16ELi128ELi256ELb1ELi15EEvPKT_PKT0_S7_ifPKiS9_S9_iPKfiiiPfSC_PS2_PT2_iSB_SB_.has_dyn_sized_stack, or(0, .L__assert_fail.has_dyn_sized_stack)
	.set _Z39paged_attention_ll4mi_QKV_mfma16_kernelIDF16_DF16_LN4vllm18Fp8KVCacheDataTypeE0EhLi16ELi128ELi256ELb1ELi15EEvPKT_PKT0_S7_ifPKiS9_S9_iPKfiiiPfSC_PS2_PT2_iSB_SB_.has_recursion, or(0, .L__assert_fail.has_recursion)
	.set _Z39paged_attention_ll4mi_QKV_mfma16_kernelIDF16_DF16_LN4vllm18Fp8KVCacheDataTypeE0EhLi16ELi128ELi256ELb1ELi15EEvPKT_PKT0_S7_ifPKiS9_S9_iPKfiiiPfSC_PS2_PT2_iSB_SB_.has_indirect_call, or(0, .L__assert_fail.has_indirect_call)
	.section	.AMDGPU.csdata,"",@progbits
; Kernel info:
; codeLenInByte = 68
; TotalNumSgprs: 36
; NumVgprs: 51
; ScratchSize: 64
; MemoryBound: 0
; FloatMode: 240
; IeeeMode: 1
; LDSByteSize: 0 bytes/workgroup (compile time only)
; SGPRBlocks: 0
; VGPRBlocks: 3
; NumSGPRsForWavesPerEU: 36
; NumVGPRsForWavesPerEU: 51
; NamedBarCnt: 0
; Occupancy: 16
; WaveLimiterHint : 1
; COMPUTE_PGM_RSRC2:SCRATCH_EN: 1
; COMPUTE_PGM_RSRC2:USER_SGPR: 2
; COMPUTE_PGM_RSRC2:TRAP_HANDLER: 0
; COMPUTE_PGM_RSRC2:TGID_X_EN: 1
; COMPUTE_PGM_RSRC2:TGID_Y_EN: 0
; COMPUTE_PGM_RSRC2:TGID_Z_EN: 0
; COMPUTE_PGM_RSRC2:TIDIG_COMP_CNT: 0
	.section	.text._Z39paged_attention_ll4mi_QKV_mfma16_kernelIDF16_DF16_LN4vllm18Fp8KVCacheDataTypeE0EhLi16ELi128ELi256ELb1ELi16EEvPKT_PKT0_S7_ifPKiS9_S9_iPKfiiiPfSC_PS2_PT2_iSB_SB_,"axG",@progbits,_Z39paged_attention_ll4mi_QKV_mfma16_kernelIDF16_DF16_LN4vllm18Fp8KVCacheDataTypeE0EhLi16ELi128ELi256ELb1ELi16EEvPKT_PKT0_S7_ifPKiS9_S9_iPKfiiiPfSC_PS2_PT2_iSB_SB_,comdat
	.protected	_Z39paged_attention_ll4mi_QKV_mfma16_kernelIDF16_DF16_LN4vllm18Fp8KVCacheDataTypeE0EhLi16ELi128ELi256ELb1ELi16EEvPKT_PKT0_S7_ifPKiS9_S9_iPKfiiiPfSC_PS2_PT2_iSB_SB_ ; -- Begin function _Z39paged_attention_ll4mi_QKV_mfma16_kernelIDF16_DF16_LN4vllm18Fp8KVCacheDataTypeE0EhLi16ELi128ELi256ELb1ELi16EEvPKT_PKT0_S7_ifPKiS9_S9_iPKfiiiPfSC_PS2_PT2_iSB_SB_
	.globl	_Z39paged_attention_ll4mi_QKV_mfma16_kernelIDF16_DF16_LN4vllm18Fp8KVCacheDataTypeE0EhLi16ELi128ELi256ELb1ELi16EEvPKT_PKT0_S7_ifPKiS9_S9_iPKfiiiPfSC_PS2_PT2_iSB_SB_
	.p2align	8
	.type	_Z39paged_attention_ll4mi_QKV_mfma16_kernelIDF16_DF16_LN4vllm18Fp8KVCacheDataTypeE0EhLi16ELi128ELi256ELb1ELi16EEvPKT_PKT0_S7_ifPKiS9_S9_iPKfiiiPfSC_PS2_PT2_iSB_SB_,@function
_Z39paged_attention_ll4mi_QKV_mfma16_kernelIDF16_DF16_LN4vllm18Fp8KVCacheDataTypeE0EhLi16ELi128ELi256ELb1ELi16EEvPKT_PKT0_S7_ifPKiS9_S9_iPKfiiiPfSC_PS2_PT2_iSB_SB_: ; @_Z39paged_attention_ll4mi_QKV_mfma16_kernelIDF16_DF16_LN4vllm18Fp8KVCacheDataTypeE0EhLi16ELi128ELi256ELb1ELi16EEvPKT_PKT0_S7_ifPKiS9_S9_iPKfiiiPfSC_PS2_PT2_iSB_SB_
; %bb.0:
	s_get_pc_i64 s[2:3]
	s_add_nc_u64 s[2:3], s[2:3], __PRETTY_FUNCTION__._Z39paged_attention_ll4mi_QKV_mfma16_kernelIDF16_DF16_LN4vllm18Fp8KVCacheDataTypeE0EhLi16ELi128ELi256ELb1ELi16EEvPKT_PKT0_S7_ifPKiS9_S9_iPKfiiiPfSC_PS2_PT2_iSB_SB_@rel64+4
	s_delay_alu instid0(SALU_CYCLE_1)
	v_dual_mov_b32 v0, 0xbb3 :: v_dual_mov_b32 v1, s2
	v_mov_b32_e32 v2, s3
	s_add_nc_u64 s[8:9], s[0:1], 0x90
	s_get_pc_i64 s[0:1]
	s_add_nc_u64 s[0:1], s[0:1], __assert_fail@rel64+4
	s_mov_b32 s32, 0
	s_swap_pc_i64 s[30:31], s[0:1]
	.section	.rodata,"a",@progbits
	.p2align	6, 0x0
	.amdhsa_kernel _Z39paged_attention_ll4mi_QKV_mfma16_kernelIDF16_DF16_LN4vllm18Fp8KVCacheDataTypeE0EhLi16ELi128ELi256ELb1ELi16EEvPKT_PKT0_S7_ifPKiS9_S9_iPKfiiiPfSC_PS2_PT2_iSB_SB_
		.amdhsa_group_segment_fixed_size 0
		.amdhsa_private_segment_fixed_size 64
		.amdhsa_kernarg_size 400
		.amdhsa_user_sgpr_count 2
		.amdhsa_user_sgpr_dispatch_ptr 0
		.amdhsa_user_sgpr_queue_ptr 0
		.amdhsa_user_sgpr_kernarg_segment_ptr 1
		.amdhsa_user_sgpr_dispatch_id 0
		.amdhsa_user_sgpr_kernarg_preload_length 0
		.amdhsa_user_sgpr_kernarg_preload_offset 0
		.amdhsa_user_sgpr_private_segment_size 0
		.amdhsa_wavefront_size32 1
		.amdhsa_uses_dynamic_stack 0
		.amdhsa_enable_private_segment 1
		.amdhsa_system_sgpr_workgroup_id_x 1
		.amdhsa_system_sgpr_workgroup_id_y 0
		.amdhsa_system_sgpr_workgroup_id_z 0
		.amdhsa_system_sgpr_workgroup_info 0
		.amdhsa_system_vgpr_workitem_id 0
		.amdhsa_next_free_vgpr 51
		.amdhsa_next_free_sgpr 34
		.amdhsa_named_barrier_count 0
		.amdhsa_reserve_vcc 1
		.amdhsa_float_round_mode_32 0
		.amdhsa_float_round_mode_16_64 0
		.amdhsa_float_denorm_mode_32 3
		.amdhsa_float_denorm_mode_16_64 3
		.amdhsa_fp16_overflow 0
		.amdhsa_memory_ordered 1
		.amdhsa_forward_progress 1
		.amdhsa_inst_pref_size 1
		.amdhsa_round_robin_scheduling 0
		.amdhsa_exception_fp_ieee_invalid_op 0
		.amdhsa_exception_fp_denorm_src 0
		.amdhsa_exception_fp_ieee_div_zero 0
		.amdhsa_exception_fp_ieee_overflow 0
		.amdhsa_exception_fp_ieee_underflow 0
		.amdhsa_exception_fp_ieee_inexact 0
		.amdhsa_exception_int_div_zero 0
	.end_amdhsa_kernel
	.section	.text._Z39paged_attention_ll4mi_QKV_mfma16_kernelIDF16_DF16_LN4vllm18Fp8KVCacheDataTypeE0EhLi16ELi128ELi256ELb1ELi16EEvPKT_PKT0_S7_ifPKiS9_S9_iPKfiiiPfSC_PS2_PT2_iSB_SB_,"axG",@progbits,_Z39paged_attention_ll4mi_QKV_mfma16_kernelIDF16_DF16_LN4vllm18Fp8KVCacheDataTypeE0EhLi16ELi128ELi256ELb1ELi16EEvPKT_PKT0_S7_ifPKiS9_S9_iPKfiiiPfSC_PS2_PT2_iSB_SB_,comdat
.Lfunc_end209:
	.size	_Z39paged_attention_ll4mi_QKV_mfma16_kernelIDF16_DF16_LN4vllm18Fp8KVCacheDataTypeE0EhLi16ELi128ELi256ELb1ELi16EEvPKT_PKT0_S7_ifPKiS9_S9_iPKfiiiPfSC_PS2_PT2_iSB_SB_, .Lfunc_end209-_Z39paged_attention_ll4mi_QKV_mfma16_kernelIDF16_DF16_LN4vllm18Fp8KVCacheDataTypeE0EhLi16ELi128ELi256ELb1ELi16EEvPKT_PKT0_S7_ifPKiS9_S9_iPKfiiiPfSC_PS2_PT2_iSB_SB_
                                        ; -- End function
	.set _Z39paged_attention_ll4mi_QKV_mfma16_kernelIDF16_DF16_LN4vllm18Fp8KVCacheDataTypeE0EhLi16ELi128ELi256ELb1ELi16EEvPKT_PKT0_S7_ifPKiS9_S9_iPKfiiiPfSC_PS2_PT2_iSB_SB_.num_vgpr, max(3, .L__assert_fail.num_vgpr)
	.set _Z39paged_attention_ll4mi_QKV_mfma16_kernelIDF16_DF16_LN4vllm18Fp8KVCacheDataTypeE0EhLi16ELi128ELi256ELb1ELi16EEvPKT_PKT0_S7_ifPKiS9_S9_iPKfiiiPfSC_PS2_PT2_iSB_SB_.num_agpr, max(0, .L__assert_fail.num_agpr)
	.set _Z39paged_attention_ll4mi_QKV_mfma16_kernelIDF16_DF16_LN4vllm18Fp8KVCacheDataTypeE0EhLi16ELi128ELi256ELb1ELi16EEvPKT_PKT0_S7_ifPKiS9_S9_iPKfiiiPfSC_PS2_PT2_iSB_SB_.numbered_sgpr, max(33, .L__assert_fail.numbered_sgpr)
	.set _Z39paged_attention_ll4mi_QKV_mfma16_kernelIDF16_DF16_LN4vllm18Fp8KVCacheDataTypeE0EhLi16ELi128ELi256ELb1ELi16EEvPKT_PKT0_S7_ifPKiS9_S9_iPKfiiiPfSC_PS2_PT2_iSB_SB_.num_named_barrier, max(0, .L__assert_fail.num_named_barrier)
	.set _Z39paged_attention_ll4mi_QKV_mfma16_kernelIDF16_DF16_LN4vllm18Fp8KVCacheDataTypeE0EhLi16ELi128ELi256ELb1ELi16EEvPKT_PKT0_S7_ifPKiS9_S9_iPKfiiiPfSC_PS2_PT2_iSB_SB_.private_seg_size, 0+max(.L__assert_fail.private_seg_size)
	.set _Z39paged_attention_ll4mi_QKV_mfma16_kernelIDF16_DF16_LN4vllm18Fp8KVCacheDataTypeE0EhLi16ELi128ELi256ELb1ELi16EEvPKT_PKT0_S7_ifPKiS9_S9_iPKfiiiPfSC_PS2_PT2_iSB_SB_.uses_vcc, or(1, .L__assert_fail.uses_vcc)
	.set _Z39paged_attention_ll4mi_QKV_mfma16_kernelIDF16_DF16_LN4vllm18Fp8KVCacheDataTypeE0EhLi16ELi128ELi256ELb1ELi16EEvPKT_PKT0_S7_ifPKiS9_S9_iPKfiiiPfSC_PS2_PT2_iSB_SB_.uses_flat_scratch, or(0, .L__assert_fail.uses_flat_scratch)
	.set _Z39paged_attention_ll4mi_QKV_mfma16_kernelIDF16_DF16_LN4vllm18Fp8KVCacheDataTypeE0EhLi16ELi128ELi256ELb1ELi16EEvPKT_PKT0_S7_ifPKiS9_S9_iPKfiiiPfSC_PS2_PT2_iSB_SB_.has_dyn_sized_stack, or(0, .L__assert_fail.has_dyn_sized_stack)
	.set _Z39paged_attention_ll4mi_QKV_mfma16_kernelIDF16_DF16_LN4vllm18Fp8KVCacheDataTypeE0EhLi16ELi128ELi256ELb1ELi16EEvPKT_PKT0_S7_ifPKiS9_S9_iPKfiiiPfSC_PS2_PT2_iSB_SB_.has_recursion, or(0, .L__assert_fail.has_recursion)
	.set _Z39paged_attention_ll4mi_QKV_mfma16_kernelIDF16_DF16_LN4vllm18Fp8KVCacheDataTypeE0EhLi16ELi128ELi256ELb1ELi16EEvPKT_PKT0_S7_ifPKiS9_S9_iPKfiiiPfSC_PS2_PT2_iSB_SB_.has_indirect_call, or(0, .L__assert_fail.has_indirect_call)
	.section	.AMDGPU.csdata,"",@progbits
; Kernel info:
; codeLenInByte = 68
; TotalNumSgprs: 36
; NumVgprs: 51
; ScratchSize: 64
; MemoryBound: 0
; FloatMode: 240
; IeeeMode: 1
; LDSByteSize: 0 bytes/workgroup (compile time only)
; SGPRBlocks: 0
; VGPRBlocks: 3
; NumSGPRsForWavesPerEU: 36
; NumVGPRsForWavesPerEU: 51
; NamedBarCnt: 0
; Occupancy: 16
; WaveLimiterHint : 1
; COMPUTE_PGM_RSRC2:SCRATCH_EN: 1
; COMPUTE_PGM_RSRC2:USER_SGPR: 2
; COMPUTE_PGM_RSRC2:TRAP_HANDLER: 0
; COMPUTE_PGM_RSRC2:TGID_X_EN: 1
; COMPUTE_PGM_RSRC2:TGID_Y_EN: 0
; COMPUTE_PGM_RSRC2:TGID_Z_EN: 0
; COMPUTE_PGM_RSRC2:TIDIG_COMP_CNT: 0
	.section	.text._Z35paged_attention_ll4mi_reduce_kernelIDF16_hLi128ELi128ELi256ELi1EEvPT0_PKfS3_PKT_PKiS8_iS3_,"axG",@progbits,_Z35paged_attention_ll4mi_reduce_kernelIDF16_hLi128ELi128ELi256ELi1EEvPT0_PKfS3_PKT_PKiS8_iS3_,comdat
	.protected	_Z35paged_attention_ll4mi_reduce_kernelIDF16_hLi128ELi128ELi256ELi1EEvPT0_PKfS3_PKT_PKiS8_iS3_ ; -- Begin function _Z35paged_attention_ll4mi_reduce_kernelIDF16_hLi128ELi128ELi256ELi1EEvPT0_PKfS3_PKT_PKiS8_iS3_
	.globl	_Z35paged_attention_ll4mi_reduce_kernelIDF16_hLi128ELi128ELi256ELi1EEvPT0_PKfS3_PKT_PKiS8_iS3_
	.p2align	8
	.type	_Z35paged_attention_ll4mi_reduce_kernelIDF16_hLi128ELi128ELi256ELi1EEvPT0_PKfS3_PKT_PKiS8_iS3_,@function
_Z35paged_attention_ll4mi_reduce_kernelIDF16_hLi128ELi128ELi256ELi1EEvPT0_PKfS3_PKT_PKiS8_iS3_: ; @_Z35paged_attention_ll4mi_reduce_kernelIDF16_hLi128ELi128ELi256ELi1EEvPT0_PKfS3_PKT_PKiS8_iS3_
; %bb.0:
	s_get_pc_i64 s[2:3]
	s_add_nc_u64 s[2:3], s[2:3], __PRETTY_FUNCTION__._Z35paged_attention_ll4mi_reduce_kernelIDF16_hLi128ELi128ELi256ELi1EEvPT0_PKfS3_PKT_PKiS8_iS3_@rel64+4
	s_delay_alu instid0(SALU_CYCLE_1)
	v_dual_mov_b32 v0, 0xbdd :: v_dual_mov_b32 v1, s2
	v_mov_b32_e32 v2, s3
	s_add_nc_u64 s[8:9], s[0:1], 64
	s_get_pc_i64 s[0:1]
	s_add_nc_u64 s[0:1], s[0:1], __assert_fail@rel64+4
	s_mov_b32 s32, 0
	s_swap_pc_i64 s[30:31], s[0:1]
	.section	.rodata,"a",@progbits
	.p2align	6, 0x0
	.amdhsa_kernel _Z35paged_attention_ll4mi_reduce_kernelIDF16_hLi128ELi128ELi256ELi1EEvPT0_PKfS3_PKT_PKiS8_iS3_
		.amdhsa_group_segment_fixed_size 0
		.amdhsa_private_segment_fixed_size 64
		.amdhsa_kernarg_size 320
		.amdhsa_user_sgpr_count 2
		.amdhsa_user_sgpr_dispatch_ptr 0
		.amdhsa_user_sgpr_queue_ptr 0
		.amdhsa_user_sgpr_kernarg_segment_ptr 1
		.amdhsa_user_sgpr_dispatch_id 0
		.amdhsa_user_sgpr_kernarg_preload_length 0
		.amdhsa_user_sgpr_kernarg_preload_offset 0
		.amdhsa_user_sgpr_private_segment_size 0
		.amdhsa_wavefront_size32 1
		.amdhsa_uses_dynamic_stack 0
		.amdhsa_enable_private_segment 1
		.amdhsa_system_sgpr_workgroup_id_x 1
		.amdhsa_system_sgpr_workgroup_id_y 0
		.amdhsa_system_sgpr_workgroup_id_z 0
		.amdhsa_system_sgpr_workgroup_info 0
		.amdhsa_system_vgpr_workitem_id 0
		.amdhsa_next_free_vgpr 51
		.amdhsa_next_free_sgpr 34
		.amdhsa_named_barrier_count 0
		.amdhsa_reserve_vcc 1
		.amdhsa_float_round_mode_32 0
		.amdhsa_float_round_mode_16_64 0
		.amdhsa_float_denorm_mode_32 3
		.amdhsa_float_denorm_mode_16_64 3
		.amdhsa_fp16_overflow 0
		.amdhsa_memory_ordered 1
		.amdhsa_forward_progress 1
		.amdhsa_inst_pref_size 1
		.amdhsa_round_robin_scheduling 0
		.amdhsa_exception_fp_ieee_invalid_op 0
		.amdhsa_exception_fp_denorm_src 0
		.amdhsa_exception_fp_ieee_div_zero 0
		.amdhsa_exception_fp_ieee_overflow 0
		.amdhsa_exception_fp_ieee_underflow 0
		.amdhsa_exception_fp_ieee_inexact 0
		.amdhsa_exception_int_div_zero 0
	.end_amdhsa_kernel
	.section	.text._Z35paged_attention_ll4mi_reduce_kernelIDF16_hLi128ELi128ELi256ELi1EEvPT0_PKfS3_PKT_PKiS8_iS3_,"axG",@progbits,_Z35paged_attention_ll4mi_reduce_kernelIDF16_hLi128ELi128ELi256ELi1EEvPT0_PKfS3_PKT_PKiS8_iS3_,comdat
.Lfunc_end210:
	.size	_Z35paged_attention_ll4mi_reduce_kernelIDF16_hLi128ELi128ELi256ELi1EEvPT0_PKfS3_PKT_PKiS8_iS3_, .Lfunc_end210-_Z35paged_attention_ll4mi_reduce_kernelIDF16_hLi128ELi128ELi256ELi1EEvPT0_PKfS3_PKT_PKiS8_iS3_
                                        ; -- End function
	.set _Z35paged_attention_ll4mi_reduce_kernelIDF16_hLi128ELi128ELi256ELi1EEvPT0_PKfS3_PKT_PKiS8_iS3_.num_vgpr, max(3, .L__assert_fail.num_vgpr)
	.set _Z35paged_attention_ll4mi_reduce_kernelIDF16_hLi128ELi128ELi256ELi1EEvPT0_PKfS3_PKT_PKiS8_iS3_.num_agpr, max(0, .L__assert_fail.num_agpr)
	.set _Z35paged_attention_ll4mi_reduce_kernelIDF16_hLi128ELi128ELi256ELi1EEvPT0_PKfS3_PKT_PKiS8_iS3_.numbered_sgpr, max(33, .L__assert_fail.numbered_sgpr)
	.set _Z35paged_attention_ll4mi_reduce_kernelIDF16_hLi128ELi128ELi256ELi1EEvPT0_PKfS3_PKT_PKiS8_iS3_.num_named_barrier, max(0, .L__assert_fail.num_named_barrier)
	.set _Z35paged_attention_ll4mi_reduce_kernelIDF16_hLi128ELi128ELi256ELi1EEvPT0_PKfS3_PKT_PKiS8_iS3_.private_seg_size, 0+max(.L__assert_fail.private_seg_size)
	.set _Z35paged_attention_ll4mi_reduce_kernelIDF16_hLi128ELi128ELi256ELi1EEvPT0_PKfS3_PKT_PKiS8_iS3_.uses_vcc, or(1, .L__assert_fail.uses_vcc)
	.set _Z35paged_attention_ll4mi_reduce_kernelIDF16_hLi128ELi128ELi256ELi1EEvPT0_PKfS3_PKT_PKiS8_iS3_.uses_flat_scratch, or(0, .L__assert_fail.uses_flat_scratch)
	.set _Z35paged_attention_ll4mi_reduce_kernelIDF16_hLi128ELi128ELi256ELi1EEvPT0_PKfS3_PKT_PKiS8_iS3_.has_dyn_sized_stack, or(0, .L__assert_fail.has_dyn_sized_stack)
	.set _Z35paged_attention_ll4mi_reduce_kernelIDF16_hLi128ELi128ELi256ELi1EEvPT0_PKfS3_PKT_PKiS8_iS3_.has_recursion, or(0, .L__assert_fail.has_recursion)
	.set _Z35paged_attention_ll4mi_reduce_kernelIDF16_hLi128ELi128ELi256ELi1EEvPT0_PKfS3_PKT_PKiS8_iS3_.has_indirect_call, or(0, .L__assert_fail.has_indirect_call)
	.section	.AMDGPU.csdata,"",@progbits
; Kernel info:
; codeLenInByte = 64
; TotalNumSgprs: 36
; NumVgprs: 51
; ScratchSize: 64
; MemoryBound: 0
; FloatMode: 240
; IeeeMode: 1
; LDSByteSize: 0 bytes/workgroup (compile time only)
; SGPRBlocks: 0
; VGPRBlocks: 3
; NumSGPRsForWavesPerEU: 36
; NumVGPRsForWavesPerEU: 51
; NamedBarCnt: 0
; Occupancy: 16
; WaveLimiterHint : 1
; COMPUTE_PGM_RSRC2:SCRATCH_EN: 1
; COMPUTE_PGM_RSRC2:USER_SGPR: 2
; COMPUTE_PGM_RSRC2:TRAP_HANDLER: 0
; COMPUTE_PGM_RSRC2:TGID_X_EN: 1
; COMPUTE_PGM_RSRC2:TGID_Y_EN: 0
; COMPUTE_PGM_RSRC2:TGID_Z_EN: 0
; COMPUTE_PGM_RSRC2:TIDIG_COMP_CNT: 0
	.section	.text._Z35paged_attention_ll4mi_reduce_kernelIDF16_hLi128ELi128ELi256ELi2EEvPT0_PKfS3_PKT_PKiS8_iS3_,"axG",@progbits,_Z35paged_attention_ll4mi_reduce_kernelIDF16_hLi128ELi128ELi256ELi2EEvPT0_PKfS3_PKT_PKiS8_iS3_,comdat
	.protected	_Z35paged_attention_ll4mi_reduce_kernelIDF16_hLi128ELi128ELi256ELi2EEvPT0_PKfS3_PKT_PKiS8_iS3_ ; -- Begin function _Z35paged_attention_ll4mi_reduce_kernelIDF16_hLi128ELi128ELi256ELi2EEvPT0_PKfS3_PKT_PKiS8_iS3_
	.globl	_Z35paged_attention_ll4mi_reduce_kernelIDF16_hLi128ELi128ELi256ELi2EEvPT0_PKfS3_PKT_PKiS8_iS3_
	.p2align	8
	.type	_Z35paged_attention_ll4mi_reduce_kernelIDF16_hLi128ELi128ELi256ELi2EEvPT0_PKfS3_PKT_PKiS8_iS3_,@function
_Z35paged_attention_ll4mi_reduce_kernelIDF16_hLi128ELi128ELi256ELi2EEvPT0_PKfS3_PKT_PKiS8_iS3_: ; @_Z35paged_attention_ll4mi_reduce_kernelIDF16_hLi128ELi128ELi256ELi2EEvPT0_PKfS3_PKT_PKiS8_iS3_
; %bb.0:
	s_get_pc_i64 s[2:3]
	s_add_nc_u64 s[2:3], s[2:3], __PRETTY_FUNCTION__._Z35paged_attention_ll4mi_reduce_kernelIDF16_hLi128ELi128ELi256ELi2EEvPT0_PKfS3_PKT_PKiS8_iS3_@rel64+4
	s_delay_alu instid0(SALU_CYCLE_1)
	v_dual_mov_b32 v0, 0xbdd :: v_dual_mov_b32 v1, s2
	v_mov_b32_e32 v2, s3
	s_add_nc_u64 s[8:9], s[0:1], 64
	s_get_pc_i64 s[0:1]
	s_add_nc_u64 s[0:1], s[0:1], __assert_fail@rel64+4
	s_mov_b32 s32, 0
	s_swap_pc_i64 s[30:31], s[0:1]
	.section	.rodata,"a",@progbits
	.p2align	6, 0x0
	.amdhsa_kernel _Z35paged_attention_ll4mi_reduce_kernelIDF16_hLi128ELi128ELi256ELi2EEvPT0_PKfS3_PKT_PKiS8_iS3_
		.amdhsa_group_segment_fixed_size 0
		.amdhsa_private_segment_fixed_size 64
		.amdhsa_kernarg_size 320
		.amdhsa_user_sgpr_count 2
		.amdhsa_user_sgpr_dispatch_ptr 0
		.amdhsa_user_sgpr_queue_ptr 0
		.amdhsa_user_sgpr_kernarg_segment_ptr 1
		.amdhsa_user_sgpr_dispatch_id 0
		.amdhsa_user_sgpr_kernarg_preload_length 0
		.amdhsa_user_sgpr_kernarg_preload_offset 0
		.amdhsa_user_sgpr_private_segment_size 0
		.amdhsa_wavefront_size32 1
		.amdhsa_uses_dynamic_stack 0
		.amdhsa_enable_private_segment 1
		.amdhsa_system_sgpr_workgroup_id_x 1
		.amdhsa_system_sgpr_workgroup_id_y 0
		.amdhsa_system_sgpr_workgroup_id_z 0
		.amdhsa_system_sgpr_workgroup_info 0
		.amdhsa_system_vgpr_workitem_id 0
		.amdhsa_next_free_vgpr 51
		.amdhsa_next_free_sgpr 34
		.amdhsa_named_barrier_count 0
		.amdhsa_reserve_vcc 1
		.amdhsa_float_round_mode_32 0
		.amdhsa_float_round_mode_16_64 0
		.amdhsa_float_denorm_mode_32 3
		.amdhsa_float_denorm_mode_16_64 3
		.amdhsa_fp16_overflow 0
		.amdhsa_memory_ordered 1
		.amdhsa_forward_progress 1
		.amdhsa_inst_pref_size 1
		.amdhsa_round_robin_scheduling 0
		.amdhsa_exception_fp_ieee_invalid_op 0
		.amdhsa_exception_fp_denorm_src 0
		.amdhsa_exception_fp_ieee_div_zero 0
		.amdhsa_exception_fp_ieee_overflow 0
		.amdhsa_exception_fp_ieee_underflow 0
		.amdhsa_exception_fp_ieee_inexact 0
		.amdhsa_exception_int_div_zero 0
	.end_amdhsa_kernel
	.section	.text._Z35paged_attention_ll4mi_reduce_kernelIDF16_hLi128ELi128ELi256ELi2EEvPT0_PKfS3_PKT_PKiS8_iS3_,"axG",@progbits,_Z35paged_attention_ll4mi_reduce_kernelIDF16_hLi128ELi128ELi256ELi2EEvPT0_PKfS3_PKT_PKiS8_iS3_,comdat
.Lfunc_end211:
	.size	_Z35paged_attention_ll4mi_reduce_kernelIDF16_hLi128ELi128ELi256ELi2EEvPT0_PKfS3_PKT_PKiS8_iS3_, .Lfunc_end211-_Z35paged_attention_ll4mi_reduce_kernelIDF16_hLi128ELi128ELi256ELi2EEvPT0_PKfS3_PKT_PKiS8_iS3_
                                        ; -- End function
	.set _Z35paged_attention_ll4mi_reduce_kernelIDF16_hLi128ELi128ELi256ELi2EEvPT0_PKfS3_PKT_PKiS8_iS3_.num_vgpr, max(3, .L__assert_fail.num_vgpr)
	.set _Z35paged_attention_ll4mi_reduce_kernelIDF16_hLi128ELi128ELi256ELi2EEvPT0_PKfS3_PKT_PKiS8_iS3_.num_agpr, max(0, .L__assert_fail.num_agpr)
	.set _Z35paged_attention_ll4mi_reduce_kernelIDF16_hLi128ELi128ELi256ELi2EEvPT0_PKfS3_PKT_PKiS8_iS3_.numbered_sgpr, max(33, .L__assert_fail.numbered_sgpr)
	.set _Z35paged_attention_ll4mi_reduce_kernelIDF16_hLi128ELi128ELi256ELi2EEvPT0_PKfS3_PKT_PKiS8_iS3_.num_named_barrier, max(0, .L__assert_fail.num_named_barrier)
	.set _Z35paged_attention_ll4mi_reduce_kernelIDF16_hLi128ELi128ELi256ELi2EEvPT0_PKfS3_PKT_PKiS8_iS3_.private_seg_size, 0+max(.L__assert_fail.private_seg_size)
	.set _Z35paged_attention_ll4mi_reduce_kernelIDF16_hLi128ELi128ELi256ELi2EEvPT0_PKfS3_PKT_PKiS8_iS3_.uses_vcc, or(1, .L__assert_fail.uses_vcc)
	.set _Z35paged_attention_ll4mi_reduce_kernelIDF16_hLi128ELi128ELi256ELi2EEvPT0_PKfS3_PKT_PKiS8_iS3_.uses_flat_scratch, or(0, .L__assert_fail.uses_flat_scratch)
	.set _Z35paged_attention_ll4mi_reduce_kernelIDF16_hLi128ELi128ELi256ELi2EEvPT0_PKfS3_PKT_PKiS8_iS3_.has_dyn_sized_stack, or(0, .L__assert_fail.has_dyn_sized_stack)
	.set _Z35paged_attention_ll4mi_reduce_kernelIDF16_hLi128ELi128ELi256ELi2EEvPT0_PKfS3_PKT_PKiS8_iS3_.has_recursion, or(0, .L__assert_fail.has_recursion)
	.set _Z35paged_attention_ll4mi_reduce_kernelIDF16_hLi128ELi128ELi256ELi2EEvPT0_PKfS3_PKT_PKiS8_iS3_.has_indirect_call, or(0, .L__assert_fail.has_indirect_call)
	.section	.AMDGPU.csdata,"",@progbits
; Kernel info:
; codeLenInByte = 64
; TotalNumSgprs: 36
; NumVgprs: 51
; ScratchSize: 64
; MemoryBound: 0
; FloatMode: 240
; IeeeMode: 1
; LDSByteSize: 0 bytes/workgroup (compile time only)
; SGPRBlocks: 0
; VGPRBlocks: 3
; NumSGPRsForWavesPerEU: 36
; NumVGPRsForWavesPerEU: 51
; NamedBarCnt: 0
; Occupancy: 16
; WaveLimiterHint : 1
; COMPUTE_PGM_RSRC2:SCRATCH_EN: 1
; COMPUTE_PGM_RSRC2:USER_SGPR: 2
; COMPUTE_PGM_RSRC2:TRAP_HANDLER: 0
; COMPUTE_PGM_RSRC2:TGID_X_EN: 1
; COMPUTE_PGM_RSRC2:TGID_Y_EN: 0
; COMPUTE_PGM_RSRC2:TGID_Z_EN: 0
; COMPUTE_PGM_RSRC2:TIDIG_COMP_CNT: 0
	.section	.text._Z35paged_attention_ll4mi_reduce_kernelIDF16_hLi128ELi128ELi256ELi3EEvPT0_PKfS3_PKT_PKiS8_iS3_,"axG",@progbits,_Z35paged_attention_ll4mi_reduce_kernelIDF16_hLi128ELi128ELi256ELi3EEvPT0_PKfS3_PKT_PKiS8_iS3_,comdat
	.protected	_Z35paged_attention_ll4mi_reduce_kernelIDF16_hLi128ELi128ELi256ELi3EEvPT0_PKfS3_PKT_PKiS8_iS3_ ; -- Begin function _Z35paged_attention_ll4mi_reduce_kernelIDF16_hLi128ELi128ELi256ELi3EEvPT0_PKfS3_PKT_PKiS8_iS3_
	.globl	_Z35paged_attention_ll4mi_reduce_kernelIDF16_hLi128ELi128ELi256ELi3EEvPT0_PKfS3_PKT_PKiS8_iS3_
	.p2align	8
	.type	_Z35paged_attention_ll4mi_reduce_kernelIDF16_hLi128ELi128ELi256ELi3EEvPT0_PKfS3_PKT_PKiS8_iS3_,@function
_Z35paged_attention_ll4mi_reduce_kernelIDF16_hLi128ELi128ELi256ELi3EEvPT0_PKfS3_PKT_PKiS8_iS3_: ; @_Z35paged_attention_ll4mi_reduce_kernelIDF16_hLi128ELi128ELi256ELi3EEvPT0_PKfS3_PKT_PKiS8_iS3_
; %bb.0:
	s_get_pc_i64 s[2:3]
	s_add_nc_u64 s[2:3], s[2:3], __PRETTY_FUNCTION__._Z35paged_attention_ll4mi_reduce_kernelIDF16_hLi128ELi128ELi256ELi3EEvPT0_PKfS3_PKT_PKiS8_iS3_@rel64+4
	s_delay_alu instid0(SALU_CYCLE_1)
	v_dual_mov_b32 v0, 0xbdd :: v_dual_mov_b32 v1, s2
	v_mov_b32_e32 v2, s3
	s_add_nc_u64 s[8:9], s[0:1], 64
	s_get_pc_i64 s[0:1]
	s_add_nc_u64 s[0:1], s[0:1], __assert_fail@rel64+4
	s_mov_b32 s32, 0
	s_swap_pc_i64 s[30:31], s[0:1]
	.section	.rodata,"a",@progbits
	.p2align	6, 0x0
	.amdhsa_kernel _Z35paged_attention_ll4mi_reduce_kernelIDF16_hLi128ELi128ELi256ELi3EEvPT0_PKfS3_PKT_PKiS8_iS3_
		.amdhsa_group_segment_fixed_size 0
		.amdhsa_private_segment_fixed_size 64
		.amdhsa_kernarg_size 320
		.amdhsa_user_sgpr_count 2
		.amdhsa_user_sgpr_dispatch_ptr 0
		.amdhsa_user_sgpr_queue_ptr 0
		.amdhsa_user_sgpr_kernarg_segment_ptr 1
		.amdhsa_user_sgpr_dispatch_id 0
		.amdhsa_user_sgpr_kernarg_preload_length 0
		.amdhsa_user_sgpr_kernarg_preload_offset 0
		.amdhsa_user_sgpr_private_segment_size 0
		.amdhsa_wavefront_size32 1
		.amdhsa_uses_dynamic_stack 0
		.amdhsa_enable_private_segment 1
		.amdhsa_system_sgpr_workgroup_id_x 1
		.amdhsa_system_sgpr_workgroup_id_y 0
		.amdhsa_system_sgpr_workgroup_id_z 0
		.amdhsa_system_sgpr_workgroup_info 0
		.amdhsa_system_vgpr_workitem_id 0
		.amdhsa_next_free_vgpr 51
		.amdhsa_next_free_sgpr 34
		.amdhsa_named_barrier_count 0
		.amdhsa_reserve_vcc 1
		.amdhsa_float_round_mode_32 0
		.amdhsa_float_round_mode_16_64 0
		.amdhsa_float_denorm_mode_32 3
		.amdhsa_float_denorm_mode_16_64 3
		.amdhsa_fp16_overflow 0
		.amdhsa_memory_ordered 1
		.amdhsa_forward_progress 1
		.amdhsa_inst_pref_size 1
		.amdhsa_round_robin_scheduling 0
		.amdhsa_exception_fp_ieee_invalid_op 0
		.amdhsa_exception_fp_denorm_src 0
		.amdhsa_exception_fp_ieee_div_zero 0
		.amdhsa_exception_fp_ieee_overflow 0
		.amdhsa_exception_fp_ieee_underflow 0
		.amdhsa_exception_fp_ieee_inexact 0
		.amdhsa_exception_int_div_zero 0
	.end_amdhsa_kernel
	.section	.text._Z35paged_attention_ll4mi_reduce_kernelIDF16_hLi128ELi128ELi256ELi3EEvPT0_PKfS3_PKT_PKiS8_iS3_,"axG",@progbits,_Z35paged_attention_ll4mi_reduce_kernelIDF16_hLi128ELi128ELi256ELi3EEvPT0_PKfS3_PKT_PKiS8_iS3_,comdat
.Lfunc_end212:
	.size	_Z35paged_attention_ll4mi_reduce_kernelIDF16_hLi128ELi128ELi256ELi3EEvPT0_PKfS3_PKT_PKiS8_iS3_, .Lfunc_end212-_Z35paged_attention_ll4mi_reduce_kernelIDF16_hLi128ELi128ELi256ELi3EEvPT0_PKfS3_PKT_PKiS8_iS3_
                                        ; -- End function
	.set _Z35paged_attention_ll4mi_reduce_kernelIDF16_hLi128ELi128ELi256ELi3EEvPT0_PKfS3_PKT_PKiS8_iS3_.num_vgpr, max(3, .L__assert_fail.num_vgpr)
	.set _Z35paged_attention_ll4mi_reduce_kernelIDF16_hLi128ELi128ELi256ELi3EEvPT0_PKfS3_PKT_PKiS8_iS3_.num_agpr, max(0, .L__assert_fail.num_agpr)
	.set _Z35paged_attention_ll4mi_reduce_kernelIDF16_hLi128ELi128ELi256ELi3EEvPT0_PKfS3_PKT_PKiS8_iS3_.numbered_sgpr, max(33, .L__assert_fail.numbered_sgpr)
	.set _Z35paged_attention_ll4mi_reduce_kernelIDF16_hLi128ELi128ELi256ELi3EEvPT0_PKfS3_PKT_PKiS8_iS3_.num_named_barrier, max(0, .L__assert_fail.num_named_barrier)
	.set _Z35paged_attention_ll4mi_reduce_kernelIDF16_hLi128ELi128ELi256ELi3EEvPT0_PKfS3_PKT_PKiS8_iS3_.private_seg_size, 0+max(.L__assert_fail.private_seg_size)
	.set _Z35paged_attention_ll4mi_reduce_kernelIDF16_hLi128ELi128ELi256ELi3EEvPT0_PKfS3_PKT_PKiS8_iS3_.uses_vcc, or(1, .L__assert_fail.uses_vcc)
	.set _Z35paged_attention_ll4mi_reduce_kernelIDF16_hLi128ELi128ELi256ELi3EEvPT0_PKfS3_PKT_PKiS8_iS3_.uses_flat_scratch, or(0, .L__assert_fail.uses_flat_scratch)
	.set _Z35paged_attention_ll4mi_reduce_kernelIDF16_hLi128ELi128ELi256ELi3EEvPT0_PKfS3_PKT_PKiS8_iS3_.has_dyn_sized_stack, or(0, .L__assert_fail.has_dyn_sized_stack)
	.set _Z35paged_attention_ll4mi_reduce_kernelIDF16_hLi128ELi128ELi256ELi3EEvPT0_PKfS3_PKT_PKiS8_iS3_.has_recursion, or(0, .L__assert_fail.has_recursion)
	.set _Z35paged_attention_ll4mi_reduce_kernelIDF16_hLi128ELi128ELi256ELi3EEvPT0_PKfS3_PKT_PKiS8_iS3_.has_indirect_call, or(0, .L__assert_fail.has_indirect_call)
	.section	.AMDGPU.csdata,"",@progbits
; Kernel info:
; codeLenInByte = 64
; TotalNumSgprs: 36
; NumVgprs: 51
; ScratchSize: 64
; MemoryBound: 0
; FloatMode: 240
; IeeeMode: 1
; LDSByteSize: 0 bytes/workgroup (compile time only)
; SGPRBlocks: 0
; VGPRBlocks: 3
; NumSGPRsForWavesPerEU: 36
; NumVGPRsForWavesPerEU: 51
; NamedBarCnt: 0
; Occupancy: 16
; WaveLimiterHint : 1
; COMPUTE_PGM_RSRC2:SCRATCH_EN: 1
; COMPUTE_PGM_RSRC2:USER_SGPR: 2
; COMPUTE_PGM_RSRC2:TRAP_HANDLER: 0
; COMPUTE_PGM_RSRC2:TGID_X_EN: 1
; COMPUTE_PGM_RSRC2:TGID_Y_EN: 0
; COMPUTE_PGM_RSRC2:TGID_Z_EN: 0
; COMPUTE_PGM_RSRC2:TIDIG_COMP_CNT: 0
	.section	.text._Z35paged_attention_ll4mi_reduce_kernelIDF16_hLi128ELi128ELi256ELi4EEvPT0_PKfS3_PKT_PKiS8_iS3_,"axG",@progbits,_Z35paged_attention_ll4mi_reduce_kernelIDF16_hLi128ELi128ELi256ELi4EEvPT0_PKfS3_PKT_PKiS8_iS3_,comdat
	.protected	_Z35paged_attention_ll4mi_reduce_kernelIDF16_hLi128ELi128ELi256ELi4EEvPT0_PKfS3_PKT_PKiS8_iS3_ ; -- Begin function _Z35paged_attention_ll4mi_reduce_kernelIDF16_hLi128ELi128ELi256ELi4EEvPT0_PKfS3_PKT_PKiS8_iS3_
	.globl	_Z35paged_attention_ll4mi_reduce_kernelIDF16_hLi128ELi128ELi256ELi4EEvPT0_PKfS3_PKT_PKiS8_iS3_
	.p2align	8
	.type	_Z35paged_attention_ll4mi_reduce_kernelIDF16_hLi128ELi128ELi256ELi4EEvPT0_PKfS3_PKT_PKiS8_iS3_,@function
_Z35paged_attention_ll4mi_reduce_kernelIDF16_hLi128ELi128ELi256ELi4EEvPT0_PKfS3_PKT_PKiS8_iS3_: ; @_Z35paged_attention_ll4mi_reduce_kernelIDF16_hLi128ELi128ELi256ELi4EEvPT0_PKfS3_PKT_PKiS8_iS3_
; %bb.0:
	s_get_pc_i64 s[2:3]
	s_add_nc_u64 s[2:3], s[2:3], __PRETTY_FUNCTION__._Z35paged_attention_ll4mi_reduce_kernelIDF16_hLi128ELi128ELi256ELi4EEvPT0_PKfS3_PKT_PKiS8_iS3_@rel64+4
	s_delay_alu instid0(SALU_CYCLE_1)
	v_dual_mov_b32 v0, 0xbdd :: v_dual_mov_b32 v1, s2
	v_mov_b32_e32 v2, s3
	s_add_nc_u64 s[8:9], s[0:1], 64
	s_get_pc_i64 s[0:1]
	s_add_nc_u64 s[0:1], s[0:1], __assert_fail@rel64+4
	s_mov_b32 s32, 0
	s_swap_pc_i64 s[30:31], s[0:1]
	.section	.rodata,"a",@progbits
	.p2align	6, 0x0
	.amdhsa_kernel _Z35paged_attention_ll4mi_reduce_kernelIDF16_hLi128ELi128ELi256ELi4EEvPT0_PKfS3_PKT_PKiS8_iS3_
		.amdhsa_group_segment_fixed_size 0
		.amdhsa_private_segment_fixed_size 64
		.amdhsa_kernarg_size 320
		.amdhsa_user_sgpr_count 2
		.amdhsa_user_sgpr_dispatch_ptr 0
		.amdhsa_user_sgpr_queue_ptr 0
		.amdhsa_user_sgpr_kernarg_segment_ptr 1
		.amdhsa_user_sgpr_dispatch_id 0
		.amdhsa_user_sgpr_kernarg_preload_length 0
		.amdhsa_user_sgpr_kernarg_preload_offset 0
		.amdhsa_user_sgpr_private_segment_size 0
		.amdhsa_wavefront_size32 1
		.amdhsa_uses_dynamic_stack 0
		.amdhsa_enable_private_segment 1
		.amdhsa_system_sgpr_workgroup_id_x 1
		.amdhsa_system_sgpr_workgroup_id_y 0
		.amdhsa_system_sgpr_workgroup_id_z 0
		.amdhsa_system_sgpr_workgroup_info 0
		.amdhsa_system_vgpr_workitem_id 0
		.amdhsa_next_free_vgpr 51
		.amdhsa_next_free_sgpr 34
		.amdhsa_named_barrier_count 0
		.amdhsa_reserve_vcc 1
		.amdhsa_float_round_mode_32 0
		.amdhsa_float_round_mode_16_64 0
		.amdhsa_float_denorm_mode_32 3
		.amdhsa_float_denorm_mode_16_64 3
		.amdhsa_fp16_overflow 0
		.amdhsa_memory_ordered 1
		.amdhsa_forward_progress 1
		.amdhsa_inst_pref_size 1
		.amdhsa_round_robin_scheduling 0
		.amdhsa_exception_fp_ieee_invalid_op 0
		.amdhsa_exception_fp_denorm_src 0
		.amdhsa_exception_fp_ieee_div_zero 0
		.amdhsa_exception_fp_ieee_overflow 0
		.amdhsa_exception_fp_ieee_underflow 0
		.amdhsa_exception_fp_ieee_inexact 0
		.amdhsa_exception_int_div_zero 0
	.end_amdhsa_kernel
	.section	.text._Z35paged_attention_ll4mi_reduce_kernelIDF16_hLi128ELi128ELi256ELi4EEvPT0_PKfS3_PKT_PKiS8_iS3_,"axG",@progbits,_Z35paged_attention_ll4mi_reduce_kernelIDF16_hLi128ELi128ELi256ELi4EEvPT0_PKfS3_PKT_PKiS8_iS3_,comdat
.Lfunc_end213:
	.size	_Z35paged_attention_ll4mi_reduce_kernelIDF16_hLi128ELi128ELi256ELi4EEvPT0_PKfS3_PKT_PKiS8_iS3_, .Lfunc_end213-_Z35paged_attention_ll4mi_reduce_kernelIDF16_hLi128ELi128ELi256ELi4EEvPT0_PKfS3_PKT_PKiS8_iS3_
                                        ; -- End function
	.set _Z35paged_attention_ll4mi_reduce_kernelIDF16_hLi128ELi128ELi256ELi4EEvPT0_PKfS3_PKT_PKiS8_iS3_.num_vgpr, max(3, .L__assert_fail.num_vgpr)
	.set _Z35paged_attention_ll4mi_reduce_kernelIDF16_hLi128ELi128ELi256ELi4EEvPT0_PKfS3_PKT_PKiS8_iS3_.num_agpr, max(0, .L__assert_fail.num_agpr)
	.set _Z35paged_attention_ll4mi_reduce_kernelIDF16_hLi128ELi128ELi256ELi4EEvPT0_PKfS3_PKT_PKiS8_iS3_.numbered_sgpr, max(33, .L__assert_fail.numbered_sgpr)
	.set _Z35paged_attention_ll4mi_reduce_kernelIDF16_hLi128ELi128ELi256ELi4EEvPT0_PKfS3_PKT_PKiS8_iS3_.num_named_barrier, max(0, .L__assert_fail.num_named_barrier)
	.set _Z35paged_attention_ll4mi_reduce_kernelIDF16_hLi128ELi128ELi256ELi4EEvPT0_PKfS3_PKT_PKiS8_iS3_.private_seg_size, 0+max(.L__assert_fail.private_seg_size)
	.set _Z35paged_attention_ll4mi_reduce_kernelIDF16_hLi128ELi128ELi256ELi4EEvPT0_PKfS3_PKT_PKiS8_iS3_.uses_vcc, or(1, .L__assert_fail.uses_vcc)
	.set _Z35paged_attention_ll4mi_reduce_kernelIDF16_hLi128ELi128ELi256ELi4EEvPT0_PKfS3_PKT_PKiS8_iS3_.uses_flat_scratch, or(0, .L__assert_fail.uses_flat_scratch)
	.set _Z35paged_attention_ll4mi_reduce_kernelIDF16_hLi128ELi128ELi256ELi4EEvPT0_PKfS3_PKT_PKiS8_iS3_.has_dyn_sized_stack, or(0, .L__assert_fail.has_dyn_sized_stack)
	.set _Z35paged_attention_ll4mi_reduce_kernelIDF16_hLi128ELi128ELi256ELi4EEvPT0_PKfS3_PKT_PKiS8_iS3_.has_recursion, or(0, .L__assert_fail.has_recursion)
	.set _Z35paged_attention_ll4mi_reduce_kernelIDF16_hLi128ELi128ELi256ELi4EEvPT0_PKfS3_PKT_PKiS8_iS3_.has_indirect_call, or(0, .L__assert_fail.has_indirect_call)
	.section	.AMDGPU.csdata,"",@progbits
; Kernel info:
; codeLenInByte = 64
; TotalNumSgprs: 36
; NumVgprs: 51
; ScratchSize: 64
; MemoryBound: 0
; FloatMode: 240
; IeeeMode: 1
; LDSByteSize: 0 bytes/workgroup (compile time only)
; SGPRBlocks: 0
; VGPRBlocks: 3
; NumSGPRsForWavesPerEU: 36
; NumVGPRsForWavesPerEU: 51
; NamedBarCnt: 0
; Occupancy: 16
; WaveLimiterHint : 1
; COMPUTE_PGM_RSRC2:SCRATCH_EN: 1
; COMPUTE_PGM_RSRC2:USER_SGPR: 2
; COMPUTE_PGM_RSRC2:TRAP_HANDLER: 0
; COMPUTE_PGM_RSRC2:TGID_X_EN: 1
; COMPUTE_PGM_RSRC2:TGID_Y_EN: 0
; COMPUTE_PGM_RSRC2:TGID_Z_EN: 0
; COMPUTE_PGM_RSRC2:TIDIG_COMP_CNT: 0
	.section	.text._Z35paged_attention_ll4mi_reduce_kernelIDF16_hLi128ELi128ELi256ELi5EEvPT0_PKfS3_PKT_PKiS8_iS3_,"axG",@progbits,_Z35paged_attention_ll4mi_reduce_kernelIDF16_hLi128ELi128ELi256ELi5EEvPT0_PKfS3_PKT_PKiS8_iS3_,comdat
	.protected	_Z35paged_attention_ll4mi_reduce_kernelIDF16_hLi128ELi128ELi256ELi5EEvPT0_PKfS3_PKT_PKiS8_iS3_ ; -- Begin function _Z35paged_attention_ll4mi_reduce_kernelIDF16_hLi128ELi128ELi256ELi5EEvPT0_PKfS3_PKT_PKiS8_iS3_
	.globl	_Z35paged_attention_ll4mi_reduce_kernelIDF16_hLi128ELi128ELi256ELi5EEvPT0_PKfS3_PKT_PKiS8_iS3_
	.p2align	8
	.type	_Z35paged_attention_ll4mi_reduce_kernelIDF16_hLi128ELi128ELi256ELi5EEvPT0_PKfS3_PKT_PKiS8_iS3_,@function
_Z35paged_attention_ll4mi_reduce_kernelIDF16_hLi128ELi128ELi256ELi5EEvPT0_PKfS3_PKT_PKiS8_iS3_: ; @_Z35paged_attention_ll4mi_reduce_kernelIDF16_hLi128ELi128ELi256ELi5EEvPT0_PKfS3_PKT_PKiS8_iS3_
; %bb.0:
	s_get_pc_i64 s[2:3]
	s_add_nc_u64 s[2:3], s[2:3], __PRETTY_FUNCTION__._Z35paged_attention_ll4mi_reduce_kernelIDF16_hLi128ELi128ELi256ELi5EEvPT0_PKfS3_PKT_PKiS8_iS3_@rel64+4
	s_delay_alu instid0(SALU_CYCLE_1)
	v_dual_mov_b32 v0, 0xbdd :: v_dual_mov_b32 v1, s2
	v_mov_b32_e32 v2, s3
	s_add_nc_u64 s[8:9], s[0:1], 64
	s_get_pc_i64 s[0:1]
	s_add_nc_u64 s[0:1], s[0:1], __assert_fail@rel64+4
	s_mov_b32 s32, 0
	s_swap_pc_i64 s[30:31], s[0:1]
	.section	.rodata,"a",@progbits
	.p2align	6, 0x0
	.amdhsa_kernel _Z35paged_attention_ll4mi_reduce_kernelIDF16_hLi128ELi128ELi256ELi5EEvPT0_PKfS3_PKT_PKiS8_iS3_
		.amdhsa_group_segment_fixed_size 0
		.amdhsa_private_segment_fixed_size 64
		.amdhsa_kernarg_size 320
		.amdhsa_user_sgpr_count 2
		.amdhsa_user_sgpr_dispatch_ptr 0
		.amdhsa_user_sgpr_queue_ptr 0
		.amdhsa_user_sgpr_kernarg_segment_ptr 1
		.amdhsa_user_sgpr_dispatch_id 0
		.amdhsa_user_sgpr_kernarg_preload_length 0
		.amdhsa_user_sgpr_kernarg_preload_offset 0
		.amdhsa_user_sgpr_private_segment_size 0
		.amdhsa_wavefront_size32 1
		.amdhsa_uses_dynamic_stack 0
		.amdhsa_enable_private_segment 1
		.amdhsa_system_sgpr_workgroup_id_x 1
		.amdhsa_system_sgpr_workgroup_id_y 0
		.amdhsa_system_sgpr_workgroup_id_z 0
		.amdhsa_system_sgpr_workgroup_info 0
		.amdhsa_system_vgpr_workitem_id 0
		.amdhsa_next_free_vgpr 51
		.amdhsa_next_free_sgpr 34
		.amdhsa_named_barrier_count 0
		.amdhsa_reserve_vcc 1
		.amdhsa_float_round_mode_32 0
		.amdhsa_float_round_mode_16_64 0
		.amdhsa_float_denorm_mode_32 3
		.amdhsa_float_denorm_mode_16_64 3
		.amdhsa_fp16_overflow 0
		.amdhsa_memory_ordered 1
		.amdhsa_forward_progress 1
		.amdhsa_inst_pref_size 1
		.amdhsa_round_robin_scheduling 0
		.amdhsa_exception_fp_ieee_invalid_op 0
		.amdhsa_exception_fp_denorm_src 0
		.amdhsa_exception_fp_ieee_div_zero 0
		.amdhsa_exception_fp_ieee_overflow 0
		.amdhsa_exception_fp_ieee_underflow 0
		.amdhsa_exception_fp_ieee_inexact 0
		.amdhsa_exception_int_div_zero 0
	.end_amdhsa_kernel
	.section	.text._Z35paged_attention_ll4mi_reduce_kernelIDF16_hLi128ELi128ELi256ELi5EEvPT0_PKfS3_PKT_PKiS8_iS3_,"axG",@progbits,_Z35paged_attention_ll4mi_reduce_kernelIDF16_hLi128ELi128ELi256ELi5EEvPT0_PKfS3_PKT_PKiS8_iS3_,comdat
.Lfunc_end214:
	.size	_Z35paged_attention_ll4mi_reduce_kernelIDF16_hLi128ELi128ELi256ELi5EEvPT0_PKfS3_PKT_PKiS8_iS3_, .Lfunc_end214-_Z35paged_attention_ll4mi_reduce_kernelIDF16_hLi128ELi128ELi256ELi5EEvPT0_PKfS3_PKT_PKiS8_iS3_
                                        ; -- End function
	.set _Z35paged_attention_ll4mi_reduce_kernelIDF16_hLi128ELi128ELi256ELi5EEvPT0_PKfS3_PKT_PKiS8_iS3_.num_vgpr, max(3, .L__assert_fail.num_vgpr)
	.set _Z35paged_attention_ll4mi_reduce_kernelIDF16_hLi128ELi128ELi256ELi5EEvPT0_PKfS3_PKT_PKiS8_iS3_.num_agpr, max(0, .L__assert_fail.num_agpr)
	.set _Z35paged_attention_ll4mi_reduce_kernelIDF16_hLi128ELi128ELi256ELi5EEvPT0_PKfS3_PKT_PKiS8_iS3_.numbered_sgpr, max(33, .L__assert_fail.numbered_sgpr)
	.set _Z35paged_attention_ll4mi_reduce_kernelIDF16_hLi128ELi128ELi256ELi5EEvPT0_PKfS3_PKT_PKiS8_iS3_.num_named_barrier, max(0, .L__assert_fail.num_named_barrier)
	.set _Z35paged_attention_ll4mi_reduce_kernelIDF16_hLi128ELi128ELi256ELi5EEvPT0_PKfS3_PKT_PKiS8_iS3_.private_seg_size, 0+max(.L__assert_fail.private_seg_size)
	.set _Z35paged_attention_ll4mi_reduce_kernelIDF16_hLi128ELi128ELi256ELi5EEvPT0_PKfS3_PKT_PKiS8_iS3_.uses_vcc, or(1, .L__assert_fail.uses_vcc)
	.set _Z35paged_attention_ll4mi_reduce_kernelIDF16_hLi128ELi128ELi256ELi5EEvPT0_PKfS3_PKT_PKiS8_iS3_.uses_flat_scratch, or(0, .L__assert_fail.uses_flat_scratch)
	.set _Z35paged_attention_ll4mi_reduce_kernelIDF16_hLi128ELi128ELi256ELi5EEvPT0_PKfS3_PKT_PKiS8_iS3_.has_dyn_sized_stack, or(0, .L__assert_fail.has_dyn_sized_stack)
	.set _Z35paged_attention_ll4mi_reduce_kernelIDF16_hLi128ELi128ELi256ELi5EEvPT0_PKfS3_PKT_PKiS8_iS3_.has_recursion, or(0, .L__assert_fail.has_recursion)
	.set _Z35paged_attention_ll4mi_reduce_kernelIDF16_hLi128ELi128ELi256ELi5EEvPT0_PKfS3_PKT_PKiS8_iS3_.has_indirect_call, or(0, .L__assert_fail.has_indirect_call)
	.section	.AMDGPU.csdata,"",@progbits
; Kernel info:
; codeLenInByte = 64
; TotalNumSgprs: 36
; NumVgprs: 51
; ScratchSize: 64
; MemoryBound: 0
; FloatMode: 240
; IeeeMode: 1
; LDSByteSize: 0 bytes/workgroup (compile time only)
; SGPRBlocks: 0
; VGPRBlocks: 3
; NumSGPRsForWavesPerEU: 36
; NumVGPRsForWavesPerEU: 51
; NamedBarCnt: 0
; Occupancy: 16
; WaveLimiterHint : 1
; COMPUTE_PGM_RSRC2:SCRATCH_EN: 1
; COMPUTE_PGM_RSRC2:USER_SGPR: 2
; COMPUTE_PGM_RSRC2:TRAP_HANDLER: 0
; COMPUTE_PGM_RSRC2:TGID_X_EN: 1
; COMPUTE_PGM_RSRC2:TGID_Y_EN: 0
; COMPUTE_PGM_RSRC2:TGID_Z_EN: 0
; COMPUTE_PGM_RSRC2:TIDIG_COMP_CNT: 0
	.section	.text._Z35paged_attention_ll4mi_reduce_kernelIDF16_hLi128ELi128ELi256ELi6EEvPT0_PKfS3_PKT_PKiS8_iS3_,"axG",@progbits,_Z35paged_attention_ll4mi_reduce_kernelIDF16_hLi128ELi128ELi256ELi6EEvPT0_PKfS3_PKT_PKiS8_iS3_,comdat
	.protected	_Z35paged_attention_ll4mi_reduce_kernelIDF16_hLi128ELi128ELi256ELi6EEvPT0_PKfS3_PKT_PKiS8_iS3_ ; -- Begin function _Z35paged_attention_ll4mi_reduce_kernelIDF16_hLi128ELi128ELi256ELi6EEvPT0_PKfS3_PKT_PKiS8_iS3_
	.globl	_Z35paged_attention_ll4mi_reduce_kernelIDF16_hLi128ELi128ELi256ELi6EEvPT0_PKfS3_PKT_PKiS8_iS3_
	.p2align	8
	.type	_Z35paged_attention_ll4mi_reduce_kernelIDF16_hLi128ELi128ELi256ELi6EEvPT0_PKfS3_PKT_PKiS8_iS3_,@function
_Z35paged_attention_ll4mi_reduce_kernelIDF16_hLi128ELi128ELi256ELi6EEvPT0_PKfS3_PKT_PKiS8_iS3_: ; @_Z35paged_attention_ll4mi_reduce_kernelIDF16_hLi128ELi128ELi256ELi6EEvPT0_PKfS3_PKT_PKiS8_iS3_
; %bb.0:
	s_get_pc_i64 s[2:3]
	s_add_nc_u64 s[2:3], s[2:3], __PRETTY_FUNCTION__._Z35paged_attention_ll4mi_reduce_kernelIDF16_hLi128ELi128ELi256ELi6EEvPT0_PKfS3_PKT_PKiS8_iS3_@rel64+4
	s_delay_alu instid0(SALU_CYCLE_1)
	v_dual_mov_b32 v0, 0xbdd :: v_dual_mov_b32 v1, s2
	v_mov_b32_e32 v2, s3
	s_add_nc_u64 s[8:9], s[0:1], 64
	s_get_pc_i64 s[0:1]
	s_add_nc_u64 s[0:1], s[0:1], __assert_fail@rel64+4
	s_mov_b32 s32, 0
	s_swap_pc_i64 s[30:31], s[0:1]
	.section	.rodata,"a",@progbits
	.p2align	6, 0x0
	.amdhsa_kernel _Z35paged_attention_ll4mi_reduce_kernelIDF16_hLi128ELi128ELi256ELi6EEvPT0_PKfS3_PKT_PKiS8_iS3_
		.amdhsa_group_segment_fixed_size 0
		.amdhsa_private_segment_fixed_size 64
		.amdhsa_kernarg_size 320
		.amdhsa_user_sgpr_count 2
		.amdhsa_user_sgpr_dispatch_ptr 0
		.amdhsa_user_sgpr_queue_ptr 0
		.amdhsa_user_sgpr_kernarg_segment_ptr 1
		.amdhsa_user_sgpr_dispatch_id 0
		.amdhsa_user_sgpr_kernarg_preload_length 0
		.amdhsa_user_sgpr_kernarg_preload_offset 0
		.amdhsa_user_sgpr_private_segment_size 0
		.amdhsa_wavefront_size32 1
		.amdhsa_uses_dynamic_stack 0
		.amdhsa_enable_private_segment 1
		.amdhsa_system_sgpr_workgroup_id_x 1
		.amdhsa_system_sgpr_workgroup_id_y 0
		.amdhsa_system_sgpr_workgroup_id_z 0
		.amdhsa_system_sgpr_workgroup_info 0
		.amdhsa_system_vgpr_workitem_id 0
		.amdhsa_next_free_vgpr 51
		.amdhsa_next_free_sgpr 34
		.amdhsa_named_barrier_count 0
		.amdhsa_reserve_vcc 1
		.amdhsa_float_round_mode_32 0
		.amdhsa_float_round_mode_16_64 0
		.amdhsa_float_denorm_mode_32 3
		.amdhsa_float_denorm_mode_16_64 3
		.amdhsa_fp16_overflow 0
		.amdhsa_memory_ordered 1
		.amdhsa_forward_progress 1
		.amdhsa_inst_pref_size 1
		.amdhsa_round_robin_scheduling 0
		.amdhsa_exception_fp_ieee_invalid_op 0
		.amdhsa_exception_fp_denorm_src 0
		.amdhsa_exception_fp_ieee_div_zero 0
		.amdhsa_exception_fp_ieee_overflow 0
		.amdhsa_exception_fp_ieee_underflow 0
		.amdhsa_exception_fp_ieee_inexact 0
		.amdhsa_exception_int_div_zero 0
	.end_amdhsa_kernel
	.section	.text._Z35paged_attention_ll4mi_reduce_kernelIDF16_hLi128ELi128ELi256ELi6EEvPT0_PKfS3_PKT_PKiS8_iS3_,"axG",@progbits,_Z35paged_attention_ll4mi_reduce_kernelIDF16_hLi128ELi128ELi256ELi6EEvPT0_PKfS3_PKT_PKiS8_iS3_,comdat
.Lfunc_end215:
	.size	_Z35paged_attention_ll4mi_reduce_kernelIDF16_hLi128ELi128ELi256ELi6EEvPT0_PKfS3_PKT_PKiS8_iS3_, .Lfunc_end215-_Z35paged_attention_ll4mi_reduce_kernelIDF16_hLi128ELi128ELi256ELi6EEvPT0_PKfS3_PKT_PKiS8_iS3_
                                        ; -- End function
	.set _Z35paged_attention_ll4mi_reduce_kernelIDF16_hLi128ELi128ELi256ELi6EEvPT0_PKfS3_PKT_PKiS8_iS3_.num_vgpr, max(3, .L__assert_fail.num_vgpr)
	.set _Z35paged_attention_ll4mi_reduce_kernelIDF16_hLi128ELi128ELi256ELi6EEvPT0_PKfS3_PKT_PKiS8_iS3_.num_agpr, max(0, .L__assert_fail.num_agpr)
	.set _Z35paged_attention_ll4mi_reduce_kernelIDF16_hLi128ELi128ELi256ELi6EEvPT0_PKfS3_PKT_PKiS8_iS3_.numbered_sgpr, max(33, .L__assert_fail.numbered_sgpr)
	.set _Z35paged_attention_ll4mi_reduce_kernelIDF16_hLi128ELi128ELi256ELi6EEvPT0_PKfS3_PKT_PKiS8_iS3_.num_named_barrier, max(0, .L__assert_fail.num_named_barrier)
	.set _Z35paged_attention_ll4mi_reduce_kernelIDF16_hLi128ELi128ELi256ELi6EEvPT0_PKfS3_PKT_PKiS8_iS3_.private_seg_size, 0+max(.L__assert_fail.private_seg_size)
	.set _Z35paged_attention_ll4mi_reduce_kernelIDF16_hLi128ELi128ELi256ELi6EEvPT0_PKfS3_PKT_PKiS8_iS3_.uses_vcc, or(1, .L__assert_fail.uses_vcc)
	.set _Z35paged_attention_ll4mi_reduce_kernelIDF16_hLi128ELi128ELi256ELi6EEvPT0_PKfS3_PKT_PKiS8_iS3_.uses_flat_scratch, or(0, .L__assert_fail.uses_flat_scratch)
	.set _Z35paged_attention_ll4mi_reduce_kernelIDF16_hLi128ELi128ELi256ELi6EEvPT0_PKfS3_PKT_PKiS8_iS3_.has_dyn_sized_stack, or(0, .L__assert_fail.has_dyn_sized_stack)
	.set _Z35paged_attention_ll4mi_reduce_kernelIDF16_hLi128ELi128ELi256ELi6EEvPT0_PKfS3_PKT_PKiS8_iS3_.has_recursion, or(0, .L__assert_fail.has_recursion)
	.set _Z35paged_attention_ll4mi_reduce_kernelIDF16_hLi128ELi128ELi256ELi6EEvPT0_PKfS3_PKT_PKiS8_iS3_.has_indirect_call, or(0, .L__assert_fail.has_indirect_call)
	.section	.AMDGPU.csdata,"",@progbits
; Kernel info:
; codeLenInByte = 64
; TotalNumSgprs: 36
; NumVgprs: 51
; ScratchSize: 64
; MemoryBound: 0
; FloatMode: 240
; IeeeMode: 1
; LDSByteSize: 0 bytes/workgroup (compile time only)
; SGPRBlocks: 0
; VGPRBlocks: 3
; NumSGPRsForWavesPerEU: 36
; NumVGPRsForWavesPerEU: 51
; NamedBarCnt: 0
; Occupancy: 16
; WaveLimiterHint : 1
; COMPUTE_PGM_RSRC2:SCRATCH_EN: 1
; COMPUTE_PGM_RSRC2:USER_SGPR: 2
; COMPUTE_PGM_RSRC2:TRAP_HANDLER: 0
; COMPUTE_PGM_RSRC2:TGID_X_EN: 1
; COMPUTE_PGM_RSRC2:TGID_Y_EN: 0
; COMPUTE_PGM_RSRC2:TGID_Z_EN: 0
; COMPUTE_PGM_RSRC2:TIDIG_COMP_CNT: 0
	.section	.text._Z35paged_attention_ll4mi_reduce_kernelIDF16_hLi128ELi128ELi256ELi7EEvPT0_PKfS3_PKT_PKiS8_iS3_,"axG",@progbits,_Z35paged_attention_ll4mi_reduce_kernelIDF16_hLi128ELi128ELi256ELi7EEvPT0_PKfS3_PKT_PKiS8_iS3_,comdat
	.protected	_Z35paged_attention_ll4mi_reduce_kernelIDF16_hLi128ELi128ELi256ELi7EEvPT0_PKfS3_PKT_PKiS8_iS3_ ; -- Begin function _Z35paged_attention_ll4mi_reduce_kernelIDF16_hLi128ELi128ELi256ELi7EEvPT0_PKfS3_PKT_PKiS8_iS3_
	.globl	_Z35paged_attention_ll4mi_reduce_kernelIDF16_hLi128ELi128ELi256ELi7EEvPT0_PKfS3_PKT_PKiS8_iS3_
	.p2align	8
	.type	_Z35paged_attention_ll4mi_reduce_kernelIDF16_hLi128ELi128ELi256ELi7EEvPT0_PKfS3_PKT_PKiS8_iS3_,@function
_Z35paged_attention_ll4mi_reduce_kernelIDF16_hLi128ELi128ELi256ELi7EEvPT0_PKfS3_PKT_PKiS8_iS3_: ; @_Z35paged_attention_ll4mi_reduce_kernelIDF16_hLi128ELi128ELi256ELi7EEvPT0_PKfS3_PKT_PKiS8_iS3_
; %bb.0:
	s_get_pc_i64 s[2:3]
	s_add_nc_u64 s[2:3], s[2:3], __PRETTY_FUNCTION__._Z35paged_attention_ll4mi_reduce_kernelIDF16_hLi128ELi128ELi256ELi7EEvPT0_PKfS3_PKT_PKiS8_iS3_@rel64+4
	s_delay_alu instid0(SALU_CYCLE_1)
	v_dual_mov_b32 v0, 0xbdd :: v_dual_mov_b32 v1, s2
	v_mov_b32_e32 v2, s3
	s_add_nc_u64 s[8:9], s[0:1], 64
	s_get_pc_i64 s[0:1]
	s_add_nc_u64 s[0:1], s[0:1], __assert_fail@rel64+4
	s_mov_b32 s32, 0
	s_swap_pc_i64 s[30:31], s[0:1]
	.section	.rodata,"a",@progbits
	.p2align	6, 0x0
	.amdhsa_kernel _Z35paged_attention_ll4mi_reduce_kernelIDF16_hLi128ELi128ELi256ELi7EEvPT0_PKfS3_PKT_PKiS8_iS3_
		.amdhsa_group_segment_fixed_size 0
		.amdhsa_private_segment_fixed_size 64
		.amdhsa_kernarg_size 320
		.amdhsa_user_sgpr_count 2
		.amdhsa_user_sgpr_dispatch_ptr 0
		.amdhsa_user_sgpr_queue_ptr 0
		.amdhsa_user_sgpr_kernarg_segment_ptr 1
		.amdhsa_user_sgpr_dispatch_id 0
		.amdhsa_user_sgpr_kernarg_preload_length 0
		.amdhsa_user_sgpr_kernarg_preload_offset 0
		.amdhsa_user_sgpr_private_segment_size 0
		.amdhsa_wavefront_size32 1
		.amdhsa_uses_dynamic_stack 0
		.amdhsa_enable_private_segment 1
		.amdhsa_system_sgpr_workgroup_id_x 1
		.amdhsa_system_sgpr_workgroup_id_y 0
		.amdhsa_system_sgpr_workgroup_id_z 0
		.amdhsa_system_sgpr_workgroup_info 0
		.amdhsa_system_vgpr_workitem_id 0
		.amdhsa_next_free_vgpr 51
		.amdhsa_next_free_sgpr 34
		.amdhsa_named_barrier_count 0
		.amdhsa_reserve_vcc 1
		.amdhsa_float_round_mode_32 0
		.amdhsa_float_round_mode_16_64 0
		.amdhsa_float_denorm_mode_32 3
		.amdhsa_float_denorm_mode_16_64 3
		.amdhsa_fp16_overflow 0
		.amdhsa_memory_ordered 1
		.amdhsa_forward_progress 1
		.amdhsa_inst_pref_size 1
		.amdhsa_round_robin_scheduling 0
		.amdhsa_exception_fp_ieee_invalid_op 0
		.amdhsa_exception_fp_denorm_src 0
		.amdhsa_exception_fp_ieee_div_zero 0
		.amdhsa_exception_fp_ieee_overflow 0
		.amdhsa_exception_fp_ieee_underflow 0
		.amdhsa_exception_fp_ieee_inexact 0
		.amdhsa_exception_int_div_zero 0
	.end_amdhsa_kernel
	.section	.text._Z35paged_attention_ll4mi_reduce_kernelIDF16_hLi128ELi128ELi256ELi7EEvPT0_PKfS3_PKT_PKiS8_iS3_,"axG",@progbits,_Z35paged_attention_ll4mi_reduce_kernelIDF16_hLi128ELi128ELi256ELi7EEvPT0_PKfS3_PKT_PKiS8_iS3_,comdat
.Lfunc_end216:
	.size	_Z35paged_attention_ll4mi_reduce_kernelIDF16_hLi128ELi128ELi256ELi7EEvPT0_PKfS3_PKT_PKiS8_iS3_, .Lfunc_end216-_Z35paged_attention_ll4mi_reduce_kernelIDF16_hLi128ELi128ELi256ELi7EEvPT0_PKfS3_PKT_PKiS8_iS3_
                                        ; -- End function
	.set _Z35paged_attention_ll4mi_reduce_kernelIDF16_hLi128ELi128ELi256ELi7EEvPT0_PKfS3_PKT_PKiS8_iS3_.num_vgpr, max(3, .L__assert_fail.num_vgpr)
	.set _Z35paged_attention_ll4mi_reduce_kernelIDF16_hLi128ELi128ELi256ELi7EEvPT0_PKfS3_PKT_PKiS8_iS3_.num_agpr, max(0, .L__assert_fail.num_agpr)
	.set _Z35paged_attention_ll4mi_reduce_kernelIDF16_hLi128ELi128ELi256ELi7EEvPT0_PKfS3_PKT_PKiS8_iS3_.numbered_sgpr, max(33, .L__assert_fail.numbered_sgpr)
	.set _Z35paged_attention_ll4mi_reduce_kernelIDF16_hLi128ELi128ELi256ELi7EEvPT0_PKfS3_PKT_PKiS8_iS3_.num_named_barrier, max(0, .L__assert_fail.num_named_barrier)
	.set _Z35paged_attention_ll4mi_reduce_kernelIDF16_hLi128ELi128ELi256ELi7EEvPT0_PKfS3_PKT_PKiS8_iS3_.private_seg_size, 0+max(.L__assert_fail.private_seg_size)
	.set _Z35paged_attention_ll4mi_reduce_kernelIDF16_hLi128ELi128ELi256ELi7EEvPT0_PKfS3_PKT_PKiS8_iS3_.uses_vcc, or(1, .L__assert_fail.uses_vcc)
	.set _Z35paged_attention_ll4mi_reduce_kernelIDF16_hLi128ELi128ELi256ELi7EEvPT0_PKfS3_PKT_PKiS8_iS3_.uses_flat_scratch, or(0, .L__assert_fail.uses_flat_scratch)
	.set _Z35paged_attention_ll4mi_reduce_kernelIDF16_hLi128ELi128ELi256ELi7EEvPT0_PKfS3_PKT_PKiS8_iS3_.has_dyn_sized_stack, or(0, .L__assert_fail.has_dyn_sized_stack)
	.set _Z35paged_attention_ll4mi_reduce_kernelIDF16_hLi128ELi128ELi256ELi7EEvPT0_PKfS3_PKT_PKiS8_iS3_.has_recursion, or(0, .L__assert_fail.has_recursion)
	.set _Z35paged_attention_ll4mi_reduce_kernelIDF16_hLi128ELi128ELi256ELi7EEvPT0_PKfS3_PKT_PKiS8_iS3_.has_indirect_call, or(0, .L__assert_fail.has_indirect_call)
	.section	.AMDGPU.csdata,"",@progbits
; Kernel info:
; codeLenInByte = 64
; TotalNumSgprs: 36
; NumVgprs: 51
; ScratchSize: 64
; MemoryBound: 0
; FloatMode: 240
; IeeeMode: 1
; LDSByteSize: 0 bytes/workgroup (compile time only)
; SGPRBlocks: 0
; VGPRBlocks: 3
; NumSGPRsForWavesPerEU: 36
; NumVGPRsForWavesPerEU: 51
; NamedBarCnt: 0
; Occupancy: 16
; WaveLimiterHint : 1
; COMPUTE_PGM_RSRC2:SCRATCH_EN: 1
; COMPUTE_PGM_RSRC2:USER_SGPR: 2
; COMPUTE_PGM_RSRC2:TRAP_HANDLER: 0
; COMPUTE_PGM_RSRC2:TGID_X_EN: 1
; COMPUTE_PGM_RSRC2:TGID_Y_EN: 0
; COMPUTE_PGM_RSRC2:TGID_Z_EN: 0
; COMPUTE_PGM_RSRC2:TIDIG_COMP_CNT: 0
	.section	.text._Z35paged_attention_ll4mi_reduce_kernelIDF16_hLi128ELi128ELi256ELi8EEvPT0_PKfS3_PKT_PKiS8_iS3_,"axG",@progbits,_Z35paged_attention_ll4mi_reduce_kernelIDF16_hLi128ELi128ELi256ELi8EEvPT0_PKfS3_PKT_PKiS8_iS3_,comdat
	.protected	_Z35paged_attention_ll4mi_reduce_kernelIDF16_hLi128ELi128ELi256ELi8EEvPT0_PKfS3_PKT_PKiS8_iS3_ ; -- Begin function _Z35paged_attention_ll4mi_reduce_kernelIDF16_hLi128ELi128ELi256ELi8EEvPT0_PKfS3_PKT_PKiS8_iS3_
	.globl	_Z35paged_attention_ll4mi_reduce_kernelIDF16_hLi128ELi128ELi256ELi8EEvPT0_PKfS3_PKT_PKiS8_iS3_
	.p2align	8
	.type	_Z35paged_attention_ll4mi_reduce_kernelIDF16_hLi128ELi128ELi256ELi8EEvPT0_PKfS3_PKT_PKiS8_iS3_,@function
_Z35paged_attention_ll4mi_reduce_kernelIDF16_hLi128ELi128ELi256ELi8EEvPT0_PKfS3_PKT_PKiS8_iS3_: ; @_Z35paged_attention_ll4mi_reduce_kernelIDF16_hLi128ELi128ELi256ELi8EEvPT0_PKfS3_PKT_PKiS8_iS3_
; %bb.0:
	s_get_pc_i64 s[2:3]
	s_add_nc_u64 s[2:3], s[2:3], __PRETTY_FUNCTION__._Z35paged_attention_ll4mi_reduce_kernelIDF16_hLi128ELi128ELi256ELi8EEvPT0_PKfS3_PKT_PKiS8_iS3_@rel64+4
	s_delay_alu instid0(SALU_CYCLE_1)
	v_dual_mov_b32 v0, 0xbdd :: v_dual_mov_b32 v1, s2
	v_mov_b32_e32 v2, s3
	s_add_nc_u64 s[8:9], s[0:1], 64
	s_get_pc_i64 s[0:1]
	s_add_nc_u64 s[0:1], s[0:1], __assert_fail@rel64+4
	s_mov_b32 s32, 0
	s_swap_pc_i64 s[30:31], s[0:1]
	.section	.rodata,"a",@progbits
	.p2align	6, 0x0
	.amdhsa_kernel _Z35paged_attention_ll4mi_reduce_kernelIDF16_hLi128ELi128ELi256ELi8EEvPT0_PKfS3_PKT_PKiS8_iS3_
		.amdhsa_group_segment_fixed_size 0
		.amdhsa_private_segment_fixed_size 64
		.amdhsa_kernarg_size 320
		.amdhsa_user_sgpr_count 2
		.amdhsa_user_sgpr_dispatch_ptr 0
		.amdhsa_user_sgpr_queue_ptr 0
		.amdhsa_user_sgpr_kernarg_segment_ptr 1
		.amdhsa_user_sgpr_dispatch_id 0
		.amdhsa_user_sgpr_kernarg_preload_length 0
		.amdhsa_user_sgpr_kernarg_preload_offset 0
		.amdhsa_user_sgpr_private_segment_size 0
		.amdhsa_wavefront_size32 1
		.amdhsa_uses_dynamic_stack 0
		.amdhsa_enable_private_segment 1
		.amdhsa_system_sgpr_workgroup_id_x 1
		.amdhsa_system_sgpr_workgroup_id_y 0
		.amdhsa_system_sgpr_workgroup_id_z 0
		.amdhsa_system_sgpr_workgroup_info 0
		.amdhsa_system_vgpr_workitem_id 0
		.amdhsa_next_free_vgpr 51
		.amdhsa_next_free_sgpr 34
		.amdhsa_named_barrier_count 0
		.amdhsa_reserve_vcc 1
		.amdhsa_float_round_mode_32 0
		.amdhsa_float_round_mode_16_64 0
		.amdhsa_float_denorm_mode_32 3
		.amdhsa_float_denorm_mode_16_64 3
		.amdhsa_fp16_overflow 0
		.amdhsa_memory_ordered 1
		.amdhsa_forward_progress 1
		.amdhsa_inst_pref_size 1
		.amdhsa_round_robin_scheduling 0
		.amdhsa_exception_fp_ieee_invalid_op 0
		.amdhsa_exception_fp_denorm_src 0
		.amdhsa_exception_fp_ieee_div_zero 0
		.amdhsa_exception_fp_ieee_overflow 0
		.amdhsa_exception_fp_ieee_underflow 0
		.amdhsa_exception_fp_ieee_inexact 0
		.amdhsa_exception_int_div_zero 0
	.end_amdhsa_kernel
	.section	.text._Z35paged_attention_ll4mi_reduce_kernelIDF16_hLi128ELi128ELi256ELi8EEvPT0_PKfS3_PKT_PKiS8_iS3_,"axG",@progbits,_Z35paged_attention_ll4mi_reduce_kernelIDF16_hLi128ELi128ELi256ELi8EEvPT0_PKfS3_PKT_PKiS8_iS3_,comdat
.Lfunc_end217:
	.size	_Z35paged_attention_ll4mi_reduce_kernelIDF16_hLi128ELi128ELi256ELi8EEvPT0_PKfS3_PKT_PKiS8_iS3_, .Lfunc_end217-_Z35paged_attention_ll4mi_reduce_kernelIDF16_hLi128ELi128ELi256ELi8EEvPT0_PKfS3_PKT_PKiS8_iS3_
                                        ; -- End function
	.set _Z35paged_attention_ll4mi_reduce_kernelIDF16_hLi128ELi128ELi256ELi8EEvPT0_PKfS3_PKT_PKiS8_iS3_.num_vgpr, max(3, .L__assert_fail.num_vgpr)
	.set _Z35paged_attention_ll4mi_reduce_kernelIDF16_hLi128ELi128ELi256ELi8EEvPT0_PKfS3_PKT_PKiS8_iS3_.num_agpr, max(0, .L__assert_fail.num_agpr)
	.set _Z35paged_attention_ll4mi_reduce_kernelIDF16_hLi128ELi128ELi256ELi8EEvPT0_PKfS3_PKT_PKiS8_iS3_.numbered_sgpr, max(33, .L__assert_fail.numbered_sgpr)
	.set _Z35paged_attention_ll4mi_reduce_kernelIDF16_hLi128ELi128ELi256ELi8EEvPT0_PKfS3_PKT_PKiS8_iS3_.num_named_barrier, max(0, .L__assert_fail.num_named_barrier)
	.set _Z35paged_attention_ll4mi_reduce_kernelIDF16_hLi128ELi128ELi256ELi8EEvPT0_PKfS3_PKT_PKiS8_iS3_.private_seg_size, 0+max(.L__assert_fail.private_seg_size)
	.set _Z35paged_attention_ll4mi_reduce_kernelIDF16_hLi128ELi128ELi256ELi8EEvPT0_PKfS3_PKT_PKiS8_iS3_.uses_vcc, or(1, .L__assert_fail.uses_vcc)
	.set _Z35paged_attention_ll4mi_reduce_kernelIDF16_hLi128ELi128ELi256ELi8EEvPT0_PKfS3_PKT_PKiS8_iS3_.uses_flat_scratch, or(0, .L__assert_fail.uses_flat_scratch)
	.set _Z35paged_attention_ll4mi_reduce_kernelIDF16_hLi128ELi128ELi256ELi8EEvPT0_PKfS3_PKT_PKiS8_iS3_.has_dyn_sized_stack, or(0, .L__assert_fail.has_dyn_sized_stack)
	.set _Z35paged_attention_ll4mi_reduce_kernelIDF16_hLi128ELi128ELi256ELi8EEvPT0_PKfS3_PKT_PKiS8_iS3_.has_recursion, or(0, .L__assert_fail.has_recursion)
	.set _Z35paged_attention_ll4mi_reduce_kernelIDF16_hLi128ELi128ELi256ELi8EEvPT0_PKfS3_PKT_PKiS8_iS3_.has_indirect_call, or(0, .L__assert_fail.has_indirect_call)
	.section	.AMDGPU.csdata,"",@progbits
; Kernel info:
; codeLenInByte = 64
; TotalNumSgprs: 36
; NumVgprs: 51
; ScratchSize: 64
; MemoryBound: 0
; FloatMode: 240
; IeeeMode: 1
; LDSByteSize: 0 bytes/workgroup (compile time only)
; SGPRBlocks: 0
; VGPRBlocks: 3
; NumSGPRsForWavesPerEU: 36
; NumVGPRsForWavesPerEU: 51
; NamedBarCnt: 0
; Occupancy: 16
; WaveLimiterHint : 1
; COMPUTE_PGM_RSRC2:SCRATCH_EN: 1
; COMPUTE_PGM_RSRC2:USER_SGPR: 2
; COMPUTE_PGM_RSRC2:TRAP_HANDLER: 0
; COMPUTE_PGM_RSRC2:TGID_X_EN: 1
; COMPUTE_PGM_RSRC2:TGID_Y_EN: 0
; COMPUTE_PGM_RSRC2:TGID_Z_EN: 0
; COMPUTE_PGM_RSRC2:TIDIG_COMP_CNT: 0
	.section	.text._Z39paged_attention_ll4mi_QKV_mfma16_kernelIDF16_DF16_LN4vllm18Fp8KVCacheDataTypeE0EhLi16ELi128ELi256ELb1ELi1EEvPKT_PKT0_S7_ifPKiS9_S9_iPKfiiiPfSC_PS2_PT2_iSB_SB_,"axG",@progbits,_Z39paged_attention_ll4mi_QKV_mfma16_kernelIDF16_DF16_LN4vllm18Fp8KVCacheDataTypeE0EhLi16ELi128ELi256ELb1ELi1EEvPKT_PKT0_S7_ifPKiS9_S9_iPKfiiiPfSC_PS2_PT2_iSB_SB_,comdat
	.protected	_Z39paged_attention_ll4mi_QKV_mfma16_kernelIDF16_DF16_LN4vllm18Fp8KVCacheDataTypeE0EhLi16ELi128ELi256ELb1ELi1EEvPKT_PKT0_S7_ifPKiS9_S9_iPKfiiiPfSC_PS2_PT2_iSB_SB_ ; -- Begin function _Z39paged_attention_ll4mi_QKV_mfma16_kernelIDF16_DF16_LN4vllm18Fp8KVCacheDataTypeE0EhLi16ELi128ELi256ELb1ELi1EEvPKT_PKT0_S7_ifPKiS9_S9_iPKfiiiPfSC_PS2_PT2_iSB_SB_
	.globl	_Z39paged_attention_ll4mi_QKV_mfma16_kernelIDF16_DF16_LN4vllm18Fp8KVCacheDataTypeE0EhLi16ELi128ELi256ELb1ELi1EEvPKT_PKT0_S7_ifPKiS9_S9_iPKfiiiPfSC_PS2_PT2_iSB_SB_
	.p2align	8
	.type	_Z39paged_attention_ll4mi_QKV_mfma16_kernelIDF16_DF16_LN4vllm18Fp8KVCacheDataTypeE0EhLi16ELi128ELi256ELb1ELi1EEvPKT_PKT0_S7_ifPKiS9_S9_iPKfiiiPfSC_PS2_PT2_iSB_SB_,@function
_Z39paged_attention_ll4mi_QKV_mfma16_kernelIDF16_DF16_LN4vllm18Fp8KVCacheDataTypeE0EhLi16ELi128ELi256ELb1ELi1EEvPKT_PKT0_S7_ifPKiS9_S9_iPKfiiiPfSC_PS2_PT2_iSB_SB_: ; @_Z39paged_attention_ll4mi_QKV_mfma16_kernelIDF16_DF16_LN4vllm18Fp8KVCacheDataTypeE0EhLi16ELi128ELi256ELb1ELi1EEvPKT_PKT0_S7_ifPKiS9_S9_iPKfiiiPfSC_PS2_PT2_iSB_SB_
; %bb.0:
	s_get_pc_i64 s[2:3]
	s_add_nc_u64 s[2:3], s[2:3], __PRETTY_FUNCTION__._Z39paged_attention_ll4mi_QKV_mfma16_kernelIDF16_DF16_LN4vllm18Fp8KVCacheDataTypeE0EhLi16ELi128ELi256ELb1ELi1EEvPKT_PKT0_S7_ifPKiS9_S9_iPKfiiiPfSC_PS2_PT2_iSB_SB_@rel64+4
	s_delay_alu instid0(SALU_CYCLE_1)
	v_dual_mov_b32 v0, 0xbb3 :: v_dual_mov_b32 v1, s2
	v_mov_b32_e32 v2, s3
	s_add_nc_u64 s[8:9], s[0:1], 0x90
	s_get_pc_i64 s[0:1]
	s_add_nc_u64 s[0:1], s[0:1], __assert_fail@rel64+4
	s_mov_b32 s32, 0
	s_swap_pc_i64 s[30:31], s[0:1]
	.section	.rodata,"a",@progbits
	.p2align	6, 0x0
	.amdhsa_kernel _Z39paged_attention_ll4mi_QKV_mfma16_kernelIDF16_DF16_LN4vllm18Fp8KVCacheDataTypeE0EhLi16ELi128ELi256ELb1ELi1EEvPKT_PKT0_S7_ifPKiS9_S9_iPKfiiiPfSC_PS2_PT2_iSB_SB_
		.amdhsa_group_segment_fixed_size 0
		.amdhsa_private_segment_fixed_size 64
		.amdhsa_kernarg_size 400
		.amdhsa_user_sgpr_count 2
		.amdhsa_user_sgpr_dispatch_ptr 0
		.amdhsa_user_sgpr_queue_ptr 0
		.amdhsa_user_sgpr_kernarg_segment_ptr 1
		.amdhsa_user_sgpr_dispatch_id 0
		.amdhsa_user_sgpr_kernarg_preload_length 0
		.amdhsa_user_sgpr_kernarg_preload_offset 0
		.amdhsa_user_sgpr_private_segment_size 0
		.amdhsa_wavefront_size32 1
		.amdhsa_uses_dynamic_stack 0
		.amdhsa_enable_private_segment 1
		.amdhsa_system_sgpr_workgroup_id_x 1
		.amdhsa_system_sgpr_workgroup_id_y 0
		.amdhsa_system_sgpr_workgroup_id_z 0
		.amdhsa_system_sgpr_workgroup_info 0
		.amdhsa_system_vgpr_workitem_id 0
		.amdhsa_next_free_vgpr 51
		.amdhsa_next_free_sgpr 34
		.amdhsa_named_barrier_count 0
		.amdhsa_reserve_vcc 1
		.amdhsa_float_round_mode_32 0
		.amdhsa_float_round_mode_16_64 0
		.amdhsa_float_denorm_mode_32 3
		.amdhsa_float_denorm_mode_16_64 3
		.amdhsa_fp16_overflow 0
		.amdhsa_memory_ordered 1
		.amdhsa_forward_progress 1
		.amdhsa_inst_pref_size 1
		.amdhsa_round_robin_scheduling 0
		.amdhsa_exception_fp_ieee_invalid_op 0
		.amdhsa_exception_fp_denorm_src 0
		.amdhsa_exception_fp_ieee_div_zero 0
		.amdhsa_exception_fp_ieee_overflow 0
		.amdhsa_exception_fp_ieee_underflow 0
		.amdhsa_exception_fp_ieee_inexact 0
		.amdhsa_exception_int_div_zero 0
	.end_amdhsa_kernel
	.section	.text._Z39paged_attention_ll4mi_QKV_mfma16_kernelIDF16_DF16_LN4vllm18Fp8KVCacheDataTypeE0EhLi16ELi128ELi256ELb1ELi1EEvPKT_PKT0_S7_ifPKiS9_S9_iPKfiiiPfSC_PS2_PT2_iSB_SB_,"axG",@progbits,_Z39paged_attention_ll4mi_QKV_mfma16_kernelIDF16_DF16_LN4vllm18Fp8KVCacheDataTypeE0EhLi16ELi128ELi256ELb1ELi1EEvPKT_PKT0_S7_ifPKiS9_S9_iPKfiiiPfSC_PS2_PT2_iSB_SB_,comdat
.Lfunc_end218:
	.size	_Z39paged_attention_ll4mi_QKV_mfma16_kernelIDF16_DF16_LN4vllm18Fp8KVCacheDataTypeE0EhLi16ELi128ELi256ELb1ELi1EEvPKT_PKT0_S7_ifPKiS9_S9_iPKfiiiPfSC_PS2_PT2_iSB_SB_, .Lfunc_end218-_Z39paged_attention_ll4mi_QKV_mfma16_kernelIDF16_DF16_LN4vllm18Fp8KVCacheDataTypeE0EhLi16ELi128ELi256ELb1ELi1EEvPKT_PKT0_S7_ifPKiS9_S9_iPKfiiiPfSC_PS2_PT2_iSB_SB_
                                        ; -- End function
	.set _Z39paged_attention_ll4mi_QKV_mfma16_kernelIDF16_DF16_LN4vllm18Fp8KVCacheDataTypeE0EhLi16ELi128ELi256ELb1ELi1EEvPKT_PKT0_S7_ifPKiS9_S9_iPKfiiiPfSC_PS2_PT2_iSB_SB_.num_vgpr, max(3, .L__assert_fail.num_vgpr)
	.set _Z39paged_attention_ll4mi_QKV_mfma16_kernelIDF16_DF16_LN4vllm18Fp8KVCacheDataTypeE0EhLi16ELi128ELi256ELb1ELi1EEvPKT_PKT0_S7_ifPKiS9_S9_iPKfiiiPfSC_PS2_PT2_iSB_SB_.num_agpr, max(0, .L__assert_fail.num_agpr)
	.set _Z39paged_attention_ll4mi_QKV_mfma16_kernelIDF16_DF16_LN4vllm18Fp8KVCacheDataTypeE0EhLi16ELi128ELi256ELb1ELi1EEvPKT_PKT0_S7_ifPKiS9_S9_iPKfiiiPfSC_PS2_PT2_iSB_SB_.numbered_sgpr, max(33, .L__assert_fail.numbered_sgpr)
	.set _Z39paged_attention_ll4mi_QKV_mfma16_kernelIDF16_DF16_LN4vllm18Fp8KVCacheDataTypeE0EhLi16ELi128ELi256ELb1ELi1EEvPKT_PKT0_S7_ifPKiS9_S9_iPKfiiiPfSC_PS2_PT2_iSB_SB_.num_named_barrier, max(0, .L__assert_fail.num_named_barrier)
	.set _Z39paged_attention_ll4mi_QKV_mfma16_kernelIDF16_DF16_LN4vllm18Fp8KVCacheDataTypeE0EhLi16ELi128ELi256ELb1ELi1EEvPKT_PKT0_S7_ifPKiS9_S9_iPKfiiiPfSC_PS2_PT2_iSB_SB_.private_seg_size, 0+max(.L__assert_fail.private_seg_size)
	.set _Z39paged_attention_ll4mi_QKV_mfma16_kernelIDF16_DF16_LN4vllm18Fp8KVCacheDataTypeE0EhLi16ELi128ELi256ELb1ELi1EEvPKT_PKT0_S7_ifPKiS9_S9_iPKfiiiPfSC_PS2_PT2_iSB_SB_.uses_vcc, or(1, .L__assert_fail.uses_vcc)
	.set _Z39paged_attention_ll4mi_QKV_mfma16_kernelIDF16_DF16_LN4vllm18Fp8KVCacheDataTypeE0EhLi16ELi128ELi256ELb1ELi1EEvPKT_PKT0_S7_ifPKiS9_S9_iPKfiiiPfSC_PS2_PT2_iSB_SB_.uses_flat_scratch, or(0, .L__assert_fail.uses_flat_scratch)
	.set _Z39paged_attention_ll4mi_QKV_mfma16_kernelIDF16_DF16_LN4vllm18Fp8KVCacheDataTypeE0EhLi16ELi128ELi256ELb1ELi1EEvPKT_PKT0_S7_ifPKiS9_S9_iPKfiiiPfSC_PS2_PT2_iSB_SB_.has_dyn_sized_stack, or(0, .L__assert_fail.has_dyn_sized_stack)
	.set _Z39paged_attention_ll4mi_QKV_mfma16_kernelIDF16_DF16_LN4vllm18Fp8KVCacheDataTypeE0EhLi16ELi128ELi256ELb1ELi1EEvPKT_PKT0_S7_ifPKiS9_S9_iPKfiiiPfSC_PS2_PT2_iSB_SB_.has_recursion, or(0, .L__assert_fail.has_recursion)
	.set _Z39paged_attention_ll4mi_QKV_mfma16_kernelIDF16_DF16_LN4vllm18Fp8KVCacheDataTypeE0EhLi16ELi128ELi256ELb1ELi1EEvPKT_PKT0_S7_ifPKiS9_S9_iPKfiiiPfSC_PS2_PT2_iSB_SB_.has_indirect_call, or(0, .L__assert_fail.has_indirect_call)
	.section	.AMDGPU.csdata,"",@progbits
; Kernel info:
; codeLenInByte = 68
; TotalNumSgprs: 36
; NumVgprs: 51
; ScratchSize: 64
; MemoryBound: 0
; FloatMode: 240
; IeeeMode: 1
; LDSByteSize: 0 bytes/workgroup (compile time only)
; SGPRBlocks: 0
; VGPRBlocks: 3
; NumSGPRsForWavesPerEU: 36
; NumVGPRsForWavesPerEU: 51
; NamedBarCnt: 0
; Occupancy: 16
; WaveLimiterHint : 1
; COMPUTE_PGM_RSRC2:SCRATCH_EN: 1
; COMPUTE_PGM_RSRC2:USER_SGPR: 2
; COMPUTE_PGM_RSRC2:TRAP_HANDLER: 0
; COMPUTE_PGM_RSRC2:TGID_X_EN: 1
; COMPUTE_PGM_RSRC2:TGID_Y_EN: 0
; COMPUTE_PGM_RSRC2:TGID_Z_EN: 0
; COMPUTE_PGM_RSRC2:TIDIG_COMP_CNT: 0
	.section	.text._Z39paged_attention_ll4mi_QKV_mfma16_kernelIDF16_DF16_LN4vllm18Fp8KVCacheDataTypeE0EhLi16ELi128ELi256ELb1ELi2EEvPKT_PKT0_S7_ifPKiS9_S9_iPKfiiiPfSC_PS2_PT2_iSB_SB_,"axG",@progbits,_Z39paged_attention_ll4mi_QKV_mfma16_kernelIDF16_DF16_LN4vllm18Fp8KVCacheDataTypeE0EhLi16ELi128ELi256ELb1ELi2EEvPKT_PKT0_S7_ifPKiS9_S9_iPKfiiiPfSC_PS2_PT2_iSB_SB_,comdat
	.protected	_Z39paged_attention_ll4mi_QKV_mfma16_kernelIDF16_DF16_LN4vllm18Fp8KVCacheDataTypeE0EhLi16ELi128ELi256ELb1ELi2EEvPKT_PKT0_S7_ifPKiS9_S9_iPKfiiiPfSC_PS2_PT2_iSB_SB_ ; -- Begin function _Z39paged_attention_ll4mi_QKV_mfma16_kernelIDF16_DF16_LN4vllm18Fp8KVCacheDataTypeE0EhLi16ELi128ELi256ELb1ELi2EEvPKT_PKT0_S7_ifPKiS9_S9_iPKfiiiPfSC_PS2_PT2_iSB_SB_
	.globl	_Z39paged_attention_ll4mi_QKV_mfma16_kernelIDF16_DF16_LN4vllm18Fp8KVCacheDataTypeE0EhLi16ELi128ELi256ELb1ELi2EEvPKT_PKT0_S7_ifPKiS9_S9_iPKfiiiPfSC_PS2_PT2_iSB_SB_
	.p2align	8
	.type	_Z39paged_attention_ll4mi_QKV_mfma16_kernelIDF16_DF16_LN4vllm18Fp8KVCacheDataTypeE0EhLi16ELi128ELi256ELb1ELi2EEvPKT_PKT0_S7_ifPKiS9_S9_iPKfiiiPfSC_PS2_PT2_iSB_SB_,@function
_Z39paged_attention_ll4mi_QKV_mfma16_kernelIDF16_DF16_LN4vllm18Fp8KVCacheDataTypeE0EhLi16ELi128ELi256ELb1ELi2EEvPKT_PKT0_S7_ifPKiS9_S9_iPKfiiiPfSC_PS2_PT2_iSB_SB_: ; @_Z39paged_attention_ll4mi_QKV_mfma16_kernelIDF16_DF16_LN4vllm18Fp8KVCacheDataTypeE0EhLi16ELi128ELi256ELb1ELi2EEvPKT_PKT0_S7_ifPKiS9_S9_iPKfiiiPfSC_PS2_PT2_iSB_SB_
; %bb.0:
	s_get_pc_i64 s[2:3]
	s_add_nc_u64 s[2:3], s[2:3], __PRETTY_FUNCTION__._Z39paged_attention_ll4mi_QKV_mfma16_kernelIDF16_DF16_LN4vllm18Fp8KVCacheDataTypeE0EhLi16ELi128ELi256ELb1ELi2EEvPKT_PKT0_S7_ifPKiS9_S9_iPKfiiiPfSC_PS2_PT2_iSB_SB_@rel64+4
	s_delay_alu instid0(SALU_CYCLE_1)
	v_dual_mov_b32 v0, 0xbb3 :: v_dual_mov_b32 v1, s2
	v_mov_b32_e32 v2, s3
	s_add_nc_u64 s[8:9], s[0:1], 0x90
	s_get_pc_i64 s[0:1]
	s_add_nc_u64 s[0:1], s[0:1], __assert_fail@rel64+4
	s_mov_b32 s32, 0
	s_swap_pc_i64 s[30:31], s[0:1]
	.section	.rodata,"a",@progbits
	.p2align	6, 0x0
	.amdhsa_kernel _Z39paged_attention_ll4mi_QKV_mfma16_kernelIDF16_DF16_LN4vllm18Fp8KVCacheDataTypeE0EhLi16ELi128ELi256ELb1ELi2EEvPKT_PKT0_S7_ifPKiS9_S9_iPKfiiiPfSC_PS2_PT2_iSB_SB_
		.amdhsa_group_segment_fixed_size 0
		.amdhsa_private_segment_fixed_size 64
		.amdhsa_kernarg_size 400
		.amdhsa_user_sgpr_count 2
		.amdhsa_user_sgpr_dispatch_ptr 0
		.amdhsa_user_sgpr_queue_ptr 0
		.amdhsa_user_sgpr_kernarg_segment_ptr 1
		.amdhsa_user_sgpr_dispatch_id 0
		.amdhsa_user_sgpr_kernarg_preload_length 0
		.amdhsa_user_sgpr_kernarg_preload_offset 0
		.amdhsa_user_sgpr_private_segment_size 0
		.amdhsa_wavefront_size32 1
		.amdhsa_uses_dynamic_stack 0
		.amdhsa_enable_private_segment 1
		.amdhsa_system_sgpr_workgroup_id_x 1
		.amdhsa_system_sgpr_workgroup_id_y 0
		.amdhsa_system_sgpr_workgroup_id_z 0
		.amdhsa_system_sgpr_workgroup_info 0
		.amdhsa_system_vgpr_workitem_id 0
		.amdhsa_next_free_vgpr 51
		.amdhsa_next_free_sgpr 34
		.amdhsa_named_barrier_count 0
		.amdhsa_reserve_vcc 1
		.amdhsa_float_round_mode_32 0
		.amdhsa_float_round_mode_16_64 0
		.amdhsa_float_denorm_mode_32 3
		.amdhsa_float_denorm_mode_16_64 3
		.amdhsa_fp16_overflow 0
		.amdhsa_memory_ordered 1
		.amdhsa_forward_progress 1
		.amdhsa_inst_pref_size 1
		.amdhsa_round_robin_scheduling 0
		.amdhsa_exception_fp_ieee_invalid_op 0
		.amdhsa_exception_fp_denorm_src 0
		.amdhsa_exception_fp_ieee_div_zero 0
		.amdhsa_exception_fp_ieee_overflow 0
		.amdhsa_exception_fp_ieee_underflow 0
		.amdhsa_exception_fp_ieee_inexact 0
		.amdhsa_exception_int_div_zero 0
	.end_amdhsa_kernel
	.section	.text._Z39paged_attention_ll4mi_QKV_mfma16_kernelIDF16_DF16_LN4vllm18Fp8KVCacheDataTypeE0EhLi16ELi128ELi256ELb1ELi2EEvPKT_PKT0_S7_ifPKiS9_S9_iPKfiiiPfSC_PS2_PT2_iSB_SB_,"axG",@progbits,_Z39paged_attention_ll4mi_QKV_mfma16_kernelIDF16_DF16_LN4vllm18Fp8KVCacheDataTypeE0EhLi16ELi128ELi256ELb1ELi2EEvPKT_PKT0_S7_ifPKiS9_S9_iPKfiiiPfSC_PS2_PT2_iSB_SB_,comdat
.Lfunc_end219:
	.size	_Z39paged_attention_ll4mi_QKV_mfma16_kernelIDF16_DF16_LN4vllm18Fp8KVCacheDataTypeE0EhLi16ELi128ELi256ELb1ELi2EEvPKT_PKT0_S7_ifPKiS9_S9_iPKfiiiPfSC_PS2_PT2_iSB_SB_, .Lfunc_end219-_Z39paged_attention_ll4mi_QKV_mfma16_kernelIDF16_DF16_LN4vllm18Fp8KVCacheDataTypeE0EhLi16ELi128ELi256ELb1ELi2EEvPKT_PKT0_S7_ifPKiS9_S9_iPKfiiiPfSC_PS2_PT2_iSB_SB_
                                        ; -- End function
	.set _Z39paged_attention_ll4mi_QKV_mfma16_kernelIDF16_DF16_LN4vllm18Fp8KVCacheDataTypeE0EhLi16ELi128ELi256ELb1ELi2EEvPKT_PKT0_S7_ifPKiS9_S9_iPKfiiiPfSC_PS2_PT2_iSB_SB_.num_vgpr, max(3, .L__assert_fail.num_vgpr)
	.set _Z39paged_attention_ll4mi_QKV_mfma16_kernelIDF16_DF16_LN4vllm18Fp8KVCacheDataTypeE0EhLi16ELi128ELi256ELb1ELi2EEvPKT_PKT0_S7_ifPKiS9_S9_iPKfiiiPfSC_PS2_PT2_iSB_SB_.num_agpr, max(0, .L__assert_fail.num_agpr)
	.set _Z39paged_attention_ll4mi_QKV_mfma16_kernelIDF16_DF16_LN4vllm18Fp8KVCacheDataTypeE0EhLi16ELi128ELi256ELb1ELi2EEvPKT_PKT0_S7_ifPKiS9_S9_iPKfiiiPfSC_PS2_PT2_iSB_SB_.numbered_sgpr, max(33, .L__assert_fail.numbered_sgpr)
	.set _Z39paged_attention_ll4mi_QKV_mfma16_kernelIDF16_DF16_LN4vllm18Fp8KVCacheDataTypeE0EhLi16ELi128ELi256ELb1ELi2EEvPKT_PKT0_S7_ifPKiS9_S9_iPKfiiiPfSC_PS2_PT2_iSB_SB_.num_named_barrier, max(0, .L__assert_fail.num_named_barrier)
	.set _Z39paged_attention_ll4mi_QKV_mfma16_kernelIDF16_DF16_LN4vllm18Fp8KVCacheDataTypeE0EhLi16ELi128ELi256ELb1ELi2EEvPKT_PKT0_S7_ifPKiS9_S9_iPKfiiiPfSC_PS2_PT2_iSB_SB_.private_seg_size, 0+max(.L__assert_fail.private_seg_size)
	.set _Z39paged_attention_ll4mi_QKV_mfma16_kernelIDF16_DF16_LN4vllm18Fp8KVCacheDataTypeE0EhLi16ELi128ELi256ELb1ELi2EEvPKT_PKT0_S7_ifPKiS9_S9_iPKfiiiPfSC_PS2_PT2_iSB_SB_.uses_vcc, or(1, .L__assert_fail.uses_vcc)
	.set _Z39paged_attention_ll4mi_QKV_mfma16_kernelIDF16_DF16_LN4vllm18Fp8KVCacheDataTypeE0EhLi16ELi128ELi256ELb1ELi2EEvPKT_PKT0_S7_ifPKiS9_S9_iPKfiiiPfSC_PS2_PT2_iSB_SB_.uses_flat_scratch, or(0, .L__assert_fail.uses_flat_scratch)
	.set _Z39paged_attention_ll4mi_QKV_mfma16_kernelIDF16_DF16_LN4vllm18Fp8KVCacheDataTypeE0EhLi16ELi128ELi256ELb1ELi2EEvPKT_PKT0_S7_ifPKiS9_S9_iPKfiiiPfSC_PS2_PT2_iSB_SB_.has_dyn_sized_stack, or(0, .L__assert_fail.has_dyn_sized_stack)
	.set _Z39paged_attention_ll4mi_QKV_mfma16_kernelIDF16_DF16_LN4vllm18Fp8KVCacheDataTypeE0EhLi16ELi128ELi256ELb1ELi2EEvPKT_PKT0_S7_ifPKiS9_S9_iPKfiiiPfSC_PS2_PT2_iSB_SB_.has_recursion, or(0, .L__assert_fail.has_recursion)
	.set _Z39paged_attention_ll4mi_QKV_mfma16_kernelIDF16_DF16_LN4vllm18Fp8KVCacheDataTypeE0EhLi16ELi128ELi256ELb1ELi2EEvPKT_PKT0_S7_ifPKiS9_S9_iPKfiiiPfSC_PS2_PT2_iSB_SB_.has_indirect_call, or(0, .L__assert_fail.has_indirect_call)
	.section	.AMDGPU.csdata,"",@progbits
; Kernel info:
; codeLenInByte = 68
; TotalNumSgprs: 36
; NumVgprs: 51
; ScratchSize: 64
; MemoryBound: 0
; FloatMode: 240
; IeeeMode: 1
; LDSByteSize: 0 bytes/workgroup (compile time only)
; SGPRBlocks: 0
; VGPRBlocks: 3
; NumSGPRsForWavesPerEU: 36
; NumVGPRsForWavesPerEU: 51
; NamedBarCnt: 0
; Occupancy: 16
; WaveLimiterHint : 1
; COMPUTE_PGM_RSRC2:SCRATCH_EN: 1
; COMPUTE_PGM_RSRC2:USER_SGPR: 2
; COMPUTE_PGM_RSRC2:TRAP_HANDLER: 0
; COMPUTE_PGM_RSRC2:TGID_X_EN: 1
; COMPUTE_PGM_RSRC2:TGID_Y_EN: 0
; COMPUTE_PGM_RSRC2:TGID_Z_EN: 0
; COMPUTE_PGM_RSRC2:TIDIG_COMP_CNT: 0
	.section	.text._Z39paged_attention_ll4mi_QKV_mfma16_kernelIDF16_DF16_LN4vllm18Fp8KVCacheDataTypeE0EhLi16ELi128ELi256ELb1ELi3EEvPKT_PKT0_S7_ifPKiS9_S9_iPKfiiiPfSC_PS2_PT2_iSB_SB_,"axG",@progbits,_Z39paged_attention_ll4mi_QKV_mfma16_kernelIDF16_DF16_LN4vllm18Fp8KVCacheDataTypeE0EhLi16ELi128ELi256ELb1ELi3EEvPKT_PKT0_S7_ifPKiS9_S9_iPKfiiiPfSC_PS2_PT2_iSB_SB_,comdat
	.protected	_Z39paged_attention_ll4mi_QKV_mfma16_kernelIDF16_DF16_LN4vllm18Fp8KVCacheDataTypeE0EhLi16ELi128ELi256ELb1ELi3EEvPKT_PKT0_S7_ifPKiS9_S9_iPKfiiiPfSC_PS2_PT2_iSB_SB_ ; -- Begin function _Z39paged_attention_ll4mi_QKV_mfma16_kernelIDF16_DF16_LN4vllm18Fp8KVCacheDataTypeE0EhLi16ELi128ELi256ELb1ELi3EEvPKT_PKT0_S7_ifPKiS9_S9_iPKfiiiPfSC_PS2_PT2_iSB_SB_
	.globl	_Z39paged_attention_ll4mi_QKV_mfma16_kernelIDF16_DF16_LN4vllm18Fp8KVCacheDataTypeE0EhLi16ELi128ELi256ELb1ELi3EEvPKT_PKT0_S7_ifPKiS9_S9_iPKfiiiPfSC_PS2_PT2_iSB_SB_
	.p2align	8
	.type	_Z39paged_attention_ll4mi_QKV_mfma16_kernelIDF16_DF16_LN4vllm18Fp8KVCacheDataTypeE0EhLi16ELi128ELi256ELb1ELi3EEvPKT_PKT0_S7_ifPKiS9_S9_iPKfiiiPfSC_PS2_PT2_iSB_SB_,@function
_Z39paged_attention_ll4mi_QKV_mfma16_kernelIDF16_DF16_LN4vllm18Fp8KVCacheDataTypeE0EhLi16ELi128ELi256ELb1ELi3EEvPKT_PKT0_S7_ifPKiS9_S9_iPKfiiiPfSC_PS2_PT2_iSB_SB_: ; @_Z39paged_attention_ll4mi_QKV_mfma16_kernelIDF16_DF16_LN4vllm18Fp8KVCacheDataTypeE0EhLi16ELi128ELi256ELb1ELi3EEvPKT_PKT0_S7_ifPKiS9_S9_iPKfiiiPfSC_PS2_PT2_iSB_SB_
; %bb.0:
	s_get_pc_i64 s[2:3]
	s_add_nc_u64 s[2:3], s[2:3], __PRETTY_FUNCTION__._Z39paged_attention_ll4mi_QKV_mfma16_kernelIDF16_DF16_LN4vllm18Fp8KVCacheDataTypeE0EhLi16ELi128ELi256ELb1ELi3EEvPKT_PKT0_S7_ifPKiS9_S9_iPKfiiiPfSC_PS2_PT2_iSB_SB_@rel64+4
	s_delay_alu instid0(SALU_CYCLE_1)
	v_dual_mov_b32 v0, 0xbb3 :: v_dual_mov_b32 v1, s2
	v_mov_b32_e32 v2, s3
	s_add_nc_u64 s[8:9], s[0:1], 0x90
	s_get_pc_i64 s[0:1]
	s_add_nc_u64 s[0:1], s[0:1], __assert_fail@rel64+4
	s_mov_b32 s32, 0
	s_swap_pc_i64 s[30:31], s[0:1]
	.section	.rodata,"a",@progbits
	.p2align	6, 0x0
	.amdhsa_kernel _Z39paged_attention_ll4mi_QKV_mfma16_kernelIDF16_DF16_LN4vllm18Fp8KVCacheDataTypeE0EhLi16ELi128ELi256ELb1ELi3EEvPKT_PKT0_S7_ifPKiS9_S9_iPKfiiiPfSC_PS2_PT2_iSB_SB_
		.amdhsa_group_segment_fixed_size 0
		.amdhsa_private_segment_fixed_size 64
		.amdhsa_kernarg_size 400
		.amdhsa_user_sgpr_count 2
		.amdhsa_user_sgpr_dispatch_ptr 0
		.amdhsa_user_sgpr_queue_ptr 0
		.amdhsa_user_sgpr_kernarg_segment_ptr 1
		.amdhsa_user_sgpr_dispatch_id 0
		.amdhsa_user_sgpr_kernarg_preload_length 0
		.amdhsa_user_sgpr_kernarg_preload_offset 0
		.amdhsa_user_sgpr_private_segment_size 0
		.amdhsa_wavefront_size32 1
		.amdhsa_uses_dynamic_stack 0
		.amdhsa_enable_private_segment 1
		.amdhsa_system_sgpr_workgroup_id_x 1
		.amdhsa_system_sgpr_workgroup_id_y 0
		.amdhsa_system_sgpr_workgroup_id_z 0
		.amdhsa_system_sgpr_workgroup_info 0
		.amdhsa_system_vgpr_workitem_id 0
		.amdhsa_next_free_vgpr 51
		.amdhsa_next_free_sgpr 34
		.amdhsa_named_barrier_count 0
		.amdhsa_reserve_vcc 1
		.amdhsa_float_round_mode_32 0
		.amdhsa_float_round_mode_16_64 0
		.amdhsa_float_denorm_mode_32 3
		.amdhsa_float_denorm_mode_16_64 3
		.amdhsa_fp16_overflow 0
		.amdhsa_memory_ordered 1
		.amdhsa_forward_progress 1
		.amdhsa_inst_pref_size 1
		.amdhsa_round_robin_scheduling 0
		.amdhsa_exception_fp_ieee_invalid_op 0
		.amdhsa_exception_fp_denorm_src 0
		.amdhsa_exception_fp_ieee_div_zero 0
		.amdhsa_exception_fp_ieee_overflow 0
		.amdhsa_exception_fp_ieee_underflow 0
		.amdhsa_exception_fp_ieee_inexact 0
		.amdhsa_exception_int_div_zero 0
	.end_amdhsa_kernel
	.section	.text._Z39paged_attention_ll4mi_QKV_mfma16_kernelIDF16_DF16_LN4vllm18Fp8KVCacheDataTypeE0EhLi16ELi128ELi256ELb1ELi3EEvPKT_PKT0_S7_ifPKiS9_S9_iPKfiiiPfSC_PS2_PT2_iSB_SB_,"axG",@progbits,_Z39paged_attention_ll4mi_QKV_mfma16_kernelIDF16_DF16_LN4vllm18Fp8KVCacheDataTypeE0EhLi16ELi128ELi256ELb1ELi3EEvPKT_PKT0_S7_ifPKiS9_S9_iPKfiiiPfSC_PS2_PT2_iSB_SB_,comdat
.Lfunc_end220:
	.size	_Z39paged_attention_ll4mi_QKV_mfma16_kernelIDF16_DF16_LN4vllm18Fp8KVCacheDataTypeE0EhLi16ELi128ELi256ELb1ELi3EEvPKT_PKT0_S7_ifPKiS9_S9_iPKfiiiPfSC_PS2_PT2_iSB_SB_, .Lfunc_end220-_Z39paged_attention_ll4mi_QKV_mfma16_kernelIDF16_DF16_LN4vllm18Fp8KVCacheDataTypeE0EhLi16ELi128ELi256ELb1ELi3EEvPKT_PKT0_S7_ifPKiS9_S9_iPKfiiiPfSC_PS2_PT2_iSB_SB_
                                        ; -- End function
	.set _Z39paged_attention_ll4mi_QKV_mfma16_kernelIDF16_DF16_LN4vllm18Fp8KVCacheDataTypeE0EhLi16ELi128ELi256ELb1ELi3EEvPKT_PKT0_S7_ifPKiS9_S9_iPKfiiiPfSC_PS2_PT2_iSB_SB_.num_vgpr, max(3, .L__assert_fail.num_vgpr)
	.set _Z39paged_attention_ll4mi_QKV_mfma16_kernelIDF16_DF16_LN4vllm18Fp8KVCacheDataTypeE0EhLi16ELi128ELi256ELb1ELi3EEvPKT_PKT0_S7_ifPKiS9_S9_iPKfiiiPfSC_PS2_PT2_iSB_SB_.num_agpr, max(0, .L__assert_fail.num_agpr)
	.set _Z39paged_attention_ll4mi_QKV_mfma16_kernelIDF16_DF16_LN4vllm18Fp8KVCacheDataTypeE0EhLi16ELi128ELi256ELb1ELi3EEvPKT_PKT0_S7_ifPKiS9_S9_iPKfiiiPfSC_PS2_PT2_iSB_SB_.numbered_sgpr, max(33, .L__assert_fail.numbered_sgpr)
	.set _Z39paged_attention_ll4mi_QKV_mfma16_kernelIDF16_DF16_LN4vllm18Fp8KVCacheDataTypeE0EhLi16ELi128ELi256ELb1ELi3EEvPKT_PKT0_S7_ifPKiS9_S9_iPKfiiiPfSC_PS2_PT2_iSB_SB_.num_named_barrier, max(0, .L__assert_fail.num_named_barrier)
	.set _Z39paged_attention_ll4mi_QKV_mfma16_kernelIDF16_DF16_LN4vllm18Fp8KVCacheDataTypeE0EhLi16ELi128ELi256ELb1ELi3EEvPKT_PKT0_S7_ifPKiS9_S9_iPKfiiiPfSC_PS2_PT2_iSB_SB_.private_seg_size, 0+max(.L__assert_fail.private_seg_size)
	.set _Z39paged_attention_ll4mi_QKV_mfma16_kernelIDF16_DF16_LN4vllm18Fp8KVCacheDataTypeE0EhLi16ELi128ELi256ELb1ELi3EEvPKT_PKT0_S7_ifPKiS9_S9_iPKfiiiPfSC_PS2_PT2_iSB_SB_.uses_vcc, or(1, .L__assert_fail.uses_vcc)
	.set _Z39paged_attention_ll4mi_QKV_mfma16_kernelIDF16_DF16_LN4vllm18Fp8KVCacheDataTypeE0EhLi16ELi128ELi256ELb1ELi3EEvPKT_PKT0_S7_ifPKiS9_S9_iPKfiiiPfSC_PS2_PT2_iSB_SB_.uses_flat_scratch, or(0, .L__assert_fail.uses_flat_scratch)
	.set _Z39paged_attention_ll4mi_QKV_mfma16_kernelIDF16_DF16_LN4vllm18Fp8KVCacheDataTypeE0EhLi16ELi128ELi256ELb1ELi3EEvPKT_PKT0_S7_ifPKiS9_S9_iPKfiiiPfSC_PS2_PT2_iSB_SB_.has_dyn_sized_stack, or(0, .L__assert_fail.has_dyn_sized_stack)
	.set _Z39paged_attention_ll4mi_QKV_mfma16_kernelIDF16_DF16_LN4vllm18Fp8KVCacheDataTypeE0EhLi16ELi128ELi256ELb1ELi3EEvPKT_PKT0_S7_ifPKiS9_S9_iPKfiiiPfSC_PS2_PT2_iSB_SB_.has_recursion, or(0, .L__assert_fail.has_recursion)
	.set _Z39paged_attention_ll4mi_QKV_mfma16_kernelIDF16_DF16_LN4vllm18Fp8KVCacheDataTypeE0EhLi16ELi128ELi256ELb1ELi3EEvPKT_PKT0_S7_ifPKiS9_S9_iPKfiiiPfSC_PS2_PT2_iSB_SB_.has_indirect_call, or(0, .L__assert_fail.has_indirect_call)
	.section	.AMDGPU.csdata,"",@progbits
; Kernel info:
; codeLenInByte = 68
; TotalNumSgprs: 36
; NumVgprs: 51
; ScratchSize: 64
; MemoryBound: 0
; FloatMode: 240
; IeeeMode: 1
; LDSByteSize: 0 bytes/workgroup (compile time only)
; SGPRBlocks: 0
; VGPRBlocks: 3
; NumSGPRsForWavesPerEU: 36
; NumVGPRsForWavesPerEU: 51
; NamedBarCnt: 0
; Occupancy: 16
; WaveLimiterHint : 1
; COMPUTE_PGM_RSRC2:SCRATCH_EN: 1
; COMPUTE_PGM_RSRC2:USER_SGPR: 2
; COMPUTE_PGM_RSRC2:TRAP_HANDLER: 0
; COMPUTE_PGM_RSRC2:TGID_X_EN: 1
; COMPUTE_PGM_RSRC2:TGID_Y_EN: 0
; COMPUTE_PGM_RSRC2:TGID_Z_EN: 0
; COMPUTE_PGM_RSRC2:TIDIG_COMP_CNT: 0
	.section	.text._Z39paged_attention_ll4mi_QKV_mfma16_kernelIDF16_DF16_LN4vllm18Fp8KVCacheDataTypeE0EhLi16ELi128ELi256ELb1ELi4EEvPKT_PKT0_S7_ifPKiS9_S9_iPKfiiiPfSC_PS2_PT2_iSB_SB_,"axG",@progbits,_Z39paged_attention_ll4mi_QKV_mfma16_kernelIDF16_DF16_LN4vllm18Fp8KVCacheDataTypeE0EhLi16ELi128ELi256ELb1ELi4EEvPKT_PKT0_S7_ifPKiS9_S9_iPKfiiiPfSC_PS2_PT2_iSB_SB_,comdat
	.protected	_Z39paged_attention_ll4mi_QKV_mfma16_kernelIDF16_DF16_LN4vllm18Fp8KVCacheDataTypeE0EhLi16ELi128ELi256ELb1ELi4EEvPKT_PKT0_S7_ifPKiS9_S9_iPKfiiiPfSC_PS2_PT2_iSB_SB_ ; -- Begin function _Z39paged_attention_ll4mi_QKV_mfma16_kernelIDF16_DF16_LN4vllm18Fp8KVCacheDataTypeE0EhLi16ELi128ELi256ELb1ELi4EEvPKT_PKT0_S7_ifPKiS9_S9_iPKfiiiPfSC_PS2_PT2_iSB_SB_
	.globl	_Z39paged_attention_ll4mi_QKV_mfma16_kernelIDF16_DF16_LN4vllm18Fp8KVCacheDataTypeE0EhLi16ELi128ELi256ELb1ELi4EEvPKT_PKT0_S7_ifPKiS9_S9_iPKfiiiPfSC_PS2_PT2_iSB_SB_
	.p2align	8
	.type	_Z39paged_attention_ll4mi_QKV_mfma16_kernelIDF16_DF16_LN4vllm18Fp8KVCacheDataTypeE0EhLi16ELi128ELi256ELb1ELi4EEvPKT_PKT0_S7_ifPKiS9_S9_iPKfiiiPfSC_PS2_PT2_iSB_SB_,@function
_Z39paged_attention_ll4mi_QKV_mfma16_kernelIDF16_DF16_LN4vllm18Fp8KVCacheDataTypeE0EhLi16ELi128ELi256ELb1ELi4EEvPKT_PKT0_S7_ifPKiS9_S9_iPKfiiiPfSC_PS2_PT2_iSB_SB_: ; @_Z39paged_attention_ll4mi_QKV_mfma16_kernelIDF16_DF16_LN4vllm18Fp8KVCacheDataTypeE0EhLi16ELi128ELi256ELb1ELi4EEvPKT_PKT0_S7_ifPKiS9_S9_iPKfiiiPfSC_PS2_PT2_iSB_SB_
; %bb.0:
	s_get_pc_i64 s[2:3]
	s_add_nc_u64 s[2:3], s[2:3], __PRETTY_FUNCTION__._Z39paged_attention_ll4mi_QKV_mfma16_kernelIDF16_DF16_LN4vllm18Fp8KVCacheDataTypeE0EhLi16ELi128ELi256ELb1ELi4EEvPKT_PKT0_S7_ifPKiS9_S9_iPKfiiiPfSC_PS2_PT2_iSB_SB_@rel64+4
	s_delay_alu instid0(SALU_CYCLE_1)
	v_dual_mov_b32 v0, 0xbb3 :: v_dual_mov_b32 v1, s2
	v_mov_b32_e32 v2, s3
	s_add_nc_u64 s[8:9], s[0:1], 0x90
	s_get_pc_i64 s[0:1]
	s_add_nc_u64 s[0:1], s[0:1], __assert_fail@rel64+4
	s_mov_b32 s32, 0
	s_swap_pc_i64 s[30:31], s[0:1]
	.section	.rodata,"a",@progbits
	.p2align	6, 0x0
	.amdhsa_kernel _Z39paged_attention_ll4mi_QKV_mfma16_kernelIDF16_DF16_LN4vllm18Fp8KVCacheDataTypeE0EhLi16ELi128ELi256ELb1ELi4EEvPKT_PKT0_S7_ifPKiS9_S9_iPKfiiiPfSC_PS2_PT2_iSB_SB_
		.amdhsa_group_segment_fixed_size 0
		.amdhsa_private_segment_fixed_size 64
		.amdhsa_kernarg_size 400
		.amdhsa_user_sgpr_count 2
		.amdhsa_user_sgpr_dispatch_ptr 0
		.amdhsa_user_sgpr_queue_ptr 0
		.amdhsa_user_sgpr_kernarg_segment_ptr 1
		.amdhsa_user_sgpr_dispatch_id 0
		.amdhsa_user_sgpr_kernarg_preload_length 0
		.amdhsa_user_sgpr_kernarg_preload_offset 0
		.amdhsa_user_sgpr_private_segment_size 0
		.amdhsa_wavefront_size32 1
		.amdhsa_uses_dynamic_stack 0
		.amdhsa_enable_private_segment 1
		.amdhsa_system_sgpr_workgroup_id_x 1
		.amdhsa_system_sgpr_workgroup_id_y 0
		.amdhsa_system_sgpr_workgroup_id_z 0
		.amdhsa_system_sgpr_workgroup_info 0
		.amdhsa_system_vgpr_workitem_id 0
		.amdhsa_next_free_vgpr 51
		.amdhsa_next_free_sgpr 34
		.amdhsa_named_barrier_count 0
		.amdhsa_reserve_vcc 1
		.amdhsa_float_round_mode_32 0
		.amdhsa_float_round_mode_16_64 0
		.amdhsa_float_denorm_mode_32 3
		.amdhsa_float_denorm_mode_16_64 3
		.amdhsa_fp16_overflow 0
		.amdhsa_memory_ordered 1
		.amdhsa_forward_progress 1
		.amdhsa_inst_pref_size 1
		.amdhsa_round_robin_scheduling 0
		.amdhsa_exception_fp_ieee_invalid_op 0
		.amdhsa_exception_fp_denorm_src 0
		.amdhsa_exception_fp_ieee_div_zero 0
		.amdhsa_exception_fp_ieee_overflow 0
		.amdhsa_exception_fp_ieee_underflow 0
		.amdhsa_exception_fp_ieee_inexact 0
		.amdhsa_exception_int_div_zero 0
	.end_amdhsa_kernel
	.section	.text._Z39paged_attention_ll4mi_QKV_mfma16_kernelIDF16_DF16_LN4vllm18Fp8KVCacheDataTypeE0EhLi16ELi128ELi256ELb1ELi4EEvPKT_PKT0_S7_ifPKiS9_S9_iPKfiiiPfSC_PS2_PT2_iSB_SB_,"axG",@progbits,_Z39paged_attention_ll4mi_QKV_mfma16_kernelIDF16_DF16_LN4vllm18Fp8KVCacheDataTypeE0EhLi16ELi128ELi256ELb1ELi4EEvPKT_PKT0_S7_ifPKiS9_S9_iPKfiiiPfSC_PS2_PT2_iSB_SB_,comdat
.Lfunc_end221:
	.size	_Z39paged_attention_ll4mi_QKV_mfma16_kernelIDF16_DF16_LN4vllm18Fp8KVCacheDataTypeE0EhLi16ELi128ELi256ELb1ELi4EEvPKT_PKT0_S7_ifPKiS9_S9_iPKfiiiPfSC_PS2_PT2_iSB_SB_, .Lfunc_end221-_Z39paged_attention_ll4mi_QKV_mfma16_kernelIDF16_DF16_LN4vllm18Fp8KVCacheDataTypeE0EhLi16ELi128ELi256ELb1ELi4EEvPKT_PKT0_S7_ifPKiS9_S9_iPKfiiiPfSC_PS2_PT2_iSB_SB_
                                        ; -- End function
	.set _Z39paged_attention_ll4mi_QKV_mfma16_kernelIDF16_DF16_LN4vllm18Fp8KVCacheDataTypeE0EhLi16ELi128ELi256ELb1ELi4EEvPKT_PKT0_S7_ifPKiS9_S9_iPKfiiiPfSC_PS2_PT2_iSB_SB_.num_vgpr, max(3, .L__assert_fail.num_vgpr)
	.set _Z39paged_attention_ll4mi_QKV_mfma16_kernelIDF16_DF16_LN4vllm18Fp8KVCacheDataTypeE0EhLi16ELi128ELi256ELb1ELi4EEvPKT_PKT0_S7_ifPKiS9_S9_iPKfiiiPfSC_PS2_PT2_iSB_SB_.num_agpr, max(0, .L__assert_fail.num_agpr)
	.set _Z39paged_attention_ll4mi_QKV_mfma16_kernelIDF16_DF16_LN4vllm18Fp8KVCacheDataTypeE0EhLi16ELi128ELi256ELb1ELi4EEvPKT_PKT0_S7_ifPKiS9_S9_iPKfiiiPfSC_PS2_PT2_iSB_SB_.numbered_sgpr, max(33, .L__assert_fail.numbered_sgpr)
	.set _Z39paged_attention_ll4mi_QKV_mfma16_kernelIDF16_DF16_LN4vllm18Fp8KVCacheDataTypeE0EhLi16ELi128ELi256ELb1ELi4EEvPKT_PKT0_S7_ifPKiS9_S9_iPKfiiiPfSC_PS2_PT2_iSB_SB_.num_named_barrier, max(0, .L__assert_fail.num_named_barrier)
	.set _Z39paged_attention_ll4mi_QKV_mfma16_kernelIDF16_DF16_LN4vllm18Fp8KVCacheDataTypeE0EhLi16ELi128ELi256ELb1ELi4EEvPKT_PKT0_S7_ifPKiS9_S9_iPKfiiiPfSC_PS2_PT2_iSB_SB_.private_seg_size, 0+max(.L__assert_fail.private_seg_size)
	.set _Z39paged_attention_ll4mi_QKV_mfma16_kernelIDF16_DF16_LN4vllm18Fp8KVCacheDataTypeE0EhLi16ELi128ELi256ELb1ELi4EEvPKT_PKT0_S7_ifPKiS9_S9_iPKfiiiPfSC_PS2_PT2_iSB_SB_.uses_vcc, or(1, .L__assert_fail.uses_vcc)
	.set _Z39paged_attention_ll4mi_QKV_mfma16_kernelIDF16_DF16_LN4vllm18Fp8KVCacheDataTypeE0EhLi16ELi128ELi256ELb1ELi4EEvPKT_PKT0_S7_ifPKiS9_S9_iPKfiiiPfSC_PS2_PT2_iSB_SB_.uses_flat_scratch, or(0, .L__assert_fail.uses_flat_scratch)
	.set _Z39paged_attention_ll4mi_QKV_mfma16_kernelIDF16_DF16_LN4vllm18Fp8KVCacheDataTypeE0EhLi16ELi128ELi256ELb1ELi4EEvPKT_PKT0_S7_ifPKiS9_S9_iPKfiiiPfSC_PS2_PT2_iSB_SB_.has_dyn_sized_stack, or(0, .L__assert_fail.has_dyn_sized_stack)
	.set _Z39paged_attention_ll4mi_QKV_mfma16_kernelIDF16_DF16_LN4vllm18Fp8KVCacheDataTypeE0EhLi16ELi128ELi256ELb1ELi4EEvPKT_PKT0_S7_ifPKiS9_S9_iPKfiiiPfSC_PS2_PT2_iSB_SB_.has_recursion, or(0, .L__assert_fail.has_recursion)
	.set _Z39paged_attention_ll4mi_QKV_mfma16_kernelIDF16_DF16_LN4vllm18Fp8KVCacheDataTypeE0EhLi16ELi128ELi256ELb1ELi4EEvPKT_PKT0_S7_ifPKiS9_S9_iPKfiiiPfSC_PS2_PT2_iSB_SB_.has_indirect_call, or(0, .L__assert_fail.has_indirect_call)
	.section	.AMDGPU.csdata,"",@progbits
; Kernel info:
; codeLenInByte = 68
; TotalNumSgprs: 36
; NumVgprs: 51
; ScratchSize: 64
; MemoryBound: 0
; FloatMode: 240
; IeeeMode: 1
; LDSByteSize: 0 bytes/workgroup (compile time only)
; SGPRBlocks: 0
; VGPRBlocks: 3
; NumSGPRsForWavesPerEU: 36
; NumVGPRsForWavesPerEU: 51
; NamedBarCnt: 0
; Occupancy: 16
; WaveLimiterHint : 1
; COMPUTE_PGM_RSRC2:SCRATCH_EN: 1
; COMPUTE_PGM_RSRC2:USER_SGPR: 2
; COMPUTE_PGM_RSRC2:TRAP_HANDLER: 0
; COMPUTE_PGM_RSRC2:TGID_X_EN: 1
; COMPUTE_PGM_RSRC2:TGID_Y_EN: 0
; COMPUTE_PGM_RSRC2:TGID_Z_EN: 0
; COMPUTE_PGM_RSRC2:TIDIG_COMP_CNT: 0
	.section	.text._Z35paged_attention_ll4mi_reduce_kernelIDF16_hLi128ELi128ELi256ELi9EEvPT0_PKfS3_PKT_PKiS8_iS3_,"axG",@progbits,_Z35paged_attention_ll4mi_reduce_kernelIDF16_hLi128ELi128ELi256ELi9EEvPT0_PKfS3_PKT_PKiS8_iS3_,comdat
	.protected	_Z35paged_attention_ll4mi_reduce_kernelIDF16_hLi128ELi128ELi256ELi9EEvPT0_PKfS3_PKT_PKiS8_iS3_ ; -- Begin function _Z35paged_attention_ll4mi_reduce_kernelIDF16_hLi128ELi128ELi256ELi9EEvPT0_PKfS3_PKT_PKiS8_iS3_
	.globl	_Z35paged_attention_ll4mi_reduce_kernelIDF16_hLi128ELi128ELi256ELi9EEvPT0_PKfS3_PKT_PKiS8_iS3_
	.p2align	8
	.type	_Z35paged_attention_ll4mi_reduce_kernelIDF16_hLi128ELi128ELi256ELi9EEvPT0_PKfS3_PKT_PKiS8_iS3_,@function
_Z35paged_attention_ll4mi_reduce_kernelIDF16_hLi128ELi128ELi256ELi9EEvPT0_PKfS3_PKT_PKiS8_iS3_: ; @_Z35paged_attention_ll4mi_reduce_kernelIDF16_hLi128ELi128ELi256ELi9EEvPT0_PKfS3_PKT_PKiS8_iS3_
; %bb.0:
	s_get_pc_i64 s[2:3]
	s_add_nc_u64 s[2:3], s[2:3], __PRETTY_FUNCTION__._Z35paged_attention_ll4mi_reduce_kernelIDF16_hLi128ELi128ELi256ELi9EEvPT0_PKfS3_PKT_PKiS8_iS3_@rel64+4
	s_delay_alu instid0(SALU_CYCLE_1)
	v_dual_mov_b32 v0, 0xbdd :: v_dual_mov_b32 v1, s2
	v_mov_b32_e32 v2, s3
	s_add_nc_u64 s[8:9], s[0:1], 64
	s_get_pc_i64 s[0:1]
	s_add_nc_u64 s[0:1], s[0:1], __assert_fail@rel64+4
	s_mov_b32 s32, 0
	s_swap_pc_i64 s[30:31], s[0:1]
	.section	.rodata,"a",@progbits
	.p2align	6, 0x0
	.amdhsa_kernel _Z35paged_attention_ll4mi_reduce_kernelIDF16_hLi128ELi128ELi256ELi9EEvPT0_PKfS3_PKT_PKiS8_iS3_
		.amdhsa_group_segment_fixed_size 0
		.amdhsa_private_segment_fixed_size 64
		.amdhsa_kernarg_size 320
		.amdhsa_user_sgpr_count 2
		.amdhsa_user_sgpr_dispatch_ptr 0
		.amdhsa_user_sgpr_queue_ptr 0
		.amdhsa_user_sgpr_kernarg_segment_ptr 1
		.amdhsa_user_sgpr_dispatch_id 0
		.amdhsa_user_sgpr_kernarg_preload_length 0
		.amdhsa_user_sgpr_kernarg_preload_offset 0
		.amdhsa_user_sgpr_private_segment_size 0
		.amdhsa_wavefront_size32 1
		.amdhsa_uses_dynamic_stack 0
		.amdhsa_enable_private_segment 1
		.amdhsa_system_sgpr_workgroup_id_x 1
		.amdhsa_system_sgpr_workgroup_id_y 0
		.amdhsa_system_sgpr_workgroup_id_z 0
		.amdhsa_system_sgpr_workgroup_info 0
		.amdhsa_system_vgpr_workitem_id 0
		.amdhsa_next_free_vgpr 51
		.amdhsa_next_free_sgpr 34
		.amdhsa_named_barrier_count 0
		.amdhsa_reserve_vcc 1
		.amdhsa_float_round_mode_32 0
		.amdhsa_float_round_mode_16_64 0
		.amdhsa_float_denorm_mode_32 3
		.amdhsa_float_denorm_mode_16_64 3
		.amdhsa_fp16_overflow 0
		.amdhsa_memory_ordered 1
		.amdhsa_forward_progress 1
		.amdhsa_inst_pref_size 1
		.amdhsa_round_robin_scheduling 0
		.amdhsa_exception_fp_ieee_invalid_op 0
		.amdhsa_exception_fp_denorm_src 0
		.amdhsa_exception_fp_ieee_div_zero 0
		.amdhsa_exception_fp_ieee_overflow 0
		.amdhsa_exception_fp_ieee_underflow 0
		.amdhsa_exception_fp_ieee_inexact 0
		.amdhsa_exception_int_div_zero 0
	.end_amdhsa_kernel
	.section	.text._Z35paged_attention_ll4mi_reduce_kernelIDF16_hLi128ELi128ELi256ELi9EEvPT0_PKfS3_PKT_PKiS8_iS3_,"axG",@progbits,_Z35paged_attention_ll4mi_reduce_kernelIDF16_hLi128ELi128ELi256ELi9EEvPT0_PKfS3_PKT_PKiS8_iS3_,comdat
.Lfunc_end222:
	.size	_Z35paged_attention_ll4mi_reduce_kernelIDF16_hLi128ELi128ELi256ELi9EEvPT0_PKfS3_PKT_PKiS8_iS3_, .Lfunc_end222-_Z35paged_attention_ll4mi_reduce_kernelIDF16_hLi128ELi128ELi256ELi9EEvPT0_PKfS3_PKT_PKiS8_iS3_
                                        ; -- End function
	.set _Z35paged_attention_ll4mi_reduce_kernelIDF16_hLi128ELi128ELi256ELi9EEvPT0_PKfS3_PKT_PKiS8_iS3_.num_vgpr, max(3, .L__assert_fail.num_vgpr)
	.set _Z35paged_attention_ll4mi_reduce_kernelIDF16_hLi128ELi128ELi256ELi9EEvPT0_PKfS3_PKT_PKiS8_iS3_.num_agpr, max(0, .L__assert_fail.num_agpr)
	.set _Z35paged_attention_ll4mi_reduce_kernelIDF16_hLi128ELi128ELi256ELi9EEvPT0_PKfS3_PKT_PKiS8_iS3_.numbered_sgpr, max(33, .L__assert_fail.numbered_sgpr)
	.set _Z35paged_attention_ll4mi_reduce_kernelIDF16_hLi128ELi128ELi256ELi9EEvPT0_PKfS3_PKT_PKiS8_iS3_.num_named_barrier, max(0, .L__assert_fail.num_named_barrier)
	.set _Z35paged_attention_ll4mi_reduce_kernelIDF16_hLi128ELi128ELi256ELi9EEvPT0_PKfS3_PKT_PKiS8_iS3_.private_seg_size, 0+max(.L__assert_fail.private_seg_size)
	.set _Z35paged_attention_ll4mi_reduce_kernelIDF16_hLi128ELi128ELi256ELi9EEvPT0_PKfS3_PKT_PKiS8_iS3_.uses_vcc, or(1, .L__assert_fail.uses_vcc)
	.set _Z35paged_attention_ll4mi_reduce_kernelIDF16_hLi128ELi128ELi256ELi9EEvPT0_PKfS3_PKT_PKiS8_iS3_.uses_flat_scratch, or(0, .L__assert_fail.uses_flat_scratch)
	.set _Z35paged_attention_ll4mi_reduce_kernelIDF16_hLi128ELi128ELi256ELi9EEvPT0_PKfS3_PKT_PKiS8_iS3_.has_dyn_sized_stack, or(0, .L__assert_fail.has_dyn_sized_stack)
	.set _Z35paged_attention_ll4mi_reduce_kernelIDF16_hLi128ELi128ELi256ELi9EEvPT0_PKfS3_PKT_PKiS8_iS3_.has_recursion, or(0, .L__assert_fail.has_recursion)
	.set _Z35paged_attention_ll4mi_reduce_kernelIDF16_hLi128ELi128ELi256ELi9EEvPT0_PKfS3_PKT_PKiS8_iS3_.has_indirect_call, or(0, .L__assert_fail.has_indirect_call)
	.section	.AMDGPU.csdata,"",@progbits
; Kernel info:
; codeLenInByte = 64
; TotalNumSgprs: 36
; NumVgprs: 51
; ScratchSize: 64
; MemoryBound: 0
; FloatMode: 240
; IeeeMode: 1
; LDSByteSize: 0 bytes/workgroup (compile time only)
; SGPRBlocks: 0
; VGPRBlocks: 3
; NumSGPRsForWavesPerEU: 36
; NumVGPRsForWavesPerEU: 51
; NamedBarCnt: 0
; Occupancy: 16
; WaveLimiterHint : 1
; COMPUTE_PGM_RSRC2:SCRATCH_EN: 1
; COMPUTE_PGM_RSRC2:USER_SGPR: 2
; COMPUTE_PGM_RSRC2:TRAP_HANDLER: 0
; COMPUTE_PGM_RSRC2:TGID_X_EN: 1
; COMPUTE_PGM_RSRC2:TGID_Y_EN: 0
; COMPUTE_PGM_RSRC2:TGID_Z_EN: 0
; COMPUTE_PGM_RSRC2:TIDIG_COMP_CNT: 0
	.section	.text._Z35paged_attention_ll4mi_reduce_kernelIDF16_hLi128ELi128ELi256ELi10EEvPT0_PKfS3_PKT_PKiS8_iS3_,"axG",@progbits,_Z35paged_attention_ll4mi_reduce_kernelIDF16_hLi128ELi128ELi256ELi10EEvPT0_PKfS3_PKT_PKiS8_iS3_,comdat
	.protected	_Z35paged_attention_ll4mi_reduce_kernelIDF16_hLi128ELi128ELi256ELi10EEvPT0_PKfS3_PKT_PKiS8_iS3_ ; -- Begin function _Z35paged_attention_ll4mi_reduce_kernelIDF16_hLi128ELi128ELi256ELi10EEvPT0_PKfS3_PKT_PKiS8_iS3_
	.globl	_Z35paged_attention_ll4mi_reduce_kernelIDF16_hLi128ELi128ELi256ELi10EEvPT0_PKfS3_PKT_PKiS8_iS3_
	.p2align	8
	.type	_Z35paged_attention_ll4mi_reduce_kernelIDF16_hLi128ELi128ELi256ELi10EEvPT0_PKfS3_PKT_PKiS8_iS3_,@function
_Z35paged_attention_ll4mi_reduce_kernelIDF16_hLi128ELi128ELi256ELi10EEvPT0_PKfS3_PKT_PKiS8_iS3_: ; @_Z35paged_attention_ll4mi_reduce_kernelIDF16_hLi128ELi128ELi256ELi10EEvPT0_PKfS3_PKT_PKiS8_iS3_
; %bb.0:
	s_get_pc_i64 s[2:3]
	s_add_nc_u64 s[2:3], s[2:3], __PRETTY_FUNCTION__._Z35paged_attention_ll4mi_reduce_kernelIDF16_hLi128ELi128ELi256ELi10EEvPT0_PKfS3_PKT_PKiS8_iS3_@rel64+4
	s_delay_alu instid0(SALU_CYCLE_1)
	v_dual_mov_b32 v0, 0xbdd :: v_dual_mov_b32 v1, s2
	v_mov_b32_e32 v2, s3
	s_add_nc_u64 s[8:9], s[0:1], 64
	s_get_pc_i64 s[0:1]
	s_add_nc_u64 s[0:1], s[0:1], __assert_fail@rel64+4
	s_mov_b32 s32, 0
	s_swap_pc_i64 s[30:31], s[0:1]
	.section	.rodata,"a",@progbits
	.p2align	6, 0x0
	.amdhsa_kernel _Z35paged_attention_ll4mi_reduce_kernelIDF16_hLi128ELi128ELi256ELi10EEvPT0_PKfS3_PKT_PKiS8_iS3_
		.amdhsa_group_segment_fixed_size 0
		.amdhsa_private_segment_fixed_size 64
		.amdhsa_kernarg_size 320
		.amdhsa_user_sgpr_count 2
		.amdhsa_user_sgpr_dispatch_ptr 0
		.amdhsa_user_sgpr_queue_ptr 0
		.amdhsa_user_sgpr_kernarg_segment_ptr 1
		.amdhsa_user_sgpr_dispatch_id 0
		.amdhsa_user_sgpr_kernarg_preload_length 0
		.amdhsa_user_sgpr_kernarg_preload_offset 0
		.amdhsa_user_sgpr_private_segment_size 0
		.amdhsa_wavefront_size32 1
		.amdhsa_uses_dynamic_stack 0
		.amdhsa_enable_private_segment 1
		.amdhsa_system_sgpr_workgroup_id_x 1
		.amdhsa_system_sgpr_workgroup_id_y 0
		.amdhsa_system_sgpr_workgroup_id_z 0
		.amdhsa_system_sgpr_workgroup_info 0
		.amdhsa_system_vgpr_workitem_id 0
		.amdhsa_next_free_vgpr 51
		.amdhsa_next_free_sgpr 34
		.amdhsa_named_barrier_count 0
		.amdhsa_reserve_vcc 1
		.amdhsa_float_round_mode_32 0
		.amdhsa_float_round_mode_16_64 0
		.amdhsa_float_denorm_mode_32 3
		.amdhsa_float_denorm_mode_16_64 3
		.amdhsa_fp16_overflow 0
		.amdhsa_memory_ordered 1
		.amdhsa_forward_progress 1
		.amdhsa_inst_pref_size 1
		.amdhsa_round_robin_scheduling 0
		.amdhsa_exception_fp_ieee_invalid_op 0
		.amdhsa_exception_fp_denorm_src 0
		.amdhsa_exception_fp_ieee_div_zero 0
		.amdhsa_exception_fp_ieee_overflow 0
		.amdhsa_exception_fp_ieee_underflow 0
		.amdhsa_exception_fp_ieee_inexact 0
		.amdhsa_exception_int_div_zero 0
	.end_amdhsa_kernel
	.section	.text._Z35paged_attention_ll4mi_reduce_kernelIDF16_hLi128ELi128ELi256ELi10EEvPT0_PKfS3_PKT_PKiS8_iS3_,"axG",@progbits,_Z35paged_attention_ll4mi_reduce_kernelIDF16_hLi128ELi128ELi256ELi10EEvPT0_PKfS3_PKT_PKiS8_iS3_,comdat
.Lfunc_end223:
	.size	_Z35paged_attention_ll4mi_reduce_kernelIDF16_hLi128ELi128ELi256ELi10EEvPT0_PKfS3_PKT_PKiS8_iS3_, .Lfunc_end223-_Z35paged_attention_ll4mi_reduce_kernelIDF16_hLi128ELi128ELi256ELi10EEvPT0_PKfS3_PKT_PKiS8_iS3_
                                        ; -- End function
	.set _Z35paged_attention_ll4mi_reduce_kernelIDF16_hLi128ELi128ELi256ELi10EEvPT0_PKfS3_PKT_PKiS8_iS3_.num_vgpr, max(3, .L__assert_fail.num_vgpr)
	.set _Z35paged_attention_ll4mi_reduce_kernelIDF16_hLi128ELi128ELi256ELi10EEvPT0_PKfS3_PKT_PKiS8_iS3_.num_agpr, max(0, .L__assert_fail.num_agpr)
	.set _Z35paged_attention_ll4mi_reduce_kernelIDF16_hLi128ELi128ELi256ELi10EEvPT0_PKfS3_PKT_PKiS8_iS3_.numbered_sgpr, max(33, .L__assert_fail.numbered_sgpr)
	.set _Z35paged_attention_ll4mi_reduce_kernelIDF16_hLi128ELi128ELi256ELi10EEvPT0_PKfS3_PKT_PKiS8_iS3_.num_named_barrier, max(0, .L__assert_fail.num_named_barrier)
	.set _Z35paged_attention_ll4mi_reduce_kernelIDF16_hLi128ELi128ELi256ELi10EEvPT0_PKfS3_PKT_PKiS8_iS3_.private_seg_size, 0+max(.L__assert_fail.private_seg_size)
	.set _Z35paged_attention_ll4mi_reduce_kernelIDF16_hLi128ELi128ELi256ELi10EEvPT0_PKfS3_PKT_PKiS8_iS3_.uses_vcc, or(1, .L__assert_fail.uses_vcc)
	.set _Z35paged_attention_ll4mi_reduce_kernelIDF16_hLi128ELi128ELi256ELi10EEvPT0_PKfS3_PKT_PKiS8_iS3_.uses_flat_scratch, or(0, .L__assert_fail.uses_flat_scratch)
	.set _Z35paged_attention_ll4mi_reduce_kernelIDF16_hLi128ELi128ELi256ELi10EEvPT0_PKfS3_PKT_PKiS8_iS3_.has_dyn_sized_stack, or(0, .L__assert_fail.has_dyn_sized_stack)
	.set _Z35paged_attention_ll4mi_reduce_kernelIDF16_hLi128ELi128ELi256ELi10EEvPT0_PKfS3_PKT_PKiS8_iS3_.has_recursion, or(0, .L__assert_fail.has_recursion)
	.set _Z35paged_attention_ll4mi_reduce_kernelIDF16_hLi128ELi128ELi256ELi10EEvPT0_PKfS3_PKT_PKiS8_iS3_.has_indirect_call, or(0, .L__assert_fail.has_indirect_call)
	.section	.AMDGPU.csdata,"",@progbits
; Kernel info:
; codeLenInByte = 64
; TotalNumSgprs: 36
; NumVgprs: 51
; ScratchSize: 64
; MemoryBound: 0
; FloatMode: 240
; IeeeMode: 1
; LDSByteSize: 0 bytes/workgroup (compile time only)
; SGPRBlocks: 0
; VGPRBlocks: 3
; NumSGPRsForWavesPerEU: 36
; NumVGPRsForWavesPerEU: 51
; NamedBarCnt: 0
; Occupancy: 16
; WaveLimiterHint : 1
; COMPUTE_PGM_RSRC2:SCRATCH_EN: 1
; COMPUTE_PGM_RSRC2:USER_SGPR: 2
; COMPUTE_PGM_RSRC2:TRAP_HANDLER: 0
; COMPUTE_PGM_RSRC2:TGID_X_EN: 1
; COMPUTE_PGM_RSRC2:TGID_Y_EN: 0
; COMPUTE_PGM_RSRC2:TGID_Z_EN: 0
; COMPUTE_PGM_RSRC2:TIDIG_COMP_CNT: 0
	.section	.text._Z35paged_attention_ll4mi_reduce_kernelIDF16_hLi128ELi128ELi256ELi11EEvPT0_PKfS3_PKT_PKiS8_iS3_,"axG",@progbits,_Z35paged_attention_ll4mi_reduce_kernelIDF16_hLi128ELi128ELi256ELi11EEvPT0_PKfS3_PKT_PKiS8_iS3_,comdat
	.protected	_Z35paged_attention_ll4mi_reduce_kernelIDF16_hLi128ELi128ELi256ELi11EEvPT0_PKfS3_PKT_PKiS8_iS3_ ; -- Begin function _Z35paged_attention_ll4mi_reduce_kernelIDF16_hLi128ELi128ELi256ELi11EEvPT0_PKfS3_PKT_PKiS8_iS3_
	.globl	_Z35paged_attention_ll4mi_reduce_kernelIDF16_hLi128ELi128ELi256ELi11EEvPT0_PKfS3_PKT_PKiS8_iS3_
	.p2align	8
	.type	_Z35paged_attention_ll4mi_reduce_kernelIDF16_hLi128ELi128ELi256ELi11EEvPT0_PKfS3_PKT_PKiS8_iS3_,@function
_Z35paged_attention_ll4mi_reduce_kernelIDF16_hLi128ELi128ELi256ELi11EEvPT0_PKfS3_PKT_PKiS8_iS3_: ; @_Z35paged_attention_ll4mi_reduce_kernelIDF16_hLi128ELi128ELi256ELi11EEvPT0_PKfS3_PKT_PKiS8_iS3_
; %bb.0:
	s_get_pc_i64 s[2:3]
	s_add_nc_u64 s[2:3], s[2:3], __PRETTY_FUNCTION__._Z35paged_attention_ll4mi_reduce_kernelIDF16_hLi128ELi128ELi256ELi11EEvPT0_PKfS3_PKT_PKiS8_iS3_@rel64+4
	s_delay_alu instid0(SALU_CYCLE_1)
	v_dual_mov_b32 v0, 0xbdd :: v_dual_mov_b32 v1, s2
	v_mov_b32_e32 v2, s3
	s_add_nc_u64 s[8:9], s[0:1], 64
	s_get_pc_i64 s[0:1]
	s_add_nc_u64 s[0:1], s[0:1], __assert_fail@rel64+4
	s_mov_b32 s32, 0
	s_swap_pc_i64 s[30:31], s[0:1]
	.section	.rodata,"a",@progbits
	.p2align	6, 0x0
	.amdhsa_kernel _Z35paged_attention_ll4mi_reduce_kernelIDF16_hLi128ELi128ELi256ELi11EEvPT0_PKfS3_PKT_PKiS8_iS3_
		.amdhsa_group_segment_fixed_size 0
		.amdhsa_private_segment_fixed_size 64
		.amdhsa_kernarg_size 320
		.amdhsa_user_sgpr_count 2
		.amdhsa_user_sgpr_dispatch_ptr 0
		.amdhsa_user_sgpr_queue_ptr 0
		.amdhsa_user_sgpr_kernarg_segment_ptr 1
		.amdhsa_user_sgpr_dispatch_id 0
		.amdhsa_user_sgpr_kernarg_preload_length 0
		.amdhsa_user_sgpr_kernarg_preload_offset 0
		.amdhsa_user_sgpr_private_segment_size 0
		.amdhsa_wavefront_size32 1
		.amdhsa_uses_dynamic_stack 0
		.amdhsa_enable_private_segment 1
		.amdhsa_system_sgpr_workgroup_id_x 1
		.amdhsa_system_sgpr_workgroup_id_y 0
		.amdhsa_system_sgpr_workgroup_id_z 0
		.amdhsa_system_sgpr_workgroup_info 0
		.amdhsa_system_vgpr_workitem_id 0
		.amdhsa_next_free_vgpr 51
		.amdhsa_next_free_sgpr 34
		.amdhsa_named_barrier_count 0
		.amdhsa_reserve_vcc 1
		.amdhsa_float_round_mode_32 0
		.amdhsa_float_round_mode_16_64 0
		.amdhsa_float_denorm_mode_32 3
		.amdhsa_float_denorm_mode_16_64 3
		.amdhsa_fp16_overflow 0
		.amdhsa_memory_ordered 1
		.amdhsa_forward_progress 1
		.amdhsa_inst_pref_size 1
		.amdhsa_round_robin_scheduling 0
		.amdhsa_exception_fp_ieee_invalid_op 0
		.amdhsa_exception_fp_denorm_src 0
		.amdhsa_exception_fp_ieee_div_zero 0
		.amdhsa_exception_fp_ieee_overflow 0
		.amdhsa_exception_fp_ieee_underflow 0
		.amdhsa_exception_fp_ieee_inexact 0
		.amdhsa_exception_int_div_zero 0
	.end_amdhsa_kernel
	.section	.text._Z35paged_attention_ll4mi_reduce_kernelIDF16_hLi128ELi128ELi256ELi11EEvPT0_PKfS3_PKT_PKiS8_iS3_,"axG",@progbits,_Z35paged_attention_ll4mi_reduce_kernelIDF16_hLi128ELi128ELi256ELi11EEvPT0_PKfS3_PKT_PKiS8_iS3_,comdat
.Lfunc_end224:
	.size	_Z35paged_attention_ll4mi_reduce_kernelIDF16_hLi128ELi128ELi256ELi11EEvPT0_PKfS3_PKT_PKiS8_iS3_, .Lfunc_end224-_Z35paged_attention_ll4mi_reduce_kernelIDF16_hLi128ELi128ELi256ELi11EEvPT0_PKfS3_PKT_PKiS8_iS3_
                                        ; -- End function
	.set _Z35paged_attention_ll4mi_reduce_kernelIDF16_hLi128ELi128ELi256ELi11EEvPT0_PKfS3_PKT_PKiS8_iS3_.num_vgpr, max(3, .L__assert_fail.num_vgpr)
	.set _Z35paged_attention_ll4mi_reduce_kernelIDF16_hLi128ELi128ELi256ELi11EEvPT0_PKfS3_PKT_PKiS8_iS3_.num_agpr, max(0, .L__assert_fail.num_agpr)
	.set _Z35paged_attention_ll4mi_reduce_kernelIDF16_hLi128ELi128ELi256ELi11EEvPT0_PKfS3_PKT_PKiS8_iS3_.numbered_sgpr, max(33, .L__assert_fail.numbered_sgpr)
	.set _Z35paged_attention_ll4mi_reduce_kernelIDF16_hLi128ELi128ELi256ELi11EEvPT0_PKfS3_PKT_PKiS8_iS3_.num_named_barrier, max(0, .L__assert_fail.num_named_barrier)
	.set _Z35paged_attention_ll4mi_reduce_kernelIDF16_hLi128ELi128ELi256ELi11EEvPT0_PKfS3_PKT_PKiS8_iS3_.private_seg_size, 0+max(.L__assert_fail.private_seg_size)
	.set _Z35paged_attention_ll4mi_reduce_kernelIDF16_hLi128ELi128ELi256ELi11EEvPT0_PKfS3_PKT_PKiS8_iS3_.uses_vcc, or(1, .L__assert_fail.uses_vcc)
	.set _Z35paged_attention_ll4mi_reduce_kernelIDF16_hLi128ELi128ELi256ELi11EEvPT0_PKfS3_PKT_PKiS8_iS3_.uses_flat_scratch, or(0, .L__assert_fail.uses_flat_scratch)
	.set _Z35paged_attention_ll4mi_reduce_kernelIDF16_hLi128ELi128ELi256ELi11EEvPT0_PKfS3_PKT_PKiS8_iS3_.has_dyn_sized_stack, or(0, .L__assert_fail.has_dyn_sized_stack)
	.set _Z35paged_attention_ll4mi_reduce_kernelIDF16_hLi128ELi128ELi256ELi11EEvPT0_PKfS3_PKT_PKiS8_iS3_.has_recursion, or(0, .L__assert_fail.has_recursion)
	.set _Z35paged_attention_ll4mi_reduce_kernelIDF16_hLi128ELi128ELi256ELi11EEvPT0_PKfS3_PKT_PKiS8_iS3_.has_indirect_call, or(0, .L__assert_fail.has_indirect_call)
	.section	.AMDGPU.csdata,"",@progbits
; Kernel info:
; codeLenInByte = 64
; TotalNumSgprs: 36
; NumVgprs: 51
; ScratchSize: 64
; MemoryBound: 0
; FloatMode: 240
; IeeeMode: 1
; LDSByteSize: 0 bytes/workgroup (compile time only)
; SGPRBlocks: 0
; VGPRBlocks: 3
; NumSGPRsForWavesPerEU: 36
; NumVGPRsForWavesPerEU: 51
; NamedBarCnt: 0
; Occupancy: 16
; WaveLimiterHint : 1
; COMPUTE_PGM_RSRC2:SCRATCH_EN: 1
; COMPUTE_PGM_RSRC2:USER_SGPR: 2
; COMPUTE_PGM_RSRC2:TRAP_HANDLER: 0
; COMPUTE_PGM_RSRC2:TGID_X_EN: 1
; COMPUTE_PGM_RSRC2:TGID_Y_EN: 0
; COMPUTE_PGM_RSRC2:TGID_Z_EN: 0
; COMPUTE_PGM_RSRC2:TIDIG_COMP_CNT: 0
	.section	.text._Z35paged_attention_ll4mi_reduce_kernelIDF16_hLi128ELi128ELi256ELi12EEvPT0_PKfS3_PKT_PKiS8_iS3_,"axG",@progbits,_Z35paged_attention_ll4mi_reduce_kernelIDF16_hLi128ELi128ELi256ELi12EEvPT0_PKfS3_PKT_PKiS8_iS3_,comdat
	.protected	_Z35paged_attention_ll4mi_reduce_kernelIDF16_hLi128ELi128ELi256ELi12EEvPT0_PKfS3_PKT_PKiS8_iS3_ ; -- Begin function _Z35paged_attention_ll4mi_reduce_kernelIDF16_hLi128ELi128ELi256ELi12EEvPT0_PKfS3_PKT_PKiS8_iS3_
	.globl	_Z35paged_attention_ll4mi_reduce_kernelIDF16_hLi128ELi128ELi256ELi12EEvPT0_PKfS3_PKT_PKiS8_iS3_
	.p2align	8
	.type	_Z35paged_attention_ll4mi_reduce_kernelIDF16_hLi128ELi128ELi256ELi12EEvPT0_PKfS3_PKT_PKiS8_iS3_,@function
_Z35paged_attention_ll4mi_reduce_kernelIDF16_hLi128ELi128ELi256ELi12EEvPT0_PKfS3_PKT_PKiS8_iS3_: ; @_Z35paged_attention_ll4mi_reduce_kernelIDF16_hLi128ELi128ELi256ELi12EEvPT0_PKfS3_PKT_PKiS8_iS3_
; %bb.0:
	s_get_pc_i64 s[2:3]
	s_add_nc_u64 s[2:3], s[2:3], __PRETTY_FUNCTION__._Z35paged_attention_ll4mi_reduce_kernelIDF16_hLi128ELi128ELi256ELi12EEvPT0_PKfS3_PKT_PKiS8_iS3_@rel64+4
	s_delay_alu instid0(SALU_CYCLE_1)
	v_dual_mov_b32 v0, 0xbdd :: v_dual_mov_b32 v1, s2
	v_mov_b32_e32 v2, s3
	s_add_nc_u64 s[8:9], s[0:1], 64
	s_get_pc_i64 s[0:1]
	s_add_nc_u64 s[0:1], s[0:1], __assert_fail@rel64+4
	s_mov_b32 s32, 0
	s_swap_pc_i64 s[30:31], s[0:1]
	.section	.rodata,"a",@progbits
	.p2align	6, 0x0
	.amdhsa_kernel _Z35paged_attention_ll4mi_reduce_kernelIDF16_hLi128ELi128ELi256ELi12EEvPT0_PKfS3_PKT_PKiS8_iS3_
		.amdhsa_group_segment_fixed_size 0
		.amdhsa_private_segment_fixed_size 64
		.amdhsa_kernarg_size 320
		.amdhsa_user_sgpr_count 2
		.amdhsa_user_sgpr_dispatch_ptr 0
		.amdhsa_user_sgpr_queue_ptr 0
		.amdhsa_user_sgpr_kernarg_segment_ptr 1
		.amdhsa_user_sgpr_dispatch_id 0
		.amdhsa_user_sgpr_kernarg_preload_length 0
		.amdhsa_user_sgpr_kernarg_preload_offset 0
		.amdhsa_user_sgpr_private_segment_size 0
		.amdhsa_wavefront_size32 1
		.amdhsa_uses_dynamic_stack 0
		.amdhsa_enable_private_segment 1
		.amdhsa_system_sgpr_workgroup_id_x 1
		.amdhsa_system_sgpr_workgroup_id_y 0
		.amdhsa_system_sgpr_workgroup_id_z 0
		.amdhsa_system_sgpr_workgroup_info 0
		.amdhsa_system_vgpr_workitem_id 0
		.amdhsa_next_free_vgpr 51
		.amdhsa_next_free_sgpr 34
		.amdhsa_named_barrier_count 0
		.amdhsa_reserve_vcc 1
		.amdhsa_float_round_mode_32 0
		.amdhsa_float_round_mode_16_64 0
		.amdhsa_float_denorm_mode_32 3
		.amdhsa_float_denorm_mode_16_64 3
		.amdhsa_fp16_overflow 0
		.amdhsa_memory_ordered 1
		.amdhsa_forward_progress 1
		.amdhsa_inst_pref_size 1
		.amdhsa_round_robin_scheduling 0
		.amdhsa_exception_fp_ieee_invalid_op 0
		.amdhsa_exception_fp_denorm_src 0
		.amdhsa_exception_fp_ieee_div_zero 0
		.amdhsa_exception_fp_ieee_overflow 0
		.amdhsa_exception_fp_ieee_underflow 0
		.amdhsa_exception_fp_ieee_inexact 0
		.amdhsa_exception_int_div_zero 0
	.end_amdhsa_kernel
	.section	.text._Z35paged_attention_ll4mi_reduce_kernelIDF16_hLi128ELi128ELi256ELi12EEvPT0_PKfS3_PKT_PKiS8_iS3_,"axG",@progbits,_Z35paged_attention_ll4mi_reduce_kernelIDF16_hLi128ELi128ELi256ELi12EEvPT0_PKfS3_PKT_PKiS8_iS3_,comdat
.Lfunc_end225:
	.size	_Z35paged_attention_ll4mi_reduce_kernelIDF16_hLi128ELi128ELi256ELi12EEvPT0_PKfS3_PKT_PKiS8_iS3_, .Lfunc_end225-_Z35paged_attention_ll4mi_reduce_kernelIDF16_hLi128ELi128ELi256ELi12EEvPT0_PKfS3_PKT_PKiS8_iS3_
                                        ; -- End function
	.set _Z35paged_attention_ll4mi_reduce_kernelIDF16_hLi128ELi128ELi256ELi12EEvPT0_PKfS3_PKT_PKiS8_iS3_.num_vgpr, max(3, .L__assert_fail.num_vgpr)
	.set _Z35paged_attention_ll4mi_reduce_kernelIDF16_hLi128ELi128ELi256ELi12EEvPT0_PKfS3_PKT_PKiS8_iS3_.num_agpr, max(0, .L__assert_fail.num_agpr)
	.set _Z35paged_attention_ll4mi_reduce_kernelIDF16_hLi128ELi128ELi256ELi12EEvPT0_PKfS3_PKT_PKiS8_iS3_.numbered_sgpr, max(33, .L__assert_fail.numbered_sgpr)
	.set _Z35paged_attention_ll4mi_reduce_kernelIDF16_hLi128ELi128ELi256ELi12EEvPT0_PKfS3_PKT_PKiS8_iS3_.num_named_barrier, max(0, .L__assert_fail.num_named_barrier)
	.set _Z35paged_attention_ll4mi_reduce_kernelIDF16_hLi128ELi128ELi256ELi12EEvPT0_PKfS3_PKT_PKiS8_iS3_.private_seg_size, 0+max(.L__assert_fail.private_seg_size)
	.set _Z35paged_attention_ll4mi_reduce_kernelIDF16_hLi128ELi128ELi256ELi12EEvPT0_PKfS3_PKT_PKiS8_iS3_.uses_vcc, or(1, .L__assert_fail.uses_vcc)
	.set _Z35paged_attention_ll4mi_reduce_kernelIDF16_hLi128ELi128ELi256ELi12EEvPT0_PKfS3_PKT_PKiS8_iS3_.uses_flat_scratch, or(0, .L__assert_fail.uses_flat_scratch)
	.set _Z35paged_attention_ll4mi_reduce_kernelIDF16_hLi128ELi128ELi256ELi12EEvPT0_PKfS3_PKT_PKiS8_iS3_.has_dyn_sized_stack, or(0, .L__assert_fail.has_dyn_sized_stack)
	.set _Z35paged_attention_ll4mi_reduce_kernelIDF16_hLi128ELi128ELi256ELi12EEvPT0_PKfS3_PKT_PKiS8_iS3_.has_recursion, or(0, .L__assert_fail.has_recursion)
	.set _Z35paged_attention_ll4mi_reduce_kernelIDF16_hLi128ELi128ELi256ELi12EEvPT0_PKfS3_PKT_PKiS8_iS3_.has_indirect_call, or(0, .L__assert_fail.has_indirect_call)
	.section	.AMDGPU.csdata,"",@progbits
; Kernel info:
; codeLenInByte = 64
; TotalNumSgprs: 36
; NumVgprs: 51
; ScratchSize: 64
; MemoryBound: 0
; FloatMode: 240
; IeeeMode: 1
; LDSByteSize: 0 bytes/workgroup (compile time only)
; SGPRBlocks: 0
; VGPRBlocks: 3
; NumSGPRsForWavesPerEU: 36
; NumVGPRsForWavesPerEU: 51
; NamedBarCnt: 0
; Occupancy: 16
; WaveLimiterHint : 1
; COMPUTE_PGM_RSRC2:SCRATCH_EN: 1
; COMPUTE_PGM_RSRC2:USER_SGPR: 2
; COMPUTE_PGM_RSRC2:TRAP_HANDLER: 0
; COMPUTE_PGM_RSRC2:TGID_X_EN: 1
; COMPUTE_PGM_RSRC2:TGID_Y_EN: 0
; COMPUTE_PGM_RSRC2:TGID_Z_EN: 0
; COMPUTE_PGM_RSRC2:TIDIG_COMP_CNT: 0
	.section	.text._Z35paged_attention_ll4mi_reduce_kernelIDF16_hLi128ELi128ELi256ELi13EEvPT0_PKfS3_PKT_PKiS8_iS3_,"axG",@progbits,_Z35paged_attention_ll4mi_reduce_kernelIDF16_hLi128ELi128ELi256ELi13EEvPT0_PKfS3_PKT_PKiS8_iS3_,comdat
	.protected	_Z35paged_attention_ll4mi_reduce_kernelIDF16_hLi128ELi128ELi256ELi13EEvPT0_PKfS3_PKT_PKiS8_iS3_ ; -- Begin function _Z35paged_attention_ll4mi_reduce_kernelIDF16_hLi128ELi128ELi256ELi13EEvPT0_PKfS3_PKT_PKiS8_iS3_
	.globl	_Z35paged_attention_ll4mi_reduce_kernelIDF16_hLi128ELi128ELi256ELi13EEvPT0_PKfS3_PKT_PKiS8_iS3_
	.p2align	8
	.type	_Z35paged_attention_ll4mi_reduce_kernelIDF16_hLi128ELi128ELi256ELi13EEvPT0_PKfS3_PKT_PKiS8_iS3_,@function
_Z35paged_attention_ll4mi_reduce_kernelIDF16_hLi128ELi128ELi256ELi13EEvPT0_PKfS3_PKT_PKiS8_iS3_: ; @_Z35paged_attention_ll4mi_reduce_kernelIDF16_hLi128ELi128ELi256ELi13EEvPT0_PKfS3_PKT_PKiS8_iS3_
; %bb.0:
	s_get_pc_i64 s[2:3]
	s_add_nc_u64 s[2:3], s[2:3], __PRETTY_FUNCTION__._Z35paged_attention_ll4mi_reduce_kernelIDF16_hLi128ELi128ELi256ELi13EEvPT0_PKfS3_PKT_PKiS8_iS3_@rel64+4
	s_delay_alu instid0(SALU_CYCLE_1)
	v_dual_mov_b32 v0, 0xbdd :: v_dual_mov_b32 v1, s2
	v_mov_b32_e32 v2, s3
	s_add_nc_u64 s[8:9], s[0:1], 64
	s_get_pc_i64 s[0:1]
	s_add_nc_u64 s[0:1], s[0:1], __assert_fail@rel64+4
	s_mov_b32 s32, 0
	s_swap_pc_i64 s[30:31], s[0:1]
	.section	.rodata,"a",@progbits
	.p2align	6, 0x0
	.amdhsa_kernel _Z35paged_attention_ll4mi_reduce_kernelIDF16_hLi128ELi128ELi256ELi13EEvPT0_PKfS3_PKT_PKiS8_iS3_
		.amdhsa_group_segment_fixed_size 0
		.amdhsa_private_segment_fixed_size 64
		.amdhsa_kernarg_size 320
		.amdhsa_user_sgpr_count 2
		.amdhsa_user_sgpr_dispatch_ptr 0
		.amdhsa_user_sgpr_queue_ptr 0
		.amdhsa_user_sgpr_kernarg_segment_ptr 1
		.amdhsa_user_sgpr_dispatch_id 0
		.amdhsa_user_sgpr_kernarg_preload_length 0
		.amdhsa_user_sgpr_kernarg_preload_offset 0
		.amdhsa_user_sgpr_private_segment_size 0
		.amdhsa_wavefront_size32 1
		.amdhsa_uses_dynamic_stack 0
		.amdhsa_enable_private_segment 1
		.amdhsa_system_sgpr_workgroup_id_x 1
		.amdhsa_system_sgpr_workgroup_id_y 0
		.amdhsa_system_sgpr_workgroup_id_z 0
		.amdhsa_system_sgpr_workgroup_info 0
		.amdhsa_system_vgpr_workitem_id 0
		.amdhsa_next_free_vgpr 51
		.amdhsa_next_free_sgpr 34
		.amdhsa_named_barrier_count 0
		.amdhsa_reserve_vcc 1
		.amdhsa_float_round_mode_32 0
		.amdhsa_float_round_mode_16_64 0
		.amdhsa_float_denorm_mode_32 3
		.amdhsa_float_denorm_mode_16_64 3
		.amdhsa_fp16_overflow 0
		.amdhsa_memory_ordered 1
		.amdhsa_forward_progress 1
		.amdhsa_inst_pref_size 1
		.amdhsa_round_robin_scheduling 0
		.amdhsa_exception_fp_ieee_invalid_op 0
		.amdhsa_exception_fp_denorm_src 0
		.amdhsa_exception_fp_ieee_div_zero 0
		.amdhsa_exception_fp_ieee_overflow 0
		.amdhsa_exception_fp_ieee_underflow 0
		.amdhsa_exception_fp_ieee_inexact 0
		.amdhsa_exception_int_div_zero 0
	.end_amdhsa_kernel
	.section	.text._Z35paged_attention_ll4mi_reduce_kernelIDF16_hLi128ELi128ELi256ELi13EEvPT0_PKfS3_PKT_PKiS8_iS3_,"axG",@progbits,_Z35paged_attention_ll4mi_reduce_kernelIDF16_hLi128ELi128ELi256ELi13EEvPT0_PKfS3_PKT_PKiS8_iS3_,comdat
.Lfunc_end226:
	.size	_Z35paged_attention_ll4mi_reduce_kernelIDF16_hLi128ELi128ELi256ELi13EEvPT0_PKfS3_PKT_PKiS8_iS3_, .Lfunc_end226-_Z35paged_attention_ll4mi_reduce_kernelIDF16_hLi128ELi128ELi256ELi13EEvPT0_PKfS3_PKT_PKiS8_iS3_
                                        ; -- End function
	.set _Z35paged_attention_ll4mi_reduce_kernelIDF16_hLi128ELi128ELi256ELi13EEvPT0_PKfS3_PKT_PKiS8_iS3_.num_vgpr, max(3, .L__assert_fail.num_vgpr)
	.set _Z35paged_attention_ll4mi_reduce_kernelIDF16_hLi128ELi128ELi256ELi13EEvPT0_PKfS3_PKT_PKiS8_iS3_.num_agpr, max(0, .L__assert_fail.num_agpr)
	.set _Z35paged_attention_ll4mi_reduce_kernelIDF16_hLi128ELi128ELi256ELi13EEvPT0_PKfS3_PKT_PKiS8_iS3_.numbered_sgpr, max(33, .L__assert_fail.numbered_sgpr)
	.set _Z35paged_attention_ll4mi_reduce_kernelIDF16_hLi128ELi128ELi256ELi13EEvPT0_PKfS3_PKT_PKiS8_iS3_.num_named_barrier, max(0, .L__assert_fail.num_named_barrier)
	.set _Z35paged_attention_ll4mi_reduce_kernelIDF16_hLi128ELi128ELi256ELi13EEvPT0_PKfS3_PKT_PKiS8_iS3_.private_seg_size, 0+max(.L__assert_fail.private_seg_size)
	.set _Z35paged_attention_ll4mi_reduce_kernelIDF16_hLi128ELi128ELi256ELi13EEvPT0_PKfS3_PKT_PKiS8_iS3_.uses_vcc, or(1, .L__assert_fail.uses_vcc)
	.set _Z35paged_attention_ll4mi_reduce_kernelIDF16_hLi128ELi128ELi256ELi13EEvPT0_PKfS3_PKT_PKiS8_iS3_.uses_flat_scratch, or(0, .L__assert_fail.uses_flat_scratch)
	.set _Z35paged_attention_ll4mi_reduce_kernelIDF16_hLi128ELi128ELi256ELi13EEvPT0_PKfS3_PKT_PKiS8_iS3_.has_dyn_sized_stack, or(0, .L__assert_fail.has_dyn_sized_stack)
	.set _Z35paged_attention_ll4mi_reduce_kernelIDF16_hLi128ELi128ELi256ELi13EEvPT0_PKfS3_PKT_PKiS8_iS3_.has_recursion, or(0, .L__assert_fail.has_recursion)
	.set _Z35paged_attention_ll4mi_reduce_kernelIDF16_hLi128ELi128ELi256ELi13EEvPT0_PKfS3_PKT_PKiS8_iS3_.has_indirect_call, or(0, .L__assert_fail.has_indirect_call)
	.section	.AMDGPU.csdata,"",@progbits
; Kernel info:
; codeLenInByte = 64
; TotalNumSgprs: 36
; NumVgprs: 51
; ScratchSize: 64
; MemoryBound: 0
; FloatMode: 240
; IeeeMode: 1
; LDSByteSize: 0 bytes/workgroup (compile time only)
; SGPRBlocks: 0
; VGPRBlocks: 3
; NumSGPRsForWavesPerEU: 36
; NumVGPRsForWavesPerEU: 51
; NamedBarCnt: 0
; Occupancy: 16
; WaveLimiterHint : 1
; COMPUTE_PGM_RSRC2:SCRATCH_EN: 1
; COMPUTE_PGM_RSRC2:USER_SGPR: 2
; COMPUTE_PGM_RSRC2:TRAP_HANDLER: 0
; COMPUTE_PGM_RSRC2:TGID_X_EN: 1
; COMPUTE_PGM_RSRC2:TGID_Y_EN: 0
; COMPUTE_PGM_RSRC2:TGID_Z_EN: 0
; COMPUTE_PGM_RSRC2:TIDIG_COMP_CNT: 0
	.section	.text._Z35paged_attention_ll4mi_reduce_kernelIDF16_hLi128ELi128ELi256ELi14EEvPT0_PKfS3_PKT_PKiS8_iS3_,"axG",@progbits,_Z35paged_attention_ll4mi_reduce_kernelIDF16_hLi128ELi128ELi256ELi14EEvPT0_PKfS3_PKT_PKiS8_iS3_,comdat
	.protected	_Z35paged_attention_ll4mi_reduce_kernelIDF16_hLi128ELi128ELi256ELi14EEvPT0_PKfS3_PKT_PKiS8_iS3_ ; -- Begin function _Z35paged_attention_ll4mi_reduce_kernelIDF16_hLi128ELi128ELi256ELi14EEvPT0_PKfS3_PKT_PKiS8_iS3_
	.globl	_Z35paged_attention_ll4mi_reduce_kernelIDF16_hLi128ELi128ELi256ELi14EEvPT0_PKfS3_PKT_PKiS8_iS3_
	.p2align	8
	.type	_Z35paged_attention_ll4mi_reduce_kernelIDF16_hLi128ELi128ELi256ELi14EEvPT0_PKfS3_PKT_PKiS8_iS3_,@function
_Z35paged_attention_ll4mi_reduce_kernelIDF16_hLi128ELi128ELi256ELi14EEvPT0_PKfS3_PKT_PKiS8_iS3_: ; @_Z35paged_attention_ll4mi_reduce_kernelIDF16_hLi128ELi128ELi256ELi14EEvPT0_PKfS3_PKT_PKiS8_iS3_
; %bb.0:
	s_get_pc_i64 s[2:3]
	s_add_nc_u64 s[2:3], s[2:3], __PRETTY_FUNCTION__._Z35paged_attention_ll4mi_reduce_kernelIDF16_hLi128ELi128ELi256ELi14EEvPT0_PKfS3_PKT_PKiS8_iS3_@rel64+4
	s_delay_alu instid0(SALU_CYCLE_1)
	v_dual_mov_b32 v0, 0xbdd :: v_dual_mov_b32 v1, s2
	v_mov_b32_e32 v2, s3
	s_add_nc_u64 s[8:9], s[0:1], 64
	s_get_pc_i64 s[0:1]
	s_add_nc_u64 s[0:1], s[0:1], __assert_fail@rel64+4
	s_mov_b32 s32, 0
	s_swap_pc_i64 s[30:31], s[0:1]
	.section	.rodata,"a",@progbits
	.p2align	6, 0x0
	.amdhsa_kernel _Z35paged_attention_ll4mi_reduce_kernelIDF16_hLi128ELi128ELi256ELi14EEvPT0_PKfS3_PKT_PKiS8_iS3_
		.amdhsa_group_segment_fixed_size 0
		.amdhsa_private_segment_fixed_size 64
		.amdhsa_kernarg_size 320
		.amdhsa_user_sgpr_count 2
		.amdhsa_user_sgpr_dispatch_ptr 0
		.amdhsa_user_sgpr_queue_ptr 0
		.amdhsa_user_sgpr_kernarg_segment_ptr 1
		.amdhsa_user_sgpr_dispatch_id 0
		.amdhsa_user_sgpr_kernarg_preload_length 0
		.amdhsa_user_sgpr_kernarg_preload_offset 0
		.amdhsa_user_sgpr_private_segment_size 0
		.amdhsa_wavefront_size32 1
		.amdhsa_uses_dynamic_stack 0
		.amdhsa_enable_private_segment 1
		.amdhsa_system_sgpr_workgroup_id_x 1
		.amdhsa_system_sgpr_workgroup_id_y 0
		.amdhsa_system_sgpr_workgroup_id_z 0
		.amdhsa_system_sgpr_workgroup_info 0
		.amdhsa_system_vgpr_workitem_id 0
		.amdhsa_next_free_vgpr 51
		.amdhsa_next_free_sgpr 34
		.amdhsa_named_barrier_count 0
		.amdhsa_reserve_vcc 1
		.amdhsa_float_round_mode_32 0
		.amdhsa_float_round_mode_16_64 0
		.amdhsa_float_denorm_mode_32 3
		.amdhsa_float_denorm_mode_16_64 3
		.amdhsa_fp16_overflow 0
		.amdhsa_memory_ordered 1
		.amdhsa_forward_progress 1
		.amdhsa_inst_pref_size 1
		.amdhsa_round_robin_scheduling 0
		.amdhsa_exception_fp_ieee_invalid_op 0
		.amdhsa_exception_fp_denorm_src 0
		.amdhsa_exception_fp_ieee_div_zero 0
		.amdhsa_exception_fp_ieee_overflow 0
		.amdhsa_exception_fp_ieee_underflow 0
		.amdhsa_exception_fp_ieee_inexact 0
		.amdhsa_exception_int_div_zero 0
	.end_amdhsa_kernel
	.section	.text._Z35paged_attention_ll4mi_reduce_kernelIDF16_hLi128ELi128ELi256ELi14EEvPT0_PKfS3_PKT_PKiS8_iS3_,"axG",@progbits,_Z35paged_attention_ll4mi_reduce_kernelIDF16_hLi128ELi128ELi256ELi14EEvPT0_PKfS3_PKT_PKiS8_iS3_,comdat
.Lfunc_end227:
	.size	_Z35paged_attention_ll4mi_reduce_kernelIDF16_hLi128ELi128ELi256ELi14EEvPT0_PKfS3_PKT_PKiS8_iS3_, .Lfunc_end227-_Z35paged_attention_ll4mi_reduce_kernelIDF16_hLi128ELi128ELi256ELi14EEvPT0_PKfS3_PKT_PKiS8_iS3_
                                        ; -- End function
	.set _Z35paged_attention_ll4mi_reduce_kernelIDF16_hLi128ELi128ELi256ELi14EEvPT0_PKfS3_PKT_PKiS8_iS3_.num_vgpr, max(3, .L__assert_fail.num_vgpr)
	.set _Z35paged_attention_ll4mi_reduce_kernelIDF16_hLi128ELi128ELi256ELi14EEvPT0_PKfS3_PKT_PKiS8_iS3_.num_agpr, max(0, .L__assert_fail.num_agpr)
	.set _Z35paged_attention_ll4mi_reduce_kernelIDF16_hLi128ELi128ELi256ELi14EEvPT0_PKfS3_PKT_PKiS8_iS3_.numbered_sgpr, max(33, .L__assert_fail.numbered_sgpr)
	.set _Z35paged_attention_ll4mi_reduce_kernelIDF16_hLi128ELi128ELi256ELi14EEvPT0_PKfS3_PKT_PKiS8_iS3_.num_named_barrier, max(0, .L__assert_fail.num_named_barrier)
	.set _Z35paged_attention_ll4mi_reduce_kernelIDF16_hLi128ELi128ELi256ELi14EEvPT0_PKfS3_PKT_PKiS8_iS3_.private_seg_size, 0+max(.L__assert_fail.private_seg_size)
	.set _Z35paged_attention_ll4mi_reduce_kernelIDF16_hLi128ELi128ELi256ELi14EEvPT0_PKfS3_PKT_PKiS8_iS3_.uses_vcc, or(1, .L__assert_fail.uses_vcc)
	.set _Z35paged_attention_ll4mi_reduce_kernelIDF16_hLi128ELi128ELi256ELi14EEvPT0_PKfS3_PKT_PKiS8_iS3_.uses_flat_scratch, or(0, .L__assert_fail.uses_flat_scratch)
	.set _Z35paged_attention_ll4mi_reduce_kernelIDF16_hLi128ELi128ELi256ELi14EEvPT0_PKfS3_PKT_PKiS8_iS3_.has_dyn_sized_stack, or(0, .L__assert_fail.has_dyn_sized_stack)
	.set _Z35paged_attention_ll4mi_reduce_kernelIDF16_hLi128ELi128ELi256ELi14EEvPT0_PKfS3_PKT_PKiS8_iS3_.has_recursion, or(0, .L__assert_fail.has_recursion)
	.set _Z35paged_attention_ll4mi_reduce_kernelIDF16_hLi128ELi128ELi256ELi14EEvPT0_PKfS3_PKT_PKiS8_iS3_.has_indirect_call, or(0, .L__assert_fail.has_indirect_call)
	.section	.AMDGPU.csdata,"",@progbits
; Kernel info:
; codeLenInByte = 64
; TotalNumSgprs: 36
; NumVgprs: 51
; ScratchSize: 64
; MemoryBound: 0
; FloatMode: 240
; IeeeMode: 1
; LDSByteSize: 0 bytes/workgroup (compile time only)
; SGPRBlocks: 0
; VGPRBlocks: 3
; NumSGPRsForWavesPerEU: 36
; NumVGPRsForWavesPerEU: 51
; NamedBarCnt: 0
; Occupancy: 16
; WaveLimiterHint : 1
; COMPUTE_PGM_RSRC2:SCRATCH_EN: 1
; COMPUTE_PGM_RSRC2:USER_SGPR: 2
; COMPUTE_PGM_RSRC2:TRAP_HANDLER: 0
; COMPUTE_PGM_RSRC2:TGID_X_EN: 1
; COMPUTE_PGM_RSRC2:TGID_Y_EN: 0
; COMPUTE_PGM_RSRC2:TGID_Z_EN: 0
; COMPUTE_PGM_RSRC2:TIDIG_COMP_CNT: 0
	.section	.text._Z35paged_attention_ll4mi_reduce_kernelIDF16_hLi128ELi128ELi256ELi15EEvPT0_PKfS3_PKT_PKiS8_iS3_,"axG",@progbits,_Z35paged_attention_ll4mi_reduce_kernelIDF16_hLi128ELi128ELi256ELi15EEvPT0_PKfS3_PKT_PKiS8_iS3_,comdat
	.protected	_Z35paged_attention_ll4mi_reduce_kernelIDF16_hLi128ELi128ELi256ELi15EEvPT0_PKfS3_PKT_PKiS8_iS3_ ; -- Begin function _Z35paged_attention_ll4mi_reduce_kernelIDF16_hLi128ELi128ELi256ELi15EEvPT0_PKfS3_PKT_PKiS8_iS3_
	.globl	_Z35paged_attention_ll4mi_reduce_kernelIDF16_hLi128ELi128ELi256ELi15EEvPT0_PKfS3_PKT_PKiS8_iS3_
	.p2align	8
	.type	_Z35paged_attention_ll4mi_reduce_kernelIDF16_hLi128ELi128ELi256ELi15EEvPT0_PKfS3_PKT_PKiS8_iS3_,@function
_Z35paged_attention_ll4mi_reduce_kernelIDF16_hLi128ELi128ELi256ELi15EEvPT0_PKfS3_PKT_PKiS8_iS3_: ; @_Z35paged_attention_ll4mi_reduce_kernelIDF16_hLi128ELi128ELi256ELi15EEvPT0_PKfS3_PKT_PKiS8_iS3_
; %bb.0:
	s_get_pc_i64 s[2:3]
	s_add_nc_u64 s[2:3], s[2:3], __PRETTY_FUNCTION__._Z35paged_attention_ll4mi_reduce_kernelIDF16_hLi128ELi128ELi256ELi15EEvPT0_PKfS3_PKT_PKiS8_iS3_@rel64+4
	s_delay_alu instid0(SALU_CYCLE_1)
	v_dual_mov_b32 v0, 0xbdd :: v_dual_mov_b32 v1, s2
	v_mov_b32_e32 v2, s3
	s_add_nc_u64 s[8:9], s[0:1], 64
	s_get_pc_i64 s[0:1]
	s_add_nc_u64 s[0:1], s[0:1], __assert_fail@rel64+4
	s_mov_b32 s32, 0
	s_swap_pc_i64 s[30:31], s[0:1]
	.section	.rodata,"a",@progbits
	.p2align	6, 0x0
	.amdhsa_kernel _Z35paged_attention_ll4mi_reduce_kernelIDF16_hLi128ELi128ELi256ELi15EEvPT0_PKfS3_PKT_PKiS8_iS3_
		.amdhsa_group_segment_fixed_size 0
		.amdhsa_private_segment_fixed_size 64
		.amdhsa_kernarg_size 320
		.amdhsa_user_sgpr_count 2
		.amdhsa_user_sgpr_dispatch_ptr 0
		.amdhsa_user_sgpr_queue_ptr 0
		.amdhsa_user_sgpr_kernarg_segment_ptr 1
		.amdhsa_user_sgpr_dispatch_id 0
		.amdhsa_user_sgpr_kernarg_preload_length 0
		.amdhsa_user_sgpr_kernarg_preload_offset 0
		.amdhsa_user_sgpr_private_segment_size 0
		.amdhsa_wavefront_size32 1
		.amdhsa_uses_dynamic_stack 0
		.amdhsa_enable_private_segment 1
		.amdhsa_system_sgpr_workgroup_id_x 1
		.amdhsa_system_sgpr_workgroup_id_y 0
		.amdhsa_system_sgpr_workgroup_id_z 0
		.amdhsa_system_sgpr_workgroup_info 0
		.amdhsa_system_vgpr_workitem_id 0
		.amdhsa_next_free_vgpr 51
		.amdhsa_next_free_sgpr 34
		.amdhsa_named_barrier_count 0
		.amdhsa_reserve_vcc 1
		.amdhsa_float_round_mode_32 0
		.amdhsa_float_round_mode_16_64 0
		.amdhsa_float_denorm_mode_32 3
		.amdhsa_float_denorm_mode_16_64 3
		.amdhsa_fp16_overflow 0
		.amdhsa_memory_ordered 1
		.amdhsa_forward_progress 1
		.amdhsa_inst_pref_size 1
		.amdhsa_round_robin_scheduling 0
		.amdhsa_exception_fp_ieee_invalid_op 0
		.amdhsa_exception_fp_denorm_src 0
		.amdhsa_exception_fp_ieee_div_zero 0
		.amdhsa_exception_fp_ieee_overflow 0
		.amdhsa_exception_fp_ieee_underflow 0
		.amdhsa_exception_fp_ieee_inexact 0
		.amdhsa_exception_int_div_zero 0
	.end_amdhsa_kernel
	.section	.text._Z35paged_attention_ll4mi_reduce_kernelIDF16_hLi128ELi128ELi256ELi15EEvPT0_PKfS3_PKT_PKiS8_iS3_,"axG",@progbits,_Z35paged_attention_ll4mi_reduce_kernelIDF16_hLi128ELi128ELi256ELi15EEvPT0_PKfS3_PKT_PKiS8_iS3_,comdat
.Lfunc_end228:
	.size	_Z35paged_attention_ll4mi_reduce_kernelIDF16_hLi128ELi128ELi256ELi15EEvPT0_PKfS3_PKT_PKiS8_iS3_, .Lfunc_end228-_Z35paged_attention_ll4mi_reduce_kernelIDF16_hLi128ELi128ELi256ELi15EEvPT0_PKfS3_PKT_PKiS8_iS3_
                                        ; -- End function
	.set _Z35paged_attention_ll4mi_reduce_kernelIDF16_hLi128ELi128ELi256ELi15EEvPT0_PKfS3_PKT_PKiS8_iS3_.num_vgpr, max(3, .L__assert_fail.num_vgpr)
	.set _Z35paged_attention_ll4mi_reduce_kernelIDF16_hLi128ELi128ELi256ELi15EEvPT0_PKfS3_PKT_PKiS8_iS3_.num_agpr, max(0, .L__assert_fail.num_agpr)
	.set _Z35paged_attention_ll4mi_reduce_kernelIDF16_hLi128ELi128ELi256ELi15EEvPT0_PKfS3_PKT_PKiS8_iS3_.numbered_sgpr, max(33, .L__assert_fail.numbered_sgpr)
	.set _Z35paged_attention_ll4mi_reduce_kernelIDF16_hLi128ELi128ELi256ELi15EEvPT0_PKfS3_PKT_PKiS8_iS3_.num_named_barrier, max(0, .L__assert_fail.num_named_barrier)
	.set _Z35paged_attention_ll4mi_reduce_kernelIDF16_hLi128ELi128ELi256ELi15EEvPT0_PKfS3_PKT_PKiS8_iS3_.private_seg_size, 0+max(.L__assert_fail.private_seg_size)
	.set _Z35paged_attention_ll4mi_reduce_kernelIDF16_hLi128ELi128ELi256ELi15EEvPT0_PKfS3_PKT_PKiS8_iS3_.uses_vcc, or(1, .L__assert_fail.uses_vcc)
	.set _Z35paged_attention_ll4mi_reduce_kernelIDF16_hLi128ELi128ELi256ELi15EEvPT0_PKfS3_PKT_PKiS8_iS3_.uses_flat_scratch, or(0, .L__assert_fail.uses_flat_scratch)
	.set _Z35paged_attention_ll4mi_reduce_kernelIDF16_hLi128ELi128ELi256ELi15EEvPT0_PKfS3_PKT_PKiS8_iS3_.has_dyn_sized_stack, or(0, .L__assert_fail.has_dyn_sized_stack)
	.set _Z35paged_attention_ll4mi_reduce_kernelIDF16_hLi128ELi128ELi256ELi15EEvPT0_PKfS3_PKT_PKiS8_iS3_.has_recursion, or(0, .L__assert_fail.has_recursion)
	.set _Z35paged_attention_ll4mi_reduce_kernelIDF16_hLi128ELi128ELi256ELi15EEvPT0_PKfS3_PKT_PKiS8_iS3_.has_indirect_call, or(0, .L__assert_fail.has_indirect_call)
	.section	.AMDGPU.csdata,"",@progbits
; Kernel info:
; codeLenInByte = 64
; TotalNumSgprs: 36
; NumVgprs: 51
; ScratchSize: 64
; MemoryBound: 0
; FloatMode: 240
; IeeeMode: 1
; LDSByteSize: 0 bytes/workgroup (compile time only)
; SGPRBlocks: 0
; VGPRBlocks: 3
; NumSGPRsForWavesPerEU: 36
; NumVGPRsForWavesPerEU: 51
; NamedBarCnt: 0
; Occupancy: 16
; WaveLimiterHint : 1
; COMPUTE_PGM_RSRC2:SCRATCH_EN: 1
; COMPUTE_PGM_RSRC2:USER_SGPR: 2
; COMPUTE_PGM_RSRC2:TRAP_HANDLER: 0
; COMPUTE_PGM_RSRC2:TGID_X_EN: 1
; COMPUTE_PGM_RSRC2:TGID_Y_EN: 0
; COMPUTE_PGM_RSRC2:TGID_Z_EN: 0
; COMPUTE_PGM_RSRC2:TIDIG_COMP_CNT: 0
	.section	.text._Z35paged_attention_ll4mi_reduce_kernelIDF16_hLi128ELi128ELi256ELi16EEvPT0_PKfS3_PKT_PKiS8_iS3_,"axG",@progbits,_Z35paged_attention_ll4mi_reduce_kernelIDF16_hLi128ELi128ELi256ELi16EEvPT0_PKfS3_PKT_PKiS8_iS3_,comdat
	.protected	_Z35paged_attention_ll4mi_reduce_kernelIDF16_hLi128ELi128ELi256ELi16EEvPT0_PKfS3_PKT_PKiS8_iS3_ ; -- Begin function _Z35paged_attention_ll4mi_reduce_kernelIDF16_hLi128ELi128ELi256ELi16EEvPT0_PKfS3_PKT_PKiS8_iS3_
	.globl	_Z35paged_attention_ll4mi_reduce_kernelIDF16_hLi128ELi128ELi256ELi16EEvPT0_PKfS3_PKT_PKiS8_iS3_
	.p2align	8
	.type	_Z35paged_attention_ll4mi_reduce_kernelIDF16_hLi128ELi128ELi256ELi16EEvPT0_PKfS3_PKT_PKiS8_iS3_,@function
_Z35paged_attention_ll4mi_reduce_kernelIDF16_hLi128ELi128ELi256ELi16EEvPT0_PKfS3_PKT_PKiS8_iS3_: ; @_Z35paged_attention_ll4mi_reduce_kernelIDF16_hLi128ELi128ELi256ELi16EEvPT0_PKfS3_PKT_PKiS8_iS3_
; %bb.0:
	s_get_pc_i64 s[2:3]
	s_add_nc_u64 s[2:3], s[2:3], __PRETTY_FUNCTION__._Z35paged_attention_ll4mi_reduce_kernelIDF16_hLi128ELi128ELi256ELi16EEvPT0_PKfS3_PKT_PKiS8_iS3_@rel64+4
	s_delay_alu instid0(SALU_CYCLE_1)
	v_dual_mov_b32 v0, 0xbdd :: v_dual_mov_b32 v1, s2
	v_mov_b32_e32 v2, s3
	s_add_nc_u64 s[8:9], s[0:1], 64
	s_get_pc_i64 s[0:1]
	s_add_nc_u64 s[0:1], s[0:1], __assert_fail@rel64+4
	s_mov_b32 s32, 0
	s_swap_pc_i64 s[30:31], s[0:1]
	.section	.rodata,"a",@progbits
	.p2align	6, 0x0
	.amdhsa_kernel _Z35paged_attention_ll4mi_reduce_kernelIDF16_hLi128ELi128ELi256ELi16EEvPT0_PKfS3_PKT_PKiS8_iS3_
		.amdhsa_group_segment_fixed_size 0
		.amdhsa_private_segment_fixed_size 64
		.amdhsa_kernarg_size 320
		.amdhsa_user_sgpr_count 2
		.amdhsa_user_sgpr_dispatch_ptr 0
		.amdhsa_user_sgpr_queue_ptr 0
		.amdhsa_user_sgpr_kernarg_segment_ptr 1
		.amdhsa_user_sgpr_dispatch_id 0
		.amdhsa_user_sgpr_kernarg_preload_length 0
		.amdhsa_user_sgpr_kernarg_preload_offset 0
		.amdhsa_user_sgpr_private_segment_size 0
		.amdhsa_wavefront_size32 1
		.amdhsa_uses_dynamic_stack 0
		.amdhsa_enable_private_segment 1
		.amdhsa_system_sgpr_workgroup_id_x 1
		.amdhsa_system_sgpr_workgroup_id_y 0
		.amdhsa_system_sgpr_workgroup_id_z 0
		.amdhsa_system_sgpr_workgroup_info 0
		.amdhsa_system_vgpr_workitem_id 0
		.amdhsa_next_free_vgpr 51
		.amdhsa_next_free_sgpr 34
		.amdhsa_named_barrier_count 0
		.amdhsa_reserve_vcc 1
		.amdhsa_float_round_mode_32 0
		.amdhsa_float_round_mode_16_64 0
		.amdhsa_float_denorm_mode_32 3
		.amdhsa_float_denorm_mode_16_64 3
		.amdhsa_fp16_overflow 0
		.amdhsa_memory_ordered 1
		.amdhsa_forward_progress 1
		.amdhsa_inst_pref_size 1
		.amdhsa_round_robin_scheduling 0
		.amdhsa_exception_fp_ieee_invalid_op 0
		.amdhsa_exception_fp_denorm_src 0
		.amdhsa_exception_fp_ieee_div_zero 0
		.amdhsa_exception_fp_ieee_overflow 0
		.amdhsa_exception_fp_ieee_underflow 0
		.amdhsa_exception_fp_ieee_inexact 0
		.amdhsa_exception_int_div_zero 0
	.end_amdhsa_kernel
	.section	.text._Z35paged_attention_ll4mi_reduce_kernelIDF16_hLi128ELi128ELi256ELi16EEvPT0_PKfS3_PKT_PKiS8_iS3_,"axG",@progbits,_Z35paged_attention_ll4mi_reduce_kernelIDF16_hLi128ELi128ELi256ELi16EEvPT0_PKfS3_PKT_PKiS8_iS3_,comdat
.Lfunc_end229:
	.size	_Z35paged_attention_ll4mi_reduce_kernelIDF16_hLi128ELi128ELi256ELi16EEvPT0_PKfS3_PKT_PKiS8_iS3_, .Lfunc_end229-_Z35paged_attention_ll4mi_reduce_kernelIDF16_hLi128ELi128ELi256ELi16EEvPT0_PKfS3_PKT_PKiS8_iS3_
                                        ; -- End function
	.set _Z35paged_attention_ll4mi_reduce_kernelIDF16_hLi128ELi128ELi256ELi16EEvPT0_PKfS3_PKT_PKiS8_iS3_.num_vgpr, max(3, .L__assert_fail.num_vgpr)
	.set _Z35paged_attention_ll4mi_reduce_kernelIDF16_hLi128ELi128ELi256ELi16EEvPT0_PKfS3_PKT_PKiS8_iS3_.num_agpr, max(0, .L__assert_fail.num_agpr)
	.set _Z35paged_attention_ll4mi_reduce_kernelIDF16_hLi128ELi128ELi256ELi16EEvPT0_PKfS3_PKT_PKiS8_iS3_.numbered_sgpr, max(33, .L__assert_fail.numbered_sgpr)
	.set _Z35paged_attention_ll4mi_reduce_kernelIDF16_hLi128ELi128ELi256ELi16EEvPT0_PKfS3_PKT_PKiS8_iS3_.num_named_barrier, max(0, .L__assert_fail.num_named_barrier)
	.set _Z35paged_attention_ll4mi_reduce_kernelIDF16_hLi128ELi128ELi256ELi16EEvPT0_PKfS3_PKT_PKiS8_iS3_.private_seg_size, 0+max(.L__assert_fail.private_seg_size)
	.set _Z35paged_attention_ll4mi_reduce_kernelIDF16_hLi128ELi128ELi256ELi16EEvPT0_PKfS3_PKT_PKiS8_iS3_.uses_vcc, or(1, .L__assert_fail.uses_vcc)
	.set _Z35paged_attention_ll4mi_reduce_kernelIDF16_hLi128ELi128ELi256ELi16EEvPT0_PKfS3_PKT_PKiS8_iS3_.uses_flat_scratch, or(0, .L__assert_fail.uses_flat_scratch)
	.set _Z35paged_attention_ll4mi_reduce_kernelIDF16_hLi128ELi128ELi256ELi16EEvPT0_PKfS3_PKT_PKiS8_iS3_.has_dyn_sized_stack, or(0, .L__assert_fail.has_dyn_sized_stack)
	.set _Z35paged_attention_ll4mi_reduce_kernelIDF16_hLi128ELi128ELi256ELi16EEvPT0_PKfS3_PKT_PKiS8_iS3_.has_recursion, or(0, .L__assert_fail.has_recursion)
	.set _Z35paged_attention_ll4mi_reduce_kernelIDF16_hLi128ELi128ELi256ELi16EEvPT0_PKfS3_PKT_PKiS8_iS3_.has_indirect_call, or(0, .L__assert_fail.has_indirect_call)
	.section	.AMDGPU.csdata,"",@progbits
; Kernel info:
; codeLenInByte = 64
; TotalNumSgprs: 36
; NumVgprs: 51
; ScratchSize: 64
; MemoryBound: 0
; FloatMode: 240
; IeeeMode: 1
; LDSByteSize: 0 bytes/workgroup (compile time only)
; SGPRBlocks: 0
; VGPRBlocks: 3
; NumSGPRsForWavesPerEU: 36
; NumVGPRsForWavesPerEU: 51
; NamedBarCnt: 0
; Occupancy: 16
; WaveLimiterHint : 1
; COMPUTE_PGM_RSRC2:SCRATCH_EN: 1
; COMPUTE_PGM_RSRC2:USER_SGPR: 2
; COMPUTE_PGM_RSRC2:TRAP_HANDLER: 0
; COMPUTE_PGM_RSRC2:TGID_X_EN: 1
; COMPUTE_PGM_RSRC2:TGID_Y_EN: 0
; COMPUTE_PGM_RSRC2:TGID_Z_EN: 0
; COMPUTE_PGM_RSRC2:TIDIG_COMP_CNT: 0
	.section	.text._Z38paged_attention_ll4mi_QKV_mfma4_kernelIDF16_DF16_LN4vllm18Fp8KVCacheDataTypeE0EhLi16ELi128ELi256ELb0ELi1EEvPKT_PKT0_S7_ifPKiS9_S9_iPKfiiiPfSC_PS2_PT2_iSB_SB_,"axG",@progbits,_Z38paged_attention_ll4mi_QKV_mfma4_kernelIDF16_DF16_LN4vllm18Fp8KVCacheDataTypeE0EhLi16ELi128ELi256ELb0ELi1EEvPKT_PKT0_S7_ifPKiS9_S9_iPKfiiiPfSC_PS2_PT2_iSB_SB_,comdat
	.protected	_Z38paged_attention_ll4mi_QKV_mfma4_kernelIDF16_DF16_LN4vllm18Fp8KVCacheDataTypeE0EhLi16ELi128ELi256ELb0ELi1EEvPKT_PKT0_S7_ifPKiS9_S9_iPKfiiiPfSC_PS2_PT2_iSB_SB_ ; -- Begin function _Z38paged_attention_ll4mi_QKV_mfma4_kernelIDF16_DF16_LN4vllm18Fp8KVCacheDataTypeE0EhLi16ELi128ELi256ELb0ELi1EEvPKT_PKT0_S7_ifPKiS9_S9_iPKfiiiPfSC_PS2_PT2_iSB_SB_
	.globl	_Z38paged_attention_ll4mi_QKV_mfma4_kernelIDF16_DF16_LN4vllm18Fp8KVCacheDataTypeE0EhLi16ELi128ELi256ELb0ELi1EEvPKT_PKT0_S7_ifPKiS9_S9_iPKfiiiPfSC_PS2_PT2_iSB_SB_
	.p2align	8
	.type	_Z38paged_attention_ll4mi_QKV_mfma4_kernelIDF16_DF16_LN4vllm18Fp8KVCacheDataTypeE0EhLi16ELi128ELi256ELb0ELi1EEvPKT_PKT0_S7_ifPKiS9_S9_iPKfiiiPfSC_PS2_PT2_iSB_SB_,@function
_Z38paged_attention_ll4mi_QKV_mfma4_kernelIDF16_DF16_LN4vllm18Fp8KVCacheDataTypeE0EhLi16ELi128ELi256ELb0ELi1EEvPKT_PKT0_S7_ifPKiS9_S9_iPKfiiiPfSC_PS2_PT2_iSB_SB_: ; @_Z38paged_attention_ll4mi_QKV_mfma4_kernelIDF16_DF16_LN4vllm18Fp8KVCacheDataTypeE0EhLi16ELi128ELi256ELb0ELi1EEvPKT_PKT0_S7_ifPKiS9_S9_iPKfiiiPfSC_PS2_PT2_iSB_SB_
; %bb.0:
	s_get_pc_i64 s[2:3]
	s_add_nc_u64 s[2:3], s[2:3], __PRETTY_FUNCTION__._Z38paged_attention_ll4mi_QKV_mfma4_kernelIDF16_DF16_LN4vllm18Fp8KVCacheDataTypeE0EhLi16ELi128ELi256ELb0ELi1EEvPKT_PKT0_S7_ifPKiS9_S9_iPKfiiiPfSC_PS2_PT2_iSB_SB_@rel64+4
	s_delay_alu instid0(SALU_CYCLE_1)
	v_dual_mov_b32 v0, 0xbce :: v_dual_mov_b32 v1, s2
	v_mov_b32_e32 v2, s3
	s_add_nc_u64 s[8:9], s[0:1], 0x90
	s_get_pc_i64 s[0:1]
	s_add_nc_u64 s[0:1], s[0:1], __assert_fail@rel64+4
	s_mov_b32 s32, 0
	s_swap_pc_i64 s[30:31], s[0:1]
	.section	.rodata,"a",@progbits
	.p2align	6, 0x0
	.amdhsa_kernel _Z38paged_attention_ll4mi_QKV_mfma4_kernelIDF16_DF16_LN4vllm18Fp8KVCacheDataTypeE0EhLi16ELi128ELi256ELb0ELi1EEvPKT_PKT0_S7_ifPKiS9_S9_iPKfiiiPfSC_PS2_PT2_iSB_SB_
		.amdhsa_group_segment_fixed_size 0
		.amdhsa_private_segment_fixed_size 64
		.amdhsa_kernarg_size 400
		.amdhsa_user_sgpr_count 2
		.amdhsa_user_sgpr_dispatch_ptr 0
		.amdhsa_user_sgpr_queue_ptr 0
		.amdhsa_user_sgpr_kernarg_segment_ptr 1
		.amdhsa_user_sgpr_dispatch_id 0
		.amdhsa_user_sgpr_kernarg_preload_length 0
		.amdhsa_user_sgpr_kernarg_preload_offset 0
		.amdhsa_user_sgpr_private_segment_size 0
		.amdhsa_wavefront_size32 1
		.amdhsa_uses_dynamic_stack 0
		.amdhsa_enable_private_segment 1
		.amdhsa_system_sgpr_workgroup_id_x 1
		.amdhsa_system_sgpr_workgroup_id_y 0
		.amdhsa_system_sgpr_workgroup_id_z 0
		.amdhsa_system_sgpr_workgroup_info 0
		.amdhsa_system_vgpr_workitem_id 0
		.amdhsa_next_free_vgpr 51
		.amdhsa_next_free_sgpr 34
		.amdhsa_named_barrier_count 0
		.amdhsa_reserve_vcc 1
		.amdhsa_float_round_mode_32 0
		.amdhsa_float_round_mode_16_64 0
		.amdhsa_float_denorm_mode_32 3
		.amdhsa_float_denorm_mode_16_64 3
		.amdhsa_fp16_overflow 0
		.amdhsa_memory_ordered 1
		.amdhsa_forward_progress 1
		.amdhsa_inst_pref_size 1
		.amdhsa_round_robin_scheduling 0
		.amdhsa_exception_fp_ieee_invalid_op 0
		.amdhsa_exception_fp_denorm_src 0
		.amdhsa_exception_fp_ieee_div_zero 0
		.amdhsa_exception_fp_ieee_overflow 0
		.amdhsa_exception_fp_ieee_underflow 0
		.amdhsa_exception_fp_ieee_inexact 0
		.amdhsa_exception_int_div_zero 0
	.end_amdhsa_kernel
	.section	.text._Z38paged_attention_ll4mi_QKV_mfma4_kernelIDF16_DF16_LN4vllm18Fp8KVCacheDataTypeE0EhLi16ELi128ELi256ELb0ELi1EEvPKT_PKT0_S7_ifPKiS9_S9_iPKfiiiPfSC_PS2_PT2_iSB_SB_,"axG",@progbits,_Z38paged_attention_ll4mi_QKV_mfma4_kernelIDF16_DF16_LN4vllm18Fp8KVCacheDataTypeE0EhLi16ELi128ELi256ELb0ELi1EEvPKT_PKT0_S7_ifPKiS9_S9_iPKfiiiPfSC_PS2_PT2_iSB_SB_,comdat
.Lfunc_end230:
	.size	_Z38paged_attention_ll4mi_QKV_mfma4_kernelIDF16_DF16_LN4vllm18Fp8KVCacheDataTypeE0EhLi16ELi128ELi256ELb0ELi1EEvPKT_PKT0_S7_ifPKiS9_S9_iPKfiiiPfSC_PS2_PT2_iSB_SB_, .Lfunc_end230-_Z38paged_attention_ll4mi_QKV_mfma4_kernelIDF16_DF16_LN4vllm18Fp8KVCacheDataTypeE0EhLi16ELi128ELi256ELb0ELi1EEvPKT_PKT0_S7_ifPKiS9_S9_iPKfiiiPfSC_PS2_PT2_iSB_SB_
                                        ; -- End function
	.set _Z38paged_attention_ll4mi_QKV_mfma4_kernelIDF16_DF16_LN4vllm18Fp8KVCacheDataTypeE0EhLi16ELi128ELi256ELb0ELi1EEvPKT_PKT0_S7_ifPKiS9_S9_iPKfiiiPfSC_PS2_PT2_iSB_SB_.num_vgpr, max(3, .L__assert_fail.num_vgpr)
	.set _Z38paged_attention_ll4mi_QKV_mfma4_kernelIDF16_DF16_LN4vllm18Fp8KVCacheDataTypeE0EhLi16ELi128ELi256ELb0ELi1EEvPKT_PKT0_S7_ifPKiS9_S9_iPKfiiiPfSC_PS2_PT2_iSB_SB_.num_agpr, max(0, .L__assert_fail.num_agpr)
	.set _Z38paged_attention_ll4mi_QKV_mfma4_kernelIDF16_DF16_LN4vllm18Fp8KVCacheDataTypeE0EhLi16ELi128ELi256ELb0ELi1EEvPKT_PKT0_S7_ifPKiS9_S9_iPKfiiiPfSC_PS2_PT2_iSB_SB_.numbered_sgpr, max(33, .L__assert_fail.numbered_sgpr)
	.set _Z38paged_attention_ll4mi_QKV_mfma4_kernelIDF16_DF16_LN4vllm18Fp8KVCacheDataTypeE0EhLi16ELi128ELi256ELb0ELi1EEvPKT_PKT0_S7_ifPKiS9_S9_iPKfiiiPfSC_PS2_PT2_iSB_SB_.num_named_barrier, max(0, .L__assert_fail.num_named_barrier)
	.set _Z38paged_attention_ll4mi_QKV_mfma4_kernelIDF16_DF16_LN4vllm18Fp8KVCacheDataTypeE0EhLi16ELi128ELi256ELb0ELi1EEvPKT_PKT0_S7_ifPKiS9_S9_iPKfiiiPfSC_PS2_PT2_iSB_SB_.private_seg_size, 0+max(.L__assert_fail.private_seg_size)
	.set _Z38paged_attention_ll4mi_QKV_mfma4_kernelIDF16_DF16_LN4vllm18Fp8KVCacheDataTypeE0EhLi16ELi128ELi256ELb0ELi1EEvPKT_PKT0_S7_ifPKiS9_S9_iPKfiiiPfSC_PS2_PT2_iSB_SB_.uses_vcc, or(1, .L__assert_fail.uses_vcc)
	.set _Z38paged_attention_ll4mi_QKV_mfma4_kernelIDF16_DF16_LN4vllm18Fp8KVCacheDataTypeE0EhLi16ELi128ELi256ELb0ELi1EEvPKT_PKT0_S7_ifPKiS9_S9_iPKfiiiPfSC_PS2_PT2_iSB_SB_.uses_flat_scratch, or(0, .L__assert_fail.uses_flat_scratch)
	.set _Z38paged_attention_ll4mi_QKV_mfma4_kernelIDF16_DF16_LN4vllm18Fp8KVCacheDataTypeE0EhLi16ELi128ELi256ELb0ELi1EEvPKT_PKT0_S7_ifPKiS9_S9_iPKfiiiPfSC_PS2_PT2_iSB_SB_.has_dyn_sized_stack, or(0, .L__assert_fail.has_dyn_sized_stack)
	.set _Z38paged_attention_ll4mi_QKV_mfma4_kernelIDF16_DF16_LN4vllm18Fp8KVCacheDataTypeE0EhLi16ELi128ELi256ELb0ELi1EEvPKT_PKT0_S7_ifPKiS9_S9_iPKfiiiPfSC_PS2_PT2_iSB_SB_.has_recursion, or(0, .L__assert_fail.has_recursion)
	.set _Z38paged_attention_ll4mi_QKV_mfma4_kernelIDF16_DF16_LN4vllm18Fp8KVCacheDataTypeE0EhLi16ELi128ELi256ELb0ELi1EEvPKT_PKT0_S7_ifPKiS9_S9_iPKfiiiPfSC_PS2_PT2_iSB_SB_.has_indirect_call, or(0, .L__assert_fail.has_indirect_call)
	.section	.AMDGPU.csdata,"",@progbits
; Kernel info:
; codeLenInByte = 68
; TotalNumSgprs: 36
; NumVgprs: 51
; ScratchSize: 64
; MemoryBound: 0
; FloatMode: 240
; IeeeMode: 1
; LDSByteSize: 0 bytes/workgroup (compile time only)
; SGPRBlocks: 0
; VGPRBlocks: 3
; NumSGPRsForWavesPerEU: 36
; NumVGPRsForWavesPerEU: 51
; NamedBarCnt: 0
; Occupancy: 16
; WaveLimiterHint : 1
; COMPUTE_PGM_RSRC2:SCRATCH_EN: 1
; COMPUTE_PGM_RSRC2:USER_SGPR: 2
; COMPUTE_PGM_RSRC2:TRAP_HANDLER: 0
; COMPUTE_PGM_RSRC2:TGID_X_EN: 1
; COMPUTE_PGM_RSRC2:TGID_Y_EN: 0
; COMPUTE_PGM_RSRC2:TGID_Z_EN: 0
; COMPUTE_PGM_RSRC2:TIDIG_COMP_CNT: 0
	.section	.text._Z38paged_attention_ll4mi_QKV_mfma4_kernelIDF16_DF16_LN4vllm18Fp8KVCacheDataTypeE0EhLi16ELi128ELi256ELb0ELi2EEvPKT_PKT0_S7_ifPKiS9_S9_iPKfiiiPfSC_PS2_PT2_iSB_SB_,"axG",@progbits,_Z38paged_attention_ll4mi_QKV_mfma4_kernelIDF16_DF16_LN4vllm18Fp8KVCacheDataTypeE0EhLi16ELi128ELi256ELb0ELi2EEvPKT_PKT0_S7_ifPKiS9_S9_iPKfiiiPfSC_PS2_PT2_iSB_SB_,comdat
	.protected	_Z38paged_attention_ll4mi_QKV_mfma4_kernelIDF16_DF16_LN4vllm18Fp8KVCacheDataTypeE0EhLi16ELi128ELi256ELb0ELi2EEvPKT_PKT0_S7_ifPKiS9_S9_iPKfiiiPfSC_PS2_PT2_iSB_SB_ ; -- Begin function _Z38paged_attention_ll4mi_QKV_mfma4_kernelIDF16_DF16_LN4vllm18Fp8KVCacheDataTypeE0EhLi16ELi128ELi256ELb0ELi2EEvPKT_PKT0_S7_ifPKiS9_S9_iPKfiiiPfSC_PS2_PT2_iSB_SB_
	.globl	_Z38paged_attention_ll4mi_QKV_mfma4_kernelIDF16_DF16_LN4vllm18Fp8KVCacheDataTypeE0EhLi16ELi128ELi256ELb0ELi2EEvPKT_PKT0_S7_ifPKiS9_S9_iPKfiiiPfSC_PS2_PT2_iSB_SB_
	.p2align	8
	.type	_Z38paged_attention_ll4mi_QKV_mfma4_kernelIDF16_DF16_LN4vllm18Fp8KVCacheDataTypeE0EhLi16ELi128ELi256ELb0ELi2EEvPKT_PKT0_S7_ifPKiS9_S9_iPKfiiiPfSC_PS2_PT2_iSB_SB_,@function
_Z38paged_attention_ll4mi_QKV_mfma4_kernelIDF16_DF16_LN4vllm18Fp8KVCacheDataTypeE0EhLi16ELi128ELi256ELb0ELi2EEvPKT_PKT0_S7_ifPKiS9_S9_iPKfiiiPfSC_PS2_PT2_iSB_SB_: ; @_Z38paged_attention_ll4mi_QKV_mfma4_kernelIDF16_DF16_LN4vllm18Fp8KVCacheDataTypeE0EhLi16ELi128ELi256ELb0ELi2EEvPKT_PKT0_S7_ifPKiS9_S9_iPKfiiiPfSC_PS2_PT2_iSB_SB_
; %bb.0:
	s_get_pc_i64 s[2:3]
	s_add_nc_u64 s[2:3], s[2:3], __PRETTY_FUNCTION__._Z38paged_attention_ll4mi_QKV_mfma4_kernelIDF16_DF16_LN4vllm18Fp8KVCacheDataTypeE0EhLi16ELi128ELi256ELb0ELi2EEvPKT_PKT0_S7_ifPKiS9_S9_iPKfiiiPfSC_PS2_PT2_iSB_SB_@rel64+4
	s_delay_alu instid0(SALU_CYCLE_1)
	v_dual_mov_b32 v0, 0xbce :: v_dual_mov_b32 v1, s2
	v_mov_b32_e32 v2, s3
	s_add_nc_u64 s[8:9], s[0:1], 0x90
	s_get_pc_i64 s[0:1]
	s_add_nc_u64 s[0:1], s[0:1], __assert_fail@rel64+4
	s_mov_b32 s32, 0
	s_swap_pc_i64 s[30:31], s[0:1]
	.section	.rodata,"a",@progbits
	.p2align	6, 0x0
	.amdhsa_kernel _Z38paged_attention_ll4mi_QKV_mfma4_kernelIDF16_DF16_LN4vllm18Fp8KVCacheDataTypeE0EhLi16ELi128ELi256ELb0ELi2EEvPKT_PKT0_S7_ifPKiS9_S9_iPKfiiiPfSC_PS2_PT2_iSB_SB_
		.amdhsa_group_segment_fixed_size 0
		.amdhsa_private_segment_fixed_size 64
		.amdhsa_kernarg_size 400
		.amdhsa_user_sgpr_count 2
		.amdhsa_user_sgpr_dispatch_ptr 0
		.amdhsa_user_sgpr_queue_ptr 0
		.amdhsa_user_sgpr_kernarg_segment_ptr 1
		.amdhsa_user_sgpr_dispatch_id 0
		.amdhsa_user_sgpr_kernarg_preload_length 0
		.amdhsa_user_sgpr_kernarg_preload_offset 0
		.amdhsa_user_sgpr_private_segment_size 0
		.amdhsa_wavefront_size32 1
		.amdhsa_uses_dynamic_stack 0
		.amdhsa_enable_private_segment 1
		.amdhsa_system_sgpr_workgroup_id_x 1
		.amdhsa_system_sgpr_workgroup_id_y 0
		.amdhsa_system_sgpr_workgroup_id_z 0
		.amdhsa_system_sgpr_workgroup_info 0
		.amdhsa_system_vgpr_workitem_id 0
		.amdhsa_next_free_vgpr 51
		.amdhsa_next_free_sgpr 34
		.amdhsa_named_barrier_count 0
		.amdhsa_reserve_vcc 1
		.amdhsa_float_round_mode_32 0
		.amdhsa_float_round_mode_16_64 0
		.amdhsa_float_denorm_mode_32 3
		.amdhsa_float_denorm_mode_16_64 3
		.amdhsa_fp16_overflow 0
		.amdhsa_memory_ordered 1
		.amdhsa_forward_progress 1
		.amdhsa_inst_pref_size 1
		.amdhsa_round_robin_scheduling 0
		.amdhsa_exception_fp_ieee_invalid_op 0
		.amdhsa_exception_fp_denorm_src 0
		.amdhsa_exception_fp_ieee_div_zero 0
		.amdhsa_exception_fp_ieee_overflow 0
		.amdhsa_exception_fp_ieee_underflow 0
		.amdhsa_exception_fp_ieee_inexact 0
		.amdhsa_exception_int_div_zero 0
	.end_amdhsa_kernel
	.section	.text._Z38paged_attention_ll4mi_QKV_mfma4_kernelIDF16_DF16_LN4vllm18Fp8KVCacheDataTypeE0EhLi16ELi128ELi256ELb0ELi2EEvPKT_PKT0_S7_ifPKiS9_S9_iPKfiiiPfSC_PS2_PT2_iSB_SB_,"axG",@progbits,_Z38paged_attention_ll4mi_QKV_mfma4_kernelIDF16_DF16_LN4vllm18Fp8KVCacheDataTypeE0EhLi16ELi128ELi256ELb0ELi2EEvPKT_PKT0_S7_ifPKiS9_S9_iPKfiiiPfSC_PS2_PT2_iSB_SB_,comdat
.Lfunc_end231:
	.size	_Z38paged_attention_ll4mi_QKV_mfma4_kernelIDF16_DF16_LN4vllm18Fp8KVCacheDataTypeE0EhLi16ELi128ELi256ELb0ELi2EEvPKT_PKT0_S7_ifPKiS9_S9_iPKfiiiPfSC_PS2_PT2_iSB_SB_, .Lfunc_end231-_Z38paged_attention_ll4mi_QKV_mfma4_kernelIDF16_DF16_LN4vllm18Fp8KVCacheDataTypeE0EhLi16ELi128ELi256ELb0ELi2EEvPKT_PKT0_S7_ifPKiS9_S9_iPKfiiiPfSC_PS2_PT2_iSB_SB_
                                        ; -- End function
	.set _Z38paged_attention_ll4mi_QKV_mfma4_kernelIDF16_DF16_LN4vllm18Fp8KVCacheDataTypeE0EhLi16ELi128ELi256ELb0ELi2EEvPKT_PKT0_S7_ifPKiS9_S9_iPKfiiiPfSC_PS2_PT2_iSB_SB_.num_vgpr, max(3, .L__assert_fail.num_vgpr)
	.set _Z38paged_attention_ll4mi_QKV_mfma4_kernelIDF16_DF16_LN4vllm18Fp8KVCacheDataTypeE0EhLi16ELi128ELi256ELb0ELi2EEvPKT_PKT0_S7_ifPKiS9_S9_iPKfiiiPfSC_PS2_PT2_iSB_SB_.num_agpr, max(0, .L__assert_fail.num_agpr)
	.set _Z38paged_attention_ll4mi_QKV_mfma4_kernelIDF16_DF16_LN4vllm18Fp8KVCacheDataTypeE0EhLi16ELi128ELi256ELb0ELi2EEvPKT_PKT0_S7_ifPKiS9_S9_iPKfiiiPfSC_PS2_PT2_iSB_SB_.numbered_sgpr, max(33, .L__assert_fail.numbered_sgpr)
	.set _Z38paged_attention_ll4mi_QKV_mfma4_kernelIDF16_DF16_LN4vllm18Fp8KVCacheDataTypeE0EhLi16ELi128ELi256ELb0ELi2EEvPKT_PKT0_S7_ifPKiS9_S9_iPKfiiiPfSC_PS2_PT2_iSB_SB_.num_named_barrier, max(0, .L__assert_fail.num_named_barrier)
	.set _Z38paged_attention_ll4mi_QKV_mfma4_kernelIDF16_DF16_LN4vllm18Fp8KVCacheDataTypeE0EhLi16ELi128ELi256ELb0ELi2EEvPKT_PKT0_S7_ifPKiS9_S9_iPKfiiiPfSC_PS2_PT2_iSB_SB_.private_seg_size, 0+max(.L__assert_fail.private_seg_size)
	.set _Z38paged_attention_ll4mi_QKV_mfma4_kernelIDF16_DF16_LN4vllm18Fp8KVCacheDataTypeE0EhLi16ELi128ELi256ELb0ELi2EEvPKT_PKT0_S7_ifPKiS9_S9_iPKfiiiPfSC_PS2_PT2_iSB_SB_.uses_vcc, or(1, .L__assert_fail.uses_vcc)
	.set _Z38paged_attention_ll4mi_QKV_mfma4_kernelIDF16_DF16_LN4vllm18Fp8KVCacheDataTypeE0EhLi16ELi128ELi256ELb0ELi2EEvPKT_PKT0_S7_ifPKiS9_S9_iPKfiiiPfSC_PS2_PT2_iSB_SB_.uses_flat_scratch, or(0, .L__assert_fail.uses_flat_scratch)
	.set _Z38paged_attention_ll4mi_QKV_mfma4_kernelIDF16_DF16_LN4vllm18Fp8KVCacheDataTypeE0EhLi16ELi128ELi256ELb0ELi2EEvPKT_PKT0_S7_ifPKiS9_S9_iPKfiiiPfSC_PS2_PT2_iSB_SB_.has_dyn_sized_stack, or(0, .L__assert_fail.has_dyn_sized_stack)
	.set _Z38paged_attention_ll4mi_QKV_mfma4_kernelIDF16_DF16_LN4vllm18Fp8KVCacheDataTypeE0EhLi16ELi128ELi256ELb0ELi2EEvPKT_PKT0_S7_ifPKiS9_S9_iPKfiiiPfSC_PS2_PT2_iSB_SB_.has_recursion, or(0, .L__assert_fail.has_recursion)
	.set _Z38paged_attention_ll4mi_QKV_mfma4_kernelIDF16_DF16_LN4vllm18Fp8KVCacheDataTypeE0EhLi16ELi128ELi256ELb0ELi2EEvPKT_PKT0_S7_ifPKiS9_S9_iPKfiiiPfSC_PS2_PT2_iSB_SB_.has_indirect_call, or(0, .L__assert_fail.has_indirect_call)
	.section	.AMDGPU.csdata,"",@progbits
; Kernel info:
; codeLenInByte = 68
; TotalNumSgprs: 36
; NumVgprs: 51
; ScratchSize: 64
; MemoryBound: 0
; FloatMode: 240
; IeeeMode: 1
; LDSByteSize: 0 bytes/workgroup (compile time only)
; SGPRBlocks: 0
; VGPRBlocks: 3
; NumSGPRsForWavesPerEU: 36
; NumVGPRsForWavesPerEU: 51
; NamedBarCnt: 0
; Occupancy: 16
; WaveLimiterHint : 1
; COMPUTE_PGM_RSRC2:SCRATCH_EN: 1
; COMPUTE_PGM_RSRC2:USER_SGPR: 2
; COMPUTE_PGM_RSRC2:TRAP_HANDLER: 0
; COMPUTE_PGM_RSRC2:TGID_X_EN: 1
; COMPUTE_PGM_RSRC2:TGID_Y_EN: 0
; COMPUTE_PGM_RSRC2:TGID_Z_EN: 0
; COMPUTE_PGM_RSRC2:TIDIG_COMP_CNT: 0
	.section	.text._Z38paged_attention_ll4mi_QKV_mfma4_kernelIDF16_DF16_LN4vllm18Fp8KVCacheDataTypeE0EhLi16ELi128ELi256ELb0ELi3EEvPKT_PKT0_S7_ifPKiS9_S9_iPKfiiiPfSC_PS2_PT2_iSB_SB_,"axG",@progbits,_Z38paged_attention_ll4mi_QKV_mfma4_kernelIDF16_DF16_LN4vllm18Fp8KVCacheDataTypeE0EhLi16ELi128ELi256ELb0ELi3EEvPKT_PKT0_S7_ifPKiS9_S9_iPKfiiiPfSC_PS2_PT2_iSB_SB_,comdat
	.protected	_Z38paged_attention_ll4mi_QKV_mfma4_kernelIDF16_DF16_LN4vllm18Fp8KVCacheDataTypeE0EhLi16ELi128ELi256ELb0ELi3EEvPKT_PKT0_S7_ifPKiS9_S9_iPKfiiiPfSC_PS2_PT2_iSB_SB_ ; -- Begin function _Z38paged_attention_ll4mi_QKV_mfma4_kernelIDF16_DF16_LN4vllm18Fp8KVCacheDataTypeE0EhLi16ELi128ELi256ELb0ELi3EEvPKT_PKT0_S7_ifPKiS9_S9_iPKfiiiPfSC_PS2_PT2_iSB_SB_
	.globl	_Z38paged_attention_ll4mi_QKV_mfma4_kernelIDF16_DF16_LN4vllm18Fp8KVCacheDataTypeE0EhLi16ELi128ELi256ELb0ELi3EEvPKT_PKT0_S7_ifPKiS9_S9_iPKfiiiPfSC_PS2_PT2_iSB_SB_
	.p2align	8
	.type	_Z38paged_attention_ll4mi_QKV_mfma4_kernelIDF16_DF16_LN4vllm18Fp8KVCacheDataTypeE0EhLi16ELi128ELi256ELb0ELi3EEvPKT_PKT0_S7_ifPKiS9_S9_iPKfiiiPfSC_PS2_PT2_iSB_SB_,@function
_Z38paged_attention_ll4mi_QKV_mfma4_kernelIDF16_DF16_LN4vllm18Fp8KVCacheDataTypeE0EhLi16ELi128ELi256ELb0ELi3EEvPKT_PKT0_S7_ifPKiS9_S9_iPKfiiiPfSC_PS2_PT2_iSB_SB_: ; @_Z38paged_attention_ll4mi_QKV_mfma4_kernelIDF16_DF16_LN4vllm18Fp8KVCacheDataTypeE0EhLi16ELi128ELi256ELb0ELi3EEvPKT_PKT0_S7_ifPKiS9_S9_iPKfiiiPfSC_PS2_PT2_iSB_SB_
; %bb.0:
	s_get_pc_i64 s[2:3]
	s_add_nc_u64 s[2:3], s[2:3], __PRETTY_FUNCTION__._Z38paged_attention_ll4mi_QKV_mfma4_kernelIDF16_DF16_LN4vllm18Fp8KVCacheDataTypeE0EhLi16ELi128ELi256ELb0ELi3EEvPKT_PKT0_S7_ifPKiS9_S9_iPKfiiiPfSC_PS2_PT2_iSB_SB_@rel64+4
	s_delay_alu instid0(SALU_CYCLE_1)
	v_dual_mov_b32 v0, 0xbce :: v_dual_mov_b32 v1, s2
	v_mov_b32_e32 v2, s3
	s_add_nc_u64 s[8:9], s[0:1], 0x90
	s_get_pc_i64 s[0:1]
	s_add_nc_u64 s[0:1], s[0:1], __assert_fail@rel64+4
	s_mov_b32 s32, 0
	s_swap_pc_i64 s[30:31], s[0:1]
	.section	.rodata,"a",@progbits
	.p2align	6, 0x0
	.amdhsa_kernel _Z38paged_attention_ll4mi_QKV_mfma4_kernelIDF16_DF16_LN4vllm18Fp8KVCacheDataTypeE0EhLi16ELi128ELi256ELb0ELi3EEvPKT_PKT0_S7_ifPKiS9_S9_iPKfiiiPfSC_PS2_PT2_iSB_SB_
		.amdhsa_group_segment_fixed_size 0
		.amdhsa_private_segment_fixed_size 64
		.amdhsa_kernarg_size 400
		.amdhsa_user_sgpr_count 2
		.amdhsa_user_sgpr_dispatch_ptr 0
		.amdhsa_user_sgpr_queue_ptr 0
		.amdhsa_user_sgpr_kernarg_segment_ptr 1
		.amdhsa_user_sgpr_dispatch_id 0
		.amdhsa_user_sgpr_kernarg_preload_length 0
		.amdhsa_user_sgpr_kernarg_preload_offset 0
		.amdhsa_user_sgpr_private_segment_size 0
		.amdhsa_wavefront_size32 1
		.amdhsa_uses_dynamic_stack 0
		.amdhsa_enable_private_segment 1
		.amdhsa_system_sgpr_workgroup_id_x 1
		.amdhsa_system_sgpr_workgroup_id_y 0
		.amdhsa_system_sgpr_workgroup_id_z 0
		.amdhsa_system_sgpr_workgroup_info 0
		.amdhsa_system_vgpr_workitem_id 0
		.amdhsa_next_free_vgpr 51
		.amdhsa_next_free_sgpr 34
		.amdhsa_named_barrier_count 0
		.amdhsa_reserve_vcc 1
		.amdhsa_float_round_mode_32 0
		.amdhsa_float_round_mode_16_64 0
		.amdhsa_float_denorm_mode_32 3
		.amdhsa_float_denorm_mode_16_64 3
		.amdhsa_fp16_overflow 0
		.amdhsa_memory_ordered 1
		.amdhsa_forward_progress 1
		.amdhsa_inst_pref_size 1
		.amdhsa_round_robin_scheduling 0
		.amdhsa_exception_fp_ieee_invalid_op 0
		.amdhsa_exception_fp_denorm_src 0
		.amdhsa_exception_fp_ieee_div_zero 0
		.amdhsa_exception_fp_ieee_overflow 0
		.amdhsa_exception_fp_ieee_underflow 0
		.amdhsa_exception_fp_ieee_inexact 0
		.amdhsa_exception_int_div_zero 0
	.end_amdhsa_kernel
	.section	.text._Z38paged_attention_ll4mi_QKV_mfma4_kernelIDF16_DF16_LN4vllm18Fp8KVCacheDataTypeE0EhLi16ELi128ELi256ELb0ELi3EEvPKT_PKT0_S7_ifPKiS9_S9_iPKfiiiPfSC_PS2_PT2_iSB_SB_,"axG",@progbits,_Z38paged_attention_ll4mi_QKV_mfma4_kernelIDF16_DF16_LN4vllm18Fp8KVCacheDataTypeE0EhLi16ELi128ELi256ELb0ELi3EEvPKT_PKT0_S7_ifPKiS9_S9_iPKfiiiPfSC_PS2_PT2_iSB_SB_,comdat
.Lfunc_end232:
	.size	_Z38paged_attention_ll4mi_QKV_mfma4_kernelIDF16_DF16_LN4vllm18Fp8KVCacheDataTypeE0EhLi16ELi128ELi256ELb0ELi3EEvPKT_PKT0_S7_ifPKiS9_S9_iPKfiiiPfSC_PS2_PT2_iSB_SB_, .Lfunc_end232-_Z38paged_attention_ll4mi_QKV_mfma4_kernelIDF16_DF16_LN4vllm18Fp8KVCacheDataTypeE0EhLi16ELi128ELi256ELb0ELi3EEvPKT_PKT0_S7_ifPKiS9_S9_iPKfiiiPfSC_PS2_PT2_iSB_SB_
                                        ; -- End function
	.set _Z38paged_attention_ll4mi_QKV_mfma4_kernelIDF16_DF16_LN4vllm18Fp8KVCacheDataTypeE0EhLi16ELi128ELi256ELb0ELi3EEvPKT_PKT0_S7_ifPKiS9_S9_iPKfiiiPfSC_PS2_PT2_iSB_SB_.num_vgpr, max(3, .L__assert_fail.num_vgpr)
	.set _Z38paged_attention_ll4mi_QKV_mfma4_kernelIDF16_DF16_LN4vllm18Fp8KVCacheDataTypeE0EhLi16ELi128ELi256ELb0ELi3EEvPKT_PKT0_S7_ifPKiS9_S9_iPKfiiiPfSC_PS2_PT2_iSB_SB_.num_agpr, max(0, .L__assert_fail.num_agpr)
	.set _Z38paged_attention_ll4mi_QKV_mfma4_kernelIDF16_DF16_LN4vllm18Fp8KVCacheDataTypeE0EhLi16ELi128ELi256ELb0ELi3EEvPKT_PKT0_S7_ifPKiS9_S9_iPKfiiiPfSC_PS2_PT2_iSB_SB_.numbered_sgpr, max(33, .L__assert_fail.numbered_sgpr)
	.set _Z38paged_attention_ll4mi_QKV_mfma4_kernelIDF16_DF16_LN4vllm18Fp8KVCacheDataTypeE0EhLi16ELi128ELi256ELb0ELi3EEvPKT_PKT0_S7_ifPKiS9_S9_iPKfiiiPfSC_PS2_PT2_iSB_SB_.num_named_barrier, max(0, .L__assert_fail.num_named_barrier)
	.set _Z38paged_attention_ll4mi_QKV_mfma4_kernelIDF16_DF16_LN4vllm18Fp8KVCacheDataTypeE0EhLi16ELi128ELi256ELb0ELi3EEvPKT_PKT0_S7_ifPKiS9_S9_iPKfiiiPfSC_PS2_PT2_iSB_SB_.private_seg_size, 0+max(.L__assert_fail.private_seg_size)
	.set _Z38paged_attention_ll4mi_QKV_mfma4_kernelIDF16_DF16_LN4vllm18Fp8KVCacheDataTypeE0EhLi16ELi128ELi256ELb0ELi3EEvPKT_PKT0_S7_ifPKiS9_S9_iPKfiiiPfSC_PS2_PT2_iSB_SB_.uses_vcc, or(1, .L__assert_fail.uses_vcc)
	.set _Z38paged_attention_ll4mi_QKV_mfma4_kernelIDF16_DF16_LN4vllm18Fp8KVCacheDataTypeE0EhLi16ELi128ELi256ELb0ELi3EEvPKT_PKT0_S7_ifPKiS9_S9_iPKfiiiPfSC_PS2_PT2_iSB_SB_.uses_flat_scratch, or(0, .L__assert_fail.uses_flat_scratch)
	.set _Z38paged_attention_ll4mi_QKV_mfma4_kernelIDF16_DF16_LN4vllm18Fp8KVCacheDataTypeE0EhLi16ELi128ELi256ELb0ELi3EEvPKT_PKT0_S7_ifPKiS9_S9_iPKfiiiPfSC_PS2_PT2_iSB_SB_.has_dyn_sized_stack, or(0, .L__assert_fail.has_dyn_sized_stack)
	.set _Z38paged_attention_ll4mi_QKV_mfma4_kernelIDF16_DF16_LN4vllm18Fp8KVCacheDataTypeE0EhLi16ELi128ELi256ELb0ELi3EEvPKT_PKT0_S7_ifPKiS9_S9_iPKfiiiPfSC_PS2_PT2_iSB_SB_.has_recursion, or(0, .L__assert_fail.has_recursion)
	.set _Z38paged_attention_ll4mi_QKV_mfma4_kernelIDF16_DF16_LN4vllm18Fp8KVCacheDataTypeE0EhLi16ELi128ELi256ELb0ELi3EEvPKT_PKT0_S7_ifPKiS9_S9_iPKfiiiPfSC_PS2_PT2_iSB_SB_.has_indirect_call, or(0, .L__assert_fail.has_indirect_call)
	.section	.AMDGPU.csdata,"",@progbits
; Kernel info:
; codeLenInByte = 68
; TotalNumSgprs: 36
; NumVgprs: 51
; ScratchSize: 64
; MemoryBound: 0
; FloatMode: 240
; IeeeMode: 1
; LDSByteSize: 0 bytes/workgroup (compile time only)
; SGPRBlocks: 0
; VGPRBlocks: 3
; NumSGPRsForWavesPerEU: 36
; NumVGPRsForWavesPerEU: 51
; NamedBarCnt: 0
; Occupancy: 16
; WaveLimiterHint : 1
; COMPUTE_PGM_RSRC2:SCRATCH_EN: 1
; COMPUTE_PGM_RSRC2:USER_SGPR: 2
; COMPUTE_PGM_RSRC2:TRAP_HANDLER: 0
; COMPUTE_PGM_RSRC2:TGID_X_EN: 1
; COMPUTE_PGM_RSRC2:TGID_Y_EN: 0
; COMPUTE_PGM_RSRC2:TGID_Z_EN: 0
; COMPUTE_PGM_RSRC2:TIDIG_COMP_CNT: 0
	.section	.text._Z38paged_attention_ll4mi_QKV_mfma4_kernelIDF16_DF16_LN4vllm18Fp8KVCacheDataTypeE0EhLi16ELi128ELi256ELb0ELi4EEvPKT_PKT0_S7_ifPKiS9_S9_iPKfiiiPfSC_PS2_PT2_iSB_SB_,"axG",@progbits,_Z38paged_attention_ll4mi_QKV_mfma4_kernelIDF16_DF16_LN4vllm18Fp8KVCacheDataTypeE0EhLi16ELi128ELi256ELb0ELi4EEvPKT_PKT0_S7_ifPKiS9_S9_iPKfiiiPfSC_PS2_PT2_iSB_SB_,comdat
	.protected	_Z38paged_attention_ll4mi_QKV_mfma4_kernelIDF16_DF16_LN4vllm18Fp8KVCacheDataTypeE0EhLi16ELi128ELi256ELb0ELi4EEvPKT_PKT0_S7_ifPKiS9_S9_iPKfiiiPfSC_PS2_PT2_iSB_SB_ ; -- Begin function _Z38paged_attention_ll4mi_QKV_mfma4_kernelIDF16_DF16_LN4vllm18Fp8KVCacheDataTypeE0EhLi16ELi128ELi256ELb0ELi4EEvPKT_PKT0_S7_ifPKiS9_S9_iPKfiiiPfSC_PS2_PT2_iSB_SB_
	.globl	_Z38paged_attention_ll4mi_QKV_mfma4_kernelIDF16_DF16_LN4vllm18Fp8KVCacheDataTypeE0EhLi16ELi128ELi256ELb0ELi4EEvPKT_PKT0_S7_ifPKiS9_S9_iPKfiiiPfSC_PS2_PT2_iSB_SB_
	.p2align	8
	.type	_Z38paged_attention_ll4mi_QKV_mfma4_kernelIDF16_DF16_LN4vllm18Fp8KVCacheDataTypeE0EhLi16ELi128ELi256ELb0ELi4EEvPKT_PKT0_S7_ifPKiS9_S9_iPKfiiiPfSC_PS2_PT2_iSB_SB_,@function
_Z38paged_attention_ll4mi_QKV_mfma4_kernelIDF16_DF16_LN4vllm18Fp8KVCacheDataTypeE0EhLi16ELi128ELi256ELb0ELi4EEvPKT_PKT0_S7_ifPKiS9_S9_iPKfiiiPfSC_PS2_PT2_iSB_SB_: ; @_Z38paged_attention_ll4mi_QKV_mfma4_kernelIDF16_DF16_LN4vllm18Fp8KVCacheDataTypeE0EhLi16ELi128ELi256ELb0ELi4EEvPKT_PKT0_S7_ifPKiS9_S9_iPKfiiiPfSC_PS2_PT2_iSB_SB_
; %bb.0:
	s_get_pc_i64 s[2:3]
	s_add_nc_u64 s[2:3], s[2:3], __PRETTY_FUNCTION__._Z38paged_attention_ll4mi_QKV_mfma4_kernelIDF16_DF16_LN4vllm18Fp8KVCacheDataTypeE0EhLi16ELi128ELi256ELb0ELi4EEvPKT_PKT0_S7_ifPKiS9_S9_iPKfiiiPfSC_PS2_PT2_iSB_SB_@rel64+4
	s_delay_alu instid0(SALU_CYCLE_1)
	v_dual_mov_b32 v0, 0xbce :: v_dual_mov_b32 v1, s2
	v_mov_b32_e32 v2, s3
	s_add_nc_u64 s[8:9], s[0:1], 0x90
	s_get_pc_i64 s[0:1]
	s_add_nc_u64 s[0:1], s[0:1], __assert_fail@rel64+4
	s_mov_b32 s32, 0
	s_swap_pc_i64 s[30:31], s[0:1]
	.section	.rodata,"a",@progbits
	.p2align	6, 0x0
	.amdhsa_kernel _Z38paged_attention_ll4mi_QKV_mfma4_kernelIDF16_DF16_LN4vllm18Fp8KVCacheDataTypeE0EhLi16ELi128ELi256ELb0ELi4EEvPKT_PKT0_S7_ifPKiS9_S9_iPKfiiiPfSC_PS2_PT2_iSB_SB_
		.amdhsa_group_segment_fixed_size 0
		.amdhsa_private_segment_fixed_size 64
		.amdhsa_kernarg_size 400
		.amdhsa_user_sgpr_count 2
		.amdhsa_user_sgpr_dispatch_ptr 0
		.amdhsa_user_sgpr_queue_ptr 0
		.amdhsa_user_sgpr_kernarg_segment_ptr 1
		.amdhsa_user_sgpr_dispatch_id 0
		.amdhsa_user_sgpr_kernarg_preload_length 0
		.amdhsa_user_sgpr_kernarg_preload_offset 0
		.amdhsa_user_sgpr_private_segment_size 0
		.amdhsa_wavefront_size32 1
		.amdhsa_uses_dynamic_stack 0
		.amdhsa_enable_private_segment 1
		.amdhsa_system_sgpr_workgroup_id_x 1
		.amdhsa_system_sgpr_workgroup_id_y 0
		.amdhsa_system_sgpr_workgroup_id_z 0
		.amdhsa_system_sgpr_workgroup_info 0
		.amdhsa_system_vgpr_workitem_id 0
		.amdhsa_next_free_vgpr 51
		.amdhsa_next_free_sgpr 34
		.amdhsa_named_barrier_count 0
		.amdhsa_reserve_vcc 1
		.amdhsa_float_round_mode_32 0
		.amdhsa_float_round_mode_16_64 0
		.amdhsa_float_denorm_mode_32 3
		.amdhsa_float_denorm_mode_16_64 3
		.amdhsa_fp16_overflow 0
		.amdhsa_memory_ordered 1
		.amdhsa_forward_progress 1
		.amdhsa_inst_pref_size 1
		.amdhsa_round_robin_scheduling 0
		.amdhsa_exception_fp_ieee_invalid_op 0
		.amdhsa_exception_fp_denorm_src 0
		.amdhsa_exception_fp_ieee_div_zero 0
		.amdhsa_exception_fp_ieee_overflow 0
		.amdhsa_exception_fp_ieee_underflow 0
		.amdhsa_exception_fp_ieee_inexact 0
		.amdhsa_exception_int_div_zero 0
	.end_amdhsa_kernel
	.section	.text._Z38paged_attention_ll4mi_QKV_mfma4_kernelIDF16_DF16_LN4vllm18Fp8KVCacheDataTypeE0EhLi16ELi128ELi256ELb0ELi4EEvPKT_PKT0_S7_ifPKiS9_S9_iPKfiiiPfSC_PS2_PT2_iSB_SB_,"axG",@progbits,_Z38paged_attention_ll4mi_QKV_mfma4_kernelIDF16_DF16_LN4vllm18Fp8KVCacheDataTypeE0EhLi16ELi128ELi256ELb0ELi4EEvPKT_PKT0_S7_ifPKiS9_S9_iPKfiiiPfSC_PS2_PT2_iSB_SB_,comdat
.Lfunc_end233:
	.size	_Z38paged_attention_ll4mi_QKV_mfma4_kernelIDF16_DF16_LN4vllm18Fp8KVCacheDataTypeE0EhLi16ELi128ELi256ELb0ELi4EEvPKT_PKT0_S7_ifPKiS9_S9_iPKfiiiPfSC_PS2_PT2_iSB_SB_, .Lfunc_end233-_Z38paged_attention_ll4mi_QKV_mfma4_kernelIDF16_DF16_LN4vllm18Fp8KVCacheDataTypeE0EhLi16ELi128ELi256ELb0ELi4EEvPKT_PKT0_S7_ifPKiS9_S9_iPKfiiiPfSC_PS2_PT2_iSB_SB_
                                        ; -- End function
	.set _Z38paged_attention_ll4mi_QKV_mfma4_kernelIDF16_DF16_LN4vllm18Fp8KVCacheDataTypeE0EhLi16ELi128ELi256ELb0ELi4EEvPKT_PKT0_S7_ifPKiS9_S9_iPKfiiiPfSC_PS2_PT2_iSB_SB_.num_vgpr, max(3, .L__assert_fail.num_vgpr)
	.set _Z38paged_attention_ll4mi_QKV_mfma4_kernelIDF16_DF16_LN4vllm18Fp8KVCacheDataTypeE0EhLi16ELi128ELi256ELb0ELi4EEvPKT_PKT0_S7_ifPKiS9_S9_iPKfiiiPfSC_PS2_PT2_iSB_SB_.num_agpr, max(0, .L__assert_fail.num_agpr)
	.set _Z38paged_attention_ll4mi_QKV_mfma4_kernelIDF16_DF16_LN4vllm18Fp8KVCacheDataTypeE0EhLi16ELi128ELi256ELb0ELi4EEvPKT_PKT0_S7_ifPKiS9_S9_iPKfiiiPfSC_PS2_PT2_iSB_SB_.numbered_sgpr, max(33, .L__assert_fail.numbered_sgpr)
	.set _Z38paged_attention_ll4mi_QKV_mfma4_kernelIDF16_DF16_LN4vllm18Fp8KVCacheDataTypeE0EhLi16ELi128ELi256ELb0ELi4EEvPKT_PKT0_S7_ifPKiS9_S9_iPKfiiiPfSC_PS2_PT2_iSB_SB_.num_named_barrier, max(0, .L__assert_fail.num_named_barrier)
	.set _Z38paged_attention_ll4mi_QKV_mfma4_kernelIDF16_DF16_LN4vllm18Fp8KVCacheDataTypeE0EhLi16ELi128ELi256ELb0ELi4EEvPKT_PKT0_S7_ifPKiS9_S9_iPKfiiiPfSC_PS2_PT2_iSB_SB_.private_seg_size, 0+max(.L__assert_fail.private_seg_size)
	.set _Z38paged_attention_ll4mi_QKV_mfma4_kernelIDF16_DF16_LN4vllm18Fp8KVCacheDataTypeE0EhLi16ELi128ELi256ELb0ELi4EEvPKT_PKT0_S7_ifPKiS9_S9_iPKfiiiPfSC_PS2_PT2_iSB_SB_.uses_vcc, or(1, .L__assert_fail.uses_vcc)
	.set _Z38paged_attention_ll4mi_QKV_mfma4_kernelIDF16_DF16_LN4vllm18Fp8KVCacheDataTypeE0EhLi16ELi128ELi256ELb0ELi4EEvPKT_PKT0_S7_ifPKiS9_S9_iPKfiiiPfSC_PS2_PT2_iSB_SB_.uses_flat_scratch, or(0, .L__assert_fail.uses_flat_scratch)
	.set _Z38paged_attention_ll4mi_QKV_mfma4_kernelIDF16_DF16_LN4vllm18Fp8KVCacheDataTypeE0EhLi16ELi128ELi256ELb0ELi4EEvPKT_PKT0_S7_ifPKiS9_S9_iPKfiiiPfSC_PS2_PT2_iSB_SB_.has_dyn_sized_stack, or(0, .L__assert_fail.has_dyn_sized_stack)
	.set _Z38paged_attention_ll4mi_QKV_mfma4_kernelIDF16_DF16_LN4vllm18Fp8KVCacheDataTypeE0EhLi16ELi128ELi256ELb0ELi4EEvPKT_PKT0_S7_ifPKiS9_S9_iPKfiiiPfSC_PS2_PT2_iSB_SB_.has_recursion, or(0, .L__assert_fail.has_recursion)
	.set _Z38paged_attention_ll4mi_QKV_mfma4_kernelIDF16_DF16_LN4vllm18Fp8KVCacheDataTypeE0EhLi16ELi128ELi256ELb0ELi4EEvPKT_PKT0_S7_ifPKiS9_S9_iPKfiiiPfSC_PS2_PT2_iSB_SB_.has_indirect_call, or(0, .L__assert_fail.has_indirect_call)
	.section	.AMDGPU.csdata,"",@progbits
; Kernel info:
; codeLenInByte = 68
; TotalNumSgprs: 36
; NumVgprs: 51
; ScratchSize: 64
; MemoryBound: 0
; FloatMode: 240
; IeeeMode: 1
; LDSByteSize: 0 bytes/workgroup (compile time only)
; SGPRBlocks: 0
; VGPRBlocks: 3
; NumSGPRsForWavesPerEU: 36
; NumVGPRsForWavesPerEU: 51
; NamedBarCnt: 0
; Occupancy: 16
; WaveLimiterHint : 1
; COMPUTE_PGM_RSRC2:SCRATCH_EN: 1
; COMPUTE_PGM_RSRC2:USER_SGPR: 2
; COMPUTE_PGM_RSRC2:TRAP_HANDLER: 0
; COMPUTE_PGM_RSRC2:TGID_X_EN: 1
; COMPUTE_PGM_RSRC2:TGID_Y_EN: 0
; COMPUTE_PGM_RSRC2:TGID_Z_EN: 0
; COMPUTE_PGM_RSRC2:TIDIG_COMP_CNT: 0
	.section	.text._Z39paged_attention_ll4mi_QKV_mfma16_kernelIDF16_DF16_LN4vllm18Fp8KVCacheDataTypeE0EhLi16ELi128ELi256ELb0ELi5EEvPKT_PKT0_S7_ifPKiS9_S9_iPKfiiiPfSC_PS2_PT2_iSB_SB_,"axG",@progbits,_Z39paged_attention_ll4mi_QKV_mfma16_kernelIDF16_DF16_LN4vllm18Fp8KVCacheDataTypeE0EhLi16ELi128ELi256ELb0ELi5EEvPKT_PKT0_S7_ifPKiS9_S9_iPKfiiiPfSC_PS2_PT2_iSB_SB_,comdat
	.protected	_Z39paged_attention_ll4mi_QKV_mfma16_kernelIDF16_DF16_LN4vllm18Fp8KVCacheDataTypeE0EhLi16ELi128ELi256ELb0ELi5EEvPKT_PKT0_S7_ifPKiS9_S9_iPKfiiiPfSC_PS2_PT2_iSB_SB_ ; -- Begin function _Z39paged_attention_ll4mi_QKV_mfma16_kernelIDF16_DF16_LN4vllm18Fp8KVCacheDataTypeE0EhLi16ELi128ELi256ELb0ELi5EEvPKT_PKT0_S7_ifPKiS9_S9_iPKfiiiPfSC_PS2_PT2_iSB_SB_
	.globl	_Z39paged_attention_ll4mi_QKV_mfma16_kernelIDF16_DF16_LN4vllm18Fp8KVCacheDataTypeE0EhLi16ELi128ELi256ELb0ELi5EEvPKT_PKT0_S7_ifPKiS9_S9_iPKfiiiPfSC_PS2_PT2_iSB_SB_
	.p2align	8
	.type	_Z39paged_attention_ll4mi_QKV_mfma16_kernelIDF16_DF16_LN4vllm18Fp8KVCacheDataTypeE0EhLi16ELi128ELi256ELb0ELi5EEvPKT_PKT0_S7_ifPKiS9_S9_iPKfiiiPfSC_PS2_PT2_iSB_SB_,@function
_Z39paged_attention_ll4mi_QKV_mfma16_kernelIDF16_DF16_LN4vllm18Fp8KVCacheDataTypeE0EhLi16ELi128ELi256ELb0ELi5EEvPKT_PKT0_S7_ifPKiS9_S9_iPKfiiiPfSC_PS2_PT2_iSB_SB_: ; @_Z39paged_attention_ll4mi_QKV_mfma16_kernelIDF16_DF16_LN4vllm18Fp8KVCacheDataTypeE0EhLi16ELi128ELi256ELb0ELi5EEvPKT_PKT0_S7_ifPKiS9_S9_iPKfiiiPfSC_PS2_PT2_iSB_SB_
; %bb.0:
	s_get_pc_i64 s[2:3]
	s_add_nc_u64 s[2:3], s[2:3], __PRETTY_FUNCTION__._Z39paged_attention_ll4mi_QKV_mfma16_kernelIDF16_DF16_LN4vllm18Fp8KVCacheDataTypeE0EhLi16ELi128ELi256ELb0ELi5EEvPKT_PKT0_S7_ifPKiS9_S9_iPKfiiiPfSC_PS2_PT2_iSB_SB_@rel64+4
	s_delay_alu instid0(SALU_CYCLE_1)
	v_dual_mov_b32 v0, 0xbb3 :: v_dual_mov_b32 v1, s2
	v_mov_b32_e32 v2, s3
	s_add_nc_u64 s[8:9], s[0:1], 0x90
	s_get_pc_i64 s[0:1]
	s_add_nc_u64 s[0:1], s[0:1], __assert_fail@rel64+4
	s_mov_b32 s32, 0
	s_swap_pc_i64 s[30:31], s[0:1]
	.section	.rodata,"a",@progbits
	.p2align	6, 0x0
	.amdhsa_kernel _Z39paged_attention_ll4mi_QKV_mfma16_kernelIDF16_DF16_LN4vllm18Fp8KVCacheDataTypeE0EhLi16ELi128ELi256ELb0ELi5EEvPKT_PKT0_S7_ifPKiS9_S9_iPKfiiiPfSC_PS2_PT2_iSB_SB_
		.amdhsa_group_segment_fixed_size 0
		.amdhsa_private_segment_fixed_size 64
		.amdhsa_kernarg_size 400
		.amdhsa_user_sgpr_count 2
		.amdhsa_user_sgpr_dispatch_ptr 0
		.amdhsa_user_sgpr_queue_ptr 0
		.amdhsa_user_sgpr_kernarg_segment_ptr 1
		.amdhsa_user_sgpr_dispatch_id 0
		.amdhsa_user_sgpr_kernarg_preload_length 0
		.amdhsa_user_sgpr_kernarg_preload_offset 0
		.amdhsa_user_sgpr_private_segment_size 0
		.amdhsa_wavefront_size32 1
		.amdhsa_uses_dynamic_stack 0
		.amdhsa_enable_private_segment 1
		.amdhsa_system_sgpr_workgroup_id_x 1
		.amdhsa_system_sgpr_workgroup_id_y 0
		.amdhsa_system_sgpr_workgroup_id_z 0
		.amdhsa_system_sgpr_workgroup_info 0
		.amdhsa_system_vgpr_workitem_id 0
		.amdhsa_next_free_vgpr 51
		.amdhsa_next_free_sgpr 34
		.amdhsa_named_barrier_count 0
		.amdhsa_reserve_vcc 1
		.amdhsa_float_round_mode_32 0
		.amdhsa_float_round_mode_16_64 0
		.amdhsa_float_denorm_mode_32 3
		.amdhsa_float_denorm_mode_16_64 3
		.amdhsa_fp16_overflow 0
		.amdhsa_memory_ordered 1
		.amdhsa_forward_progress 1
		.amdhsa_inst_pref_size 1
		.amdhsa_round_robin_scheduling 0
		.amdhsa_exception_fp_ieee_invalid_op 0
		.amdhsa_exception_fp_denorm_src 0
		.amdhsa_exception_fp_ieee_div_zero 0
		.amdhsa_exception_fp_ieee_overflow 0
		.amdhsa_exception_fp_ieee_underflow 0
		.amdhsa_exception_fp_ieee_inexact 0
		.amdhsa_exception_int_div_zero 0
	.end_amdhsa_kernel
	.section	.text._Z39paged_attention_ll4mi_QKV_mfma16_kernelIDF16_DF16_LN4vllm18Fp8KVCacheDataTypeE0EhLi16ELi128ELi256ELb0ELi5EEvPKT_PKT0_S7_ifPKiS9_S9_iPKfiiiPfSC_PS2_PT2_iSB_SB_,"axG",@progbits,_Z39paged_attention_ll4mi_QKV_mfma16_kernelIDF16_DF16_LN4vllm18Fp8KVCacheDataTypeE0EhLi16ELi128ELi256ELb0ELi5EEvPKT_PKT0_S7_ifPKiS9_S9_iPKfiiiPfSC_PS2_PT2_iSB_SB_,comdat
.Lfunc_end234:
	.size	_Z39paged_attention_ll4mi_QKV_mfma16_kernelIDF16_DF16_LN4vllm18Fp8KVCacheDataTypeE0EhLi16ELi128ELi256ELb0ELi5EEvPKT_PKT0_S7_ifPKiS9_S9_iPKfiiiPfSC_PS2_PT2_iSB_SB_, .Lfunc_end234-_Z39paged_attention_ll4mi_QKV_mfma16_kernelIDF16_DF16_LN4vllm18Fp8KVCacheDataTypeE0EhLi16ELi128ELi256ELb0ELi5EEvPKT_PKT0_S7_ifPKiS9_S9_iPKfiiiPfSC_PS2_PT2_iSB_SB_
                                        ; -- End function
	.set _Z39paged_attention_ll4mi_QKV_mfma16_kernelIDF16_DF16_LN4vllm18Fp8KVCacheDataTypeE0EhLi16ELi128ELi256ELb0ELi5EEvPKT_PKT0_S7_ifPKiS9_S9_iPKfiiiPfSC_PS2_PT2_iSB_SB_.num_vgpr, max(3, .L__assert_fail.num_vgpr)
	.set _Z39paged_attention_ll4mi_QKV_mfma16_kernelIDF16_DF16_LN4vllm18Fp8KVCacheDataTypeE0EhLi16ELi128ELi256ELb0ELi5EEvPKT_PKT0_S7_ifPKiS9_S9_iPKfiiiPfSC_PS2_PT2_iSB_SB_.num_agpr, max(0, .L__assert_fail.num_agpr)
	.set _Z39paged_attention_ll4mi_QKV_mfma16_kernelIDF16_DF16_LN4vllm18Fp8KVCacheDataTypeE0EhLi16ELi128ELi256ELb0ELi5EEvPKT_PKT0_S7_ifPKiS9_S9_iPKfiiiPfSC_PS2_PT2_iSB_SB_.numbered_sgpr, max(33, .L__assert_fail.numbered_sgpr)
	.set _Z39paged_attention_ll4mi_QKV_mfma16_kernelIDF16_DF16_LN4vllm18Fp8KVCacheDataTypeE0EhLi16ELi128ELi256ELb0ELi5EEvPKT_PKT0_S7_ifPKiS9_S9_iPKfiiiPfSC_PS2_PT2_iSB_SB_.num_named_barrier, max(0, .L__assert_fail.num_named_barrier)
	.set _Z39paged_attention_ll4mi_QKV_mfma16_kernelIDF16_DF16_LN4vllm18Fp8KVCacheDataTypeE0EhLi16ELi128ELi256ELb0ELi5EEvPKT_PKT0_S7_ifPKiS9_S9_iPKfiiiPfSC_PS2_PT2_iSB_SB_.private_seg_size, 0+max(.L__assert_fail.private_seg_size)
	.set _Z39paged_attention_ll4mi_QKV_mfma16_kernelIDF16_DF16_LN4vllm18Fp8KVCacheDataTypeE0EhLi16ELi128ELi256ELb0ELi5EEvPKT_PKT0_S7_ifPKiS9_S9_iPKfiiiPfSC_PS2_PT2_iSB_SB_.uses_vcc, or(1, .L__assert_fail.uses_vcc)
	.set _Z39paged_attention_ll4mi_QKV_mfma16_kernelIDF16_DF16_LN4vllm18Fp8KVCacheDataTypeE0EhLi16ELi128ELi256ELb0ELi5EEvPKT_PKT0_S7_ifPKiS9_S9_iPKfiiiPfSC_PS2_PT2_iSB_SB_.uses_flat_scratch, or(0, .L__assert_fail.uses_flat_scratch)
	.set _Z39paged_attention_ll4mi_QKV_mfma16_kernelIDF16_DF16_LN4vllm18Fp8KVCacheDataTypeE0EhLi16ELi128ELi256ELb0ELi5EEvPKT_PKT0_S7_ifPKiS9_S9_iPKfiiiPfSC_PS2_PT2_iSB_SB_.has_dyn_sized_stack, or(0, .L__assert_fail.has_dyn_sized_stack)
	.set _Z39paged_attention_ll4mi_QKV_mfma16_kernelIDF16_DF16_LN4vllm18Fp8KVCacheDataTypeE0EhLi16ELi128ELi256ELb0ELi5EEvPKT_PKT0_S7_ifPKiS9_S9_iPKfiiiPfSC_PS2_PT2_iSB_SB_.has_recursion, or(0, .L__assert_fail.has_recursion)
	.set _Z39paged_attention_ll4mi_QKV_mfma16_kernelIDF16_DF16_LN4vllm18Fp8KVCacheDataTypeE0EhLi16ELi128ELi256ELb0ELi5EEvPKT_PKT0_S7_ifPKiS9_S9_iPKfiiiPfSC_PS2_PT2_iSB_SB_.has_indirect_call, or(0, .L__assert_fail.has_indirect_call)
	.section	.AMDGPU.csdata,"",@progbits
; Kernel info:
; codeLenInByte = 68
; TotalNumSgprs: 36
; NumVgprs: 51
; ScratchSize: 64
; MemoryBound: 0
; FloatMode: 240
; IeeeMode: 1
; LDSByteSize: 0 bytes/workgroup (compile time only)
; SGPRBlocks: 0
; VGPRBlocks: 3
; NumSGPRsForWavesPerEU: 36
; NumVGPRsForWavesPerEU: 51
; NamedBarCnt: 0
; Occupancy: 16
; WaveLimiterHint : 1
; COMPUTE_PGM_RSRC2:SCRATCH_EN: 1
; COMPUTE_PGM_RSRC2:USER_SGPR: 2
; COMPUTE_PGM_RSRC2:TRAP_HANDLER: 0
; COMPUTE_PGM_RSRC2:TGID_X_EN: 1
; COMPUTE_PGM_RSRC2:TGID_Y_EN: 0
; COMPUTE_PGM_RSRC2:TGID_Z_EN: 0
; COMPUTE_PGM_RSRC2:TIDIG_COMP_CNT: 0
	.section	.text._Z39paged_attention_ll4mi_QKV_mfma16_kernelIDF16_DF16_LN4vllm18Fp8KVCacheDataTypeE0EhLi16ELi128ELi256ELb0ELi6EEvPKT_PKT0_S7_ifPKiS9_S9_iPKfiiiPfSC_PS2_PT2_iSB_SB_,"axG",@progbits,_Z39paged_attention_ll4mi_QKV_mfma16_kernelIDF16_DF16_LN4vllm18Fp8KVCacheDataTypeE0EhLi16ELi128ELi256ELb0ELi6EEvPKT_PKT0_S7_ifPKiS9_S9_iPKfiiiPfSC_PS2_PT2_iSB_SB_,comdat
	.protected	_Z39paged_attention_ll4mi_QKV_mfma16_kernelIDF16_DF16_LN4vllm18Fp8KVCacheDataTypeE0EhLi16ELi128ELi256ELb0ELi6EEvPKT_PKT0_S7_ifPKiS9_S9_iPKfiiiPfSC_PS2_PT2_iSB_SB_ ; -- Begin function _Z39paged_attention_ll4mi_QKV_mfma16_kernelIDF16_DF16_LN4vllm18Fp8KVCacheDataTypeE0EhLi16ELi128ELi256ELb0ELi6EEvPKT_PKT0_S7_ifPKiS9_S9_iPKfiiiPfSC_PS2_PT2_iSB_SB_
	.globl	_Z39paged_attention_ll4mi_QKV_mfma16_kernelIDF16_DF16_LN4vllm18Fp8KVCacheDataTypeE0EhLi16ELi128ELi256ELb0ELi6EEvPKT_PKT0_S7_ifPKiS9_S9_iPKfiiiPfSC_PS2_PT2_iSB_SB_
	.p2align	8
	.type	_Z39paged_attention_ll4mi_QKV_mfma16_kernelIDF16_DF16_LN4vllm18Fp8KVCacheDataTypeE0EhLi16ELi128ELi256ELb0ELi6EEvPKT_PKT0_S7_ifPKiS9_S9_iPKfiiiPfSC_PS2_PT2_iSB_SB_,@function
_Z39paged_attention_ll4mi_QKV_mfma16_kernelIDF16_DF16_LN4vllm18Fp8KVCacheDataTypeE0EhLi16ELi128ELi256ELb0ELi6EEvPKT_PKT0_S7_ifPKiS9_S9_iPKfiiiPfSC_PS2_PT2_iSB_SB_: ; @_Z39paged_attention_ll4mi_QKV_mfma16_kernelIDF16_DF16_LN4vllm18Fp8KVCacheDataTypeE0EhLi16ELi128ELi256ELb0ELi6EEvPKT_PKT0_S7_ifPKiS9_S9_iPKfiiiPfSC_PS2_PT2_iSB_SB_
; %bb.0:
	s_get_pc_i64 s[2:3]
	s_add_nc_u64 s[2:3], s[2:3], __PRETTY_FUNCTION__._Z39paged_attention_ll4mi_QKV_mfma16_kernelIDF16_DF16_LN4vllm18Fp8KVCacheDataTypeE0EhLi16ELi128ELi256ELb0ELi6EEvPKT_PKT0_S7_ifPKiS9_S9_iPKfiiiPfSC_PS2_PT2_iSB_SB_@rel64+4
	s_delay_alu instid0(SALU_CYCLE_1)
	v_dual_mov_b32 v0, 0xbb3 :: v_dual_mov_b32 v1, s2
	v_mov_b32_e32 v2, s3
	s_add_nc_u64 s[8:9], s[0:1], 0x90
	s_get_pc_i64 s[0:1]
	s_add_nc_u64 s[0:1], s[0:1], __assert_fail@rel64+4
	s_mov_b32 s32, 0
	s_swap_pc_i64 s[30:31], s[0:1]
	.section	.rodata,"a",@progbits
	.p2align	6, 0x0
	.amdhsa_kernel _Z39paged_attention_ll4mi_QKV_mfma16_kernelIDF16_DF16_LN4vllm18Fp8KVCacheDataTypeE0EhLi16ELi128ELi256ELb0ELi6EEvPKT_PKT0_S7_ifPKiS9_S9_iPKfiiiPfSC_PS2_PT2_iSB_SB_
		.amdhsa_group_segment_fixed_size 0
		.amdhsa_private_segment_fixed_size 64
		.amdhsa_kernarg_size 400
		.amdhsa_user_sgpr_count 2
		.amdhsa_user_sgpr_dispatch_ptr 0
		.amdhsa_user_sgpr_queue_ptr 0
		.amdhsa_user_sgpr_kernarg_segment_ptr 1
		.amdhsa_user_sgpr_dispatch_id 0
		.amdhsa_user_sgpr_kernarg_preload_length 0
		.amdhsa_user_sgpr_kernarg_preload_offset 0
		.amdhsa_user_sgpr_private_segment_size 0
		.amdhsa_wavefront_size32 1
		.amdhsa_uses_dynamic_stack 0
		.amdhsa_enable_private_segment 1
		.amdhsa_system_sgpr_workgroup_id_x 1
		.amdhsa_system_sgpr_workgroup_id_y 0
		.amdhsa_system_sgpr_workgroup_id_z 0
		.amdhsa_system_sgpr_workgroup_info 0
		.amdhsa_system_vgpr_workitem_id 0
		.amdhsa_next_free_vgpr 51
		.amdhsa_next_free_sgpr 34
		.amdhsa_named_barrier_count 0
		.amdhsa_reserve_vcc 1
		.amdhsa_float_round_mode_32 0
		.amdhsa_float_round_mode_16_64 0
		.amdhsa_float_denorm_mode_32 3
		.amdhsa_float_denorm_mode_16_64 3
		.amdhsa_fp16_overflow 0
		.amdhsa_memory_ordered 1
		.amdhsa_forward_progress 1
		.amdhsa_inst_pref_size 1
		.amdhsa_round_robin_scheduling 0
		.amdhsa_exception_fp_ieee_invalid_op 0
		.amdhsa_exception_fp_denorm_src 0
		.amdhsa_exception_fp_ieee_div_zero 0
		.amdhsa_exception_fp_ieee_overflow 0
		.amdhsa_exception_fp_ieee_underflow 0
		.amdhsa_exception_fp_ieee_inexact 0
		.amdhsa_exception_int_div_zero 0
	.end_amdhsa_kernel
	.section	.text._Z39paged_attention_ll4mi_QKV_mfma16_kernelIDF16_DF16_LN4vllm18Fp8KVCacheDataTypeE0EhLi16ELi128ELi256ELb0ELi6EEvPKT_PKT0_S7_ifPKiS9_S9_iPKfiiiPfSC_PS2_PT2_iSB_SB_,"axG",@progbits,_Z39paged_attention_ll4mi_QKV_mfma16_kernelIDF16_DF16_LN4vllm18Fp8KVCacheDataTypeE0EhLi16ELi128ELi256ELb0ELi6EEvPKT_PKT0_S7_ifPKiS9_S9_iPKfiiiPfSC_PS2_PT2_iSB_SB_,comdat
.Lfunc_end235:
	.size	_Z39paged_attention_ll4mi_QKV_mfma16_kernelIDF16_DF16_LN4vllm18Fp8KVCacheDataTypeE0EhLi16ELi128ELi256ELb0ELi6EEvPKT_PKT0_S7_ifPKiS9_S9_iPKfiiiPfSC_PS2_PT2_iSB_SB_, .Lfunc_end235-_Z39paged_attention_ll4mi_QKV_mfma16_kernelIDF16_DF16_LN4vllm18Fp8KVCacheDataTypeE0EhLi16ELi128ELi256ELb0ELi6EEvPKT_PKT0_S7_ifPKiS9_S9_iPKfiiiPfSC_PS2_PT2_iSB_SB_
                                        ; -- End function
	.set _Z39paged_attention_ll4mi_QKV_mfma16_kernelIDF16_DF16_LN4vllm18Fp8KVCacheDataTypeE0EhLi16ELi128ELi256ELb0ELi6EEvPKT_PKT0_S7_ifPKiS9_S9_iPKfiiiPfSC_PS2_PT2_iSB_SB_.num_vgpr, max(3, .L__assert_fail.num_vgpr)
	.set _Z39paged_attention_ll4mi_QKV_mfma16_kernelIDF16_DF16_LN4vllm18Fp8KVCacheDataTypeE0EhLi16ELi128ELi256ELb0ELi6EEvPKT_PKT0_S7_ifPKiS9_S9_iPKfiiiPfSC_PS2_PT2_iSB_SB_.num_agpr, max(0, .L__assert_fail.num_agpr)
	.set _Z39paged_attention_ll4mi_QKV_mfma16_kernelIDF16_DF16_LN4vllm18Fp8KVCacheDataTypeE0EhLi16ELi128ELi256ELb0ELi6EEvPKT_PKT0_S7_ifPKiS9_S9_iPKfiiiPfSC_PS2_PT2_iSB_SB_.numbered_sgpr, max(33, .L__assert_fail.numbered_sgpr)
	.set _Z39paged_attention_ll4mi_QKV_mfma16_kernelIDF16_DF16_LN4vllm18Fp8KVCacheDataTypeE0EhLi16ELi128ELi256ELb0ELi6EEvPKT_PKT0_S7_ifPKiS9_S9_iPKfiiiPfSC_PS2_PT2_iSB_SB_.num_named_barrier, max(0, .L__assert_fail.num_named_barrier)
	.set _Z39paged_attention_ll4mi_QKV_mfma16_kernelIDF16_DF16_LN4vllm18Fp8KVCacheDataTypeE0EhLi16ELi128ELi256ELb0ELi6EEvPKT_PKT0_S7_ifPKiS9_S9_iPKfiiiPfSC_PS2_PT2_iSB_SB_.private_seg_size, 0+max(.L__assert_fail.private_seg_size)
	.set _Z39paged_attention_ll4mi_QKV_mfma16_kernelIDF16_DF16_LN4vllm18Fp8KVCacheDataTypeE0EhLi16ELi128ELi256ELb0ELi6EEvPKT_PKT0_S7_ifPKiS9_S9_iPKfiiiPfSC_PS2_PT2_iSB_SB_.uses_vcc, or(1, .L__assert_fail.uses_vcc)
	.set _Z39paged_attention_ll4mi_QKV_mfma16_kernelIDF16_DF16_LN4vllm18Fp8KVCacheDataTypeE0EhLi16ELi128ELi256ELb0ELi6EEvPKT_PKT0_S7_ifPKiS9_S9_iPKfiiiPfSC_PS2_PT2_iSB_SB_.uses_flat_scratch, or(0, .L__assert_fail.uses_flat_scratch)
	.set _Z39paged_attention_ll4mi_QKV_mfma16_kernelIDF16_DF16_LN4vllm18Fp8KVCacheDataTypeE0EhLi16ELi128ELi256ELb0ELi6EEvPKT_PKT0_S7_ifPKiS9_S9_iPKfiiiPfSC_PS2_PT2_iSB_SB_.has_dyn_sized_stack, or(0, .L__assert_fail.has_dyn_sized_stack)
	.set _Z39paged_attention_ll4mi_QKV_mfma16_kernelIDF16_DF16_LN4vllm18Fp8KVCacheDataTypeE0EhLi16ELi128ELi256ELb0ELi6EEvPKT_PKT0_S7_ifPKiS9_S9_iPKfiiiPfSC_PS2_PT2_iSB_SB_.has_recursion, or(0, .L__assert_fail.has_recursion)
	.set _Z39paged_attention_ll4mi_QKV_mfma16_kernelIDF16_DF16_LN4vllm18Fp8KVCacheDataTypeE0EhLi16ELi128ELi256ELb0ELi6EEvPKT_PKT0_S7_ifPKiS9_S9_iPKfiiiPfSC_PS2_PT2_iSB_SB_.has_indirect_call, or(0, .L__assert_fail.has_indirect_call)
	.section	.AMDGPU.csdata,"",@progbits
; Kernel info:
; codeLenInByte = 68
; TotalNumSgprs: 36
; NumVgprs: 51
; ScratchSize: 64
; MemoryBound: 0
; FloatMode: 240
; IeeeMode: 1
; LDSByteSize: 0 bytes/workgroup (compile time only)
; SGPRBlocks: 0
; VGPRBlocks: 3
; NumSGPRsForWavesPerEU: 36
; NumVGPRsForWavesPerEU: 51
; NamedBarCnt: 0
; Occupancy: 16
; WaveLimiterHint : 1
; COMPUTE_PGM_RSRC2:SCRATCH_EN: 1
; COMPUTE_PGM_RSRC2:USER_SGPR: 2
; COMPUTE_PGM_RSRC2:TRAP_HANDLER: 0
; COMPUTE_PGM_RSRC2:TGID_X_EN: 1
; COMPUTE_PGM_RSRC2:TGID_Y_EN: 0
; COMPUTE_PGM_RSRC2:TGID_Z_EN: 0
; COMPUTE_PGM_RSRC2:TIDIG_COMP_CNT: 0
	.section	.text._Z39paged_attention_ll4mi_QKV_mfma16_kernelIDF16_DF16_LN4vllm18Fp8KVCacheDataTypeE0EhLi16ELi128ELi256ELb0ELi7EEvPKT_PKT0_S7_ifPKiS9_S9_iPKfiiiPfSC_PS2_PT2_iSB_SB_,"axG",@progbits,_Z39paged_attention_ll4mi_QKV_mfma16_kernelIDF16_DF16_LN4vllm18Fp8KVCacheDataTypeE0EhLi16ELi128ELi256ELb0ELi7EEvPKT_PKT0_S7_ifPKiS9_S9_iPKfiiiPfSC_PS2_PT2_iSB_SB_,comdat
	.protected	_Z39paged_attention_ll4mi_QKV_mfma16_kernelIDF16_DF16_LN4vllm18Fp8KVCacheDataTypeE0EhLi16ELi128ELi256ELb0ELi7EEvPKT_PKT0_S7_ifPKiS9_S9_iPKfiiiPfSC_PS2_PT2_iSB_SB_ ; -- Begin function _Z39paged_attention_ll4mi_QKV_mfma16_kernelIDF16_DF16_LN4vllm18Fp8KVCacheDataTypeE0EhLi16ELi128ELi256ELb0ELi7EEvPKT_PKT0_S7_ifPKiS9_S9_iPKfiiiPfSC_PS2_PT2_iSB_SB_
	.globl	_Z39paged_attention_ll4mi_QKV_mfma16_kernelIDF16_DF16_LN4vllm18Fp8KVCacheDataTypeE0EhLi16ELi128ELi256ELb0ELi7EEvPKT_PKT0_S7_ifPKiS9_S9_iPKfiiiPfSC_PS2_PT2_iSB_SB_
	.p2align	8
	.type	_Z39paged_attention_ll4mi_QKV_mfma16_kernelIDF16_DF16_LN4vllm18Fp8KVCacheDataTypeE0EhLi16ELi128ELi256ELb0ELi7EEvPKT_PKT0_S7_ifPKiS9_S9_iPKfiiiPfSC_PS2_PT2_iSB_SB_,@function
_Z39paged_attention_ll4mi_QKV_mfma16_kernelIDF16_DF16_LN4vllm18Fp8KVCacheDataTypeE0EhLi16ELi128ELi256ELb0ELi7EEvPKT_PKT0_S7_ifPKiS9_S9_iPKfiiiPfSC_PS2_PT2_iSB_SB_: ; @_Z39paged_attention_ll4mi_QKV_mfma16_kernelIDF16_DF16_LN4vllm18Fp8KVCacheDataTypeE0EhLi16ELi128ELi256ELb0ELi7EEvPKT_PKT0_S7_ifPKiS9_S9_iPKfiiiPfSC_PS2_PT2_iSB_SB_
; %bb.0:
	s_get_pc_i64 s[2:3]
	s_add_nc_u64 s[2:3], s[2:3], __PRETTY_FUNCTION__._Z39paged_attention_ll4mi_QKV_mfma16_kernelIDF16_DF16_LN4vllm18Fp8KVCacheDataTypeE0EhLi16ELi128ELi256ELb0ELi7EEvPKT_PKT0_S7_ifPKiS9_S9_iPKfiiiPfSC_PS2_PT2_iSB_SB_@rel64+4
	s_delay_alu instid0(SALU_CYCLE_1)
	v_dual_mov_b32 v0, 0xbb3 :: v_dual_mov_b32 v1, s2
	v_mov_b32_e32 v2, s3
	s_add_nc_u64 s[8:9], s[0:1], 0x90
	s_get_pc_i64 s[0:1]
	s_add_nc_u64 s[0:1], s[0:1], __assert_fail@rel64+4
	s_mov_b32 s32, 0
	s_swap_pc_i64 s[30:31], s[0:1]
	.section	.rodata,"a",@progbits
	.p2align	6, 0x0
	.amdhsa_kernel _Z39paged_attention_ll4mi_QKV_mfma16_kernelIDF16_DF16_LN4vllm18Fp8KVCacheDataTypeE0EhLi16ELi128ELi256ELb0ELi7EEvPKT_PKT0_S7_ifPKiS9_S9_iPKfiiiPfSC_PS2_PT2_iSB_SB_
		.amdhsa_group_segment_fixed_size 0
		.amdhsa_private_segment_fixed_size 64
		.amdhsa_kernarg_size 400
		.amdhsa_user_sgpr_count 2
		.amdhsa_user_sgpr_dispatch_ptr 0
		.amdhsa_user_sgpr_queue_ptr 0
		.amdhsa_user_sgpr_kernarg_segment_ptr 1
		.amdhsa_user_sgpr_dispatch_id 0
		.amdhsa_user_sgpr_kernarg_preload_length 0
		.amdhsa_user_sgpr_kernarg_preload_offset 0
		.amdhsa_user_sgpr_private_segment_size 0
		.amdhsa_wavefront_size32 1
		.amdhsa_uses_dynamic_stack 0
		.amdhsa_enable_private_segment 1
		.amdhsa_system_sgpr_workgroup_id_x 1
		.amdhsa_system_sgpr_workgroup_id_y 0
		.amdhsa_system_sgpr_workgroup_id_z 0
		.amdhsa_system_sgpr_workgroup_info 0
		.amdhsa_system_vgpr_workitem_id 0
		.amdhsa_next_free_vgpr 51
		.amdhsa_next_free_sgpr 34
		.amdhsa_named_barrier_count 0
		.amdhsa_reserve_vcc 1
		.amdhsa_float_round_mode_32 0
		.amdhsa_float_round_mode_16_64 0
		.amdhsa_float_denorm_mode_32 3
		.amdhsa_float_denorm_mode_16_64 3
		.amdhsa_fp16_overflow 0
		.amdhsa_memory_ordered 1
		.amdhsa_forward_progress 1
		.amdhsa_inst_pref_size 1
		.amdhsa_round_robin_scheduling 0
		.amdhsa_exception_fp_ieee_invalid_op 0
		.amdhsa_exception_fp_denorm_src 0
		.amdhsa_exception_fp_ieee_div_zero 0
		.amdhsa_exception_fp_ieee_overflow 0
		.amdhsa_exception_fp_ieee_underflow 0
		.amdhsa_exception_fp_ieee_inexact 0
		.amdhsa_exception_int_div_zero 0
	.end_amdhsa_kernel
	.section	.text._Z39paged_attention_ll4mi_QKV_mfma16_kernelIDF16_DF16_LN4vllm18Fp8KVCacheDataTypeE0EhLi16ELi128ELi256ELb0ELi7EEvPKT_PKT0_S7_ifPKiS9_S9_iPKfiiiPfSC_PS2_PT2_iSB_SB_,"axG",@progbits,_Z39paged_attention_ll4mi_QKV_mfma16_kernelIDF16_DF16_LN4vllm18Fp8KVCacheDataTypeE0EhLi16ELi128ELi256ELb0ELi7EEvPKT_PKT0_S7_ifPKiS9_S9_iPKfiiiPfSC_PS2_PT2_iSB_SB_,comdat
.Lfunc_end236:
	.size	_Z39paged_attention_ll4mi_QKV_mfma16_kernelIDF16_DF16_LN4vllm18Fp8KVCacheDataTypeE0EhLi16ELi128ELi256ELb0ELi7EEvPKT_PKT0_S7_ifPKiS9_S9_iPKfiiiPfSC_PS2_PT2_iSB_SB_, .Lfunc_end236-_Z39paged_attention_ll4mi_QKV_mfma16_kernelIDF16_DF16_LN4vllm18Fp8KVCacheDataTypeE0EhLi16ELi128ELi256ELb0ELi7EEvPKT_PKT0_S7_ifPKiS9_S9_iPKfiiiPfSC_PS2_PT2_iSB_SB_
                                        ; -- End function
	.set _Z39paged_attention_ll4mi_QKV_mfma16_kernelIDF16_DF16_LN4vllm18Fp8KVCacheDataTypeE0EhLi16ELi128ELi256ELb0ELi7EEvPKT_PKT0_S7_ifPKiS9_S9_iPKfiiiPfSC_PS2_PT2_iSB_SB_.num_vgpr, max(3, .L__assert_fail.num_vgpr)
	.set _Z39paged_attention_ll4mi_QKV_mfma16_kernelIDF16_DF16_LN4vllm18Fp8KVCacheDataTypeE0EhLi16ELi128ELi256ELb0ELi7EEvPKT_PKT0_S7_ifPKiS9_S9_iPKfiiiPfSC_PS2_PT2_iSB_SB_.num_agpr, max(0, .L__assert_fail.num_agpr)
	.set _Z39paged_attention_ll4mi_QKV_mfma16_kernelIDF16_DF16_LN4vllm18Fp8KVCacheDataTypeE0EhLi16ELi128ELi256ELb0ELi7EEvPKT_PKT0_S7_ifPKiS9_S9_iPKfiiiPfSC_PS2_PT2_iSB_SB_.numbered_sgpr, max(33, .L__assert_fail.numbered_sgpr)
	.set _Z39paged_attention_ll4mi_QKV_mfma16_kernelIDF16_DF16_LN4vllm18Fp8KVCacheDataTypeE0EhLi16ELi128ELi256ELb0ELi7EEvPKT_PKT0_S7_ifPKiS9_S9_iPKfiiiPfSC_PS2_PT2_iSB_SB_.num_named_barrier, max(0, .L__assert_fail.num_named_barrier)
	.set _Z39paged_attention_ll4mi_QKV_mfma16_kernelIDF16_DF16_LN4vllm18Fp8KVCacheDataTypeE0EhLi16ELi128ELi256ELb0ELi7EEvPKT_PKT0_S7_ifPKiS9_S9_iPKfiiiPfSC_PS2_PT2_iSB_SB_.private_seg_size, 0+max(.L__assert_fail.private_seg_size)
	.set _Z39paged_attention_ll4mi_QKV_mfma16_kernelIDF16_DF16_LN4vllm18Fp8KVCacheDataTypeE0EhLi16ELi128ELi256ELb0ELi7EEvPKT_PKT0_S7_ifPKiS9_S9_iPKfiiiPfSC_PS2_PT2_iSB_SB_.uses_vcc, or(1, .L__assert_fail.uses_vcc)
	.set _Z39paged_attention_ll4mi_QKV_mfma16_kernelIDF16_DF16_LN4vllm18Fp8KVCacheDataTypeE0EhLi16ELi128ELi256ELb0ELi7EEvPKT_PKT0_S7_ifPKiS9_S9_iPKfiiiPfSC_PS2_PT2_iSB_SB_.uses_flat_scratch, or(0, .L__assert_fail.uses_flat_scratch)
	.set _Z39paged_attention_ll4mi_QKV_mfma16_kernelIDF16_DF16_LN4vllm18Fp8KVCacheDataTypeE0EhLi16ELi128ELi256ELb0ELi7EEvPKT_PKT0_S7_ifPKiS9_S9_iPKfiiiPfSC_PS2_PT2_iSB_SB_.has_dyn_sized_stack, or(0, .L__assert_fail.has_dyn_sized_stack)
	.set _Z39paged_attention_ll4mi_QKV_mfma16_kernelIDF16_DF16_LN4vllm18Fp8KVCacheDataTypeE0EhLi16ELi128ELi256ELb0ELi7EEvPKT_PKT0_S7_ifPKiS9_S9_iPKfiiiPfSC_PS2_PT2_iSB_SB_.has_recursion, or(0, .L__assert_fail.has_recursion)
	.set _Z39paged_attention_ll4mi_QKV_mfma16_kernelIDF16_DF16_LN4vllm18Fp8KVCacheDataTypeE0EhLi16ELi128ELi256ELb0ELi7EEvPKT_PKT0_S7_ifPKiS9_S9_iPKfiiiPfSC_PS2_PT2_iSB_SB_.has_indirect_call, or(0, .L__assert_fail.has_indirect_call)
	.section	.AMDGPU.csdata,"",@progbits
; Kernel info:
; codeLenInByte = 68
; TotalNumSgprs: 36
; NumVgprs: 51
; ScratchSize: 64
; MemoryBound: 0
; FloatMode: 240
; IeeeMode: 1
; LDSByteSize: 0 bytes/workgroup (compile time only)
; SGPRBlocks: 0
; VGPRBlocks: 3
; NumSGPRsForWavesPerEU: 36
; NumVGPRsForWavesPerEU: 51
; NamedBarCnt: 0
; Occupancy: 16
; WaveLimiterHint : 1
; COMPUTE_PGM_RSRC2:SCRATCH_EN: 1
; COMPUTE_PGM_RSRC2:USER_SGPR: 2
; COMPUTE_PGM_RSRC2:TRAP_HANDLER: 0
; COMPUTE_PGM_RSRC2:TGID_X_EN: 1
; COMPUTE_PGM_RSRC2:TGID_Y_EN: 0
; COMPUTE_PGM_RSRC2:TGID_Z_EN: 0
; COMPUTE_PGM_RSRC2:TIDIG_COMP_CNT: 0
	.section	.text._Z39paged_attention_ll4mi_QKV_mfma16_kernelIDF16_DF16_LN4vllm18Fp8KVCacheDataTypeE0EhLi16ELi128ELi256ELb0ELi8EEvPKT_PKT0_S7_ifPKiS9_S9_iPKfiiiPfSC_PS2_PT2_iSB_SB_,"axG",@progbits,_Z39paged_attention_ll4mi_QKV_mfma16_kernelIDF16_DF16_LN4vllm18Fp8KVCacheDataTypeE0EhLi16ELi128ELi256ELb0ELi8EEvPKT_PKT0_S7_ifPKiS9_S9_iPKfiiiPfSC_PS2_PT2_iSB_SB_,comdat
	.protected	_Z39paged_attention_ll4mi_QKV_mfma16_kernelIDF16_DF16_LN4vllm18Fp8KVCacheDataTypeE0EhLi16ELi128ELi256ELb0ELi8EEvPKT_PKT0_S7_ifPKiS9_S9_iPKfiiiPfSC_PS2_PT2_iSB_SB_ ; -- Begin function _Z39paged_attention_ll4mi_QKV_mfma16_kernelIDF16_DF16_LN4vllm18Fp8KVCacheDataTypeE0EhLi16ELi128ELi256ELb0ELi8EEvPKT_PKT0_S7_ifPKiS9_S9_iPKfiiiPfSC_PS2_PT2_iSB_SB_
	.globl	_Z39paged_attention_ll4mi_QKV_mfma16_kernelIDF16_DF16_LN4vllm18Fp8KVCacheDataTypeE0EhLi16ELi128ELi256ELb0ELi8EEvPKT_PKT0_S7_ifPKiS9_S9_iPKfiiiPfSC_PS2_PT2_iSB_SB_
	.p2align	8
	.type	_Z39paged_attention_ll4mi_QKV_mfma16_kernelIDF16_DF16_LN4vllm18Fp8KVCacheDataTypeE0EhLi16ELi128ELi256ELb0ELi8EEvPKT_PKT0_S7_ifPKiS9_S9_iPKfiiiPfSC_PS2_PT2_iSB_SB_,@function
_Z39paged_attention_ll4mi_QKV_mfma16_kernelIDF16_DF16_LN4vllm18Fp8KVCacheDataTypeE0EhLi16ELi128ELi256ELb0ELi8EEvPKT_PKT0_S7_ifPKiS9_S9_iPKfiiiPfSC_PS2_PT2_iSB_SB_: ; @_Z39paged_attention_ll4mi_QKV_mfma16_kernelIDF16_DF16_LN4vllm18Fp8KVCacheDataTypeE0EhLi16ELi128ELi256ELb0ELi8EEvPKT_PKT0_S7_ifPKiS9_S9_iPKfiiiPfSC_PS2_PT2_iSB_SB_
; %bb.0:
	s_get_pc_i64 s[2:3]
	s_add_nc_u64 s[2:3], s[2:3], __PRETTY_FUNCTION__._Z39paged_attention_ll4mi_QKV_mfma16_kernelIDF16_DF16_LN4vllm18Fp8KVCacheDataTypeE0EhLi16ELi128ELi256ELb0ELi8EEvPKT_PKT0_S7_ifPKiS9_S9_iPKfiiiPfSC_PS2_PT2_iSB_SB_@rel64+4
	s_delay_alu instid0(SALU_CYCLE_1)
	v_dual_mov_b32 v0, 0xbb3 :: v_dual_mov_b32 v1, s2
	v_mov_b32_e32 v2, s3
	s_add_nc_u64 s[8:9], s[0:1], 0x90
	s_get_pc_i64 s[0:1]
	s_add_nc_u64 s[0:1], s[0:1], __assert_fail@rel64+4
	s_mov_b32 s32, 0
	s_swap_pc_i64 s[30:31], s[0:1]
	.section	.rodata,"a",@progbits
	.p2align	6, 0x0
	.amdhsa_kernel _Z39paged_attention_ll4mi_QKV_mfma16_kernelIDF16_DF16_LN4vllm18Fp8KVCacheDataTypeE0EhLi16ELi128ELi256ELb0ELi8EEvPKT_PKT0_S7_ifPKiS9_S9_iPKfiiiPfSC_PS2_PT2_iSB_SB_
		.amdhsa_group_segment_fixed_size 0
		.amdhsa_private_segment_fixed_size 64
		.amdhsa_kernarg_size 400
		.amdhsa_user_sgpr_count 2
		.amdhsa_user_sgpr_dispatch_ptr 0
		.amdhsa_user_sgpr_queue_ptr 0
		.amdhsa_user_sgpr_kernarg_segment_ptr 1
		.amdhsa_user_sgpr_dispatch_id 0
		.amdhsa_user_sgpr_kernarg_preload_length 0
		.amdhsa_user_sgpr_kernarg_preload_offset 0
		.amdhsa_user_sgpr_private_segment_size 0
		.amdhsa_wavefront_size32 1
		.amdhsa_uses_dynamic_stack 0
		.amdhsa_enable_private_segment 1
		.amdhsa_system_sgpr_workgroup_id_x 1
		.amdhsa_system_sgpr_workgroup_id_y 0
		.amdhsa_system_sgpr_workgroup_id_z 0
		.amdhsa_system_sgpr_workgroup_info 0
		.amdhsa_system_vgpr_workitem_id 0
		.amdhsa_next_free_vgpr 51
		.amdhsa_next_free_sgpr 34
		.amdhsa_named_barrier_count 0
		.amdhsa_reserve_vcc 1
		.amdhsa_float_round_mode_32 0
		.amdhsa_float_round_mode_16_64 0
		.amdhsa_float_denorm_mode_32 3
		.amdhsa_float_denorm_mode_16_64 3
		.amdhsa_fp16_overflow 0
		.amdhsa_memory_ordered 1
		.amdhsa_forward_progress 1
		.amdhsa_inst_pref_size 1
		.amdhsa_round_robin_scheduling 0
		.amdhsa_exception_fp_ieee_invalid_op 0
		.amdhsa_exception_fp_denorm_src 0
		.amdhsa_exception_fp_ieee_div_zero 0
		.amdhsa_exception_fp_ieee_overflow 0
		.amdhsa_exception_fp_ieee_underflow 0
		.amdhsa_exception_fp_ieee_inexact 0
		.amdhsa_exception_int_div_zero 0
	.end_amdhsa_kernel
	.section	.text._Z39paged_attention_ll4mi_QKV_mfma16_kernelIDF16_DF16_LN4vllm18Fp8KVCacheDataTypeE0EhLi16ELi128ELi256ELb0ELi8EEvPKT_PKT0_S7_ifPKiS9_S9_iPKfiiiPfSC_PS2_PT2_iSB_SB_,"axG",@progbits,_Z39paged_attention_ll4mi_QKV_mfma16_kernelIDF16_DF16_LN4vllm18Fp8KVCacheDataTypeE0EhLi16ELi128ELi256ELb0ELi8EEvPKT_PKT0_S7_ifPKiS9_S9_iPKfiiiPfSC_PS2_PT2_iSB_SB_,comdat
.Lfunc_end237:
	.size	_Z39paged_attention_ll4mi_QKV_mfma16_kernelIDF16_DF16_LN4vllm18Fp8KVCacheDataTypeE0EhLi16ELi128ELi256ELb0ELi8EEvPKT_PKT0_S7_ifPKiS9_S9_iPKfiiiPfSC_PS2_PT2_iSB_SB_, .Lfunc_end237-_Z39paged_attention_ll4mi_QKV_mfma16_kernelIDF16_DF16_LN4vllm18Fp8KVCacheDataTypeE0EhLi16ELi128ELi256ELb0ELi8EEvPKT_PKT0_S7_ifPKiS9_S9_iPKfiiiPfSC_PS2_PT2_iSB_SB_
                                        ; -- End function
	.set _Z39paged_attention_ll4mi_QKV_mfma16_kernelIDF16_DF16_LN4vllm18Fp8KVCacheDataTypeE0EhLi16ELi128ELi256ELb0ELi8EEvPKT_PKT0_S7_ifPKiS9_S9_iPKfiiiPfSC_PS2_PT2_iSB_SB_.num_vgpr, max(3, .L__assert_fail.num_vgpr)
	.set _Z39paged_attention_ll4mi_QKV_mfma16_kernelIDF16_DF16_LN4vllm18Fp8KVCacheDataTypeE0EhLi16ELi128ELi256ELb0ELi8EEvPKT_PKT0_S7_ifPKiS9_S9_iPKfiiiPfSC_PS2_PT2_iSB_SB_.num_agpr, max(0, .L__assert_fail.num_agpr)
	.set _Z39paged_attention_ll4mi_QKV_mfma16_kernelIDF16_DF16_LN4vllm18Fp8KVCacheDataTypeE0EhLi16ELi128ELi256ELb0ELi8EEvPKT_PKT0_S7_ifPKiS9_S9_iPKfiiiPfSC_PS2_PT2_iSB_SB_.numbered_sgpr, max(33, .L__assert_fail.numbered_sgpr)
	.set _Z39paged_attention_ll4mi_QKV_mfma16_kernelIDF16_DF16_LN4vllm18Fp8KVCacheDataTypeE0EhLi16ELi128ELi256ELb0ELi8EEvPKT_PKT0_S7_ifPKiS9_S9_iPKfiiiPfSC_PS2_PT2_iSB_SB_.num_named_barrier, max(0, .L__assert_fail.num_named_barrier)
	.set _Z39paged_attention_ll4mi_QKV_mfma16_kernelIDF16_DF16_LN4vllm18Fp8KVCacheDataTypeE0EhLi16ELi128ELi256ELb0ELi8EEvPKT_PKT0_S7_ifPKiS9_S9_iPKfiiiPfSC_PS2_PT2_iSB_SB_.private_seg_size, 0+max(.L__assert_fail.private_seg_size)
	.set _Z39paged_attention_ll4mi_QKV_mfma16_kernelIDF16_DF16_LN4vllm18Fp8KVCacheDataTypeE0EhLi16ELi128ELi256ELb0ELi8EEvPKT_PKT0_S7_ifPKiS9_S9_iPKfiiiPfSC_PS2_PT2_iSB_SB_.uses_vcc, or(1, .L__assert_fail.uses_vcc)
	.set _Z39paged_attention_ll4mi_QKV_mfma16_kernelIDF16_DF16_LN4vllm18Fp8KVCacheDataTypeE0EhLi16ELi128ELi256ELb0ELi8EEvPKT_PKT0_S7_ifPKiS9_S9_iPKfiiiPfSC_PS2_PT2_iSB_SB_.uses_flat_scratch, or(0, .L__assert_fail.uses_flat_scratch)
	.set _Z39paged_attention_ll4mi_QKV_mfma16_kernelIDF16_DF16_LN4vllm18Fp8KVCacheDataTypeE0EhLi16ELi128ELi256ELb0ELi8EEvPKT_PKT0_S7_ifPKiS9_S9_iPKfiiiPfSC_PS2_PT2_iSB_SB_.has_dyn_sized_stack, or(0, .L__assert_fail.has_dyn_sized_stack)
	.set _Z39paged_attention_ll4mi_QKV_mfma16_kernelIDF16_DF16_LN4vllm18Fp8KVCacheDataTypeE0EhLi16ELi128ELi256ELb0ELi8EEvPKT_PKT0_S7_ifPKiS9_S9_iPKfiiiPfSC_PS2_PT2_iSB_SB_.has_recursion, or(0, .L__assert_fail.has_recursion)
	.set _Z39paged_attention_ll4mi_QKV_mfma16_kernelIDF16_DF16_LN4vllm18Fp8KVCacheDataTypeE0EhLi16ELi128ELi256ELb0ELi8EEvPKT_PKT0_S7_ifPKiS9_S9_iPKfiiiPfSC_PS2_PT2_iSB_SB_.has_indirect_call, or(0, .L__assert_fail.has_indirect_call)
	.section	.AMDGPU.csdata,"",@progbits
; Kernel info:
; codeLenInByte = 68
; TotalNumSgprs: 36
; NumVgprs: 51
; ScratchSize: 64
; MemoryBound: 0
; FloatMode: 240
; IeeeMode: 1
; LDSByteSize: 0 bytes/workgroup (compile time only)
; SGPRBlocks: 0
; VGPRBlocks: 3
; NumSGPRsForWavesPerEU: 36
; NumVGPRsForWavesPerEU: 51
; NamedBarCnt: 0
; Occupancy: 16
; WaveLimiterHint : 1
; COMPUTE_PGM_RSRC2:SCRATCH_EN: 1
; COMPUTE_PGM_RSRC2:USER_SGPR: 2
; COMPUTE_PGM_RSRC2:TRAP_HANDLER: 0
; COMPUTE_PGM_RSRC2:TGID_X_EN: 1
; COMPUTE_PGM_RSRC2:TGID_Y_EN: 0
; COMPUTE_PGM_RSRC2:TGID_Z_EN: 0
; COMPUTE_PGM_RSRC2:TIDIG_COMP_CNT: 0
	.section	.text._Z39paged_attention_ll4mi_QKV_mfma16_kernelIDF16_DF16_LN4vllm18Fp8KVCacheDataTypeE0EhLi16ELi128ELi256ELb0ELi9EEvPKT_PKT0_S7_ifPKiS9_S9_iPKfiiiPfSC_PS2_PT2_iSB_SB_,"axG",@progbits,_Z39paged_attention_ll4mi_QKV_mfma16_kernelIDF16_DF16_LN4vllm18Fp8KVCacheDataTypeE0EhLi16ELi128ELi256ELb0ELi9EEvPKT_PKT0_S7_ifPKiS9_S9_iPKfiiiPfSC_PS2_PT2_iSB_SB_,comdat
	.protected	_Z39paged_attention_ll4mi_QKV_mfma16_kernelIDF16_DF16_LN4vllm18Fp8KVCacheDataTypeE0EhLi16ELi128ELi256ELb0ELi9EEvPKT_PKT0_S7_ifPKiS9_S9_iPKfiiiPfSC_PS2_PT2_iSB_SB_ ; -- Begin function _Z39paged_attention_ll4mi_QKV_mfma16_kernelIDF16_DF16_LN4vllm18Fp8KVCacheDataTypeE0EhLi16ELi128ELi256ELb0ELi9EEvPKT_PKT0_S7_ifPKiS9_S9_iPKfiiiPfSC_PS2_PT2_iSB_SB_
	.globl	_Z39paged_attention_ll4mi_QKV_mfma16_kernelIDF16_DF16_LN4vllm18Fp8KVCacheDataTypeE0EhLi16ELi128ELi256ELb0ELi9EEvPKT_PKT0_S7_ifPKiS9_S9_iPKfiiiPfSC_PS2_PT2_iSB_SB_
	.p2align	8
	.type	_Z39paged_attention_ll4mi_QKV_mfma16_kernelIDF16_DF16_LN4vllm18Fp8KVCacheDataTypeE0EhLi16ELi128ELi256ELb0ELi9EEvPKT_PKT0_S7_ifPKiS9_S9_iPKfiiiPfSC_PS2_PT2_iSB_SB_,@function
_Z39paged_attention_ll4mi_QKV_mfma16_kernelIDF16_DF16_LN4vllm18Fp8KVCacheDataTypeE0EhLi16ELi128ELi256ELb0ELi9EEvPKT_PKT0_S7_ifPKiS9_S9_iPKfiiiPfSC_PS2_PT2_iSB_SB_: ; @_Z39paged_attention_ll4mi_QKV_mfma16_kernelIDF16_DF16_LN4vllm18Fp8KVCacheDataTypeE0EhLi16ELi128ELi256ELb0ELi9EEvPKT_PKT0_S7_ifPKiS9_S9_iPKfiiiPfSC_PS2_PT2_iSB_SB_
; %bb.0:
	s_get_pc_i64 s[2:3]
	s_add_nc_u64 s[2:3], s[2:3], __PRETTY_FUNCTION__._Z39paged_attention_ll4mi_QKV_mfma16_kernelIDF16_DF16_LN4vllm18Fp8KVCacheDataTypeE0EhLi16ELi128ELi256ELb0ELi9EEvPKT_PKT0_S7_ifPKiS9_S9_iPKfiiiPfSC_PS2_PT2_iSB_SB_@rel64+4
	s_delay_alu instid0(SALU_CYCLE_1)
	v_dual_mov_b32 v0, 0xbb3 :: v_dual_mov_b32 v1, s2
	v_mov_b32_e32 v2, s3
	s_add_nc_u64 s[8:9], s[0:1], 0x90
	s_get_pc_i64 s[0:1]
	s_add_nc_u64 s[0:1], s[0:1], __assert_fail@rel64+4
	s_mov_b32 s32, 0
	s_swap_pc_i64 s[30:31], s[0:1]
	.section	.rodata,"a",@progbits
	.p2align	6, 0x0
	.amdhsa_kernel _Z39paged_attention_ll4mi_QKV_mfma16_kernelIDF16_DF16_LN4vllm18Fp8KVCacheDataTypeE0EhLi16ELi128ELi256ELb0ELi9EEvPKT_PKT0_S7_ifPKiS9_S9_iPKfiiiPfSC_PS2_PT2_iSB_SB_
		.amdhsa_group_segment_fixed_size 0
		.amdhsa_private_segment_fixed_size 64
		.amdhsa_kernarg_size 400
		.amdhsa_user_sgpr_count 2
		.amdhsa_user_sgpr_dispatch_ptr 0
		.amdhsa_user_sgpr_queue_ptr 0
		.amdhsa_user_sgpr_kernarg_segment_ptr 1
		.amdhsa_user_sgpr_dispatch_id 0
		.amdhsa_user_sgpr_kernarg_preload_length 0
		.amdhsa_user_sgpr_kernarg_preload_offset 0
		.amdhsa_user_sgpr_private_segment_size 0
		.amdhsa_wavefront_size32 1
		.amdhsa_uses_dynamic_stack 0
		.amdhsa_enable_private_segment 1
		.amdhsa_system_sgpr_workgroup_id_x 1
		.amdhsa_system_sgpr_workgroup_id_y 0
		.amdhsa_system_sgpr_workgroup_id_z 0
		.amdhsa_system_sgpr_workgroup_info 0
		.amdhsa_system_vgpr_workitem_id 0
		.amdhsa_next_free_vgpr 51
		.amdhsa_next_free_sgpr 34
		.amdhsa_named_barrier_count 0
		.amdhsa_reserve_vcc 1
		.amdhsa_float_round_mode_32 0
		.amdhsa_float_round_mode_16_64 0
		.amdhsa_float_denorm_mode_32 3
		.amdhsa_float_denorm_mode_16_64 3
		.amdhsa_fp16_overflow 0
		.amdhsa_memory_ordered 1
		.amdhsa_forward_progress 1
		.amdhsa_inst_pref_size 1
		.amdhsa_round_robin_scheduling 0
		.amdhsa_exception_fp_ieee_invalid_op 0
		.amdhsa_exception_fp_denorm_src 0
		.amdhsa_exception_fp_ieee_div_zero 0
		.amdhsa_exception_fp_ieee_overflow 0
		.amdhsa_exception_fp_ieee_underflow 0
		.amdhsa_exception_fp_ieee_inexact 0
		.amdhsa_exception_int_div_zero 0
	.end_amdhsa_kernel
	.section	.text._Z39paged_attention_ll4mi_QKV_mfma16_kernelIDF16_DF16_LN4vllm18Fp8KVCacheDataTypeE0EhLi16ELi128ELi256ELb0ELi9EEvPKT_PKT0_S7_ifPKiS9_S9_iPKfiiiPfSC_PS2_PT2_iSB_SB_,"axG",@progbits,_Z39paged_attention_ll4mi_QKV_mfma16_kernelIDF16_DF16_LN4vllm18Fp8KVCacheDataTypeE0EhLi16ELi128ELi256ELb0ELi9EEvPKT_PKT0_S7_ifPKiS9_S9_iPKfiiiPfSC_PS2_PT2_iSB_SB_,comdat
.Lfunc_end238:
	.size	_Z39paged_attention_ll4mi_QKV_mfma16_kernelIDF16_DF16_LN4vllm18Fp8KVCacheDataTypeE0EhLi16ELi128ELi256ELb0ELi9EEvPKT_PKT0_S7_ifPKiS9_S9_iPKfiiiPfSC_PS2_PT2_iSB_SB_, .Lfunc_end238-_Z39paged_attention_ll4mi_QKV_mfma16_kernelIDF16_DF16_LN4vllm18Fp8KVCacheDataTypeE0EhLi16ELi128ELi256ELb0ELi9EEvPKT_PKT0_S7_ifPKiS9_S9_iPKfiiiPfSC_PS2_PT2_iSB_SB_
                                        ; -- End function
	.set _Z39paged_attention_ll4mi_QKV_mfma16_kernelIDF16_DF16_LN4vllm18Fp8KVCacheDataTypeE0EhLi16ELi128ELi256ELb0ELi9EEvPKT_PKT0_S7_ifPKiS9_S9_iPKfiiiPfSC_PS2_PT2_iSB_SB_.num_vgpr, max(3, .L__assert_fail.num_vgpr)
	.set _Z39paged_attention_ll4mi_QKV_mfma16_kernelIDF16_DF16_LN4vllm18Fp8KVCacheDataTypeE0EhLi16ELi128ELi256ELb0ELi9EEvPKT_PKT0_S7_ifPKiS9_S9_iPKfiiiPfSC_PS2_PT2_iSB_SB_.num_agpr, max(0, .L__assert_fail.num_agpr)
	.set _Z39paged_attention_ll4mi_QKV_mfma16_kernelIDF16_DF16_LN4vllm18Fp8KVCacheDataTypeE0EhLi16ELi128ELi256ELb0ELi9EEvPKT_PKT0_S7_ifPKiS9_S9_iPKfiiiPfSC_PS2_PT2_iSB_SB_.numbered_sgpr, max(33, .L__assert_fail.numbered_sgpr)
	.set _Z39paged_attention_ll4mi_QKV_mfma16_kernelIDF16_DF16_LN4vllm18Fp8KVCacheDataTypeE0EhLi16ELi128ELi256ELb0ELi9EEvPKT_PKT0_S7_ifPKiS9_S9_iPKfiiiPfSC_PS2_PT2_iSB_SB_.num_named_barrier, max(0, .L__assert_fail.num_named_barrier)
	.set _Z39paged_attention_ll4mi_QKV_mfma16_kernelIDF16_DF16_LN4vllm18Fp8KVCacheDataTypeE0EhLi16ELi128ELi256ELb0ELi9EEvPKT_PKT0_S7_ifPKiS9_S9_iPKfiiiPfSC_PS2_PT2_iSB_SB_.private_seg_size, 0+max(.L__assert_fail.private_seg_size)
	.set _Z39paged_attention_ll4mi_QKV_mfma16_kernelIDF16_DF16_LN4vllm18Fp8KVCacheDataTypeE0EhLi16ELi128ELi256ELb0ELi9EEvPKT_PKT0_S7_ifPKiS9_S9_iPKfiiiPfSC_PS2_PT2_iSB_SB_.uses_vcc, or(1, .L__assert_fail.uses_vcc)
	.set _Z39paged_attention_ll4mi_QKV_mfma16_kernelIDF16_DF16_LN4vllm18Fp8KVCacheDataTypeE0EhLi16ELi128ELi256ELb0ELi9EEvPKT_PKT0_S7_ifPKiS9_S9_iPKfiiiPfSC_PS2_PT2_iSB_SB_.uses_flat_scratch, or(0, .L__assert_fail.uses_flat_scratch)
	.set _Z39paged_attention_ll4mi_QKV_mfma16_kernelIDF16_DF16_LN4vllm18Fp8KVCacheDataTypeE0EhLi16ELi128ELi256ELb0ELi9EEvPKT_PKT0_S7_ifPKiS9_S9_iPKfiiiPfSC_PS2_PT2_iSB_SB_.has_dyn_sized_stack, or(0, .L__assert_fail.has_dyn_sized_stack)
	.set _Z39paged_attention_ll4mi_QKV_mfma16_kernelIDF16_DF16_LN4vllm18Fp8KVCacheDataTypeE0EhLi16ELi128ELi256ELb0ELi9EEvPKT_PKT0_S7_ifPKiS9_S9_iPKfiiiPfSC_PS2_PT2_iSB_SB_.has_recursion, or(0, .L__assert_fail.has_recursion)
	.set _Z39paged_attention_ll4mi_QKV_mfma16_kernelIDF16_DF16_LN4vllm18Fp8KVCacheDataTypeE0EhLi16ELi128ELi256ELb0ELi9EEvPKT_PKT0_S7_ifPKiS9_S9_iPKfiiiPfSC_PS2_PT2_iSB_SB_.has_indirect_call, or(0, .L__assert_fail.has_indirect_call)
	.section	.AMDGPU.csdata,"",@progbits
; Kernel info:
; codeLenInByte = 68
; TotalNumSgprs: 36
; NumVgprs: 51
; ScratchSize: 64
; MemoryBound: 0
; FloatMode: 240
; IeeeMode: 1
; LDSByteSize: 0 bytes/workgroup (compile time only)
; SGPRBlocks: 0
; VGPRBlocks: 3
; NumSGPRsForWavesPerEU: 36
; NumVGPRsForWavesPerEU: 51
; NamedBarCnt: 0
; Occupancy: 16
; WaveLimiterHint : 1
; COMPUTE_PGM_RSRC2:SCRATCH_EN: 1
; COMPUTE_PGM_RSRC2:USER_SGPR: 2
; COMPUTE_PGM_RSRC2:TRAP_HANDLER: 0
; COMPUTE_PGM_RSRC2:TGID_X_EN: 1
; COMPUTE_PGM_RSRC2:TGID_Y_EN: 0
; COMPUTE_PGM_RSRC2:TGID_Z_EN: 0
; COMPUTE_PGM_RSRC2:TIDIG_COMP_CNT: 0
	.section	.text._Z39paged_attention_ll4mi_QKV_mfma16_kernelIDF16_DF16_LN4vllm18Fp8KVCacheDataTypeE0EhLi16ELi128ELi256ELb0ELi10EEvPKT_PKT0_S7_ifPKiS9_S9_iPKfiiiPfSC_PS2_PT2_iSB_SB_,"axG",@progbits,_Z39paged_attention_ll4mi_QKV_mfma16_kernelIDF16_DF16_LN4vllm18Fp8KVCacheDataTypeE0EhLi16ELi128ELi256ELb0ELi10EEvPKT_PKT0_S7_ifPKiS9_S9_iPKfiiiPfSC_PS2_PT2_iSB_SB_,comdat
	.protected	_Z39paged_attention_ll4mi_QKV_mfma16_kernelIDF16_DF16_LN4vllm18Fp8KVCacheDataTypeE0EhLi16ELi128ELi256ELb0ELi10EEvPKT_PKT0_S7_ifPKiS9_S9_iPKfiiiPfSC_PS2_PT2_iSB_SB_ ; -- Begin function _Z39paged_attention_ll4mi_QKV_mfma16_kernelIDF16_DF16_LN4vllm18Fp8KVCacheDataTypeE0EhLi16ELi128ELi256ELb0ELi10EEvPKT_PKT0_S7_ifPKiS9_S9_iPKfiiiPfSC_PS2_PT2_iSB_SB_
	.globl	_Z39paged_attention_ll4mi_QKV_mfma16_kernelIDF16_DF16_LN4vllm18Fp8KVCacheDataTypeE0EhLi16ELi128ELi256ELb0ELi10EEvPKT_PKT0_S7_ifPKiS9_S9_iPKfiiiPfSC_PS2_PT2_iSB_SB_
	.p2align	8
	.type	_Z39paged_attention_ll4mi_QKV_mfma16_kernelIDF16_DF16_LN4vllm18Fp8KVCacheDataTypeE0EhLi16ELi128ELi256ELb0ELi10EEvPKT_PKT0_S7_ifPKiS9_S9_iPKfiiiPfSC_PS2_PT2_iSB_SB_,@function
_Z39paged_attention_ll4mi_QKV_mfma16_kernelIDF16_DF16_LN4vllm18Fp8KVCacheDataTypeE0EhLi16ELi128ELi256ELb0ELi10EEvPKT_PKT0_S7_ifPKiS9_S9_iPKfiiiPfSC_PS2_PT2_iSB_SB_: ; @_Z39paged_attention_ll4mi_QKV_mfma16_kernelIDF16_DF16_LN4vllm18Fp8KVCacheDataTypeE0EhLi16ELi128ELi256ELb0ELi10EEvPKT_PKT0_S7_ifPKiS9_S9_iPKfiiiPfSC_PS2_PT2_iSB_SB_
; %bb.0:
	s_get_pc_i64 s[2:3]
	s_add_nc_u64 s[2:3], s[2:3], __PRETTY_FUNCTION__._Z39paged_attention_ll4mi_QKV_mfma16_kernelIDF16_DF16_LN4vllm18Fp8KVCacheDataTypeE0EhLi16ELi128ELi256ELb0ELi10EEvPKT_PKT0_S7_ifPKiS9_S9_iPKfiiiPfSC_PS2_PT2_iSB_SB_@rel64+4
	s_delay_alu instid0(SALU_CYCLE_1)
	v_dual_mov_b32 v0, 0xbb3 :: v_dual_mov_b32 v1, s2
	v_mov_b32_e32 v2, s3
	s_add_nc_u64 s[8:9], s[0:1], 0x90
	s_get_pc_i64 s[0:1]
	s_add_nc_u64 s[0:1], s[0:1], __assert_fail@rel64+4
	s_mov_b32 s32, 0
	s_swap_pc_i64 s[30:31], s[0:1]
	.section	.rodata,"a",@progbits
	.p2align	6, 0x0
	.amdhsa_kernel _Z39paged_attention_ll4mi_QKV_mfma16_kernelIDF16_DF16_LN4vllm18Fp8KVCacheDataTypeE0EhLi16ELi128ELi256ELb0ELi10EEvPKT_PKT0_S7_ifPKiS9_S9_iPKfiiiPfSC_PS2_PT2_iSB_SB_
		.amdhsa_group_segment_fixed_size 0
		.amdhsa_private_segment_fixed_size 64
		.amdhsa_kernarg_size 400
		.amdhsa_user_sgpr_count 2
		.amdhsa_user_sgpr_dispatch_ptr 0
		.amdhsa_user_sgpr_queue_ptr 0
		.amdhsa_user_sgpr_kernarg_segment_ptr 1
		.amdhsa_user_sgpr_dispatch_id 0
		.amdhsa_user_sgpr_kernarg_preload_length 0
		.amdhsa_user_sgpr_kernarg_preload_offset 0
		.amdhsa_user_sgpr_private_segment_size 0
		.amdhsa_wavefront_size32 1
		.amdhsa_uses_dynamic_stack 0
		.amdhsa_enable_private_segment 1
		.amdhsa_system_sgpr_workgroup_id_x 1
		.amdhsa_system_sgpr_workgroup_id_y 0
		.amdhsa_system_sgpr_workgroup_id_z 0
		.amdhsa_system_sgpr_workgroup_info 0
		.amdhsa_system_vgpr_workitem_id 0
		.amdhsa_next_free_vgpr 51
		.amdhsa_next_free_sgpr 34
		.amdhsa_named_barrier_count 0
		.amdhsa_reserve_vcc 1
		.amdhsa_float_round_mode_32 0
		.amdhsa_float_round_mode_16_64 0
		.amdhsa_float_denorm_mode_32 3
		.amdhsa_float_denorm_mode_16_64 3
		.amdhsa_fp16_overflow 0
		.amdhsa_memory_ordered 1
		.amdhsa_forward_progress 1
		.amdhsa_inst_pref_size 1
		.amdhsa_round_robin_scheduling 0
		.amdhsa_exception_fp_ieee_invalid_op 0
		.amdhsa_exception_fp_denorm_src 0
		.amdhsa_exception_fp_ieee_div_zero 0
		.amdhsa_exception_fp_ieee_overflow 0
		.amdhsa_exception_fp_ieee_underflow 0
		.amdhsa_exception_fp_ieee_inexact 0
		.amdhsa_exception_int_div_zero 0
	.end_amdhsa_kernel
	.section	.text._Z39paged_attention_ll4mi_QKV_mfma16_kernelIDF16_DF16_LN4vllm18Fp8KVCacheDataTypeE0EhLi16ELi128ELi256ELb0ELi10EEvPKT_PKT0_S7_ifPKiS9_S9_iPKfiiiPfSC_PS2_PT2_iSB_SB_,"axG",@progbits,_Z39paged_attention_ll4mi_QKV_mfma16_kernelIDF16_DF16_LN4vllm18Fp8KVCacheDataTypeE0EhLi16ELi128ELi256ELb0ELi10EEvPKT_PKT0_S7_ifPKiS9_S9_iPKfiiiPfSC_PS2_PT2_iSB_SB_,comdat
.Lfunc_end239:
	.size	_Z39paged_attention_ll4mi_QKV_mfma16_kernelIDF16_DF16_LN4vllm18Fp8KVCacheDataTypeE0EhLi16ELi128ELi256ELb0ELi10EEvPKT_PKT0_S7_ifPKiS9_S9_iPKfiiiPfSC_PS2_PT2_iSB_SB_, .Lfunc_end239-_Z39paged_attention_ll4mi_QKV_mfma16_kernelIDF16_DF16_LN4vllm18Fp8KVCacheDataTypeE0EhLi16ELi128ELi256ELb0ELi10EEvPKT_PKT0_S7_ifPKiS9_S9_iPKfiiiPfSC_PS2_PT2_iSB_SB_
                                        ; -- End function
	.set _Z39paged_attention_ll4mi_QKV_mfma16_kernelIDF16_DF16_LN4vllm18Fp8KVCacheDataTypeE0EhLi16ELi128ELi256ELb0ELi10EEvPKT_PKT0_S7_ifPKiS9_S9_iPKfiiiPfSC_PS2_PT2_iSB_SB_.num_vgpr, max(3, .L__assert_fail.num_vgpr)
	.set _Z39paged_attention_ll4mi_QKV_mfma16_kernelIDF16_DF16_LN4vllm18Fp8KVCacheDataTypeE0EhLi16ELi128ELi256ELb0ELi10EEvPKT_PKT0_S7_ifPKiS9_S9_iPKfiiiPfSC_PS2_PT2_iSB_SB_.num_agpr, max(0, .L__assert_fail.num_agpr)
	.set _Z39paged_attention_ll4mi_QKV_mfma16_kernelIDF16_DF16_LN4vllm18Fp8KVCacheDataTypeE0EhLi16ELi128ELi256ELb0ELi10EEvPKT_PKT0_S7_ifPKiS9_S9_iPKfiiiPfSC_PS2_PT2_iSB_SB_.numbered_sgpr, max(33, .L__assert_fail.numbered_sgpr)
	.set _Z39paged_attention_ll4mi_QKV_mfma16_kernelIDF16_DF16_LN4vllm18Fp8KVCacheDataTypeE0EhLi16ELi128ELi256ELb0ELi10EEvPKT_PKT0_S7_ifPKiS9_S9_iPKfiiiPfSC_PS2_PT2_iSB_SB_.num_named_barrier, max(0, .L__assert_fail.num_named_barrier)
	.set _Z39paged_attention_ll4mi_QKV_mfma16_kernelIDF16_DF16_LN4vllm18Fp8KVCacheDataTypeE0EhLi16ELi128ELi256ELb0ELi10EEvPKT_PKT0_S7_ifPKiS9_S9_iPKfiiiPfSC_PS2_PT2_iSB_SB_.private_seg_size, 0+max(.L__assert_fail.private_seg_size)
	.set _Z39paged_attention_ll4mi_QKV_mfma16_kernelIDF16_DF16_LN4vllm18Fp8KVCacheDataTypeE0EhLi16ELi128ELi256ELb0ELi10EEvPKT_PKT0_S7_ifPKiS9_S9_iPKfiiiPfSC_PS2_PT2_iSB_SB_.uses_vcc, or(1, .L__assert_fail.uses_vcc)
	.set _Z39paged_attention_ll4mi_QKV_mfma16_kernelIDF16_DF16_LN4vllm18Fp8KVCacheDataTypeE0EhLi16ELi128ELi256ELb0ELi10EEvPKT_PKT0_S7_ifPKiS9_S9_iPKfiiiPfSC_PS2_PT2_iSB_SB_.uses_flat_scratch, or(0, .L__assert_fail.uses_flat_scratch)
	.set _Z39paged_attention_ll4mi_QKV_mfma16_kernelIDF16_DF16_LN4vllm18Fp8KVCacheDataTypeE0EhLi16ELi128ELi256ELb0ELi10EEvPKT_PKT0_S7_ifPKiS9_S9_iPKfiiiPfSC_PS2_PT2_iSB_SB_.has_dyn_sized_stack, or(0, .L__assert_fail.has_dyn_sized_stack)
	.set _Z39paged_attention_ll4mi_QKV_mfma16_kernelIDF16_DF16_LN4vllm18Fp8KVCacheDataTypeE0EhLi16ELi128ELi256ELb0ELi10EEvPKT_PKT0_S7_ifPKiS9_S9_iPKfiiiPfSC_PS2_PT2_iSB_SB_.has_recursion, or(0, .L__assert_fail.has_recursion)
	.set _Z39paged_attention_ll4mi_QKV_mfma16_kernelIDF16_DF16_LN4vllm18Fp8KVCacheDataTypeE0EhLi16ELi128ELi256ELb0ELi10EEvPKT_PKT0_S7_ifPKiS9_S9_iPKfiiiPfSC_PS2_PT2_iSB_SB_.has_indirect_call, or(0, .L__assert_fail.has_indirect_call)
	.section	.AMDGPU.csdata,"",@progbits
; Kernel info:
; codeLenInByte = 68
; TotalNumSgprs: 36
; NumVgprs: 51
; ScratchSize: 64
; MemoryBound: 0
; FloatMode: 240
; IeeeMode: 1
; LDSByteSize: 0 bytes/workgroup (compile time only)
; SGPRBlocks: 0
; VGPRBlocks: 3
; NumSGPRsForWavesPerEU: 36
; NumVGPRsForWavesPerEU: 51
; NamedBarCnt: 0
; Occupancy: 16
; WaveLimiterHint : 1
; COMPUTE_PGM_RSRC2:SCRATCH_EN: 1
; COMPUTE_PGM_RSRC2:USER_SGPR: 2
; COMPUTE_PGM_RSRC2:TRAP_HANDLER: 0
; COMPUTE_PGM_RSRC2:TGID_X_EN: 1
; COMPUTE_PGM_RSRC2:TGID_Y_EN: 0
; COMPUTE_PGM_RSRC2:TGID_Z_EN: 0
; COMPUTE_PGM_RSRC2:TIDIG_COMP_CNT: 0
	.section	.text._Z39paged_attention_ll4mi_QKV_mfma16_kernelIDF16_DF16_LN4vllm18Fp8KVCacheDataTypeE0EhLi16ELi128ELi256ELb0ELi11EEvPKT_PKT0_S7_ifPKiS9_S9_iPKfiiiPfSC_PS2_PT2_iSB_SB_,"axG",@progbits,_Z39paged_attention_ll4mi_QKV_mfma16_kernelIDF16_DF16_LN4vllm18Fp8KVCacheDataTypeE0EhLi16ELi128ELi256ELb0ELi11EEvPKT_PKT0_S7_ifPKiS9_S9_iPKfiiiPfSC_PS2_PT2_iSB_SB_,comdat
	.protected	_Z39paged_attention_ll4mi_QKV_mfma16_kernelIDF16_DF16_LN4vllm18Fp8KVCacheDataTypeE0EhLi16ELi128ELi256ELb0ELi11EEvPKT_PKT0_S7_ifPKiS9_S9_iPKfiiiPfSC_PS2_PT2_iSB_SB_ ; -- Begin function _Z39paged_attention_ll4mi_QKV_mfma16_kernelIDF16_DF16_LN4vllm18Fp8KVCacheDataTypeE0EhLi16ELi128ELi256ELb0ELi11EEvPKT_PKT0_S7_ifPKiS9_S9_iPKfiiiPfSC_PS2_PT2_iSB_SB_
	.globl	_Z39paged_attention_ll4mi_QKV_mfma16_kernelIDF16_DF16_LN4vllm18Fp8KVCacheDataTypeE0EhLi16ELi128ELi256ELb0ELi11EEvPKT_PKT0_S7_ifPKiS9_S9_iPKfiiiPfSC_PS2_PT2_iSB_SB_
	.p2align	8
	.type	_Z39paged_attention_ll4mi_QKV_mfma16_kernelIDF16_DF16_LN4vllm18Fp8KVCacheDataTypeE0EhLi16ELi128ELi256ELb0ELi11EEvPKT_PKT0_S7_ifPKiS9_S9_iPKfiiiPfSC_PS2_PT2_iSB_SB_,@function
_Z39paged_attention_ll4mi_QKV_mfma16_kernelIDF16_DF16_LN4vllm18Fp8KVCacheDataTypeE0EhLi16ELi128ELi256ELb0ELi11EEvPKT_PKT0_S7_ifPKiS9_S9_iPKfiiiPfSC_PS2_PT2_iSB_SB_: ; @_Z39paged_attention_ll4mi_QKV_mfma16_kernelIDF16_DF16_LN4vllm18Fp8KVCacheDataTypeE0EhLi16ELi128ELi256ELb0ELi11EEvPKT_PKT0_S7_ifPKiS9_S9_iPKfiiiPfSC_PS2_PT2_iSB_SB_
; %bb.0:
	s_get_pc_i64 s[2:3]
	s_add_nc_u64 s[2:3], s[2:3], __PRETTY_FUNCTION__._Z39paged_attention_ll4mi_QKV_mfma16_kernelIDF16_DF16_LN4vllm18Fp8KVCacheDataTypeE0EhLi16ELi128ELi256ELb0ELi11EEvPKT_PKT0_S7_ifPKiS9_S9_iPKfiiiPfSC_PS2_PT2_iSB_SB_@rel64+4
	s_delay_alu instid0(SALU_CYCLE_1)
	v_dual_mov_b32 v0, 0xbb3 :: v_dual_mov_b32 v1, s2
	v_mov_b32_e32 v2, s3
	s_add_nc_u64 s[8:9], s[0:1], 0x90
	s_get_pc_i64 s[0:1]
	s_add_nc_u64 s[0:1], s[0:1], __assert_fail@rel64+4
	s_mov_b32 s32, 0
	s_swap_pc_i64 s[30:31], s[0:1]
	.section	.rodata,"a",@progbits
	.p2align	6, 0x0
	.amdhsa_kernel _Z39paged_attention_ll4mi_QKV_mfma16_kernelIDF16_DF16_LN4vllm18Fp8KVCacheDataTypeE0EhLi16ELi128ELi256ELb0ELi11EEvPKT_PKT0_S7_ifPKiS9_S9_iPKfiiiPfSC_PS2_PT2_iSB_SB_
		.amdhsa_group_segment_fixed_size 0
		.amdhsa_private_segment_fixed_size 64
		.amdhsa_kernarg_size 400
		.amdhsa_user_sgpr_count 2
		.amdhsa_user_sgpr_dispatch_ptr 0
		.amdhsa_user_sgpr_queue_ptr 0
		.amdhsa_user_sgpr_kernarg_segment_ptr 1
		.amdhsa_user_sgpr_dispatch_id 0
		.amdhsa_user_sgpr_kernarg_preload_length 0
		.amdhsa_user_sgpr_kernarg_preload_offset 0
		.amdhsa_user_sgpr_private_segment_size 0
		.amdhsa_wavefront_size32 1
		.amdhsa_uses_dynamic_stack 0
		.amdhsa_enable_private_segment 1
		.amdhsa_system_sgpr_workgroup_id_x 1
		.amdhsa_system_sgpr_workgroup_id_y 0
		.amdhsa_system_sgpr_workgroup_id_z 0
		.amdhsa_system_sgpr_workgroup_info 0
		.amdhsa_system_vgpr_workitem_id 0
		.amdhsa_next_free_vgpr 51
		.amdhsa_next_free_sgpr 34
		.amdhsa_named_barrier_count 0
		.amdhsa_reserve_vcc 1
		.amdhsa_float_round_mode_32 0
		.amdhsa_float_round_mode_16_64 0
		.amdhsa_float_denorm_mode_32 3
		.amdhsa_float_denorm_mode_16_64 3
		.amdhsa_fp16_overflow 0
		.amdhsa_memory_ordered 1
		.amdhsa_forward_progress 1
		.amdhsa_inst_pref_size 1
		.amdhsa_round_robin_scheduling 0
		.amdhsa_exception_fp_ieee_invalid_op 0
		.amdhsa_exception_fp_denorm_src 0
		.amdhsa_exception_fp_ieee_div_zero 0
		.amdhsa_exception_fp_ieee_overflow 0
		.amdhsa_exception_fp_ieee_underflow 0
		.amdhsa_exception_fp_ieee_inexact 0
		.amdhsa_exception_int_div_zero 0
	.end_amdhsa_kernel
	.section	.text._Z39paged_attention_ll4mi_QKV_mfma16_kernelIDF16_DF16_LN4vllm18Fp8KVCacheDataTypeE0EhLi16ELi128ELi256ELb0ELi11EEvPKT_PKT0_S7_ifPKiS9_S9_iPKfiiiPfSC_PS2_PT2_iSB_SB_,"axG",@progbits,_Z39paged_attention_ll4mi_QKV_mfma16_kernelIDF16_DF16_LN4vllm18Fp8KVCacheDataTypeE0EhLi16ELi128ELi256ELb0ELi11EEvPKT_PKT0_S7_ifPKiS9_S9_iPKfiiiPfSC_PS2_PT2_iSB_SB_,comdat
.Lfunc_end240:
	.size	_Z39paged_attention_ll4mi_QKV_mfma16_kernelIDF16_DF16_LN4vllm18Fp8KVCacheDataTypeE0EhLi16ELi128ELi256ELb0ELi11EEvPKT_PKT0_S7_ifPKiS9_S9_iPKfiiiPfSC_PS2_PT2_iSB_SB_, .Lfunc_end240-_Z39paged_attention_ll4mi_QKV_mfma16_kernelIDF16_DF16_LN4vllm18Fp8KVCacheDataTypeE0EhLi16ELi128ELi256ELb0ELi11EEvPKT_PKT0_S7_ifPKiS9_S9_iPKfiiiPfSC_PS2_PT2_iSB_SB_
                                        ; -- End function
	.set _Z39paged_attention_ll4mi_QKV_mfma16_kernelIDF16_DF16_LN4vllm18Fp8KVCacheDataTypeE0EhLi16ELi128ELi256ELb0ELi11EEvPKT_PKT0_S7_ifPKiS9_S9_iPKfiiiPfSC_PS2_PT2_iSB_SB_.num_vgpr, max(3, .L__assert_fail.num_vgpr)
	.set _Z39paged_attention_ll4mi_QKV_mfma16_kernelIDF16_DF16_LN4vllm18Fp8KVCacheDataTypeE0EhLi16ELi128ELi256ELb0ELi11EEvPKT_PKT0_S7_ifPKiS9_S9_iPKfiiiPfSC_PS2_PT2_iSB_SB_.num_agpr, max(0, .L__assert_fail.num_agpr)
	.set _Z39paged_attention_ll4mi_QKV_mfma16_kernelIDF16_DF16_LN4vllm18Fp8KVCacheDataTypeE0EhLi16ELi128ELi256ELb0ELi11EEvPKT_PKT0_S7_ifPKiS9_S9_iPKfiiiPfSC_PS2_PT2_iSB_SB_.numbered_sgpr, max(33, .L__assert_fail.numbered_sgpr)
	.set _Z39paged_attention_ll4mi_QKV_mfma16_kernelIDF16_DF16_LN4vllm18Fp8KVCacheDataTypeE0EhLi16ELi128ELi256ELb0ELi11EEvPKT_PKT0_S7_ifPKiS9_S9_iPKfiiiPfSC_PS2_PT2_iSB_SB_.num_named_barrier, max(0, .L__assert_fail.num_named_barrier)
	.set _Z39paged_attention_ll4mi_QKV_mfma16_kernelIDF16_DF16_LN4vllm18Fp8KVCacheDataTypeE0EhLi16ELi128ELi256ELb0ELi11EEvPKT_PKT0_S7_ifPKiS9_S9_iPKfiiiPfSC_PS2_PT2_iSB_SB_.private_seg_size, 0+max(.L__assert_fail.private_seg_size)
	.set _Z39paged_attention_ll4mi_QKV_mfma16_kernelIDF16_DF16_LN4vllm18Fp8KVCacheDataTypeE0EhLi16ELi128ELi256ELb0ELi11EEvPKT_PKT0_S7_ifPKiS9_S9_iPKfiiiPfSC_PS2_PT2_iSB_SB_.uses_vcc, or(1, .L__assert_fail.uses_vcc)
	.set _Z39paged_attention_ll4mi_QKV_mfma16_kernelIDF16_DF16_LN4vllm18Fp8KVCacheDataTypeE0EhLi16ELi128ELi256ELb0ELi11EEvPKT_PKT0_S7_ifPKiS9_S9_iPKfiiiPfSC_PS2_PT2_iSB_SB_.uses_flat_scratch, or(0, .L__assert_fail.uses_flat_scratch)
	.set _Z39paged_attention_ll4mi_QKV_mfma16_kernelIDF16_DF16_LN4vllm18Fp8KVCacheDataTypeE0EhLi16ELi128ELi256ELb0ELi11EEvPKT_PKT0_S7_ifPKiS9_S9_iPKfiiiPfSC_PS2_PT2_iSB_SB_.has_dyn_sized_stack, or(0, .L__assert_fail.has_dyn_sized_stack)
	.set _Z39paged_attention_ll4mi_QKV_mfma16_kernelIDF16_DF16_LN4vllm18Fp8KVCacheDataTypeE0EhLi16ELi128ELi256ELb0ELi11EEvPKT_PKT0_S7_ifPKiS9_S9_iPKfiiiPfSC_PS2_PT2_iSB_SB_.has_recursion, or(0, .L__assert_fail.has_recursion)
	.set _Z39paged_attention_ll4mi_QKV_mfma16_kernelIDF16_DF16_LN4vllm18Fp8KVCacheDataTypeE0EhLi16ELi128ELi256ELb0ELi11EEvPKT_PKT0_S7_ifPKiS9_S9_iPKfiiiPfSC_PS2_PT2_iSB_SB_.has_indirect_call, or(0, .L__assert_fail.has_indirect_call)
	.section	.AMDGPU.csdata,"",@progbits
; Kernel info:
; codeLenInByte = 68
; TotalNumSgprs: 36
; NumVgprs: 51
; ScratchSize: 64
; MemoryBound: 0
; FloatMode: 240
; IeeeMode: 1
; LDSByteSize: 0 bytes/workgroup (compile time only)
; SGPRBlocks: 0
; VGPRBlocks: 3
; NumSGPRsForWavesPerEU: 36
; NumVGPRsForWavesPerEU: 51
; NamedBarCnt: 0
; Occupancy: 16
; WaveLimiterHint : 1
; COMPUTE_PGM_RSRC2:SCRATCH_EN: 1
; COMPUTE_PGM_RSRC2:USER_SGPR: 2
; COMPUTE_PGM_RSRC2:TRAP_HANDLER: 0
; COMPUTE_PGM_RSRC2:TGID_X_EN: 1
; COMPUTE_PGM_RSRC2:TGID_Y_EN: 0
; COMPUTE_PGM_RSRC2:TGID_Z_EN: 0
; COMPUTE_PGM_RSRC2:TIDIG_COMP_CNT: 0
	.section	.text._Z39paged_attention_ll4mi_QKV_mfma16_kernelIDF16_DF16_LN4vllm18Fp8KVCacheDataTypeE0EhLi16ELi128ELi256ELb0ELi12EEvPKT_PKT0_S7_ifPKiS9_S9_iPKfiiiPfSC_PS2_PT2_iSB_SB_,"axG",@progbits,_Z39paged_attention_ll4mi_QKV_mfma16_kernelIDF16_DF16_LN4vllm18Fp8KVCacheDataTypeE0EhLi16ELi128ELi256ELb0ELi12EEvPKT_PKT0_S7_ifPKiS9_S9_iPKfiiiPfSC_PS2_PT2_iSB_SB_,comdat
	.protected	_Z39paged_attention_ll4mi_QKV_mfma16_kernelIDF16_DF16_LN4vllm18Fp8KVCacheDataTypeE0EhLi16ELi128ELi256ELb0ELi12EEvPKT_PKT0_S7_ifPKiS9_S9_iPKfiiiPfSC_PS2_PT2_iSB_SB_ ; -- Begin function _Z39paged_attention_ll4mi_QKV_mfma16_kernelIDF16_DF16_LN4vllm18Fp8KVCacheDataTypeE0EhLi16ELi128ELi256ELb0ELi12EEvPKT_PKT0_S7_ifPKiS9_S9_iPKfiiiPfSC_PS2_PT2_iSB_SB_
	.globl	_Z39paged_attention_ll4mi_QKV_mfma16_kernelIDF16_DF16_LN4vllm18Fp8KVCacheDataTypeE0EhLi16ELi128ELi256ELb0ELi12EEvPKT_PKT0_S7_ifPKiS9_S9_iPKfiiiPfSC_PS2_PT2_iSB_SB_
	.p2align	8
	.type	_Z39paged_attention_ll4mi_QKV_mfma16_kernelIDF16_DF16_LN4vllm18Fp8KVCacheDataTypeE0EhLi16ELi128ELi256ELb0ELi12EEvPKT_PKT0_S7_ifPKiS9_S9_iPKfiiiPfSC_PS2_PT2_iSB_SB_,@function
_Z39paged_attention_ll4mi_QKV_mfma16_kernelIDF16_DF16_LN4vllm18Fp8KVCacheDataTypeE0EhLi16ELi128ELi256ELb0ELi12EEvPKT_PKT0_S7_ifPKiS9_S9_iPKfiiiPfSC_PS2_PT2_iSB_SB_: ; @_Z39paged_attention_ll4mi_QKV_mfma16_kernelIDF16_DF16_LN4vllm18Fp8KVCacheDataTypeE0EhLi16ELi128ELi256ELb0ELi12EEvPKT_PKT0_S7_ifPKiS9_S9_iPKfiiiPfSC_PS2_PT2_iSB_SB_
; %bb.0:
	s_get_pc_i64 s[2:3]
	s_add_nc_u64 s[2:3], s[2:3], __PRETTY_FUNCTION__._Z39paged_attention_ll4mi_QKV_mfma16_kernelIDF16_DF16_LN4vllm18Fp8KVCacheDataTypeE0EhLi16ELi128ELi256ELb0ELi12EEvPKT_PKT0_S7_ifPKiS9_S9_iPKfiiiPfSC_PS2_PT2_iSB_SB_@rel64+4
	s_delay_alu instid0(SALU_CYCLE_1)
	v_dual_mov_b32 v0, 0xbb3 :: v_dual_mov_b32 v1, s2
	v_mov_b32_e32 v2, s3
	s_add_nc_u64 s[8:9], s[0:1], 0x90
	s_get_pc_i64 s[0:1]
	s_add_nc_u64 s[0:1], s[0:1], __assert_fail@rel64+4
	s_mov_b32 s32, 0
	s_swap_pc_i64 s[30:31], s[0:1]
	.section	.rodata,"a",@progbits
	.p2align	6, 0x0
	.amdhsa_kernel _Z39paged_attention_ll4mi_QKV_mfma16_kernelIDF16_DF16_LN4vllm18Fp8KVCacheDataTypeE0EhLi16ELi128ELi256ELb0ELi12EEvPKT_PKT0_S7_ifPKiS9_S9_iPKfiiiPfSC_PS2_PT2_iSB_SB_
		.amdhsa_group_segment_fixed_size 0
		.amdhsa_private_segment_fixed_size 64
		.amdhsa_kernarg_size 400
		.amdhsa_user_sgpr_count 2
		.amdhsa_user_sgpr_dispatch_ptr 0
		.amdhsa_user_sgpr_queue_ptr 0
		.amdhsa_user_sgpr_kernarg_segment_ptr 1
		.amdhsa_user_sgpr_dispatch_id 0
		.amdhsa_user_sgpr_kernarg_preload_length 0
		.amdhsa_user_sgpr_kernarg_preload_offset 0
		.amdhsa_user_sgpr_private_segment_size 0
		.amdhsa_wavefront_size32 1
		.amdhsa_uses_dynamic_stack 0
		.amdhsa_enable_private_segment 1
		.amdhsa_system_sgpr_workgroup_id_x 1
		.amdhsa_system_sgpr_workgroup_id_y 0
		.amdhsa_system_sgpr_workgroup_id_z 0
		.amdhsa_system_sgpr_workgroup_info 0
		.amdhsa_system_vgpr_workitem_id 0
		.amdhsa_next_free_vgpr 51
		.amdhsa_next_free_sgpr 34
		.amdhsa_named_barrier_count 0
		.amdhsa_reserve_vcc 1
		.amdhsa_float_round_mode_32 0
		.amdhsa_float_round_mode_16_64 0
		.amdhsa_float_denorm_mode_32 3
		.amdhsa_float_denorm_mode_16_64 3
		.amdhsa_fp16_overflow 0
		.amdhsa_memory_ordered 1
		.amdhsa_forward_progress 1
		.amdhsa_inst_pref_size 1
		.amdhsa_round_robin_scheduling 0
		.amdhsa_exception_fp_ieee_invalid_op 0
		.amdhsa_exception_fp_denorm_src 0
		.amdhsa_exception_fp_ieee_div_zero 0
		.amdhsa_exception_fp_ieee_overflow 0
		.amdhsa_exception_fp_ieee_underflow 0
		.amdhsa_exception_fp_ieee_inexact 0
		.amdhsa_exception_int_div_zero 0
	.end_amdhsa_kernel
	.section	.text._Z39paged_attention_ll4mi_QKV_mfma16_kernelIDF16_DF16_LN4vllm18Fp8KVCacheDataTypeE0EhLi16ELi128ELi256ELb0ELi12EEvPKT_PKT0_S7_ifPKiS9_S9_iPKfiiiPfSC_PS2_PT2_iSB_SB_,"axG",@progbits,_Z39paged_attention_ll4mi_QKV_mfma16_kernelIDF16_DF16_LN4vllm18Fp8KVCacheDataTypeE0EhLi16ELi128ELi256ELb0ELi12EEvPKT_PKT0_S7_ifPKiS9_S9_iPKfiiiPfSC_PS2_PT2_iSB_SB_,comdat
.Lfunc_end241:
	.size	_Z39paged_attention_ll4mi_QKV_mfma16_kernelIDF16_DF16_LN4vllm18Fp8KVCacheDataTypeE0EhLi16ELi128ELi256ELb0ELi12EEvPKT_PKT0_S7_ifPKiS9_S9_iPKfiiiPfSC_PS2_PT2_iSB_SB_, .Lfunc_end241-_Z39paged_attention_ll4mi_QKV_mfma16_kernelIDF16_DF16_LN4vllm18Fp8KVCacheDataTypeE0EhLi16ELi128ELi256ELb0ELi12EEvPKT_PKT0_S7_ifPKiS9_S9_iPKfiiiPfSC_PS2_PT2_iSB_SB_
                                        ; -- End function
	.set _Z39paged_attention_ll4mi_QKV_mfma16_kernelIDF16_DF16_LN4vllm18Fp8KVCacheDataTypeE0EhLi16ELi128ELi256ELb0ELi12EEvPKT_PKT0_S7_ifPKiS9_S9_iPKfiiiPfSC_PS2_PT2_iSB_SB_.num_vgpr, max(3, .L__assert_fail.num_vgpr)
	.set _Z39paged_attention_ll4mi_QKV_mfma16_kernelIDF16_DF16_LN4vllm18Fp8KVCacheDataTypeE0EhLi16ELi128ELi256ELb0ELi12EEvPKT_PKT0_S7_ifPKiS9_S9_iPKfiiiPfSC_PS2_PT2_iSB_SB_.num_agpr, max(0, .L__assert_fail.num_agpr)
	.set _Z39paged_attention_ll4mi_QKV_mfma16_kernelIDF16_DF16_LN4vllm18Fp8KVCacheDataTypeE0EhLi16ELi128ELi256ELb0ELi12EEvPKT_PKT0_S7_ifPKiS9_S9_iPKfiiiPfSC_PS2_PT2_iSB_SB_.numbered_sgpr, max(33, .L__assert_fail.numbered_sgpr)
	.set _Z39paged_attention_ll4mi_QKV_mfma16_kernelIDF16_DF16_LN4vllm18Fp8KVCacheDataTypeE0EhLi16ELi128ELi256ELb0ELi12EEvPKT_PKT0_S7_ifPKiS9_S9_iPKfiiiPfSC_PS2_PT2_iSB_SB_.num_named_barrier, max(0, .L__assert_fail.num_named_barrier)
	.set _Z39paged_attention_ll4mi_QKV_mfma16_kernelIDF16_DF16_LN4vllm18Fp8KVCacheDataTypeE0EhLi16ELi128ELi256ELb0ELi12EEvPKT_PKT0_S7_ifPKiS9_S9_iPKfiiiPfSC_PS2_PT2_iSB_SB_.private_seg_size, 0+max(.L__assert_fail.private_seg_size)
	.set _Z39paged_attention_ll4mi_QKV_mfma16_kernelIDF16_DF16_LN4vllm18Fp8KVCacheDataTypeE0EhLi16ELi128ELi256ELb0ELi12EEvPKT_PKT0_S7_ifPKiS9_S9_iPKfiiiPfSC_PS2_PT2_iSB_SB_.uses_vcc, or(1, .L__assert_fail.uses_vcc)
	.set _Z39paged_attention_ll4mi_QKV_mfma16_kernelIDF16_DF16_LN4vllm18Fp8KVCacheDataTypeE0EhLi16ELi128ELi256ELb0ELi12EEvPKT_PKT0_S7_ifPKiS9_S9_iPKfiiiPfSC_PS2_PT2_iSB_SB_.uses_flat_scratch, or(0, .L__assert_fail.uses_flat_scratch)
	.set _Z39paged_attention_ll4mi_QKV_mfma16_kernelIDF16_DF16_LN4vllm18Fp8KVCacheDataTypeE0EhLi16ELi128ELi256ELb0ELi12EEvPKT_PKT0_S7_ifPKiS9_S9_iPKfiiiPfSC_PS2_PT2_iSB_SB_.has_dyn_sized_stack, or(0, .L__assert_fail.has_dyn_sized_stack)
	.set _Z39paged_attention_ll4mi_QKV_mfma16_kernelIDF16_DF16_LN4vllm18Fp8KVCacheDataTypeE0EhLi16ELi128ELi256ELb0ELi12EEvPKT_PKT0_S7_ifPKiS9_S9_iPKfiiiPfSC_PS2_PT2_iSB_SB_.has_recursion, or(0, .L__assert_fail.has_recursion)
	.set _Z39paged_attention_ll4mi_QKV_mfma16_kernelIDF16_DF16_LN4vllm18Fp8KVCacheDataTypeE0EhLi16ELi128ELi256ELb0ELi12EEvPKT_PKT0_S7_ifPKiS9_S9_iPKfiiiPfSC_PS2_PT2_iSB_SB_.has_indirect_call, or(0, .L__assert_fail.has_indirect_call)
	.section	.AMDGPU.csdata,"",@progbits
; Kernel info:
; codeLenInByte = 68
; TotalNumSgprs: 36
; NumVgprs: 51
; ScratchSize: 64
; MemoryBound: 0
; FloatMode: 240
; IeeeMode: 1
; LDSByteSize: 0 bytes/workgroup (compile time only)
; SGPRBlocks: 0
; VGPRBlocks: 3
; NumSGPRsForWavesPerEU: 36
; NumVGPRsForWavesPerEU: 51
; NamedBarCnt: 0
; Occupancy: 16
; WaveLimiterHint : 1
; COMPUTE_PGM_RSRC2:SCRATCH_EN: 1
; COMPUTE_PGM_RSRC2:USER_SGPR: 2
; COMPUTE_PGM_RSRC2:TRAP_HANDLER: 0
; COMPUTE_PGM_RSRC2:TGID_X_EN: 1
; COMPUTE_PGM_RSRC2:TGID_Y_EN: 0
; COMPUTE_PGM_RSRC2:TGID_Z_EN: 0
; COMPUTE_PGM_RSRC2:TIDIG_COMP_CNT: 0
	.section	.text._Z39paged_attention_ll4mi_QKV_mfma16_kernelIDF16_DF16_LN4vllm18Fp8KVCacheDataTypeE0EhLi16ELi128ELi256ELb0ELi13EEvPKT_PKT0_S7_ifPKiS9_S9_iPKfiiiPfSC_PS2_PT2_iSB_SB_,"axG",@progbits,_Z39paged_attention_ll4mi_QKV_mfma16_kernelIDF16_DF16_LN4vllm18Fp8KVCacheDataTypeE0EhLi16ELi128ELi256ELb0ELi13EEvPKT_PKT0_S7_ifPKiS9_S9_iPKfiiiPfSC_PS2_PT2_iSB_SB_,comdat
	.protected	_Z39paged_attention_ll4mi_QKV_mfma16_kernelIDF16_DF16_LN4vllm18Fp8KVCacheDataTypeE0EhLi16ELi128ELi256ELb0ELi13EEvPKT_PKT0_S7_ifPKiS9_S9_iPKfiiiPfSC_PS2_PT2_iSB_SB_ ; -- Begin function _Z39paged_attention_ll4mi_QKV_mfma16_kernelIDF16_DF16_LN4vllm18Fp8KVCacheDataTypeE0EhLi16ELi128ELi256ELb0ELi13EEvPKT_PKT0_S7_ifPKiS9_S9_iPKfiiiPfSC_PS2_PT2_iSB_SB_
	.globl	_Z39paged_attention_ll4mi_QKV_mfma16_kernelIDF16_DF16_LN4vllm18Fp8KVCacheDataTypeE0EhLi16ELi128ELi256ELb0ELi13EEvPKT_PKT0_S7_ifPKiS9_S9_iPKfiiiPfSC_PS2_PT2_iSB_SB_
	.p2align	8
	.type	_Z39paged_attention_ll4mi_QKV_mfma16_kernelIDF16_DF16_LN4vllm18Fp8KVCacheDataTypeE0EhLi16ELi128ELi256ELb0ELi13EEvPKT_PKT0_S7_ifPKiS9_S9_iPKfiiiPfSC_PS2_PT2_iSB_SB_,@function
_Z39paged_attention_ll4mi_QKV_mfma16_kernelIDF16_DF16_LN4vllm18Fp8KVCacheDataTypeE0EhLi16ELi128ELi256ELb0ELi13EEvPKT_PKT0_S7_ifPKiS9_S9_iPKfiiiPfSC_PS2_PT2_iSB_SB_: ; @_Z39paged_attention_ll4mi_QKV_mfma16_kernelIDF16_DF16_LN4vllm18Fp8KVCacheDataTypeE0EhLi16ELi128ELi256ELb0ELi13EEvPKT_PKT0_S7_ifPKiS9_S9_iPKfiiiPfSC_PS2_PT2_iSB_SB_
; %bb.0:
	s_get_pc_i64 s[2:3]
	s_add_nc_u64 s[2:3], s[2:3], __PRETTY_FUNCTION__._Z39paged_attention_ll4mi_QKV_mfma16_kernelIDF16_DF16_LN4vllm18Fp8KVCacheDataTypeE0EhLi16ELi128ELi256ELb0ELi13EEvPKT_PKT0_S7_ifPKiS9_S9_iPKfiiiPfSC_PS2_PT2_iSB_SB_@rel64+4
	s_delay_alu instid0(SALU_CYCLE_1)
	v_dual_mov_b32 v0, 0xbb3 :: v_dual_mov_b32 v1, s2
	v_mov_b32_e32 v2, s3
	s_add_nc_u64 s[8:9], s[0:1], 0x90
	s_get_pc_i64 s[0:1]
	s_add_nc_u64 s[0:1], s[0:1], __assert_fail@rel64+4
	s_mov_b32 s32, 0
	s_swap_pc_i64 s[30:31], s[0:1]
	.section	.rodata,"a",@progbits
	.p2align	6, 0x0
	.amdhsa_kernel _Z39paged_attention_ll4mi_QKV_mfma16_kernelIDF16_DF16_LN4vllm18Fp8KVCacheDataTypeE0EhLi16ELi128ELi256ELb0ELi13EEvPKT_PKT0_S7_ifPKiS9_S9_iPKfiiiPfSC_PS2_PT2_iSB_SB_
		.amdhsa_group_segment_fixed_size 0
		.amdhsa_private_segment_fixed_size 64
		.amdhsa_kernarg_size 400
		.amdhsa_user_sgpr_count 2
		.amdhsa_user_sgpr_dispatch_ptr 0
		.amdhsa_user_sgpr_queue_ptr 0
		.amdhsa_user_sgpr_kernarg_segment_ptr 1
		.amdhsa_user_sgpr_dispatch_id 0
		.amdhsa_user_sgpr_kernarg_preload_length 0
		.amdhsa_user_sgpr_kernarg_preload_offset 0
		.amdhsa_user_sgpr_private_segment_size 0
		.amdhsa_wavefront_size32 1
		.amdhsa_uses_dynamic_stack 0
		.amdhsa_enable_private_segment 1
		.amdhsa_system_sgpr_workgroup_id_x 1
		.amdhsa_system_sgpr_workgroup_id_y 0
		.amdhsa_system_sgpr_workgroup_id_z 0
		.amdhsa_system_sgpr_workgroup_info 0
		.amdhsa_system_vgpr_workitem_id 0
		.amdhsa_next_free_vgpr 51
		.amdhsa_next_free_sgpr 34
		.amdhsa_named_barrier_count 0
		.amdhsa_reserve_vcc 1
		.amdhsa_float_round_mode_32 0
		.amdhsa_float_round_mode_16_64 0
		.amdhsa_float_denorm_mode_32 3
		.amdhsa_float_denorm_mode_16_64 3
		.amdhsa_fp16_overflow 0
		.amdhsa_memory_ordered 1
		.amdhsa_forward_progress 1
		.amdhsa_inst_pref_size 1
		.amdhsa_round_robin_scheduling 0
		.amdhsa_exception_fp_ieee_invalid_op 0
		.amdhsa_exception_fp_denorm_src 0
		.amdhsa_exception_fp_ieee_div_zero 0
		.amdhsa_exception_fp_ieee_overflow 0
		.amdhsa_exception_fp_ieee_underflow 0
		.amdhsa_exception_fp_ieee_inexact 0
		.amdhsa_exception_int_div_zero 0
	.end_amdhsa_kernel
	.section	.text._Z39paged_attention_ll4mi_QKV_mfma16_kernelIDF16_DF16_LN4vllm18Fp8KVCacheDataTypeE0EhLi16ELi128ELi256ELb0ELi13EEvPKT_PKT0_S7_ifPKiS9_S9_iPKfiiiPfSC_PS2_PT2_iSB_SB_,"axG",@progbits,_Z39paged_attention_ll4mi_QKV_mfma16_kernelIDF16_DF16_LN4vllm18Fp8KVCacheDataTypeE0EhLi16ELi128ELi256ELb0ELi13EEvPKT_PKT0_S7_ifPKiS9_S9_iPKfiiiPfSC_PS2_PT2_iSB_SB_,comdat
.Lfunc_end242:
	.size	_Z39paged_attention_ll4mi_QKV_mfma16_kernelIDF16_DF16_LN4vllm18Fp8KVCacheDataTypeE0EhLi16ELi128ELi256ELb0ELi13EEvPKT_PKT0_S7_ifPKiS9_S9_iPKfiiiPfSC_PS2_PT2_iSB_SB_, .Lfunc_end242-_Z39paged_attention_ll4mi_QKV_mfma16_kernelIDF16_DF16_LN4vllm18Fp8KVCacheDataTypeE0EhLi16ELi128ELi256ELb0ELi13EEvPKT_PKT0_S7_ifPKiS9_S9_iPKfiiiPfSC_PS2_PT2_iSB_SB_
                                        ; -- End function
	.set _Z39paged_attention_ll4mi_QKV_mfma16_kernelIDF16_DF16_LN4vllm18Fp8KVCacheDataTypeE0EhLi16ELi128ELi256ELb0ELi13EEvPKT_PKT0_S7_ifPKiS9_S9_iPKfiiiPfSC_PS2_PT2_iSB_SB_.num_vgpr, max(3, .L__assert_fail.num_vgpr)
	.set _Z39paged_attention_ll4mi_QKV_mfma16_kernelIDF16_DF16_LN4vllm18Fp8KVCacheDataTypeE0EhLi16ELi128ELi256ELb0ELi13EEvPKT_PKT0_S7_ifPKiS9_S9_iPKfiiiPfSC_PS2_PT2_iSB_SB_.num_agpr, max(0, .L__assert_fail.num_agpr)
	.set _Z39paged_attention_ll4mi_QKV_mfma16_kernelIDF16_DF16_LN4vllm18Fp8KVCacheDataTypeE0EhLi16ELi128ELi256ELb0ELi13EEvPKT_PKT0_S7_ifPKiS9_S9_iPKfiiiPfSC_PS2_PT2_iSB_SB_.numbered_sgpr, max(33, .L__assert_fail.numbered_sgpr)
	.set _Z39paged_attention_ll4mi_QKV_mfma16_kernelIDF16_DF16_LN4vllm18Fp8KVCacheDataTypeE0EhLi16ELi128ELi256ELb0ELi13EEvPKT_PKT0_S7_ifPKiS9_S9_iPKfiiiPfSC_PS2_PT2_iSB_SB_.num_named_barrier, max(0, .L__assert_fail.num_named_barrier)
	.set _Z39paged_attention_ll4mi_QKV_mfma16_kernelIDF16_DF16_LN4vllm18Fp8KVCacheDataTypeE0EhLi16ELi128ELi256ELb0ELi13EEvPKT_PKT0_S7_ifPKiS9_S9_iPKfiiiPfSC_PS2_PT2_iSB_SB_.private_seg_size, 0+max(.L__assert_fail.private_seg_size)
	.set _Z39paged_attention_ll4mi_QKV_mfma16_kernelIDF16_DF16_LN4vllm18Fp8KVCacheDataTypeE0EhLi16ELi128ELi256ELb0ELi13EEvPKT_PKT0_S7_ifPKiS9_S9_iPKfiiiPfSC_PS2_PT2_iSB_SB_.uses_vcc, or(1, .L__assert_fail.uses_vcc)
	.set _Z39paged_attention_ll4mi_QKV_mfma16_kernelIDF16_DF16_LN4vllm18Fp8KVCacheDataTypeE0EhLi16ELi128ELi256ELb0ELi13EEvPKT_PKT0_S7_ifPKiS9_S9_iPKfiiiPfSC_PS2_PT2_iSB_SB_.uses_flat_scratch, or(0, .L__assert_fail.uses_flat_scratch)
	.set _Z39paged_attention_ll4mi_QKV_mfma16_kernelIDF16_DF16_LN4vllm18Fp8KVCacheDataTypeE0EhLi16ELi128ELi256ELb0ELi13EEvPKT_PKT0_S7_ifPKiS9_S9_iPKfiiiPfSC_PS2_PT2_iSB_SB_.has_dyn_sized_stack, or(0, .L__assert_fail.has_dyn_sized_stack)
	.set _Z39paged_attention_ll4mi_QKV_mfma16_kernelIDF16_DF16_LN4vllm18Fp8KVCacheDataTypeE0EhLi16ELi128ELi256ELb0ELi13EEvPKT_PKT0_S7_ifPKiS9_S9_iPKfiiiPfSC_PS2_PT2_iSB_SB_.has_recursion, or(0, .L__assert_fail.has_recursion)
	.set _Z39paged_attention_ll4mi_QKV_mfma16_kernelIDF16_DF16_LN4vllm18Fp8KVCacheDataTypeE0EhLi16ELi128ELi256ELb0ELi13EEvPKT_PKT0_S7_ifPKiS9_S9_iPKfiiiPfSC_PS2_PT2_iSB_SB_.has_indirect_call, or(0, .L__assert_fail.has_indirect_call)
	.section	.AMDGPU.csdata,"",@progbits
; Kernel info:
; codeLenInByte = 68
; TotalNumSgprs: 36
; NumVgprs: 51
; ScratchSize: 64
; MemoryBound: 0
; FloatMode: 240
; IeeeMode: 1
; LDSByteSize: 0 bytes/workgroup (compile time only)
; SGPRBlocks: 0
; VGPRBlocks: 3
; NumSGPRsForWavesPerEU: 36
; NumVGPRsForWavesPerEU: 51
; NamedBarCnt: 0
; Occupancy: 16
; WaveLimiterHint : 1
; COMPUTE_PGM_RSRC2:SCRATCH_EN: 1
; COMPUTE_PGM_RSRC2:USER_SGPR: 2
; COMPUTE_PGM_RSRC2:TRAP_HANDLER: 0
; COMPUTE_PGM_RSRC2:TGID_X_EN: 1
; COMPUTE_PGM_RSRC2:TGID_Y_EN: 0
; COMPUTE_PGM_RSRC2:TGID_Z_EN: 0
; COMPUTE_PGM_RSRC2:TIDIG_COMP_CNT: 0
	.section	.text._Z39paged_attention_ll4mi_QKV_mfma16_kernelIDF16_DF16_LN4vllm18Fp8KVCacheDataTypeE0EhLi16ELi128ELi256ELb0ELi14EEvPKT_PKT0_S7_ifPKiS9_S9_iPKfiiiPfSC_PS2_PT2_iSB_SB_,"axG",@progbits,_Z39paged_attention_ll4mi_QKV_mfma16_kernelIDF16_DF16_LN4vllm18Fp8KVCacheDataTypeE0EhLi16ELi128ELi256ELb0ELi14EEvPKT_PKT0_S7_ifPKiS9_S9_iPKfiiiPfSC_PS2_PT2_iSB_SB_,comdat
	.protected	_Z39paged_attention_ll4mi_QKV_mfma16_kernelIDF16_DF16_LN4vllm18Fp8KVCacheDataTypeE0EhLi16ELi128ELi256ELb0ELi14EEvPKT_PKT0_S7_ifPKiS9_S9_iPKfiiiPfSC_PS2_PT2_iSB_SB_ ; -- Begin function _Z39paged_attention_ll4mi_QKV_mfma16_kernelIDF16_DF16_LN4vllm18Fp8KVCacheDataTypeE0EhLi16ELi128ELi256ELb0ELi14EEvPKT_PKT0_S7_ifPKiS9_S9_iPKfiiiPfSC_PS2_PT2_iSB_SB_
	.globl	_Z39paged_attention_ll4mi_QKV_mfma16_kernelIDF16_DF16_LN4vllm18Fp8KVCacheDataTypeE0EhLi16ELi128ELi256ELb0ELi14EEvPKT_PKT0_S7_ifPKiS9_S9_iPKfiiiPfSC_PS2_PT2_iSB_SB_
	.p2align	8
	.type	_Z39paged_attention_ll4mi_QKV_mfma16_kernelIDF16_DF16_LN4vllm18Fp8KVCacheDataTypeE0EhLi16ELi128ELi256ELb0ELi14EEvPKT_PKT0_S7_ifPKiS9_S9_iPKfiiiPfSC_PS2_PT2_iSB_SB_,@function
_Z39paged_attention_ll4mi_QKV_mfma16_kernelIDF16_DF16_LN4vllm18Fp8KVCacheDataTypeE0EhLi16ELi128ELi256ELb0ELi14EEvPKT_PKT0_S7_ifPKiS9_S9_iPKfiiiPfSC_PS2_PT2_iSB_SB_: ; @_Z39paged_attention_ll4mi_QKV_mfma16_kernelIDF16_DF16_LN4vllm18Fp8KVCacheDataTypeE0EhLi16ELi128ELi256ELb0ELi14EEvPKT_PKT0_S7_ifPKiS9_S9_iPKfiiiPfSC_PS2_PT2_iSB_SB_
; %bb.0:
	s_get_pc_i64 s[2:3]
	s_add_nc_u64 s[2:3], s[2:3], __PRETTY_FUNCTION__._Z39paged_attention_ll4mi_QKV_mfma16_kernelIDF16_DF16_LN4vllm18Fp8KVCacheDataTypeE0EhLi16ELi128ELi256ELb0ELi14EEvPKT_PKT0_S7_ifPKiS9_S9_iPKfiiiPfSC_PS2_PT2_iSB_SB_@rel64+4
	s_delay_alu instid0(SALU_CYCLE_1)
	v_dual_mov_b32 v0, 0xbb3 :: v_dual_mov_b32 v1, s2
	v_mov_b32_e32 v2, s3
	s_add_nc_u64 s[8:9], s[0:1], 0x90
	s_get_pc_i64 s[0:1]
	s_add_nc_u64 s[0:1], s[0:1], __assert_fail@rel64+4
	s_mov_b32 s32, 0
	s_swap_pc_i64 s[30:31], s[0:1]
	.section	.rodata,"a",@progbits
	.p2align	6, 0x0
	.amdhsa_kernel _Z39paged_attention_ll4mi_QKV_mfma16_kernelIDF16_DF16_LN4vllm18Fp8KVCacheDataTypeE0EhLi16ELi128ELi256ELb0ELi14EEvPKT_PKT0_S7_ifPKiS9_S9_iPKfiiiPfSC_PS2_PT2_iSB_SB_
		.amdhsa_group_segment_fixed_size 0
		.amdhsa_private_segment_fixed_size 64
		.amdhsa_kernarg_size 400
		.amdhsa_user_sgpr_count 2
		.amdhsa_user_sgpr_dispatch_ptr 0
		.amdhsa_user_sgpr_queue_ptr 0
		.amdhsa_user_sgpr_kernarg_segment_ptr 1
		.amdhsa_user_sgpr_dispatch_id 0
		.amdhsa_user_sgpr_kernarg_preload_length 0
		.amdhsa_user_sgpr_kernarg_preload_offset 0
		.amdhsa_user_sgpr_private_segment_size 0
		.amdhsa_wavefront_size32 1
		.amdhsa_uses_dynamic_stack 0
		.amdhsa_enable_private_segment 1
		.amdhsa_system_sgpr_workgroup_id_x 1
		.amdhsa_system_sgpr_workgroup_id_y 0
		.amdhsa_system_sgpr_workgroup_id_z 0
		.amdhsa_system_sgpr_workgroup_info 0
		.amdhsa_system_vgpr_workitem_id 0
		.amdhsa_next_free_vgpr 51
		.amdhsa_next_free_sgpr 34
		.amdhsa_named_barrier_count 0
		.amdhsa_reserve_vcc 1
		.amdhsa_float_round_mode_32 0
		.amdhsa_float_round_mode_16_64 0
		.amdhsa_float_denorm_mode_32 3
		.amdhsa_float_denorm_mode_16_64 3
		.amdhsa_fp16_overflow 0
		.amdhsa_memory_ordered 1
		.amdhsa_forward_progress 1
		.amdhsa_inst_pref_size 1
		.amdhsa_round_robin_scheduling 0
		.amdhsa_exception_fp_ieee_invalid_op 0
		.amdhsa_exception_fp_denorm_src 0
		.amdhsa_exception_fp_ieee_div_zero 0
		.amdhsa_exception_fp_ieee_overflow 0
		.amdhsa_exception_fp_ieee_underflow 0
		.amdhsa_exception_fp_ieee_inexact 0
		.amdhsa_exception_int_div_zero 0
	.end_amdhsa_kernel
	.section	.text._Z39paged_attention_ll4mi_QKV_mfma16_kernelIDF16_DF16_LN4vllm18Fp8KVCacheDataTypeE0EhLi16ELi128ELi256ELb0ELi14EEvPKT_PKT0_S7_ifPKiS9_S9_iPKfiiiPfSC_PS2_PT2_iSB_SB_,"axG",@progbits,_Z39paged_attention_ll4mi_QKV_mfma16_kernelIDF16_DF16_LN4vllm18Fp8KVCacheDataTypeE0EhLi16ELi128ELi256ELb0ELi14EEvPKT_PKT0_S7_ifPKiS9_S9_iPKfiiiPfSC_PS2_PT2_iSB_SB_,comdat
.Lfunc_end243:
	.size	_Z39paged_attention_ll4mi_QKV_mfma16_kernelIDF16_DF16_LN4vllm18Fp8KVCacheDataTypeE0EhLi16ELi128ELi256ELb0ELi14EEvPKT_PKT0_S7_ifPKiS9_S9_iPKfiiiPfSC_PS2_PT2_iSB_SB_, .Lfunc_end243-_Z39paged_attention_ll4mi_QKV_mfma16_kernelIDF16_DF16_LN4vllm18Fp8KVCacheDataTypeE0EhLi16ELi128ELi256ELb0ELi14EEvPKT_PKT0_S7_ifPKiS9_S9_iPKfiiiPfSC_PS2_PT2_iSB_SB_
                                        ; -- End function
	.set _Z39paged_attention_ll4mi_QKV_mfma16_kernelIDF16_DF16_LN4vllm18Fp8KVCacheDataTypeE0EhLi16ELi128ELi256ELb0ELi14EEvPKT_PKT0_S7_ifPKiS9_S9_iPKfiiiPfSC_PS2_PT2_iSB_SB_.num_vgpr, max(3, .L__assert_fail.num_vgpr)
	.set _Z39paged_attention_ll4mi_QKV_mfma16_kernelIDF16_DF16_LN4vllm18Fp8KVCacheDataTypeE0EhLi16ELi128ELi256ELb0ELi14EEvPKT_PKT0_S7_ifPKiS9_S9_iPKfiiiPfSC_PS2_PT2_iSB_SB_.num_agpr, max(0, .L__assert_fail.num_agpr)
	.set _Z39paged_attention_ll4mi_QKV_mfma16_kernelIDF16_DF16_LN4vllm18Fp8KVCacheDataTypeE0EhLi16ELi128ELi256ELb0ELi14EEvPKT_PKT0_S7_ifPKiS9_S9_iPKfiiiPfSC_PS2_PT2_iSB_SB_.numbered_sgpr, max(33, .L__assert_fail.numbered_sgpr)
	.set _Z39paged_attention_ll4mi_QKV_mfma16_kernelIDF16_DF16_LN4vllm18Fp8KVCacheDataTypeE0EhLi16ELi128ELi256ELb0ELi14EEvPKT_PKT0_S7_ifPKiS9_S9_iPKfiiiPfSC_PS2_PT2_iSB_SB_.num_named_barrier, max(0, .L__assert_fail.num_named_barrier)
	.set _Z39paged_attention_ll4mi_QKV_mfma16_kernelIDF16_DF16_LN4vllm18Fp8KVCacheDataTypeE0EhLi16ELi128ELi256ELb0ELi14EEvPKT_PKT0_S7_ifPKiS9_S9_iPKfiiiPfSC_PS2_PT2_iSB_SB_.private_seg_size, 0+max(.L__assert_fail.private_seg_size)
	.set _Z39paged_attention_ll4mi_QKV_mfma16_kernelIDF16_DF16_LN4vllm18Fp8KVCacheDataTypeE0EhLi16ELi128ELi256ELb0ELi14EEvPKT_PKT0_S7_ifPKiS9_S9_iPKfiiiPfSC_PS2_PT2_iSB_SB_.uses_vcc, or(1, .L__assert_fail.uses_vcc)
	.set _Z39paged_attention_ll4mi_QKV_mfma16_kernelIDF16_DF16_LN4vllm18Fp8KVCacheDataTypeE0EhLi16ELi128ELi256ELb0ELi14EEvPKT_PKT0_S7_ifPKiS9_S9_iPKfiiiPfSC_PS2_PT2_iSB_SB_.uses_flat_scratch, or(0, .L__assert_fail.uses_flat_scratch)
	.set _Z39paged_attention_ll4mi_QKV_mfma16_kernelIDF16_DF16_LN4vllm18Fp8KVCacheDataTypeE0EhLi16ELi128ELi256ELb0ELi14EEvPKT_PKT0_S7_ifPKiS9_S9_iPKfiiiPfSC_PS2_PT2_iSB_SB_.has_dyn_sized_stack, or(0, .L__assert_fail.has_dyn_sized_stack)
	.set _Z39paged_attention_ll4mi_QKV_mfma16_kernelIDF16_DF16_LN4vllm18Fp8KVCacheDataTypeE0EhLi16ELi128ELi256ELb0ELi14EEvPKT_PKT0_S7_ifPKiS9_S9_iPKfiiiPfSC_PS2_PT2_iSB_SB_.has_recursion, or(0, .L__assert_fail.has_recursion)
	.set _Z39paged_attention_ll4mi_QKV_mfma16_kernelIDF16_DF16_LN4vllm18Fp8KVCacheDataTypeE0EhLi16ELi128ELi256ELb0ELi14EEvPKT_PKT0_S7_ifPKiS9_S9_iPKfiiiPfSC_PS2_PT2_iSB_SB_.has_indirect_call, or(0, .L__assert_fail.has_indirect_call)
	.section	.AMDGPU.csdata,"",@progbits
; Kernel info:
; codeLenInByte = 68
; TotalNumSgprs: 36
; NumVgprs: 51
; ScratchSize: 64
; MemoryBound: 0
; FloatMode: 240
; IeeeMode: 1
; LDSByteSize: 0 bytes/workgroup (compile time only)
; SGPRBlocks: 0
; VGPRBlocks: 3
; NumSGPRsForWavesPerEU: 36
; NumVGPRsForWavesPerEU: 51
; NamedBarCnt: 0
; Occupancy: 16
; WaveLimiterHint : 1
; COMPUTE_PGM_RSRC2:SCRATCH_EN: 1
; COMPUTE_PGM_RSRC2:USER_SGPR: 2
; COMPUTE_PGM_RSRC2:TRAP_HANDLER: 0
; COMPUTE_PGM_RSRC2:TGID_X_EN: 1
; COMPUTE_PGM_RSRC2:TGID_Y_EN: 0
; COMPUTE_PGM_RSRC2:TGID_Z_EN: 0
; COMPUTE_PGM_RSRC2:TIDIG_COMP_CNT: 0
	.section	.text._Z39paged_attention_ll4mi_QKV_mfma16_kernelIDF16_DF16_LN4vllm18Fp8KVCacheDataTypeE0EhLi16ELi128ELi256ELb0ELi15EEvPKT_PKT0_S7_ifPKiS9_S9_iPKfiiiPfSC_PS2_PT2_iSB_SB_,"axG",@progbits,_Z39paged_attention_ll4mi_QKV_mfma16_kernelIDF16_DF16_LN4vllm18Fp8KVCacheDataTypeE0EhLi16ELi128ELi256ELb0ELi15EEvPKT_PKT0_S7_ifPKiS9_S9_iPKfiiiPfSC_PS2_PT2_iSB_SB_,comdat
	.protected	_Z39paged_attention_ll4mi_QKV_mfma16_kernelIDF16_DF16_LN4vllm18Fp8KVCacheDataTypeE0EhLi16ELi128ELi256ELb0ELi15EEvPKT_PKT0_S7_ifPKiS9_S9_iPKfiiiPfSC_PS2_PT2_iSB_SB_ ; -- Begin function _Z39paged_attention_ll4mi_QKV_mfma16_kernelIDF16_DF16_LN4vllm18Fp8KVCacheDataTypeE0EhLi16ELi128ELi256ELb0ELi15EEvPKT_PKT0_S7_ifPKiS9_S9_iPKfiiiPfSC_PS2_PT2_iSB_SB_
	.globl	_Z39paged_attention_ll4mi_QKV_mfma16_kernelIDF16_DF16_LN4vllm18Fp8KVCacheDataTypeE0EhLi16ELi128ELi256ELb0ELi15EEvPKT_PKT0_S7_ifPKiS9_S9_iPKfiiiPfSC_PS2_PT2_iSB_SB_
	.p2align	8
	.type	_Z39paged_attention_ll4mi_QKV_mfma16_kernelIDF16_DF16_LN4vllm18Fp8KVCacheDataTypeE0EhLi16ELi128ELi256ELb0ELi15EEvPKT_PKT0_S7_ifPKiS9_S9_iPKfiiiPfSC_PS2_PT2_iSB_SB_,@function
_Z39paged_attention_ll4mi_QKV_mfma16_kernelIDF16_DF16_LN4vllm18Fp8KVCacheDataTypeE0EhLi16ELi128ELi256ELb0ELi15EEvPKT_PKT0_S7_ifPKiS9_S9_iPKfiiiPfSC_PS2_PT2_iSB_SB_: ; @_Z39paged_attention_ll4mi_QKV_mfma16_kernelIDF16_DF16_LN4vllm18Fp8KVCacheDataTypeE0EhLi16ELi128ELi256ELb0ELi15EEvPKT_PKT0_S7_ifPKiS9_S9_iPKfiiiPfSC_PS2_PT2_iSB_SB_
; %bb.0:
	s_get_pc_i64 s[2:3]
	s_add_nc_u64 s[2:3], s[2:3], __PRETTY_FUNCTION__._Z39paged_attention_ll4mi_QKV_mfma16_kernelIDF16_DF16_LN4vllm18Fp8KVCacheDataTypeE0EhLi16ELi128ELi256ELb0ELi15EEvPKT_PKT0_S7_ifPKiS9_S9_iPKfiiiPfSC_PS2_PT2_iSB_SB_@rel64+4
	s_delay_alu instid0(SALU_CYCLE_1)
	v_dual_mov_b32 v0, 0xbb3 :: v_dual_mov_b32 v1, s2
	v_mov_b32_e32 v2, s3
	s_add_nc_u64 s[8:9], s[0:1], 0x90
	s_get_pc_i64 s[0:1]
	s_add_nc_u64 s[0:1], s[0:1], __assert_fail@rel64+4
	s_mov_b32 s32, 0
	s_swap_pc_i64 s[30:31], s[0:1]
	.section	.rodata,"a",@progbits
	.p2align	6, 0x0
	.amdhsa_kernel _Z39paged_attention_ll4mi_QKV_mfma16_kernelIDF16_DF16_LN4vllm18Fp8KVCacheDataTypeE0EhLi16ELi128ELi256ELb0ELi15EEvPKT_PKT0_S7_ifPKiS9_S9_iPKfiiiPfSC_PS2_PT2_iSB_SB_
		.amdhsa_group_segment_fixed_size 0
		.amdhsa_private_segment_fixed_size 64
		.amdhsa_kernarg_size 400
		.amdhsa_user_sgpr_count 2
		.amdhsa_user_sgpr_dispatch_ptr 0
		.amdhsa_user_sgpr_queue_ptr 0
		.amdhsa_user_sgpr_kernarg_segment_ptr 1
		.amdhsa_user_sgpr_dispatch_id 0
		.amdhsa_user_sgpr_kernarg_preload_length 0
		.amdhsa_user_sgpr_kernarg_preload_offset 0
		.amdhsa_user_sgpr_private_segment_size 0
		.amdhsa_wavefront_size32 1
		.amdhsa_uses_dynamic_stack 0
		.amdhsa_enable_private_segment 1
		.amdhsa_system_sgpr_workgroup_id_x 1
		.amdhsa_system_sgpr_workgroup_id_y 0
		.amdhsa_system_sgpr_workgroup_id_z 0
		.amdhsa_system_sgpr_workgroup_info 0
		.amdhsa_system_vgpr_workitem_id 0
		.amdhsa_next_free_vgpr 51
		.amdhsa_next_free_sgpr 34
		.amdhsa_named_barrier_count 0
		.amdhsa_reserve_vcc 1
		.amdhsa_float_round_mode_32 0
		.amdhsa_float_round_mode_16_64 0
		.amdhsa_float_denorm_mode_32 3
		.amdhsa_float_denorm_mode_16_64 3
		.amdhsa_fp16_overflow 0
		.amdhsa_memory_ordered 1
		.amdhsa_forward_progress 1
		.amdhsa_inst_pref_size 1
		.amdhsa_round_robin_scheduling 0
		.amdhsa_exception_fp_ieee_invalid_op 0
		.amdhsa_exception_fp_denorm_src 0
		.amdhsa_exception_fp_ieee_div_zero 0
		.amdhsa_exception_fp_ieee_overflow 0
		.amdhsa_exception_fp_ieee_underflow 0
		.amdhsa_exception_fp_ieee_inexact 0
		.amdhsa_exception_int_div_zero 0
	.end_amdhsa_kernel
	.section	.text._Z39paged_attention_ll4mi_QKV_mfma16_kernelIDF16_DF16_LN4vllm18Fp8KVCacheDataTypeE0EhLi16ELi128ELi256ELb0ELi15EEvPKT_PKT0_S7_ifPKiS9_S9_iPKfiiiPfSC_PS2_PT2_iSB_SB_,"axG",@progbits,_Z39paged_attention_ll4mi_QKV_mfma16_kernelIDF16_DF16_LN4vllm18Fp8KVCacheDataTypeE0EhLi16ELi128ELi256ELb0ELi15EEvPKT_PKT0_S7_ifPKiS9_S9_iPKfiiiPfSC_PS2_PT2_iSB_SB_,comdat
.Lfunc_end244:
	.size	_Z39paged_attention_ll4mi_QKV_mfma16_kernelIDF16_DF16_LN4vllm18Fp8KVCacheDataTypeE0EhLi16ELi128ELi256ELb0ELi15EEvPKT_PKT0_S7_ifPKiS9_S9_iPKfiiiPfSC_PS2_PT2_iSB_SB_, .Lfunc_end244-_Z39paged_attention_ll4mi_QKV_mfma16_kernelIDF16_DF16_LN4vllm18Fp8KVCacheDataTypeE0EhLi16ELi128ELi256ELb0ELi15EEvPKT_PKT0_S7_ifPKiS9_S9_iPKfiiiPfSC_PS2_PT2_iSB_SB_
                                        ; -- End function
	.set _Z39paged_attention_ll4mi_QKV_mfma16_kernelIDF16_DF16_LN4vllm18Fp8KVCacheDataTypeE0EhLi16ELi128ELi256ELb0ELi15EEvPKT_PKT0_S7_ifPKiS9_S9_iPKfiiiPfSC_PS2_PT2_iSB_SB_.num_vgpr, max(3, .L__assert_fail.num_vgpr)
	.set _Z39paged_attention_ll4mi_QKV_mfma16_kernelIDF16_DF16_LN4vllm18Fp8KVCacheDataTypeE0EhLi16ELi128ELi256ELb0ELi15EEvPKT_PKT0_S7_ifPKiS9_S9_iPKfiiiPfSC_PS2_PT2_iSB_SB_.num_agpr, max(0, .L__assert_fail.num_agpr)
	.set _Z39paged_attention_ll4mi_QKV_mfma16_kernelIDF16_DF16_LN4vllm18Fp8KVCacheDataTypeE0EhLi16ELi128ELi256ELb0ELi15EEvPKT_PKT0_S7_ifPKiS9_S9_iPKfiiiPfSC_PS2_PT2_iSB_SB_.numbered_sgpr, max(33, .L__assert_fail.numbered_sgpr)
	.set _Z39paged_attention_ll4mi_QKV_mfma16_kernelIDF16_DF16_LN4vllm18Fp8KVCacheDataTypeE0EhLi16ELi128ELi256ELb0ELi15EEvPKT_PKT0_S7_ifPKiS9_S9_iPKfiiiPfSC_PS2_PT2_iSB_SB_.num_named_barrier, max(0, .L__assert_fail.num_named_barrier)
	.set _Z39paged_attention_ll4mi_QKV_mfma16_kernelIDF16_DF16_LN4vllm18Fp8KVCacheDataTypeE0EhLi16ELi128ELi256ELb0ELi15EEvPKT_PKT0_S7_ifPKiS9_S9_iPKfiiiPfSC_PS2_PT2_iSB_SB_.private_seg_size, 0+max(.L__assert_fail.private_seg_size)
	.set _Z39paged_attention_ll4mi_QKV_mfma16_kernelIDF16_DF16_LN4vllm18Fp8KVCacheDataTypeE0EhLi16ELi128ELi256ELb0ELi15EEvPKT_PKT0_S7_ifPKiS9_S9_iPKfiiiPfSC_PS2_PT2_iSB_SB_.uses_vcc, or(1, .L__assert_fail.uses_vcc)
	.set _Z39paged_attention_ll4mi_QKV_mfma16_kernelIDF16_DF16_LN4vllm18Fp8KVCacheDataTypeE0EhLi16ELi128ELi256ELb0ELi15EEvPKT_PKT0_S7_ifPKiS9_S9_iPKfiiiPfSC_PS2_PT2_iSB_SB_.uses_flat_scratch, or(0, .L__assert_fail.uses_flat_scratch)
	.set _Z39paged_attention_ll4mi_QKV_mfma16_kernelIDF16_DF16_LN4vllm18Fp8KVCacheDataTypeE0EhLi16ELi128ELi256ELb0ELi15EEvPKT_PKT0_S7_ifPKiS9_S9_iPKfiiiPfSC_PS2_PT2_iSB_SB_.has_dyn_sized_stack, or(0, .L__assert_fail.has_dyn_sized_stack)
	.set _Z39paged_attention_ll4mi_QKV_mfma16_kernelIDF16_DF16_LN4vllm18Fp8KVCacheDataTypeE0EhLi16ELi128ELi256ELb0ELi15EEvPKT_PKT0_S7_ifPKiS9_S9_iPKfiiiPfSC_PS2_PT2_iSB_SB_.has_recursion, or(0, .L__assert_fail.has_recursion)
	.set _Z39paged_attention_ll4mi_QKV_mfma16_kernelIDF16_DF16_LN4vllm18Fp8KVCacheDataTypeE0EhLi16ELi128ELi256ELb0ELi15EEvPKT_PKT0_S7_ifPKiS9_S9_iPKfiiiPfSC_PS2_PT2_iSB_SB_.has_indirect_call, or(0, .L__assert_fail.has_indirect_call)
	.section	.AMDGPU.csdata,"",@progbits
; Kernel info:
; codeLenInByte = 68
; TotalNumSgprs: 36
; NumVgprs: 51
; ScratchSize: 64
; MemoryBound: 0
; FloatMode: 240
; IeeeMode: 1
; LDSByteSize: 0 bytes/workgroup (compile time only)
; SGPRBlocks: 0
; VGPRBlocks: 3
; NumSGPRsForWavesPerEU: 36
; NumVGPRsForWavesPerEU: 51
; NamedBarCnt: 0
; Occupancy: 16
; WaveLimiterHint : 1
; COMPUTE_PGM_RSRC2:SCRATCH_EN: 1
; COMPUTE_PGM_RSRC2:USER_SGPR: 2
; COMPUTE_PGM_RSRC2:TRAP_HANDLER: 0
; COMPUTE_PGM_RSRC2:TGID_X_EN: 1
; COMPUTE_PGM_RSRC2:TGID_Y_EN: 0
; COMPUTE_PGM_RSRC2:TGID_Z_EN: 0
; COMPUTE_PGM_RSRC2:TIDIG_COMP_CNT: 0
	.section	.text._Z39paged_attention_ll4mi_QKV_mfma16_kernelIDF16_DF16_LN4vllm18Fp8KVCacheDataTypeE0EhLi16ELi128ELi256ELb0ELi16EEvPKT_PKT0_S7_ifPKiS9_S9_iPKfiiiPfSC_PS2_PT2_iSB_SB_,"axG",@progbits,_Z39paged_attention_ll4mi_QKV_mfma16_kernelIDF16_DF16_LN4vllm18Fp8KVCacheDataTypeE0EhLi16ELi128ELi256ELb0ELi16EEvPKT_PKT0_S7_ifPKiS9_S9_iPKfiiiPfSC_PS2_PT2_iSB_SB_,comdat
	.protected	_Z39paged_attention_ll4mi_QKV_mfma16_kernelIDF16_DF16_LN4vllm18Fp8KVCacheDataTypeE0EhLi16ELi128ELi256ELb0ELi16EEvPKT_PKT0_S7_ifPKiS9_S9_iPKfiiiPfSC_PS2_PT2_iSB_SB_ ; -- Begin function _Z39paged_attention_ll4mi_QKV_mfma16_kernelIDF16_DF16_LN4vllm18Fp8KVCacheDataTypeE0EhLi16ELi128ELi256ELb0ELi16EEvPKT_PKT0_S7_ifPKiS9_S9_iPKfiiiPfSC_PS2_PT2_iSB_SB_
	.globl	_Z39paged_attention_ll4mi_QKV_mfma16_kernelIDF16_DF16_LN4vllm18Fp8KVCacheDataTypeE0EhLi16ELi128ELi256ELb0ELi16EEvPKT_PKT0_S7_ifPKiS9_S9_iPKfiiiPfSC_PS2_PT2_iSB_SB_
	.p2align	8
	.type	_Z39paged_attention_ll4mi_QKV_mfma16_kernelIDF16_DF16_LN4vllm18Fp8KVCacheDataTypeE0EhLi16ELi128ELi256ELb0ELi16EEvPKT_PKT0_S7_ifPKiS9_S9_iPKfiiiPfSC_PS2_PT2_iSB_SB_,@function
_Z39paged_attention_ll4mi_QKV_mfma16_kernelIDF16_DF16_LN4vllm18Fp8KVCacheDataTypeE0EhLi16ELi128ELi256ELb0ELi16EEvPKT_PKT0_S7_ifPKiS9_S9_iPKfiiiPfSC_PS2_PT2_iSB_SB_: ; @_Z39paged_attention_ll4mi_QKV_mfma16_kernelIDF16_DF16_LN4vllm18Fp8KVCacheDataTypeE0EhLi16ELi128ELi256ELb0ELi16EEvPKT_PKT0_S7_ifPKiS9_S9_iPKfiiiPfSC_PS2_PT2_iSB_SB_
; %bb.0:
	s_get_pc_i64 s[2:3]
	s_add_nc_u64 s[2:3], s[2:3], __PRETTY_FUNCTION__._Z39paged_attention_ll4mi_QKV_mfma16_kernelIDF16_DF16_LN4vllm18Fp8KVCacheDataTypeE0EhLi16ELi128ELi256ELb0ELi16EEvPKT_PKT0_S7_ifPKiS9_S9_iPKfiiiPfSC_PS2_PT2_iSB_SB_@rel64+4
	s_delay_alu instid0(SALU_CYCLE_1)
	v_dual_mov_b32 v0, 0xbb3 :: v_dual_mov_b32 v1, s2
	v_mov_b32_e32 v2, s3
	s_add_nc_u64 s[8:9], s[0:1], 0x90
	s_get_pc_i64 s[0:1]
	s_add_nc_u64 s[0:1], s[0:1], __assert_fail@rel64+4
	s_mov_b32 s32, 0
	s_swap_pc_i64 s[30:31], s[0:1]
	.section	.rodata,"a",@progbits
	.p2align	6, 0x0
	.amdhsa_kernel _Z39paged_attention_ll4mi_QKV_mfma16_kernelIDF16_DF16_LN4vllm18Fp8KVCacheDataTypeE0EhLi16ELi128ELi256ELb0ELi16EEvPKT_PKT0_S7_ifPKiS9_S9_iPKfiiiPfSC_PS2_PT2_iSB_SB_
		.amdhsa_group_segment_fixed_size 0
		.amdhsa_private_segment_fixed_size 64
		.amdhsa_kernarg_size 400
		.amdhsa_user_sgpr_count 2
		.amdhsa_user_sgpr_dispatch_ptr 0
		.amdhsa_user_sgpr_queue_ptr 0
		.amdhsa_user_sgpr_kernarg_segment_ptr 1
		.amdhsa_user_sgpr_dispatch_id 0
		.amdhsa_user_sgpr_kernarg_preload_length 0
		.amdhsa_user_sgpr_kernarg_preload_offset 0
		.amdhsa_user_sgpr_private_segment_size 0
		.amdhsa_wavefront_size32 1
		.amdhsa_uses_dynamic_stack 0
		.amdhsa_enable_private_segment 1
		.amdhsa_system_sgpr_workgroup_id_x 1
		.amdhsa_system_sgpr_workgroup_id_y 0
		.amdhsa_system_sgpr_workgroup_id_z 0
		.amdhsa_system_sgpr_workgroup_info 0
		.amdhsa_system_vgpr_workitem_id 0
		.amdhsa_next_free_vgpr 51
		.amdhsa_next_free_sgpr 34
		.amdhsa_named_barrier_count 0
		.amdhsa_reserve_vcc 1
		.amdhsa_float_round_mode_32 0
		.amdhsa_float_round_mode_16_64 0
		.amdhsa_float_denorm_mode_32 3
		.amdhsa_float_denorm_mode_16_64 3
		.amdhsa_fp16_overflow 0
		.amdhsa_memory_ordered 1
		.amdhsa_forward_progress 1
		.amdhsa_inst_pref_size 1
		.amdhsa_round_robin_scheduling 0
		.amdhsa_exception_fp_ieee_invalid_op 0
		.amdhsa_exception_fp_denorm_src 0
		.amdhsa_exception_fp_ieee_div_zero 0
		.amdhsa_exception_fp_ieee_overflow 0
		.amdhsa_exception_fp_ieee_underflow 0
		.amdhsa_exception_fp_ieee_inexact 0
		.amdhsa_exception_int_div_zero 0
	.end_amdhsa_kernel
	.section	.text._Z39paged_attention_ll4mi_QKV_mfma16_kernelIDF16_DF16_LN4vllm18Fp8KVCacheDataTypeE0EhLi16ELi128ELi256ELb0ELi16EEvPKT_PKT0_S7_ifPKiS9_S9_iPKfiiiPfSC_PS2_PT2_iSB_SB_,"axG",@progbits,_Z39paged_attention_ll4mi_QKV_mfma16_kernelIDF16_DF16_LN4vllm18Fp8KVCacheDataTypeE0EhLi16ELi128ELi256ELb0ELi16EEvPKT_PKT0_S7_ifPKiS9_S9_iPKfiiiPfSC_PS2_PT2_iSB_SB_,comdat
.Lfunc_end245:
	.size	_Z39paged_attention_ll4mi_QKV_mfma16_kernelIDF16_DF16_LN4vllm18Fp8KVCacheDataTypeE0EhLi16ELi128ELi256ELb0ELi16EEvPKT_PKT0_S7_ifPKiS9_S9_iPKfiiiPfSC_PS2_PT2_iSB_SB_, .Lfunc_end245-_Z39paged_attention_ll4mi_QKV_mfma16_kernelIDF16_DF16_LN4vllm18Fp8KVCacheDataTypeE0EhLi16ELi128ELi256ELb0ELi16EEvPKT_PKT0_S7_ifPKiS9_S9_iPKfiiiPfSC_PS2_PT2_iSB_SB_
                                        ; -- End function
	.set _Z39paged_attention_ll4mi_QKV_mfma16_kernelIDF16_DF16_LN4vllm18Fp8KVCacheDataTypeE0EhLi16ELi128ELi256ELb0ELi16EEvPKT_PKT0_S7_ifPKiS9_S9_iPKfiiiPfSC_PS2_PT2_iSB_SB_.num_vgpr, max(3, .L__assert_fail.num_vgpr)
	.set _Z39paged_attention_ll4mi_QKV_mfma16_kernelIDF16_DF16_LN4vllm18Fp8KVCacheDataTypeE0EhLi16ELi128ELi256ELb0ELi16EEvPKT_PKT0_S7_ifPKiS9_S9_iPKfiiiPfSC_PS2_PT2_iSB_SB_.num_agpr, max(0, .L__assert_fail.num_agpr)
	.set _Z39paged_attention_ll4mi_QKV_mfma16_kernelIDF16_DF16_LN4vllm18Fp8KVCacheDataTypeE0EhLi16ELi128ELi256ELb0ELi16EEvPKT_PKT0_S7_ifPKiS9_S9_iPKfiiiPfSC_PS2_PT2_iSB_SB_.numbered_sgpr, max(33, .L__assert_fail.numbered_sgpr)
	.set _Z39paged_attention_ll4mi_QKV_mfma16_kernelIDF16_DF16_LN4vllm18Fp8KVCacheDataTypeE0EhLi16ELi128ELi256ELb0ELi16EEvPKT_PKT0_S7_ifPKiS9_S9_iPKfiiiPfSC_PS2_PT2_iSB_SB_.num_named_barrier, max(0, .L__assert_fail.num_named_barrier)
	.set _Z39paged_attention_ll4mi_QKV_mfma16_kernelIDF16_DF16_LN4vllm18Fp8KVCacheDataTypeE0EhLi16ELi128ELi256ELb0ELi16EEvPKT_PKT0_S7_ifPKiS9_S9_iPKfiiiPfSC_PS2_PT2_iSB_SB_.private_seg_size, 0+max(.L__assert_fail.private_seg_size)
	.set _Z39paged_attention_ll4mi_QKV_mfma16_kernelIDF16_DF16_LN4vllm18Fp8KVCacheDataTypeE0EhLi16ELi128ELi256ELb0ELi16EEvPKT_PKT0_S7_ifPKiS9_S9_iPKfiiiPfSC_PS2_PT2_iSB_SB_.uses_vcc, or(1, .L__assert_fail.uses_vcc)
	.set _Z39paged_attention_ll4mi_QKV_mfma16_kernelIDF16_DF16_LN4vllm18Fp8KVCacheDataTypeE0EhLi16ELi128ELi256ELb0ELi16EEvPKT_PKT0_S7_ifPKiS9_S9_iPKfiiiPfSC_PS2_PT2_iSB_SB_.uses_flat_scratch, or(0, .L__assert_fail.uses_flat_scratch)
	.set _Z39paged_attention_ll4mi_QKV_mfma16_kernelIDF16_DF16_LN4vllm18Fp8KVCacheDataTypeE0EhLi16ELi128ELi256ELb0ELi16EEvPKT_PKT0_S7_ifPKiS9_S9_iPKfiiiPfSC_PS2_PT2_iSB_SB_.has_dyn_sized_stack, or(0, .L__assert_fail.has_dyn_sized_stack)
	.set _Z39paged_attention_ll4mi_QKV_mfma16_kernelIDF16_DF16_LN4vllm18Fp8KVCacheDataTypeE0EhLi16ELi128ELi256ELb0ELi16EEvPKT_PKT0_S7_ifPKiS9_S9_iPKfiiiPfSC_PS2_PT2_iSB_SB_.has_recursion, or(0, .L__assert_fail.has_recursion)
	.set _Z39paged_attention_ll4mi_QKV_mfma16_kernelIDF16_DF16_LN4vllm18Fp8KVCacheDataTypeE0EhLi16ELi128ELi256ELb0ELi16EEvPKT_PKT0_S7_ifPKiS9_S9_iPKfiiiPfSC_PS2_PT2_iSB_SB_.has_indirect_call, or(0, .L__assert_fail.has_indirect_call)
	.section	.AMDGPU.csdata,"",@progbits
; Kernel info:
; codeLenInByte = 68
; TotalNumSgprs: 36
; NumVgprs: 51
; ScratchSize: 64
; MemoryBound: 0
; FloatMode: 240
; IeeeMode: 1
; LDSByteSize: 0 bytes/workgroup (compile time only)
; SGPRBlocks: 0
; VGPRBlocks: 3
; NumSGPRsForWavesPerEU: 36
; NumVGPRsForWavesPerEU: 51
; NamedBarCnt: 0
; Occupancy: 16
; WaveLimiterHint : 1
; COMPUTE_PGM_RSRC2:SCRATCH_EN: 1
; COMPUTE_PGM_RSRC2:USER_SGPR: 2
; COMPUTE_PGM_RSRC2:TRAP_HANDLER: 0
; COMPUTE_PGM_RSRC2:TGID_X_EN: 1
; COMPUTE_PGM_RSRC2:TGID_Y_EN: 0
; COMPUTE_PGM_RSRC2:TGID_Z_EN: 0
; COMPUTE_PGM_RSRC2:TIDIG_COMP_CNT: 0
	.section	.text._Z39paged_attention_ll4mi_QKV_mfma16_kernelIDF16_DF16_LN4vllm18Fp8KVCacheDataTypeE0EhLi16ELi128ELi256ELb0ELi1EEvPKT_PKT0_S7_ifPKiS9_S9_iPKfiiiPfSC_PS2_PT2_iSB_SB_,"axG",@progbits,_Z39paged_attention_ll4mi_QKV_mfma16_kernelIDF16_DF16_LN4vllm18Fp8KVCacheDataTypeE0EhLi16ELi128ELi256ELb0ELi1EEvPKT_PKT0_S7_ifPKiS9_S9_iPKfiiiPfSC_PS2_PT2_iSB_SB_,comdat
	.protected	_Z39paged_attention_ll4mi_QKV_mfma16_kernelIDF16_DF16_LN4vllm18Fp8KVCacheDataTypeE0EhLi16ELi128ELi256ELb0ELi1EEvPKT_PKT0_S7_ifPKiS9_S9_iPKfiiiPfSC_PS2_PT2_iSB_SB_ ; -- Begin function _Z39paged_attention_ll4mi_QKV_mfma16_kernelIDF16_DF16_LN4vllm18Fp8KVCacheDataTypeE0EhLi16ELi128ELi256ELb0ELi1EEvPKT_PKT0_S7_ifPKiS9_S9_iPKfiiiPfSC_PS2_PT2_iSB_SB_
	.globl	_Z39paged_attention_ll4mi_QKV_mfma16_kernelIDF16_DF16_LN4vllm18Fp8KVCacheDataTypeE0EhLi16ELi128ELi256ELb0ELi1EEvPKT_PKT0_S7_ifPKiS9_S9_iPKfiiiPfSC_PS2_PT2_iSB_SB_
	.p2align	8
	.type	_Z39paged_attention_ll4mi_QKV_mfma16_kernelIDF16_DF16_LN4vllm18Fp8KVCacheDataTypeE0EhLi16ELi128ELi256ELb0ELi1EEvPKT_PKT0_S7_ifPKiS9_S9_iPKfiiiPfSC_PS2_PT2_iSB_SB_,@function
_Z39paged_attention_ll4mi_QKV_mfma16_kernelIDF16_DF16_LN4vllm18Fp8KVCacheDataTypeE0EhLi16ELi128ELi256ELb0ELi1EEvPKT_PKT0_S7_ifPKiS9_S9_iPKfiiiPfSC_PS2_PT2_iSB_SB_: ; @_Z39paged_attention_ll4mi_QKV_mfma16_kernelIDF16_DF16_LN4vllm18Fp8KVCacheDataTypeE0EhLi16ELi128ELi256ELb0ELi1EEvPKT_PKT0_S7_ifPKiS9_S9_iPKfiiiPfSC_PS2_PT2_iSB_SB_
; %bb.0:
	s_get_pc_i64 s[2:3]
	s_add_nc_u64 s[2:3], s[2:3], __PRETTY_FUNCTION__._Z39paged_attention_ll4mi_QKV_mfma16_kernelIDF16_DF16_LN4vllm18Fp8KVCacheDataTypeE0EhLi16ELi128ELi256ELb0ELi1EEvPKT_PKT0_S7_ifPKiS9_S9_iPKfiiiPfSC_PS2_PT2_iSB_SB_@rel64+4
	s_delay_alu instid0(SALU_CYCLE_1)
	v_dual_mov_b32 v0, 0xbb3 :: v_dual_mov_b32 v1, s2
	v_mov_b32_e32 v2, s3
	s_add_nc_u64 s[8:9], s[0:1], 0x90
	s_get_pc_i64 s[0:1]
	s_add_nc_u64 s[0:1], s[0:1], __assert_fail@rel64+4
	s_mov_b32 s32, 0
	s_swap_pc_i64 s[30:31], s[0:1]
	.section	.rodata,"a",@progbits
	.p2align	6, 0x0
	.amdhsa_kernel _Z39paged_attention_ll4mi_QKV_mfma16_kernelIDF16_DF16_LN4vllm18Fp8KVCacheDataTypeE0EhLi16ELi128ELi256ELb0ELi1EEvPKT_PKT0_S7_ifPKiS9_S9_iPKfiiiPfSC_PS2_PT2_iSB_SB_
		.amdhsa_group_segment_fixed_size 0
		.amdhsa_private_segment_fixed_size 64
		.amdhsa_kernarg_size 400
		.amdhsa_user_sgpr_count 2
		.amdhsa_user_sgpr_dispatch_ptr 0
		.amdhsa_user_sgpr_queue_ptr 0
		.amdhsa_user_sgpr_kernarg_segment_ptr 1
		.amdhsa_user_sgpr_dispatch_id 0
		.amdhsa_user_sgpr_kernarg_preload_length 0
		.amdhsa_user_sgpr_kernarg_preload_offset 0
		.amdhsa_user_sgpr_private_segment_size 0
		.amdhsa_wavefront_size32 1
		.amdhsa_uses_dynamic_stack 0
		.amdhsa_enable_private_segment 1
		.amdhsa_system_sgpr_workgroup_id_x 1
		.amdhsa_system_sgpr_workgroup_id_y 0
		.amdhsa_system_sgpr_workgroup_id_z 0
		.amdhsa_system_sgpr_workgroup_info 0
		.amdhsa_system_vgpr_workitem_id 0
		.amdhsa_next_free_vgpr 51
		.amdhsa_next_free_sgpr 34
		.amdhsa_named_barrier_count 0
		.amdhsa_reserve_vcc 1
		.amdhsa_float_round_mode_32 0
		.amdhsa_float_round_mode_16_64 0
		.amdhsa_float_denorm_mode_32 3
		.amdhsa_float_denorm_mode_16_64 3
		.amdhsa_fp16_overflow 0
		.amdhsa_memory_ordered 1
		.amdhsa_forward_progress 1
		.amdhsa_inst_pref_size 1
		.amdhsa_round_robin_scheduling 0
		.amdhsa_exception_fp_ieee_invalid_op 0
		.amdhsa_exception_fp_denorm_src 0
		.amdhsa_exception_fp_ieee_div_zero 0
		.amdhsa_exception_fp_ieee_overflow 0
		.amdhsa_exception_fp_ieee_underflow 0
		.amdhsa_exception_fp_ieee_inexact 0
		.amdhsa_exception_int_div_zero 0
	.end_amdhsa_kernel
	.section	.text._Z39paged_attention_ll4mi_QKV_mfma16_kernelIDF16_DF16_LN4vllm18Fp8KVCacheDataTypeE0EhLi16ELi128ELi256ELb0ELi1EEvPKT_PKT0_S7_ifPKiS9_S9_iPKfiiiPfSC_PS2_PT2_iSB_SB_,"axG",@progbits,_Z39paged_attention_ll4mi_QKV_mfma16_kernelIDF16_DF16_LN4vllm18Fp8KVCacheDataTypeE0EhLi16ELi128ELi256ELb0ELi1EEvPKT_PKT0_S7_ifPKiS9_S9_iPKfiiiPfSC_PS2_PT2_iSB_SB_,comdat
.Lfunc_end246:
	.size	_Z39paged_attention_ll4mi_QKV_mfma16_kernelIDF16_DF16_LN4vllm18Fp8KVCacheDataTypeE0EhLi16ELi128ELi256ELb0ELi1EEvPKT_PKT0_S7_ifPKiS9_S9_iPKfiiiPfSC_PS2_PT2_iSB_SB_, .Lfunc_end246-_Z39paged_attention_ll4mi_QKV_mfma16_kernelIDF16_DF16_LN4vllm18Fp8KVCacheDataTypeE0EhLi16ELi128ELi256ELb0ELi1EEvPKT_PKT0_S7_ifPKiS9_S9_iPKfiiiPfSC_PS2_PT2_iSB_SB_
                                        ; -- End function
	.set _Z39paged_attention_ll4mi_QKV_mfma16_kernelIDF16_DF16_LN4vllm18Fp8KVCacheDataTypeE0EhLi16ELi128ELi256ELb0ELi1EEvPKT_PKT0_S7_ifPKiS9_S9_iPKfiiiPfSC_PS2_PT2_iSB_SB_.num_vgpr, max(3, .L__assert_fail.num_vgpr)
	.set _Z39paged_attention_ll4mi_QKV_mfma16_kernelIDF16_DF16_LN4vllm18Fp8KVCacheDataTypeE0EhLi16ELi128ELi256ELb0ELi1EEvPKT_PKT0_S7_ifPKiS9_S9_iPKfiiiPfSC_PS2_PT2_iSB_SB_.num_agpr, max(0, .L__assert_fail.num_agpr)
	.set _Z39paged_attention_ll4mi_QKV_mfma16_kernelIDF16_DF16_LN4vllm18Fp8KVCacheDataTypeE0EhLi16ELi128ELi256ELb0ELi1EEvPKT_PKT0_S7_ifPKiS9_S9_iPKfiiiPfSC_PS2_PT2_iSB_SB_.numbered_sgpr, max(33, .L__assert_fail.numbered_sgpr)
	.set _Z39paged_attention_ll4mi_QKV_mfma16_kernelIDF16_DF16_LN4vllm18Fp8KVCacheDataTypeE0EhLi16ELi128ELi256ELb0ELi1EEvPKT_PKT0_S7_ifPKiS9_S9_iPKfiiiPfSC_PS2_PT2_iSB_SB_.num_named_barrier, max(0, .L__assert_fail.num_named_barrier)
	.set _Z39paged_attention_ll4mi_QKV_mfma16_kernelIDF16_DF16_LN4vllm18Fp8KVCacheDataTypeE0EhLi16ELi128ELi256ELb0ELi1EEvPKT_PKT0_S7_ifPKiS9_S9_iPKfiiiPfSC_PS2_PT2_iSB_SB_.private_seg_size, 0+max(.L__assert_fail.private_seg_size)
	.set _Z39paged_attention_ll4mi_QKV_mfma16_kernelIDF16_DF16_LN4vllm18Fp8KVCacheDataTypeE0EhLi16ELi128ELi256ELb0ELi1EEvPKT_PKT0_S7_ifPKiS9_S9_iPKfiiiPfSC_PS2_PT2_iSB_SB_.uses_vcc, or(1, .L__assert_fail.uses_vcc)
	.set _Z39paged_attention_ll4mi_QKV_mfma16_kernelIDF16_DF16_LN4vllm18Fp8KVCacheDataTypeE0EhLi16ELi128ELi256ELb0ELi1EEvPKT_PKT0_S7_ifPKiS9_S9_iPKfiiiPfSC_PS2_PT2_iSB_SB_.uses_flat_scratch, or(0, .L__assert_fail.uses_flat_scratch)
	.set _Z39paged_attention_ll4mi_QKV_mfma16_kernelIDF16_DF16_LN4vllm18Fp8KVCacheDataTypeE0EhLi16ELi128ELi256ELb0ELi1EEvPKT_PKT0_S7_ifPKiS9_S9_iPKfiiiPfSC_PS2_PT2_iSB_SB_.has_dyn_sized_stack, or(0, .L__assert_fail.has_dyn_sized_stack)
	.set _Z39paged_attention_ll4mi_QKV_mfma16_kernelIDF16_DF16_LN4vllm18Fp8KVCacheDataTypeE0EhLi16ELi128ELi256ELb0ELi1EEvPKT_PKT0_S7_ifPKiS9_S9_iPKfiiiPfSC_PS2_PT2_iSB_SB_.has_recursion, or(0, .L__assert_fail.has_recursion)
	.set _Z39paged_attention_ll4mi_QKV_mfma16_kernelIDF16_DF16_LN4vllm18Fp8KVCacheDataTypeE0EhLi16ELi128ELi256ELb0ELi1EEvPKT_PKT0_S7_ifPKiS9_S9_iPKfiiiPfSC_PS2_PT2_iSB_SB_.has_indirect_call, or(0, .L__assert_fail.has_indirect_call)
	.section	.AMDGPU.csdata,"",@progbits
; Kernel info:
; codeLenInByte = 68
; TotalNumSgprs: 36
; NumVgprs: 51
; ScratchSize: 64
; MemoryBound: 0
; FloatMode: 240
; IeeeMode: 1
; LDSByteSize: 0 bytes/workgroup (compile time only)
; SGPRBlocks: 0
; VGPRBlocks: 3
; NumSGPRsForWavesPerEU: 36
; NumVGPRsForWavesPerEU: 51
; NamedBarCnt: 0
; Occupancy: 16
; WaveLimiterHint : 1
; COMPUTE_PGM_RSRC2:SCRATCH_EN: 1
; COMPUTE_PGM_RSRC2:USER_SGPR: 2
; COMPUTE_PGM_RSRC2:TRAP_HANDLER: 0
; COMPUTE_PGM_RSRC2:TGID_X_EN: 1
; COMPUTE_PGM_RSRC2:TGID_Y_EN: 0
; COMPUTE_PGM_RSRC2:TGID_Z_EN: 0
; COMPUTE_PGM_RSRC2:TIDIG_COMP_CNT: 0
	.section	.text._Z39paged_attention_ll4mi_QKV_mfma16_kernelIDF16_DF16_LN4vllm18Fp8KVCacheDataTypeE0EhLi16ELi128ELi256ELb0ELi2EEvPKT_PKT0_S7_ifPKiS9_S9_iPKfiiiPfSC_PS2_PT2_iSB_SB_,"axG",@progbits,_Z39paged_attention_ll4mi_QKV_mfma16_kernelIDF16_DF16_LN4vllm18Fp8KVCacheDataTypeE0EhLi16ELi128ELi256ELb0ELi2EEvPKT_PKT0_S7_ifPKiS9_S9_iPKfiiiPfSC_PS2_PT2_iSB_SB_,comdat
	.protected	_Z39paged_attention_ll4mi_QKV_mfma16_kernelIDF16_DF16_LN4vllm18Fp8KVCacheDataTypeE0EhLi16ELi128ELi256ELb0ELi2EEvPKT_PKT0_S7_ifPKiS9_S9_iPKfiiiPfSC_PS2_PT2_iSB_SB_ ; -- Begin function _Z39paged_attention_ll4mi_QKV_mfma16_kernelIDF16_DF16_LN4vllm18Fp8KVCacheDataTypeE0EhLi16ELi128ELi256ELb0ELi2EEvPKT_PKT0_S7_ifPKiS9_S9_iPKfiiiPfSC_PS2_PT2_iSB_SB_
	.globl	_Z39paged_attention_ll4mi_QKV_mfma16_kernelIDF16_DF16_LN4vllm18Fp8KVCacheDataTypeE0EhLi16ELi128ELi256ELb0ELi2EEvPKT_PKT0_S7_ifPKiS9_S9_iPKfiiiPfSC_PS2_PT2_iSB_SB_
	.p2align	8
	.type	_Z39paged_attention_ll4mi_QKV_mfma16_kernelIDF16_DF16_LN4vllm18Fp8KVCacheDataTypeE0EhLi16ELi128ELi256ELb0ELi2EEvPKT_PKT0_S7_ifPKiS9_S9_iPKfiiiPfSC_PS2_PT2_iSB_SB_,@function
_Z39paged_attention_ll4mi_QKV_mfma16_kernelIDF16_DF16_LN4vllm18Fp8KVCacheDataTypeE0EhLi16ELi128ELi256ELb0ELi2EEvPKT_PKT0_S7_ifPKiS9_S9_iPKfiiiPfSC_PS2_PT2_iSB_SB_: ; @_Z39paged_attention_ll4mi_QKV_mfma16_kernelIDF16_DF16_LN4vllm18Fp8KVCacheDataTypeE0EhLi16ELi128ELi256ELb0ELi2EEvPKT_PKT0_S7_ifPKiS9_S9_iPKfiiiPfSC_PS2_PT2_iSB_SB_
; %bb.0:
	s_get_pc_i64 s[2:3]
	s_add_nc_u64 s[2:3], s[2:3], __PRETTY_FUNCTION__._Z39paged_attention_ll4mi_QKV_mfma16_kernelIDF16_DF16_LN4vllm18Fp8KVCacheDataTypeE0EhLi16ELi128ELi256ELb0ELi2EEvPKT_PKT0_S7_ifPKiS9_S9_iPKfiiiPfSC_PS2_PT2_iSB_SB_@rel64+4
	s_delay_alu instid0(SALU_CYCLE_1)
	v_dual_mov_b32 v0, 0xbb3 :: v_dual_mov_b32 v1, s2
	v_mov_b32_e32 v2, s3
	s_add_nc_u64 s[8:9], s[0:1], 0x90
	s_get_pc_i64 s[0:1]
	s_add_nc_u64 s[0:1], s[0:1], __assert_fail@rel64+4
	s_mov_b32 s32, 0
	s_swap_pc_i64 s[30:31], s[0:1]
	.section	.rodata,"a",@progbits
	.p2align	6, 0x0
	.amdhsa_kernel _Z39paged_attention_ll4mi_QKV_mfma16_kernelIDF16_DF16_LN4vllm18Fp8KVCacheDataTypeE0EhLi16ELi128ELi256ELb0ELi2EEvPKT_PKT0_S7_ifPKiS9_S9_iPKfiiiPfSC_PS2_PT2_iSB_SB_
		.amdhsa_group_segment_fixed_size 0
		.amdhsa_private_segment_fixed_size 64
		.amdhsa_kernarg_size 400
		.amdhsa_user_sgpr_count 2
		.amdhsa_user_sgpr_dispatch_ptr 0
		.amdhsa_user_sgpr_queue_ptr 0
		.amdhsa_user_sgpr_kernarg_segment_ptr 1
		.amdhsa_user_sgpr_dispatch_id 0
		.amdhsa_user_sgpr_kernarg_preload_length 0
		.amdhsa_user_sgpr_kernarg_preload_offset 0
		.amdhsa_user_sgpr_private_segment_size 0
		.amdhsa_wavefront_size32 1
		.amdhsa_uses_dynamic_stack 0
		.amdhsa_enable_private_segment 1
		.amdhsa_system_sgpr_workgroup_id_x 1
		.amdhsa_system_sgpr_workgroup_id_y 0
		.amdhsa_system_sgpr_workgroup_id_z 0
		.amdhsa_system_sgpr_workgroup_info 0
		.amdhsa_system_vgpr_workitem_id 0
		.amdhsa_next_free_vgpr 51
		.amdhsa_next_free_sgpr 34
		.amdhsa_named_barrier_count 0
		.amdhsa_reserve_vcc 1
		.amdhsa_float_round_mode_32 0
		.amdhsa_float_round_mode_16_64 0
		.amdhsa_float_denorm_mode_32 3
		.amdhsa_float_denorm_mode_16_64 3
		.amdhsa_fp16_overflow 0
		.amdhsa_memory_ordered 1
		.amdhsa_forward_progress 1
		.amdhsa_inst_pref_size 1
		.amdhsa_round_robin_scheduling 0
		.amdhsa_exception_fp_ieee_invalid_op 0
		.amdhsa_exception_fp_denorm_src 0
		.amdhsa_exception_fp_ieee_div_zero 0
		.amdhsa_exception_fp_ieee_overflow 0
		.amdhsa_exception_fp_ieee_underflow 0
		.amdhsa_exception_fp_ieee_inexact 0
		.amdhsa_exception_int_div_zero 0
	.end_amdhsa_kernel
	.section	.text._Z39paged_attention_ll4mi_QKV_mfma16_kernelIDF16_DF16_LN4vllm18Fp8KVCacheDataTypeE0EhLi16ELi128ELi256ELb0ELi2EEvPKT_PKT0_S7_ifPKiS9_S9_iPKfiiiPfSC_PS2_PT2_iSB_SB_,"axG",@progbits,_Z39paged_attention_ll4mi_QKV_mfma16_kernelIDF16_DF16_LN4vllm18Fp8KVCacheDataTypeE0EhLi16ELi128ELi256ELb0ELi2EEvPKT_PKT0_S7_ifPKiS9_S9_iPKfiiiPfSC_PS2_PT2_iSB_SB_,comdat
.Lfunc_end247:
	.size	_Z39paged_attention_ll4mi_QKV_mfma16_kernelIDF16_DF16_LN4vllm18Fp8KVCacheDataTypeE0EhLi16ELi128ELi256ELb0ELi2EEvPKT_PKT0_S7_ifPKiS9_S9_iPKfiiiPfSC_PS2_PT2_iSB_SB_, .Lfunc_end247-_Z39paged_attention_ll4mi_QKV_mfma16_kernelIDF16_DF16_LN4vllm18Fp8KVCacheDataTypeE0EhLi16ELi128ELi256ELb0ELi2EEvPKT_PKT0_S7_ifPKiS9_S9_iPKfiiiPfSC_PS2_PT2_iSB_SB_
                                        ; -- End function
	.set _Z39paged_attention_ll4mi_QKV_mfma16_kernelIDF16_DF16_LN4vllm18Fp8KVCacheDataTypeE0EhLi16ELi128ELi256ELb0ELi2EEvPKT_PKT0_S7_ifPKiS9_S9_iPKfiiiPfSC_PS2_PT2_iSB_SB_.num_vgpr, max(3, .L__assert_fail.num_vgpr)
	.set _Z39paged_attention_ll4mi_QKV_mfma16_kernelIDF16_DF16_LN4vllm18Fp8KVCacheDataTypeE0EhLi16ELi128ELi256ELb0ELi2EEvPKT_PKT0_S7_ifPKiS9_S9_iPKfiiiPfSC_PS2_PT2_iSB_SB_.num_agpr, max(0, .L__assert_fail.num_agpr)
	.set _Z39paged_attention_ll4mi_QKV_mfma16_kernelIDF16_DF16_LN4vllm18Fp8KVCacheDataTypeE0EhLi16ELi128ELi256ELb0ELi2EEvPKT_PKT0_S7_ifPKiS9_S9_iPKfiiiPfSC_PS2_PT2_iSB_SB_.numbered_sgpr, max(33, .L__assert_fail.numbered_sgpr)
	.set _Z39paged_attention_ll4mi_QKV_mfma16_kernelIDF16_DF16_LN4vllm18Fp8KVCacheDataTypeE0EhLi16ELi128ELi256ELb0ELi2EEvPKT_PKT0_S7_ifPKiS9_S9_iPKfiiiPfSC_PS2_PT2_iSB_SB_.num_named_barrier, max(0, .L__assert_fail.num_named_barrier)
	.set _Z39paged_attention_ll4mi_QKV_mfma16_kernelIDF16_DF16_LN4vllm18Fp8KVCacheDataTypeE0EhLi16ELi128ELi256ELb0ELi2EEvPKT_PKT0_S7_ifPKiS9_S9_iPKfiiiPfSC_PS2_PT2_iSB_SB_.private_seg_size, 0+max(.L__assert_fail.private_seg_size)
	.set _Z39paged_attention_ll4mi_QKV_mfma16_kernelIDF16_DF16_LN4vllm18Fp8KVCacheDataTypeE0EhLi16ELi128ELi256ELb0ELi2EEvPKT_PKT0_S7_ifPKiS9_S9_iPKfiiiPfSC_PS2_PT2_iSB_SB_.uses_vcc, or(1, .L__assert_fail.uses_vcc)
	.set _Z39paged_attention_ll4mi_QKV_mfma16_kernelIDF16_DF16_LN4vllm18Fp8KVCacheDataTypeE0EhLi16ELi128ELi256ELb0ELi2EEvPKT_PKT0_S7_ifPKiS9_S9_iPKfiiiPfSC_PS2_PT2_iSB_SB_.uses_flat_scratch, or(0, .L__assert_fail.uses_flat_scratch)
	.set _Z39paged_attention_ll4mi_QKV_mfma16_kernelIDF16_DF16_LN4vllm18Fp8KVCacheDataTypeE0EhLi16ELi128ELi256ELb0ELi2EEvPKT_PKT0_S7_ifPKiS9_S9_iPKfiiiPfSC_PS2_PT2_iSB_SB_.has_dyn_sized_stack, or(0, .L__assert_fail.has_dyn_sized_stack)
	.set _Z39paged_attention_ll4mi_QKV_mfma16_kernelIDF16_DF16_LN4vllm18Fp8KVCacheDataTypeE0EhLi16ELi128ELi256ELb0ELi2EEvPKT_PKT0_S7_ifPKiS9_S9_iPKfiiiPfSC_PS2_PT2_iSB_SB_.has_recursion, or(0, .L__assert_fail.has_recursion)
	.set _Z39paged_attention_ll4mi_QKV_mfma16_kernelIDF16_DF16_LN4vllm18Fp8KVCacheDataTypeE0EhLi16ELi128ELi256ELb0ELi2EEvPKT_PKT0_S7_ifPKiS9_S9_iPKfiiiPfSC_PS2_PT2_iSB_SB_.has_indirect_call, or(0, .L__assert_fail.has_indirect_call)
	.section	.AMDGPU.csdata,"",@progbits
; Kernel info:
; codeLenInByte = 68
; TotalNumSgprs: 36
; NumVgprs: 51
; ScratchSize: 64
; MemoryBound: 0
; FloatMode: 240
; IeeeMode: 1
; LDSByteSize: 0 bytes/workgroup (compile time only)
; SGPRBlocks: 0
; VGPRBlocks: 3
; NumSGPRsForWavesPerEU: 36
; NumVGPRsForWavesPerEU: 51
; NamedBarCnt: 0
; Occupancy: 16
; WaveLimiterHint : 1
; COMPUTE_PGM_RSRC2:SCRATCH_EN: 1
; COMPUTE_PGM_RSRC2:USER_SGPR: 2
; COMPUTE_PGM_RSRC2:TRAP_HANDLER: 0
; COMPUTE_PGM_RSRC2:TGID_X_EN: 1
; COMPUTE_PGM_RSRC2:TGID_Y_EN: 0
; COMPUTE_PGM_RSRC2:TGID_Z_EN: 0
; COMPUTE_PGM_RSRC2:TIDIG_COMP_CNT: 0
	.section	.text._Z39paged_attention_ll4mi_QKV_mfma16_kernelIDF16_DF16_LN4vllm18Fp8KVCacheDataTypeE0EhLi16ELi128ELi256ELb0ELi3EEvPKT_PKT0_S7_ifPKiS9_S9_iPKfiiiPfSC_PS2_PT2_iSB_SB_,"axG",@progbits,_Z39paged_attention_ll4mi_QKV_mfma16_kernelIDF16_DF16_LN4vllm18Fp8KVCacheDataTypeE0EhLi16ELi128ELi256ELb0ELi3EEvPKT_PKT0_S7_ifPKiS9_S9_iPKfiiiPfSC_PS2_PT2_iSB_SB_,comdat
	.protected	_Z39paged_attention_ll4mi_QKV_mfma16_kernelIDF16_DF16_LN4vllm18Fp8KVCacheDataTypeE0EhLi16ELi128ELi256ELb0ELi3EEvPKT_PKT0_S7_ifPKiS9_S9_iPKfiiiPfSC_PS2_PT2_iSB_SB_ ; -- Begin function _Z39paged_attention_ll4mi_QKV_mfma16_kernelIDF16_DF16_LN4vllm18Fp8KVCacheDataTypeE0EhLi16ELi128ELi256ELb0ELi3EEvPKT_PKT0_S7_ifPKiS9_S9_iPKfiiiPfSC_PS2_PT2_iSB_SB_
	.globl	_Z39paged_attention_ll4mi_QKV_mfma16_kernelIDF16_DF16_LN4vllm18Fp8KVCacheDataTypeE0EhLi16ELi128ELi256ELb0ELi3EEvPKT_PKT0_S7_ifPKiS9_S9_iPKfiiiPfSC_PS2_PT2_iSB_SB_
	.p2align	8
	.type	_Z39paged_attention_ll4mi_QKV_mfma16_kernelIDF16_DF16_LN4vllm18Fp8KVCacheDataTypeE0EhLi16ELi128ELi256ELb0ELi3EEvPKT_PKT0_S7_ifPKiS9_S9_iPKfiiiPfSC_PS2_PT2_iSB_SB_,@function
_Z39paged_attention_ll4mi_QKV_mfma16_kernelIDF16_DF16_LN4vllm18Fp8KVCacheDataTypeE0EhLi16ELi128ELi256ELb0ELi3EEvPKT_PKT0_S7_ifPKiS9_S9_iPKfiiiPfSC_PS2_PT2_iSB_SB_: ; @_Z39paged_attention_ll4mi_QKV_mfma16_kernelIDF16_DF16_LN4vllm18Fp8KVCacheDataTypeE0EhLi16ELi128ELi256ELb0ELi3EEvPKT_PKT0_S7_ifPKiS9_S9_iPKfiiiPfSC_PS2_PT2_iSB_SB_
; %bb.0:
	s_get_pc_i64 s[2:3]
	s_add_nc_u64 s[2:3], s[2:3], __PRETTY_FUNCTION__._Z39paged_attention_ll4mi_QKV_mfma16_kernelIDF16_DF16_LN4vllm18Fp8KVCacheDataTypeE0EhLi16ELi128ELi256ELb0ELi3EEvPKT_PKT0_S7_ifPKiS9_S9_iPKfiiiPfSC_PS2_PT2_iSB_SB_@rel64+4
	s_delay_alu instid0(SALU_CYCLE_1)
	v_dual_mov_b32 v0, 0xbb3 :: v_dual_mov_b32 v1, s2
	v_mov_b32_e32 v2, s3
	s_add_nc_u64 s[8:9], s[0:1], 0x90
	s_get_pc_i64 s[0:1]
	s_add_nc_u64 s[0:1], s[0:1], __assert_fail@rel64+4
	s_mov_b32 s32, 0
	s_swap_pc_i64 s[30:31], s[0:1]
	.section	.rodata,"a",@progbits
	.p2align	6, 0x0
	.amdhsa_kernel _Z39paged_attention_ll4mi_QKV_mfma16_kernelIDF16_DF16_LN4vllm18Fp8KVCacheDataTypeE0EhLi16ELi128ELi256ELb0ELi3EEvPKT_PKT0_S7_ifPKiS9_S9_iPKfiiiPfSC_PS2_PT2_iSB_SB_
		.amdhsa_group_segment_fixed_size 0
		.amdhsa_private_segment_fixed_size 64
		.amdhsa_kernarg_size 400
		.amdhsa_user_sgpr_count 2
		.amdhsa_user_sgpr_dispatch_ptr 0
		.amdhsa_user_sgpr_queue_ptr 0
		.amdhsa_user_sgpr_kernarg_segment_ptr 1
		.amdhsa_user_sgpr_dispatch_id 0
		.amdhsa_user_sgpr_kernarg_preload_length 0
		.amdhsa_user_sgpr_kernarg_preload_offset 0
		.amdhsa_user_sgpr_private_segment_size 0
		.amdhsa_wavefront_size32 1
		.amdhsa_uses_dynamic_stack 0
		.amdhsa_enable_private_segment 1
		.amdhsa_system_sgpr_workgroup_id_x 1
		.amdhsa_system_sgpr_workgroup_id_y 0
		.amdhsa_system_sgpr_workgroup_id_z 0
		.amdhsa_system_sgpr_workgroup_info 0
		.amdhsa_system_vgpr_workitem_id 0
		.amdhsa_next_free_vgpr 51
		.amdhsa_next_free_sgpr 34
		.amdhsa_named_barrier_count 0
		.amdhsa_reserve_vcc 1
		.amdhsa_float_round_mode_32 0
		.amdhsa_float_round_mode_16_64 0
		.amdhsa_float_denorm_mode_32 3
		.amdhsa_float_denorm_mode_16_64 3
		.amdhsa_fp16_overflow 0
		.amdhsa_memory_ordered 1
		.amdhsa_forward_progress 1
		.amdhsa_inst_pref_size 1
		.amdhsa_round_robin_scheduling 0
		.amdhsa_exception_fp_ieee_invalid_op 0
		.amdhsa_exception_fp_denorm_src 0
		.amdhsa_exception_fp_ieee_div_zero 0
		.amdhsa_exception_fp_ieee_overflow 0
		.amdhsa_exception_fp_ieee_underflow 0
		.amdhsa_exception_fp_ieee_inexact 0
		.amdhsa_exception_int_div_zero 0
	.end_amdhsa_kernel
	.section	.text._Z39paged_attention_ll4mi_QKV_mfma16_kernelIDF16_DF16_LN4vllm18Fp8KVCacheDataTypeE0EhLi16ELi128ELi256ELb0ELi3EEvPKT_PKT0_S7_ifPKiS9_S9_iPKfiiiPfSC_PS2_PT2_iSB_SB_,"axG",@progbits,_Z39paged_attention_ll4mi_QKV_mfma16_kernelIDF16_DF16_LN4vllm18Fp8KVCacheDataTypeE0EhLi16ELi128ELi256ELb0ELi3EEvPKT_PKT0_S7_ifPKiS9_S9_iPKfiiiPfSC_PS2_PT2_iSB_SB_,comdat
.Lfunc_end248:
	.size	_Z39paged_attention_ll4mi_QKV_mfma16_kernelIDF16_DF16_LN4vllm18Fp8KVCacheDataTypeE0EhLi16ELi128ELi256ELb0ELi3EEvPKT_PKT0_S7_ifPKiS9_S9_iPKfiiiPfSC_PS2_PT2_iSB_SB_, .Lfunc_end248-_Z39paged_attention_ll4mi_QKV_mfma16_kernelIDF16_DF16_LN4vllm18Fp8KVCacheDataTypeE0EhLi16ELi128ELi256ELb0ELi3EEvPKT_PKT0_S7_ifPKiS9_S9_iPKfiiiPfSC_PS2_PT2_iSB_SB_
                                        ; -- End function
	.set _Z39paged_attention_ll4mi_QKV_mfma16_kernelIDF16_DF16_LN4vllm18Fp8KVCacheDataTypeE0EhLi16ELi128ELi256ELb0ELi3EEvPKT_PKT0_S7_ifPKiS9_S9_iPKfiiiPfSC_PS2_PT2_iSB_SB_.num_vgpr, max(3, .L__assert_fail.num_vgpr)
	.set _Z39paged_attention_ll4mi_QKV_mfma16_kernelIDF16_DF16_LN4vllm18Fp8KVCacheDataTypeE0EhLi16ELi128ELi256ELb0ELi3EEvPKT_PKT0_S7_ifPKiS9_S9_iPKfiiiPfSC_PS2_PT2_iSB_SB_.num_agpr, max(0, .L__assert_fail.num_agpr)
	.set _Z39paged_attention_ll4mi_QKV_mfma16_kernelIDF16_DF16_LN4vllm18Fp8KVCacheDataTypeE0EhLi16ELi128ELi256ELb0ELi3EEvPKT_PKT0_S7_ifPKiS9_S9_iPKfiiiPfSC_PS2_PT2_iSB_SB_.numbered_sgpr, max(33, .L__assert_fail.numbered_sgpr)
	.set _Z39paged_attention_ll4mi_QKV_mfma16_kernelIDF16_DF16_LN4vllm18Fp8KVCacheDataTypeE0EhLi16ELi128ELi256ELb0ELi3EEvPKT_PKT0_S7_ifPKiS9_S9_iPKfiiiPfSC_PS2_PT2_iSB_SB_.num_named_barrier, max(0, .L__assert_fail.num_named_barrier)
	.set _Z39paged_attention_ll4mi_QKV_mfma16_kernelIDF16_DF16_LN4vllm18Fp8KVCacheDataTypeE0EhLi16ELi128ELi256ELb0ELi3EEvPKT_PKT0_S7_ifPKiS9_S9_iPKfiiiPfSC_PS2_PT2_iSB_SB_.private_seg_size, 0+max(.L__assert_fail.private_seg_size)
	.set _Z39paged_attention_ll4mi_QKV_mfma16_kernelIDF16_DF16_LN4vllm18Fp8KVCacheDataTypeE0EhLi16ELi128ELi256ELb0ELi3EEvPKT_PKT0_S7_ifPKiS9_S9_iPKfiiiPfSC_PS2_PT2_iSB_SB_.uses_vcc, or(1, .L__assert_fail.uses_vcc)
	.set _Z39paged_attention_ll4mi_QKV_mfma16_kernelIDF16_DF16_LN4vllm18Fp8KVCacheDataTypeE0EhLi16ELi128ELi256ELb0ELi3EEvPKT_PKT0_S7_ifPKiS9_S9_iPKfiiiPfSC_PS2_PT2_iSB_SB_.uses_flat_scratch, or(0, .L__assert_fail.uses_flat_scratch)
	.set _Z39paged_attention_ll4mi_QKV_mfma16_kernelIDF16_DF16_LN4vllm18Fp8KVCacheDataTypeE0EhLi16ELi128ELi256ELb0ELi3EEvPKT_PKT0_S7_ifPKiS9_S9_iPKfiiiPfSC_PS2_PT2_iSB_SB_.has_dyn_sized_stack, or(0, .L__assert_fail.has_dyn_sized_stack)
	.set _Z39paged_attention_ll4mi_QKV_mfma16_kernelIDF16_DF16_LN4vllm18Fp8KVCacheDataTypeE0EhLi16ELi128ELi256ELb0ELi3EEvPKT_PKT0_S7_ifPKiS9_S9_iPKfiiiPfSC_PS2_PT2_iSB_SB_.has_recursion, or(0, .L__assert_fail.has_recursion)
	.set _Z39paged_attention_ll4mi_QKV_mfma16_kernelIDF16_DF16_LN4vllm18Fp8KVCacheDataTypeE0EhLi16ELi128ELi256ELb0ELi3EEvPKT_PKT0_S7_ifPKiS9_S9_iPKfiiiPfSC_PS2_PT2_iSB_SB_.has_indirect_call, or(0, .L__assert_fail.has_indirect_call)
	.section	.AMDGPU.csdata,"",@progbits
; Kernel info:
; codeLenInByte = 68
; TotalNumSgprs: 36
; NumVgprs: 51
; ScratchSize: 64
; MemoryBound: 0
; FloatMode: 240
; IeeeMode: 1
; LDSByteSize: 0 bytes/workgroup (compile time only)
; SGPRBlocks: 0
; VGPRBlocks: 3
; NumSGPRsForWavesPerEU: 36
; NumVGPRsForWavesPerEU: 51
; NamedBarCnt: 0
; Occupancy: 16
; WaveLimiterHint : 1
; COMPUTE_PGM_RSRC2:SCRATCH_EN: 1
; COMPUTE_PGM_RSRC2:USER_SGPR: 2
; COMPUTE_PGM_RSRC2:TRAP_HANDLER: 0
; COMPUTE_PGM_RSRC2:TGID_X_EN: 1
; COMPUTE_PGM_RSRC2:TGID_Y_EN: 0
; COMPUTE_PGM_RSRC2:TGID_Z_EN: 0
; COMPUTE_PGM_RSRC2:TIDIG_COMP_CNT: 0
	.section	.text._Z39paged_attention_ll4mi_QKV_mfma16_kernelIDF16_DF16_LN4vllm18Fp8KVCacheDataTypeE0EhLi16ELi128ELi256ELb0ELi4EEvPKT_PKT0_S7_ifPKiS9_S9_iPKfiiiPfSC_PS2_PT2_iSB_SB_,"axG",@progbits,_Z39paged_attention_ll4mi_QKV_mfma16_kernelIDF16_DF16_LN4vllm18Fp8KVCacheDataTypeE0EhLi16ELi128ELi256ELb0ELi4EEvPKT_PKT0_S7_ifPKiS9_S9_iPKfiiiPfSC_PS2_PT2_iSB_SB_,comdat
	.protected	_Z39paged_attention_ll4mi_QKV_mfma16_kernelIDF16_DF16_LN4vllm18Fp8KVCacheDataTypeE0EhLi16ELi128ELi256ELb0ELi4EEvPKT_PKT0_S7_ifPKiS9_S9_iPKfiiiPfSC_PS2_PT2_iSB_SB_ ; -- Begin function _Z39paged_attention_ll4mi_QKV_mfma16_kernelIDF16_DF16_LN4vllm18Fp8KVCacheDataTypeE0EhLi16ELi128ELi256ELb0ELi4EEvPKT_PKT0_S7_ifPKiS9_S9_iPKfiiiPfSC_PS2_PT2_iSB_SB_
	.globl	_Z39paged_attention_ll4mi_QKV_mfma16_kernelIDF16_DF16_LN4vllm18Fp8KVCacheDataTypeE0EhLi16ELi128ELi256ELb0ELi4EEvPKT_PKT0_S7_ifPKiS9_S9_iPKfiiiPfSC_PS2_PT2_iSB_SB_
	.p2align	8
	.type	_Z39paged_attention_ll4mi_QKV_mfma16_kernelIDF16_DF16_LN4vllm18Fp8KVCacheDataTypeE0EhLi16ELi128ELi256ELb0ELi4EEvPKT_PKT0_S7_ifPKiS9_S9_iPKfiiiPfSC_PS2_PT2_iSB_SB_,@function
_Z39paged_attention_ll4mi_QKV_mfma16_kernelIDF16_DF16_LN4vllm18Fp8KVCacheDataTypeE0EhLi16ELi128ELi256ELb0ELi4EEvPKT_PKT0_S7_ifPKiS9_S9_iPKfiiiPfSC_PS2_PT2_iSB_SB_: ; @_Z39paged_attention_ll4mi_QKV_mfma16_kernelIDF16_DF16_LN4vllm18Fp8KVCacheDataTypeE0EhLi16ELi128ELi256ELb0ELi4EEvPKT_PKT0_S7_ifPKiS9_S9_iPKfiiiPfSC_PS2_PT2_iSB_SB_
; %bb.0:
	s_get_pc_i64 s[2:3]
	s_add_nc_u64 s[2:3], s[2:3], __PRETTY_FUNCTION__._Z39paged_attention_ll4mi_QKV_mfma16_kernelIDF16_DF16_LN4vllm18Fp8KVCacheDataTypeE0EhLi16ELi128ELi256ELb0ELi4EEvPKT_PKT0_S7_ifPKiS9_S9_iPKfiiiPfSC_PS2_PT2_iSB_SB_@rel64+4
	s_delay_alu instid0(SALU_CYCLE_1)
	v_dual_mov_b32 v0, 0xbb3 :: v_dual_mov_b32 v1, s2
	v_mov_b32_e32 v2, s3
	s_add_nc_u64 s[8:9], s[0:1], 0x90
	s_get_pc_i64 s[0:1]
	s_add_nc_u64 s[0:1], s[0:1], __assert_fail@rel64+4
	s_mov_b32 s32, 0
	s_swap_pc_i64 s[30:31], s[0:1]
	.section	.rodata,"a",@progbits
	.p2align	6, 0x0
	.amdhsa_kernel _Z39paged_attention_ll4mi_QKV_mfma16_kernelIDF16_DF16_LN4vllm18Fp8KVCacheDataTypeE0EhLi16ELi128ELi256ELb0ELi4EEvPKT_PKT0_S7_ifPKiS9_S9_iPKfiiiPfSC_PS2_PT2_iSB_SB_
		.amdhsa_group_segment_fixed_size 0
		.amdhsa_private_segment_fixed_size 64
		.amdhsa_kernarg_size 400
		.amdhsa_user_sgpr_count 2
		.amdhsa_user_sgpr_dispatch_ptr 0
		.amdhsa_user_sgpr_queue_ptr 0
		.amdhsa_user_sgpr_kernarg_segment_ptr 1
		.amdhsa_user_sgpr_dispatch_id 0
		.amdhsa_user_sgpr_kernarg_preload_length 0
		.amdhsa_user_sgpr_kernarg_preload_offset 0
		.amdhsa_user_sgpr_private_segment_size 0
		.amdhsa_wavefront_size32 1
		.amdhsa_uses_dynamic_stack 0
		.amdhsa_enable_private_segment 1
		.amdhsa_system_sgpr_workgroup_id_x 1
		.amdhsa_system_sgpr_workgroup_id_y 0
		.amdhsa_system_sgpr_workgroup_id_z 0
		.amdhsa_system_sgpr_workgroup_info 0
		.amdhsa_system_vgpr_workitem_id 0
		.amdhsa_next_free_vgpr 51
		.amdhsa_next_free_sgpr 34
		.amdhsa_named_barrier_count 0
		.amdhsa_reserve_vcc 1
		.amdhsa_float_round_mode_32 0
		.amdhsa_float_round_mode_16_64 0
		.amdhsa_float_denorm_mode_32 3
		.amdhsa_float_denorm_mode_16_64 3
		.amdhsa_fp16_overflow 0
		.amdhsa_memory_ordered 1
		.amdhsa_forward_progress 1
		.amdhsa_inst_pref_size 1
		.amdhsa_round_robin_scheduling 0
		.amdhsa_exception_fp_ieee_invalid_op 0
		.amdhsa_exception_fp_denorm_src 0
		.amdhsa_exception_fp_ieee_div_zero 0
		.amdhsa_exception_fp_ieee_overflow 0
		.amdhsa_exception_fp_ieee_underflow 0
		.amdhsa_exception_fp_ieee_inexact 0
		.amdhsa_exception_int_div_zero 0
	.end_amdhsa_kernel
	.section	.text._Z39paged_attention_ll4mi_QKV_mfma16_kernelIDF16_DF16_LN4vllm18Fp8KVCacheDataTypeE0EhLi16ELi128ELi256ELb0ELi4EEvPKT_PKT0_S7_ifPKiS9_S9_iPKfiiiPfSC_PS2_PT2_iSB_SB_,"axG",@progbits,_Z39paged_attention_ll4mi_QKV_mfma16_kernelIDF16_DF16_LN4vllm18Fp8KVCacheDataTypeE0EhLi16ELi128ELi256ELb0ELi4EEvPKT_PKT0_S7_ifPKiS9_S9_iPKfiiiPfSC_PS2_PT2_iSB_SB_,comdat
.Lfunc_end249:
	.size	_Z39paged_attention_ll4mi_QKV_mfma16_kernelIDF16_DF16_LN4vllm18Fp8KVCacheDataTypeE0EhLi16ELi128ELi256ELb0ELi4EEvPKT_PKT0_S7_ifPKiS9_S9_iPKfiiiPfSC_PS2_PT2_iSB_SB_, .Lfunc_end249-_Z39paged_attention_ll4mi_QKV_mfma16_kernelIDF16_DF16_LN4vllm18Fp8KVCacheDataTypeE0EhLi16ELi128ELi256ELb0ELi4EEvPKT_PKT0_S7_ifPKiS9_S9_iPKfiiiPfSC_PS2_PT2_iSB_SB_
                                        ; -- End function
	.set _Z39paged_attention_ll4mi_QKV_mfma16_kernelIDF16_DF16_LN4vllm18Fp8KVCacheDataTypeE0EhLi16ELi128ELi256ELb0ELi4EEvPKT_PKT0_S7_ifPKiS9_S9_iPKfiiiPfSC_PS2_PT2_iSB_SB_.num_vgpr, max(3, .L__assert_fail.num_vgpr)
	.set _Z39paged_attention_ll4mi_QKV_mfma16_kernelIDF16_DF16_LN4vllm18Fp8KVCacheDataTypeE0EhLi16ELi128ELi256ELb0ELi4EEvPKT_PKT0_S7_ifPKiS9_S9_iPKfiiiPfSC_PS2_PT2_iSB_SB_.num_agpr, max(0, .L__assert_fail.num_agpr)
	.set _Z39paged_attention_ll4mi_QKV_mfma16_kernelIDF16_DF16_LN4vllm18Fp8KVCacheDataTypeE0EhLi16ELi128ELi256ELb0ELi4EEvPKT_PKT0_S7_ifPKiS9_S9_iPKfiiiPfSC_PS2_PT2_iSB_SB_.numbered_sgpr, max(33, .L__assert_fail.numbered_sgpr)
	.set _Z39paged_attention_ll4mi_QKV_mfma16_kernelIDF16_DF16_LN4vllm18Fp8KVCacheDataTypeE0EhLi16ELi128ELi256ELb0ELi4EEvPKT_PKT0_S7_ifPKiS9_S9_iPKfiiiPfSC_PS2_PT2_iSB_SB_.num_named_barrier, max(0, .L__assert_fail.num_named_barrier)
	.set _Z39paged_attention_ll4mi_QKV_mfma16_kernelIDF16_DF16_LN4vllm18Fp8KVCacheDataTypeE0EhLi16ELi128ELi256ELb0ELi4EEvPKT_PKT0_S7_ifPKiS9_S9_iPKfiiiPfSC_PS2_PT2_iSB_SB_.private_seg_size, 0+max(.L__assert_fail.private_seg_size)
	.set _Z39paged_attention_ll4mi_QKV_mfma16_kernelIDF16_DF16_LN4vllm18Fp8KVCacheDataTypeE0EhLi16ELi128ELi256ELb0ELi4EEvPKT_PKT0_S7_ifPKiS9_S9_iPKfiiiPfSC_PS2_PT2_iSB_SB_.uses_vcc, or(1, .L__assert_fail.uses_vcc)
	.set _Z39paged_attention_ll4mi_QKV_mfma16_kernelIDF16_DF16_LN4vllm18Fp8KVCacheDataTypeE0EhLi16ELi128ELi256ELb0ELi4EEvPKT_PKT0_S7_ifPKiS9_S9_iPKfiiiPfSC_PS2_PT2_iSB_SB_.uses_flat_scratch, or(0, .L__assert_fail.uses_flat_scratch)
	.set _Z39paged_attention_ll4mi_QKV_mfma16_kernelIDF16_DF16_LN4vllm18Fp8KVCacheDataTypeE0EhLi16ELi128ELi256ELb0ELi4EEvPKT_PKT0_S7_ifPKiS9_S9_iPKfiiiPfSC_PS2_PT2_iSB_SB_.has_dyn_sized_stack, or(0, .L__assert_fail.has_dyn_sized_stack)
	.set _Z39paged_attention_ll4mi_QKV_mfma16_kernelIDF16_DF16_LN4vllm18Fp8KVCacheDataTypeE0EhLi16ELi128ELi256ELb0ELi4EEvPKT_PKT0_S7_ifPKiS9_S9_iPKfiiiPfSC_PS2_PT2_iSB_SB_.has_recursion, or(0, .L__assert_fail.has_recursion)
	.set _Z39paged_attention_ll4mi_QKV_mfma16_kernelIDF16_DF16_LN4vllm18Fp8KVCacheDataTypeE0EhLi16ELi128ELi256ELb0ELi4EEvPKT_PKT0_S7_ifPKiS9_S9_iPKfiiiPfSC_PS2_PT2_iSB_SB_.has_indirect_call, or(0, .L__assert_fail.has_indirect_call)
	.section	.AMDGPU.csdata,"",@progbits
; Kernel info:
; codeLenInByte = 68
; TotalNumSgprs: 36
; NumVgprs: 51
; ScratchSize: 64
; MemoryBound: 0
; FloatMode: 240
; IeeeMode: 1
; LDSByteSize: 0 bytes/workgroup (compile time only)
; SGPRBlocks: 0
; VGPRBlocks: 3
; NumSGPRsForWavesPerEU: 36
; NumVGPRsForWavesPerEU: 51
; NamedBarCnt: 0
; Occupancy: 16
; WaveLimiterHint : 1
; COMPUTE_PGM_RSRC2:SCRATCH_EN: 1
; COMPUTE_PGM_RSRC2:USER_SGPR: 2
; COMPUTE_PGM_RSRC2:TRAP_HANDLER: 0
; COMPUTE_PGM_RSRC2:TGID_X_EN: 1
; COMPUTE_PGM_RSRC2:TGID_Y_EN: 0
; COMPUTE_PGM_RSRC2:TGID_Z_EN: 0
; COMPUTE_PGM_RSRC2:TIDIG_COMP_CNT: 0
	.section	.text._Z38paged_attention_ll4mi_QKV_mfma4_kernelIDF16_DF16_LN4vllm18Fp8KVCacheDataTypeE0EDF16_Li16ELi128ELi256ELb1ELi1EEvPKT_PKT0_S7_ifPKiS9_S9_iPKfiiiPfSC_PS2_PT2_iSB_SB_,"axG",@progbits,_Z38paged_attention_ll4mi_QKV_mfma4_kernelIDF16_DF16_LN4vllm18Fp8KVCacheDataTypeE0EDF16_Li16ELi128ELi256ELb1ELi1EEvPKT_PKT0_S7_ifPKiS9_S9_iPKfiiiPfSC_PS2_PT2_iSB_SB_,comdat
	.protected	_Z38paged_attention_ll4mi_QKV_mfma4_kernelIDF16_DF16_LN4vllm18Fp8KVCacheDataTypeE0EDF16_Li16ELi128ELi256ELb1ELi1EEvPKT_PKT0_S7_ifPKiS9_S9_iPKfiiiPfSC_PS2_PT2_iSB_SB_ ; -- Begin function _Z38paged_attention_ll4mi_QKV_mfma4_kernelIDF16_DF16_LN4vllm18Fp8KVCacheDataTypeE0EDF16_Li16ELi128ELi256ELb1ELi1EEvPKT_PKT0_S7_ifPKiS9_S9_iPKfiiiPfSC_PS2_PT2_iSB_SB_
	.globl	_Z38paged_attention_ll4mi_QKV_mfma4_kernelIDF16_DF16_LN4vllm18Fp8KVCacheDataTypeE0EDF16_Li16ELi128ELi256ELb1ELi1EEvPKT_PKT0_S7_ifPKiS9_S9_iPKfiiiPfSC_PS2_PT2_iSB_SB_
	.p2align	8
	.type	_Z38paged_attention_ll4mi_QKV_mfma4_kernelIDF16_DF16_LN4vllm18Fp8KVCacheDataTypeE0EDF16_Li16ELi128ELi256ELb1ELi1EEvPKT_PKT0_S7_ifPKiS9_S9_iPKfiiiPfSC_PS2_PT2_iSB_SB_,@function
_Z38paged_attention_ll4mi_QKV_mfma4_kernelIDF16_DF16_LN4vllm18Fp8KVCacheDataTypeE0EDF16_Li16ELi128ELi256ELb1ELi1EEvPKT_PKT0_S7_ifPKiS9_S9_iPKfiiiPfSC_PS2_PT2_iSB_SB_: ; @_Z38paged_attention_ll4mi_QKV_mfma4_kernelIDF16_DF16_LN4vllm18Fp8KVCacheDataTypeE0EDF16_Li16ELi128ELi256ELb1ELi1EEvPKT_PKT0_S7_ifPKiS9_S9_iPKfiiiPfSC_PS2_PT2_iSB_SB_
; %bb.0:
	s_get_pc_i64 s[2:3]
	s_add_nc_u64 s[2:3], s[2:3], __PRETTY_FUNCTION__._Z38paged_attention_ll4mi_QKV_mfma4_kernelIDF16_DF16_LN4vllm18Fp8KVCacheDataTypeE0EDF16_Li16ELi128ELi256ELb1ELi1EEvPKT_PKT0_S7_ifPKiS9_S9_iPKfiiiPfSC_PS2_PT2_iSB_SB_@rel64+4
	s_delay_alu instid0(SALU_CYCLE_1)
	v_dual_mov_b32 v0, 0xbce :: v_dual_mov_b32 v1, s2
	v_mov_b32_e32 v2, s3
	s_add_nc_u64 s[8:9], s[0:1], 0x90
	s_get_pc_i64 s[0:1]
	s_add_nc_u64 s[0:1], s[0:1], __assert_fail@rel64+4
	s_mov_b32 s32, 0
	s_swap_pc_i64 s[30:31], s[0:1]
	.section	.rodata,"a",@progbits
	.p2align	6, 0x0
	.amdhsa_kernel _Z38paged_attention_ll4mi_QKV_mfma4_kernelIDF16_DF16_LN4vllm18Fp8KVCacheDataTypeE0EDF16_Li16ELi128ELi256ELb1ELi1EEvPKT_PKT0_S7_ifPKiS9_S9_iPKfiiiPfSC_PS2_PT2_iSB_SB_
		.amdhsa_group_segment_fixed_size 0
		.amdhsa_private_segment_fixed_size 64
		.amdhsa_kernarg_size 400
		.amdhsa_user_sgpr_count 2
		.amdhsa_user_sgpr_dispatch_ptr 0
		.amdhsa_user_sgpr_queue_ptr 0
		.amdhsa_user_sgpr_kernarg_segment_ptr 1
		.amdhsa_user_sgpr_dispatch_id 0
		.amdhsa_user_sgpr_kernarg_preload_length 0
		.amdhsa_user_sgpr_kernarg_preload_offset 0
		.amdhsa_user_sgpr_private_segment_size 0
		.amdhsa_wavefront_size32 1
		.amdhsa_uses_dynamic_stack 0
		.amdhsa_enable_private_segment 1
		.amdhsa_system_sgpr_workgroup_id_x 1
		.amdhsa_system_sgpr_workgroup_id_y 0
		.amdhsa_system_sgpr_workgroup_id_z 0
		.amdhsa_system_sgpr_workgroup_info 0
		.amdhsa_system_vgpr_workitem_id 0
		.amdhsa_next_free_vgpr 51
		.amdhsa_next_free_sgpr 34
		.amdhsa_named_barrier_count 0
		.amdhsa_reserve_vcc 1
		.amdhsa_float_round_mode_32 0
		.amdhsa_float_round_mode_16_64 0
		.amdhsa_float_denorm_mode_32 3
		.amdhsa_float_denorm_mode_16_64 3
		.amdhsa_fp16_overflow 0
		.amdhsa_memory_ordered 1
		.amdhsa_forward_progress 1
		.amdhsa_inst_pref_size 1
		.amdhsa_round_robin_scheduling 0
		.amdhsa_exception_fp_ieee_invalid_op 0
		.amdhsa_exception_fp_denorm_src 0
		.amdhsa_exception_fp_ieee_div_zero 0
		.amdhsa_exception_fp_ieee_overflow 0
		.amdhsa_exception_fp_ieee_underflow 0
		.amdhsa_exception_fp_ieee_inexact 0
		.amdhsa_exception_int_div_zero 0
	.end_amdhsa_kernel
	.section	.text._Z38paged_attention_ll4mi_QKV_mfma4_kernelIDF16_DF16_LN4vllm18Fp8KVCacheDataTypeE0EDF16_Li16ELi128ELi256ELb1ELi1EEvPKT_PKT0_S7_ifPKiS9_S9_iPKfiiiPfSC_PS2_PT2_iSB_SB_,"axG",@progbits,_Z38paged_attention_ll4mi_QKV_mfma4_kernelIDF16_DF16_LN4vllm18Fp8KVCacheDataTypeE0EDF16_Li16ELi128ELi256ELb1ELi1EEvPKT_PKT0_S7_ifPKiS9_S9_iPKfiiiPfSC_PS2_PT2_iSB_SB_,comdat
.Lfunc_end250:
	.size	_Z38paged_attention_ll4mi_QKV_mfma4_kernelIDF16_DF16_LN4vllm18Fp8KVCacheDataTypeE0EDF16_Li16ELi128ELi256ELb1ELi1EEvPKT_PKT0_S7_ifPKiS9_S9_iPKfiiiPfSC_PS2_PT2_iSB_SB_, .Lfunc_end250-_Z38paged_attention_ll4mi_QKV_mfma4_kernelIDF16_DF16_LN4vllm18Fp8KVCacheDataTypeE0EDF16_Li16ELi128ELi256ELb1ELi1EEvPKT_PKT0_S7_ifPKiS9_S9_iPKfiiiPfSC_PS2_PT2_iSB_SB_
                                        ; -- End function
	.set _Z38paged_attention_ll4mi_QKV_mfma4_kernelIDF16_DF16_LN4vllm18Fp8KVCacheDataTypeE0EDF16_Li16ELi128ELi256ELb1ELi1EEvPKT_PKT0_S7_ifPKiS9_S9_iPKfiiiPfSC_PS2_PT2_iSB_SB_.num_vgpr, max(3, .L__assert_fail.num_vgpr)
	.set _Z38paged_attention_ll4mi_QKV_mfma4_kernelIDF16_DF16_LN4vllm18Fp8KVCacheDataTypeE0EDF16_Li16ELi128ELi256ELb1ELi1EEvPKT_PKT0_S7_ifPKiS9_S9_iPKfiiiPfSC_PS2_PT2_iSB_SB_.num_agpr, max(0, .L__assert_fail.num_agpr)
	.set _Z38paged_attention_ll4mi_QKV_mfma4_kernelIDF16_DF16_LN4vllm18Fp8KVCacheDataTypeE0EDF16_Li16ELi128ELi256ELb1ELi1EEvPKT_PKT0_S7_ifPKiS9_S9_iPKfiiiPfSC_PS2_PT2_iSB_SB_.numbered_sgpr, max(33, .L__assert_fail.numbered_sgpr)
	.set _Z38paged_attention_ll4mi_QKV_mfma4_kernelIDF16_DF16_LN4vllm18Fp8KVCacheDataTypeE0EDF16_Li16ELi128ELi256ELb1ELi1EEvPKT_PKT0_S7_ifPKiS9_S9_iPKfiiiPfSC_PS2_PT2_iSB_SB_.num_named_barrier, max(0, .L__assert_fail.num_named_barrier)
	.set _Z38paged_attention_ll4mi_QKV_mfma4_kernelIDF16_DF16_LN4vllm18Fp8KVCacheDataTypeE0EDF16_Li16ELi128ELi256ELb1ELi1EEvPKT_PKT0_S7_ifPKiS9_S9_iPKfiiiPfSC_PS2_PT2_iSB_SB_.private_seg_size, 0+max(.L__assert_fail.private_seg_size)
	.set _Z38paged_attention_ll4mi_QKV_mfma4_kernelIDF16_DF16_LN4vllm18Fp8KVCacheDataTypeE0EDF16_Li16ELi128ELi256ELb1ELi1EEvPKT_PKT0_S7_ifPKiS9_S9_iPKfiiiPfSC_PS2_PT2_iSB_SB_.uses_vcc, or(1, .L__assert_fail.uses_vcc)
	.set _Z38paged_attention_ll4mi_QKV_mfma4_kernelIDF16_DF16_LN4vllm18Fp8KVCacheDataTypeE0EDF16_Li16ELi128ELi256ELb1ELi1EEvPKT_PKT0_S7_ifPKiS9_S9_iPKfiiiPfSC_PS2_PT2_iSB_SB_.uses_flat_scratch, or(0, .L__assert_fail.uses_flat_scratch)
	.set _Z38paged_attention_ll4mi_QKV_mfma4_kernelIDF16_DF16_LN4vllm18Fp8KVCacheDataTypeE0EDF16_Li16ELi128ELi256ELb1ELi1EEvPKT_PKT0_S7_ifPKiS9_S9_iPKfiiiPfSC_PS2_PT2_iSB_SB_.has_dyn_sized_stack, or(0, .L__assert_fail.has_dyn_sized_stack)
	.set _Z38paged_attention_ll4mi_QKV_mfma4_kernelIDF16_DF16_LN4vllm18Fp8KVCacheDataTypeE0EDF16_Li16ELi128ELi256ELb1ELi1EEvPKT_PKT0_S7_ifPKiS9_S9_iPKfiiiPfSC_PS2_PT2_iSB_SB_.has_recursion, or(0, .L__assert_fail.has_recursion)
	.set _Z38paged_attention_ll4mi_QKV_mfma4_kernelIDF16_DF16_LN4vllm18Fp8KVCacheDataTypeE0EDF16_Li16ELi128ELi256ELb1ELi1EEvPKT_PKT0_S7_ifPKiS9_S9_iPKfiiiPfSC_PS2_PT2_iSB_SB_.has_indirect_call, or(0, .L__assert_fail.has_indirect_call)
	.section	.AMDGPU.csdata,"",@progbits
; Kernel info:
; codeLenInByte = 68
; TotalNumSgprs: 36
; NumVgprs: 51
; ScratchSize: 64
; MemoryBound: 0
; FloatMode: 240
; IeeeMode: 1
; LDSByteSize: 0 bytes/workgroup (compile time only)
; SGPRBlocks: 0
; VGPRBlocks: 3
; NumSGPRsForWavesPerEU: 36
; NumVGPRsForWavesPerEU: 51
; NamedBarCnt: 0
; Occupancy: 16
; WaveLimiterHint : 1
; COMPUTE_PGM_RSRC2:SCRATCH_EN: 1
; COMPUTE_PGM_RSRC2:USER_SGPR: 2
; COMPUTE_PGM_RSRC2:TRAP_HANDLER: 0
; COMPUTE_PGM_RSRC2:TGID_X_EN: 1
; COMPUTE_PGM_RSRC2:TGID_Y_EN: 0
; COMPUTE_PGM_RSRC2:TGID_Z_EN: 0
; COMPUTE_PGM_RSRC2:TIDIG_COMP_CNT: 0
	.section	.text._Z38paged_attention_ll4mi_QKV_mfma4_kernelIDF16_DF16_LN4vllm18Fp8KVCacheDataTypeE0EDF16_Li16ELi128ELi256ELb1ELi2EEvPKT_PKT0_S7_ifPKiS9_S9_iPKfiiiPfSC_PS2_PT2_iSB_SB_,"axG",@progbits,_Z38paged_attention_ll4mi_QKV_mfma4_kernelIDF16_DF16_LN4vllm18Fp8KVCacheDataTypeE0EDF16_Li16ELi128ELi256ELb1ELi2EEvPKT_PKT0_S7_ifPKiS9_S9_iPKfiiiPfSC_PS2_PT2_iSB_SB_,comdat
	.protected	_Z38paged_attention_ll4mi_QKV_mfma4_kernelIDF16_DF16_LN4vllm18Fp8KVCacheDataTypeE0EDF16_Li16ELi128ELi256ELb1ELi2EEvPKT_PKT0_S7_ifPKiS9_S9_iPKfiiiPfSC_PS2_PT2_iSB_SB_ ; -- Begin function _Z38paged_attention_ll4mi_QKV_mfma4_kernelIDF16_DF16_LN4vllm18Fp8KVCacheDataTypeE0EDF16_Li16ELi128ELi256ELb1ELi2EEvPKT_PKT0_S7_ifPKiS9_S9_iPKfiiiPfSC_PS2_PT2_iSB_SB_
	.globl	_Z38paged_attention_ll4mi_QKV_mfma4_kernelIDF16_DF16_LN4vllm18Fp8KVCacheDataTypeE0EDF16_Li16ELi128ELi256ELb1ELi2EEvPKT_PKT0_S7_ifPKiS9_S9_iPKfiiiPfSC_PS2_PT2_iSB_SB_
	.p2align	8
	.type	_Z38paged_attention_ll4mi_QKV_mfma4_kernelIDF16_DF16_LN4vllm18Fp8KVCacheDataTypeE0EDF16_Li16ELi128ELi256ELb1ELi2EEvPKT_PKT0_S7_ifPKiS9_S9_iPKfiiiPfSC_PS2_PT2_iSB_SB_,@function
_Z38paged_attention_ll4mi_QKV_mfma4_kernelIDF16_DF16_LN4vllm18Fp8KVCacheDataTypeE0EDF16_Li16ELi128ELi256ELb1ELi2EEvPKT_PKT0_S7_ifPKiS9_S9_iPKfiiiPfSC_PS2_PT2_iSB_SB_: ; @_Z38paged_attention_ll4mi_QKV_mfma4_kernelIDF16_DF16_LN4vllm18Fp8KVCacheDataTypeE0EDF16_Li16ELi128ELi256ELb1ELi2EEvPKT_PKT0_S7_ifPKiS9_S9_iPKfiiiPfSC_PS2_PT2_iSB_SB_
; %bb.0:
	s_get_pc_i64 s[2:3]
	s_add_nc_u64 s[2:3], s[2:3], __PRETTY_FUNCTION__._Z38paged_attention_ll4mi_QKV_mfma4_kernelIDF16_DF16_LN4vllm18Fp8KVCacheDataTypeE0EDF16_Li16ELi128ELi256ELb1ELi2EEvPKT_PKT0_S7_ifPKiS9_S9_iPKfiiiPfSC_PS2_PT2_iSB_SB_@rel64+4
	s_delay_alu instid0(SALU_CYCLE_1)
	v_dual_mov_b32 v0, 0xbce :: v_dual_mov_b32 v1, s2
	v_mov_b32_e32 v2, s3
	s_add_nc_u64 s[8:9], s[0:1], 0x90
	s_get_pc_i64 s[0:1]
	s_add_nc_u64 s[0:1], s[0:1], __assert_fail@rel64+4
	s_mov_b32 s32, 0
	s_swap_pc_i64 s[30:31], s[0:1]
	.section	.rodata,"a",@progbits
	.p2align	6, 0x0
	.amdhsa_kernel _Z38paged_attention_ll4mi_QKV_mfma4_kernelIDF16_DF16_LN4vllm18Fp8KVCacheDataTypeE0EDF16_Li16ELi128ELi256ELb1ELi2EEvPKT_PKT0_S7_ifPKiS9_S9_iPKfiiiPfSC_PS2_PT2_iSB_SB_
		.amdhsa_group_segment_fixed_size 0
		.amdhsa_private_segment_fixed_size 64
		.amdhsa_kernarg_size 400
		.amdhsa_user_sgpr_count 2
		.amdhsa_user_sgpr_dispatch_ptr 0
		.amdhsa_user_sgpr_queue_ptr 0
		.amdhsa_user_sgpr_kernarg_segment_ptr 1
		.amdhsa_user_sgpr_dispatch_id 0
		.amdhsa_user_sgpr_kernarg_preload_length 0
		.amdhsa_user_sgpr_kernarg_preload_offset 0
		.amdhsa_user_sgpr_private_segment_size 0
		.amdhsa_wavefront_size32 1
		.amdhsa_uses_dynamic_stack 0
		.amdhsa_enable_private_segment 1
		.amdhsa_system_sgpr_workgroup_id_x 1
		.amdhsa_system_sgpr_workgroup_id_y 0
		.amdhsa_system_sgpr_workgroup_id_z 0
		.amdhsa_system_sgpr_workgroup_info 0
		.amdhsa_system_vgpr_workitem_id 0
		.amdhsa_next_free_vgpr 51
		.amdhsa_next_free_sgpr 34
		.amdhsa_named_barrier_count 0
		.amdhsa_reserve_vcc 1
		.amdhsa_float_round_mode_32 0
		.amdhsa_float_round_mode_16_64 0
		.amdhsa_float_denorm_mode_32 3
		.amdhsa_float_denorm_mode_16_64 3
		.amdhsa_fp16_overflow 0
		.amdhsa_memory_ordered 1
		.amdhsa_forward_progress 1
		.amdhsa_inst_pref_size 1
		.amdhsa_round_robin_scheduling 0
		.amdhsa_exception_fp_ieee_invalid_op 0
		.amdhsa_exception_fp_denorm_src 0
		.amdhsa_exception_fp_ieee_div_zero 0
		.amdhsa_exception_fp_ieee_overflow 0
		.amdhsa_exception_fp_ieee_underflow 0
		.amdhsa_exception_fp_ieee_inexact 0
		.amdhsa_exception_int_div_zero 0
	.end_amdhsa_kernel
	.section	.text._Z38paged_attention_ll4mi_QKV_mfma4_kernelIDF16_DF16_LN4vllm18Fp8KVCacheDataTypeE0EDF16_Li16ELi128ELi256ELb1ELi2EEvPKT_PKT0_S7_ifPKiS9_S9_iPKfiiiPfSC_PS2_PT2_iSB_SB_,"axG",@progbits,_Z38paged_attention_ll4mi_QKV_mfma4_kernelIDF16_DF16_LN4vllm18Fp8KVCacheDataTypeE0EDF16_Li16ELi128ELi256ELb1ELi2EEvPKT_PKT0_S7_ifPKiS9_S9_iPKfiiiPfSC_PS2_PT2_iSB_SB_,comdat
.Lfunc_end251:
	.size	_Z38paged_attention_ll4mi_QKV_mfma4_kernelIDF16_DF16_LN4vllm18Fp8KVCacheDataTypeE0EDF16_Li16ELi128ELi256ELb1ELi2EEvPKT_PKT0_S7_ifPKiS9_S9_iPKfiiiPfSC_PS2_PT2_iSB_SB_, .Lfunc_end251-_Z38paged_attention_ll4mi_QKV_mfma4_kernelIDF16_DF16_LN4vllm18Fp8KVCacheDataTypeE0EDF16_Li16ELi128ELi256ELb1ELi2EEvPKT_PKT0_S7_ifPKiS9_S9_iPKfiiiPfSC_PS2_PT2_iSB_SB_
                                        ; -- End function
	.set _Z38paged_attention_ll4mi_QKV_mfma4_kernelIDF16_DF16_LN4vllm18Fp8KVCacheDataTypeE0EDF16_Li16ELi128ELi256ELb1ELi2EEvPKT_PKT0_S7_ifPKiS9_S9_iPKfiiiPfSC_PS2_PT2_iSB_SB_.num_vgpr, max(3, .L__assert_fail.num_vgpr)
	.set _Z38paged_attention_ll4mi_QKV_mfma4_kernelIDF16_DF16_LN4vllm18Fp8KVCacheDataTypeE0EDF16_Li16ELi128ELi256ELb1ELi2EEvPKT_PKT0_S7_ifPKiS9_S9_iPKfiiiPfSC_PS2_PT2_iSB_SB_.num_agpr, max(0, .L__assert_fail.num_agpr)
	.set _Z38paged_attention_ll4mi_QKV_mfma4_kernelIDF16_DF16_LN4vllm18Fp8KVCacheDataTypeE0EDF16_Li16ELi128ELi256ELb1ELi2EEvPKT_PKT0_S7_ifPKiS9_S9_iPKfiiiPfSC_PS2_PT2_iSB_SB_.numbered_sgpr, max(33, .L__assert_fail.numbered_sgpr)
	.set _Z38paged_attention_ll4mi_QKV_mfma4_kernelIDF16_DF16_LN4vllm18Fp8KVCacheDataTypeE0EDF16_Li16ELi128ELi256ELb1ELi2EEvPKT_PKT0_S7_ifPKiS9_S9_iPKfiiiPfSC_PS2_PT2_iSB_SB_.num_named_barrier, max(0, .L__assert_fail.num_named_barrier)
	.set _Z38paged_attention_ll4mi_QKV_mfma4_kernelIDF16_DF16_LN4vllm18Fp8KVCacheDataTypeE0EDF16_Li16ELi128ELi256ELb1ELi2EEvPKT_PKT0_S7_ifPKiS9_S9_iPKfiiiPfSC_PS2_PT2_iSB_SB_.private_seg_size, 0+max(.L__assert_fail.private_seg_size)
	.set _Z38paged_attention_ll4mi_QKV_mfma4_kernelIDF16_DF16_LN4vllm18Fp8KVCacheDataTypeE0EDF16_Li16ELi128ELi256ELb1ELi2EEvPKT_PKT0_S7_ifPKiS9_S9_iPKfiiiPfSC_PS2_PT2_iSB_SB_.uses_vcc, or(1, .L__assert_fail.uses_vcc)
	.set _Z38paged_attention_ll4mi_QKV_mfma4_kernelIDF16_DF16_LN4vllm18Fp8KVCacheDataTypeE0EDF16_Li16ELi128ELi256ELb1ELi2EEvPKT_PKT0_S7_ifPKiS9_S9_iPKfiiiPfSC_PS2_PT2_iSB_SB_.uses_flat_scratch, or(0, .L__assert_fail.uses_flat_scratch)
	.set _Z38paged_attention_ll4mi_QKV_mfma4_kernelIDF16_DF16_LN4vllm18Fp8KVCacheDataTypeE0EDF16_Li16ELi128ELi256ELb1ELi2EEvPKT_PKT0_S7_ifPKiS9_S9_iPKfiiiPfSC_PS2_PT2_iSB_SB_.has_dyn_sized_stack, or(0, .L__assert_fail.has_dyn_sized_stack)
	.set _Z38paged_attention_ll4mi_QKV_mfma4_kernelIDF16_DF16_LN4vllm18Fp8KVCacheDataTypeE0EDF16_Li16ELi128ELi256ELb1ELi2EEvPKT_PKT0_S7_ifPKiS9_S9_iPKfiiiPfSC_PS2_PT2_iSB_SB_.has_recursion, or(0, .L__assert_fail.has_recursion)
	.set _Z38paged_attention_ll4mi_QKV_mfma4_kernelIDF16_DF16_LN4vllm18Fp8KVCacheDataTypeE0EDF16_Li16ELi128ELi256ELb1ELi2EEvPKT_PKT0_S7_ifPKiS9_S9_iPKfiiiPfSC_PS2_PT2_iSB_SB_.has_indirect_call, or(0, .L__assert_fail.has_indirect_call)
	.section	.AMDGPU.csdata,"",@progbits
; Kernel info:
; codeLenInByte = 68
; TotalNumSgprs: 36
; NumVgprs: 51
; ScratchSize: 64
; MemoryBound: 0
; FloatMode: 240
; IeeeMode: 1
; LDSByteSize: 0 bytes/workgroup (compile time only)
; SGPRBlocks: 0
; VGPRBlocks: 3
; NumSGPRsForWavesPerEU: 36
; NumVGPRsForWavesPerEU: 51
; NamedBarCnt: 0
; Occupancy: 16
; WaveLimiterHint : 1
; COMPUTE_PGM_RSRC2:SCRATCH_EN: 1
; COMPUTE_PGM_RSRC2:USER_SGPR: 2
; COMPUTE_PGM_RSRC2:TRAP_HANDLER: 0
; COMPUTE_PGM_RSRC2:TGID_X_EN: 1
; COMPUTE_PGM_RSRC2:TGID_Y_EN: 0
; COMPUTE_PGM_RSRC2:TGID_Z_EN: 0
; COMPUTE_PGM_RSRC2:TIDIG_COMP_CNT: 0
	.section	.text._Z38paged_attention_ll4mi_QKV_mfma4_kernelIDF16_DF16_LN4vllm18Fp8KVCacheDataTypeE0EDF16_Li16ELi128ELi256ELb1ELi3EEvPKT_PKT0_S7_ifPKiS9_S9_iPKfiiiPfSC_PS2_PT2_iSB_SB_,"axG",@progbits,_Z38paged_attention_ll4mi_QKV_mfma4_kernelIDF16_DF16_LN4vllm18Fp8KVCacheDataTypeE0EDF16_Li16ELi128ELi256ELb1ELi3EEvPKT_PKT0_S7_ifPKiS9_S9_iPKfiiiPfSC_PS2_PT2_iSB_SB_,comdat
	.protected	_Z38paged_attention_ll4mi_QKV_mfma4_kernelIDF16_DF16_LN4vllm18Fp8KVCacheDataTypeE0EDF16_Li16ELi128ELi256ELb1ELi3EEvPKT_PKT0_S7_ifPKiS9_S9_iPKfiiiPfSC_PS2_PT2_iSB_SB_ ; -- Begin function _Z38paged_attention_ll4mi_QKV_mfma4_kernelIDF16_DF16_LN4vllm18Fp8KVCacheDataTypeE0EDF16_Li16ELi128ELi256ELb1ELi3EEvPKT_PKT0_S7_ifPKiS9_S9_iPKfiiiPfSC_PS2_PT2_iSB_SB_
	.globl	_Z38paged_attention_ll4mi_QKV_mfma4_kernelIDF16_DF16_LN4vllm18Fp8KVCacheDataTypeE0EDF16_Li16ELi128ELi256ELb1ELi3EEvPKT_PKT0_S7_ifPKiS9_S9_iPKfiiiPfSC_PS2_PT2_iSB_SB_
	.p2align	8
	.type	_Z38paged_attention_ll4mi_QKV_mfma4_kernelIDF16_DF16_LN4vllm18Fp8KVCacheDataTypeE0EDF16_Li16ELi128ELi256ELb1ELi3EEvPKT_PKT0_S7_ifPKiS9_S9_iPKfiiiPfSC_PS2_PT2_iSB_SB_,@function
_Z38paged_attention_ll4mi_QKV_mfma4_kernelIDF16_DF16_LN4vllm18Fp8KVCacheDataTypeE0EDF16_Li16ELi128ELi256ELb1ELi3EEvPKT_PKT0_S7_ifPKiS9_S9_iPKfiiiPfSC_PS2_PT2_iSB_SB_: ; @_Z38paged_attention_ll4mi_QKV_mfma4_kernelIDF16_DF16_LN4vllm18Fp8KVCacheDataTypeE0EDF16_Li16ELi128ELi256ELb1ELi3EEvPKT_PKT0_S7_ifPKiS9_S9_iPKfiiiPfSC_PS2_PT2_iSB_SB_
; %bb.0:
	s_get_pc_i64 s[2:3]
	s_add_nc_u64 s[2:3], s[2:3], __PRETTY_FUNCTION__._Z38paged_attention_ll4mi_QKV_mfma4_kernelIDF16_DF16_LN4vllm18Fp8KVCacheDataTypeE0EDF16_Li16ELi128ELi256ELb1ELi3EEvPKT_PKT0_S7_ifPKiS9_S9_iPKfiiiPfSC_PS2_PT2_iSB_SB_@rel64+4
	s_delay_alu instid0(SALU_CYCLE_1)
	v_dual_mov_b32 v0, 0xbce :: v_dual_mov_b32 v1, s2
	v_mov_b32_e32 v2, s3
	s_add_nc_u64 s[8:9], s[0:1], 0x90
	s_get_pc_i64 s[0:1]
	s_add_nc_u64 s[0:1], s[0:1], __assert_fail@rel64+4
	s_mov_b32 s32, 0
	s_swap_pc_i64 s[30:31], s[0:1]
	.section	.rodata,"a",@progbits
	.p2align	6, 0x0
	.amdhsa_kernel _Z38paged_attention_ll4mi_QKV_mfma4_kernelIDF16_DF16_LN4vllm18Fp8KVCacheDataTypeE0EDF16_Li16ELi128ELi256ELb1ELi3EEvPKT_PKT0_S7_ifPKiS9_S9_iPKfiiiPfSC_PS2_PT2_iSB_SB_
		.amdhsa_group_segment_fixed_size 0
		.amdhsa_private_segment_fixed_size 64
		.amdhsa_kernarg_size 400
		.amdhsa_user_sgpr_count 2
		.amdhsa_user_sgpr_dispatch_ptr 0
		.amdhsa_user_sgpr_queue_ptr 0
		.amdhsa_user_sgpr_kernarg_segment_ptr 1
		.amdhsa_user_sgpr_dispatch_id 0
		.amdhsa_user_sgpr_kernarg_preload_length 0
		.amdhsa_user_sgpr_kernarg_preload_offset 0
		.amdhsa_user_sgpr_private_segment_size 0
		.amdhsa_wavefront_size32 1
		.amdhsa_uses_dynamic_stack 0
		.amdhsa_enable_private_segment 1
		.amdhsa_system_sgpr_workgroup_id_x 1
		.amdhsa_system_sgpr_workgroup_id_y 0
		.amdhsa_system_sgpr_workgroup_id_z 0
		.amdhsa_system_sgpr_workgroup_info 0
		.amdhsa_system_vgpr_workitem_id 0
		.amdhsa_next_free_vgpr 51
		.amdhsa_next_free_sgpr 34
		.amdhsa_named_barrier_count 0
		.amdhsa_reserve_vcc 1
		.amdhsa_float_round_mode_32 0
		.amdhsa_float_round_mode_16_64 0
		.amdhsa_float_denorm_mode_32 3
		.amdhsa_float_denorm_mode_16_64 3
		.amdhsa_fp16_overflow 0
		.amdhsa_memory_ordered 1
		.amdhsa_forward_progress 1
		.amdhsa_inst_pref_size 1
		.amdhsa_round_robin_scheduling 0
		.amdhsa_exception_fp_ieee_invalid_op 0
		.amdhsa_exception_fp_denorm_src 0
		.amdhsa_exception_fp_ieee_div_zero 0
		.amdhsa_exception_fp_ieee_overflow 0
		.amdhsa_exception_fp_ieee_underflow 0
		.amdhsa_exception_fp_ieee_inexact 0
		.amdhsa_exception_int_div_zero 0
	.end_amdhsa_kernel
	.section	.text._Z38paged_attention_ll4mi_QKV_mfma4_kernelIDF16_DF16_LN4vllm18Fp8KVCacheDataTypeE0EDF16_Li16ELi128ELi256ELb1ELi3EEvPKT_PKT0_S7_ifPKiS9_S9_iPKfiiiPfSC_PS2_PT2_iSB_SB_,"axG",@progbits,_Z38paged_attention_ll4mi_QKV_mfma4_kernelIDF16_DF16_LN4vllm18Fp8KVCacheDataTypeE0EDF16_Li16ELi128ELi256ELb1ELi3EEvPKT_PKT0_S7_ifPKiS9_S9_iPKfiiiPfSC_PS2_PT2_iSB_SB_,comdat
.Lfunc_end252:
	.size	_Z38paged_attention_ll4mi_QKV_mfma4_kernelIDF16_DF16_LN4vllm18Fp8KVCacheDataTypeE0EDF16_Li16ELi128ELi256ELb1ELi3EEvPKT_PKT0_S7_ifPKiS9_S9_iPKfiiiPfSC_PS2_PT2_iSB_SB_, .Lfunc_end252-_Z38paged_attention_ll4mi_QKV_mfma4_kernelIDF16_DF16_LN4vllm18Fp8KVCacheDataTypeE0EDF16_Li16ELi128ELi256ELb1ELi3EEvPKT_PKT0_S7_ifPKiS9_S9_iPKfiiiPfSC_PS2_PT2_iSB_SB_
                                        ; -- End function
	.set _Z38paged_attention_ll4mi_QKV_mfma4_kernelIDF16_DF16_LN4vllm18Fp8KVCacheDataTypeE0EDF16_Li16ELi128ELi256ELb1ELi3EEvPKT_PKT0_S7_ifPKiS9_S9_iPKfiiiPfSC_PS2_PT2_iSB_SB_.num_vgpr, max(3, .L__assert_fail.num_vgpr)
	.set _Z38paged_attention_ll4mi_QKV_mfma4_kernelIDF16_DF16_LN4vllm18Fp8KVCacheDataTypeE0EDF16_Li16ELi128ELi256ELb1ELi3EEvPKT_PKT0_S7_ifPKiS9_S9_iPKfiiiPfSC_PS2_PT2_iSB_SB_.num_agpr, max(0, .L__assert_fail.num_agpr)
	.set _Z38paged_attention_ll4mi_QKV_mfma4_kernelIDF16_DF16_LN4vllm18Fp8KVCacheDataTypeE0EDF16_Li16ELi128ELi256ELb1ELi3EEvPKT_PKT0_S7_ifPKiS9_S9_iPKfiiiPfSC_PS2_PT2_iSB_SB_.numbered_sgpr, max(33, .L__assert_fail.numbered_sgpr)
	.set _Z38paged_attention_ll4mi_QKV_mfma4_kernelIDF16_DF16_LN4vllm18Fp8KVCacheDataTypeE0EDF16_Li16ELi128ELi256ELb1ELi3EEvPKT_PKT0_S7_ifPKiS9_S9_iPKfiiiPfSC_PS2_PT2_iSB_SB_.num_named_barrier, max(0, .L__assert_fail.num_named_barrier)
	.set _Z38paged_attention_ll4mi_QKV_mfma4_kernelIDF16_DF16_LN4vllm18Fp8KVCacheDataTypeE0EDF16_Li16ELi128ELi256ELb1ELi3EEvPKT_PKT0_S7_ifPKiS9_S9_iPKfiiiPfSC_PS2_PT2_iSB_SB_.private_seg_size, 0+max(.L__assert_fail.private_seg_size)
	.set _Z38paged_attention_ll4mi_QKV_mfma4_kernelIDF16_DF16_LN4vllm18Fp8KVCacheDataTypeE0EDF16_Li16ELi128ELi256ELb1ELi3EEvPKT_PKT0_S7_ifPKiS9_S9_iPKfiiiPfSC_PS2_PT2_iSB_SB_.uses_vcc, or(1, .L__assert_fail.uses_vcc)
	.set _Z38paged_attention_ll4mi_QKV_mfma4_kernelIDF16_DF16_LN4vllm18Fp8KVCacheDataTypeE0EDF16_Li16ELi128ELi256ELb1ELi3EEvPKT_PKT0_S7_ifPKiS9_S9_iPKfiiiPfSC_PS2_PT2_iSB_SB_.uses_flat_scratch, or(0, .L__assert_fail.uses_flat_scratch)
	.set _Z38paged_attention_ll4mi_QKV_mfma4_kernelIDF16_DF16_LN4vllm18Fp8KVCacheDataTypeE0EDF16_Li16ELi128ELi256ELb1ELi3EEvPKT_PKT0_S7_ifPKiS9_S9_iPKfiiiPfSC_PS2_PT2_iSB_SB_.has_dyn_sized_stack, or(0, .L__assert_fail.has_dyn_sized_stack)
	.set _Z38paged_attention_ll4mi_QKV_mfma4_kernelIDF16_DF16_LN4vllm18Fp8KVCacheDataTypeE0EDF16_Li16ELi128ELi256ELb1ELi3EEvPKT_PKT0_S7_ifPKiS9_S9_iPKfiiiPfSC_PS2_PT2_iSB_SB_.has_recursion, or(0, .L__assert_fail.has_recursion)
	.set _Z38paged_attention_ll4mi_QKV_mfma4_kernelIDF16_DF16_LN4vllm18Fp8KVCacheDataTypeE0EDF16_Li16ELi128ELi256ELb1ELi3EEvPKT_PKT0_S7_ifPKiS9_S9_iPKfiiiPfSC_PS2_PT2_iSB_SB_.has_indirect_call, or(0, .L__assert_fail.has_indirect_call)
	.section	.AMDGPU.csdata,"",@progbits
; Kernel info:
; codeLenInByte = 68
; TotalNumSgprs: 36
; NumVgprs: 51
; ScratchSize: 64
; MemoryBound: 0
; FloatMode: 240
; IeeeMode: 1
; LDSByteSize: 0 bytes/workgroup (compile time only)
; SGPRBlocks: 0
; VGPRBlocks: 3
; NumSGPRsForWavesPerEU: 36
; NumVGPRsForWavesPerEU: 51
; NamedBarCnt: 0
; Occupancy: 16
; WaveLimiterHint : 1
; COMPUTE_PGM_RSRC2:SCRATCH_EN: 1
; COMPUTE_PGM_RSRC2:USER_SGPR: 2
; COMPUTE_PGM_RSRC2:TRAP_HANDLER: 0
; COMPUTE_PGM_RSRC2:TGID_X_EN: 1
; COMPUTE_PGM_RSRC2:TGID_Y_EN: 0
; COMPUTE_PGM_RSRC2:TGID_Z_EN: 0
; COMPUTE_PGM_RSRC2:TIDIG_COMP_CNT: 0
	.section	.text._Z38paged_attention_ll4mi_QKV_mfma4_kernelIDF16_DF16_LN4vllm18Fp8KVCacheDataTypeE0EDF16_Li16ELi128ELi256ELb1ELi4EEvPKT_PKT0_S7_ifPKiS9_S9_iPKfiiiPfSC_PS2_PT2_iSB_SB_,"axG",@progbits,_Z38paged_attention_ll4mi_QKV_mfma4_kernelIDF16_DF16_LN4vllm18Fp8KVCacheDataTypeE0EDF16_Li16ELi128ELi256ELb1ELi4EEvPKT_PKT0_S7_ifPKiS9_S9_iPKfiiiPfSC_PS2_PT2_iSB_SB_,comdat
	.protected	_Z38paged_attention_ll4mi_QKV_mfma4_kernelIDF16_DF16_LN4vllm18Fp8KVCacheDataTypeE0EDF16_Li16ELi128ELi256ELb1ELi4EEvPKT_PKT0_S7_ifPKiS9_S9_iPKfiiiPfSC_PS2_PT2_iSB_SB_ ; -- Begin function _Z38paged_attention_ll4mi_QKV_mfma4_kernelIDF16_DF16_LN4vllm18Fp8KVCacheDataTypeE0EDF16_Li16ELi128ELi256ELb1ELi4EEvPKT_PKT0_S7_ifPKiS9_S9_iPKfiiiPfSC_PS2_PT2_iSB_SB_
	.globl	_Z38paged_attention_ll4mi_QKV_mfma4_kernelIDF16_DF16_LN4vllm18Fp8KVCacheDataTypeE0EDF16_Li16ELi128ELi256ELb1ELi4EEvPKT_PKT0_S7_ifPKiS9_S9_iPKfiiiPfSC_PS2_PT2_iSB_SB_
	.p2align	8
	.type	_Z38paged_attention_ll4mi_QKV_mfma4_kernelIDF16_DF16_LN4vllm18Fp8KVCacheDataTypeE0EDF16_Li16ELi128ELi256ELb1ELi4EEvPKT_PKT0_S7_ifPKiS9_S9_iPKfiiiPfSC_PS2_PT2_iSB_SB_,@function
_Z38paged_attention_ll4mi_QKV_mfma4_kernelIDF16_DF16_LN4vllm18Fp8KVCacheDataTypeE0EDF16_Li16ELi128ELi256ELb1ELi4EEvPKT_PKT0_S7_ifPKiS9_S9_iPKfiiiPfSC_PS2_PT2_iSB_SB_: ; @_Z38paged_attention_ll4mi_QKV_mfma4_kernelIDF16_DF16_LN4vllm18Fp8KVCacheDataTypeE0EDF16_Li16ELi128ELi256ELb1ELi4EEvPKT_PKT0_S7_ifPKiS9_S9_iPKfiiiPfSC_PS2_PT2_iSB_SB_
; %bb.0:
	s_get_pc_i64 s[2:3]
	s_add_nc_u64 s[2:3], s[2:3], __PRETTY_FUNCTION__._Z38paged_attention_ll4mi_QKV_mfma4_kernelIDF16_DF16_LN4vllm18Fp8KVCacheDataTypeE0EDF16_Li16ELi128ELi256ELb1ELi4EEvPKT_PKT0_S7_ifPKiS9_S9_iPKfiiiPfSC_PS2_PT2_iSB_SB_@rel64+4
	s_delay_alu instid0(SALU_CYCLE_1)
	v_dual_mov_b32 v0, 0xbce :: v_dual_mov_b32 v1, s2
	v_mov_b32_e32 v2, s3
	s_add_nc_u64 s[8:9], s[0:1], 0x90
	s_get_pc_i64 s[0:1]
	s_add_nc_u64 s[0:1], s[0:1], __assert_fail@rel64+4
	s_mov_b32 s32, 0
	s_swap_pc_i64 s[30:31], s[0:1]
	.section	.rodata,"a",@progbits
	.p2align	6, 0x0
	.amdhsa_kernel _Z38paged_attention_ll4mi_QKV_mfma4_kernelIDF16_DF16_LN4vllm18Fp8KVCacheDataTypeE0EDF16_Li16ELi128ELi256ELb1ELi4EEvPKT_PKT0_S7_ifPKiS9_S9_iPKfiiiPfSC_PS2_PT2_iSB_SB_
		.amdhsa_group_segment_fixed_size 0
		.amdhsa_private_segment_fixed_size 64
		.amdhsa_kernarg_size 400
		.amdhsa_user_sgpr_count 2
		.amdhsa_user_sgpr_dispatch_ptr 0
		.amdhsa_user_sgpr_queue_ptr 0
		.amdhsa_user_sgpr_kernarg_segment_ptr 1
		.amdhsa_user_sgpr_dispatch_id 0
		.amdhsa_user_sgpr_kernarg_preload_length 0
		.amdhsa_user_sgpr_kernarg_preload_offset 0
		.amdhsa_user_sgpr_private_segment_size 0
		.amdhsa_wavefront_size32 1
		.amdhsa_uses_dynamic_stack 0
		.amdhsa_enable_private_segment 1
		.amdhsa_system_sgpr_workgroup_id_x 1
		.amdhsa_system_sgpr_workgroup_id_y 0
		.amdhsa_system_sgpr_workgroup_id_z 0
		.amdhsa_system_sgpr_workgroup_info 0
		.amdhsa_system_vgpr_workitem_id 0
		.amdhsa_next_free_vgpr 51
		.amdhsa_next_free_sgpr 34
		.amdhsa_named_barrier_count 0
		.amdhsa_reserve_vcc 1
		.amdhsa_float_round_mode_32 0
		.amdhsa_float_round_mode_16_64 0
		.amdhsa_float_denorm_mode_32 3
		.amdhsa_float_denorm_mode_16_64 3
		.amdhsa_fp16_overflow 0
		.amdhsa_memory_ordered 1
		.amdhsa_forward_progress 1
		.amdhsa_inst_pref_size 1
		.amdhsa_round_robin_scheduling 0
		.amdhsa_exception_fp_ieee_invalid_op 0
		.amdhsa_exception_fp_denorm_src 0
		.amdhsa_exception_fp_ieee_div_zero 0
		.amdhsa_exception_fp_ieee_overflow 0
		.amdhsa_exception_fp_ieee_underflow 0
		.amdhsa_exception_fp_ieee_inexact 0
		.amdhsa_exception_int_div_zero 0
	.end_amdhsa_kernel
	.section	.text._Z38paged_attention_ll4mi_QKV_mfma4_kernelIDF16_DF16_LN4vllm18Fp8KVCacheDataTypeE0EDF16_Li16ELi128ELi256ELb1ELi4EEvPKT_PKT0_S7_ifPKiS9_S9_iPKfiiiPfSC_PS2_PT2_iSB_SB_,"axG",@progbits,_Z38paged_attention_ll4mi_QKV_mfma4_kernelIDF16_DF16_LN4vllm18Fp8KVCacheDataTypeE0EDF16_Li16ELi128ELi256ELb1ELi4EEvPKT_PKT0_S7_ifPKiS9_S9_iPKfiiiPfSC_PS2_PT2_iSB_SB_,comdat
.Lfunc_end253:
	.size	_Z38paged_attention_ll4mi_QKV_mfma4_kernelIDF16_DF16_LN4vllm18Fp8KVCacheDataTypeE0EDF16_Li16ELi128ELi256ELb1ELi4EEvPKT_PKT0_S7_ifPKiS9_S9_iPKfiiiPfSC_PS2_PT2_iSB_SB_, .Lfunc_end253-_Z38paged_attention_ll4mi_QKV_mfma4_kernelIDF16_DF16_LN4vllm18Fp8KVCacheDataTypeE0EDF16_Li16ELi128ELi256ELb1ELi4EEvPKT_PKT0_S7_ifPKiS9_S9_iPKfiiiPfSC_PS2_PT2_iSB_SB_
                                        ; -- End function
	.set _Z38paged_attention_ll4mi_QKV_mfma4_kernelIDF16_DF16_LN4vllm18Fp8KVCacheDataTypeE0EDF16_Li16ELi128ELi256ELb1ELi4EEvPKT_PKT0_S7_ifPKiS9_S9_iPKfiiiPfSC_PS2_PT2_iSB_SB_.num_vgpr, max(3, .L__assert_fail.num_vgpr)
	.set _Z38paged_attention_ll4mi_QKV_mfma4_kernelIDF16_DF16_LN4vllm18Fp8KVCacheDataTypeE0EDF16_Li16ELi128ELi256ELb1ELi4EEvPKT_PKT0_S7_ifPKiS9_S9_iPKfiiiPfSC_PS2_PT2_iSB_SB_.num_agpr, max(0, .L__assert_fail.num_agpr)
	.set _Z38paged_attention_ll4mi_QKV_mfma4_kernelIDF16_DF16_LN4vllm18Fp8KVCacheDataTypeE0EDF16_Li16ELi128ELi256ELb1ELi4EEvPKT_PKT0_S7_ifPKiS9_S9_iPKfiiiPfSC_PS2_PT2_iSB_SB_.numbered_sgpr, max(33, .L__assert_fail.numbered_sgpr)
	.set _Z38paged_attention_ll4mi_QKV_mfma4_kernelIDF16_DF16_LN4vllm18Fp8KVCacheDataTypeE0EDF16_Li16ELi128ELi256ELb1ELi4EEvPKT_PKT0_S7_ifPKiS9_S9_iPKfiiiPfSC_PS2_PT2_iSB_SB_.num_named_barrier, max(0, .L__assert_fail.num_named_barrier)
	.set _Z38paged_attention_ll4mi_QKV_mfma4_kernelIDF16_DF16_LN4vllm18Fp8KVCacheDataTypeE0EDF16_Li16ELi128ELi256ELb1ELi4EEvPKT_PKT0_S7_ifPKiS9_S9_iPKfiiiPfSC_PS2_PT2_iSB_SB_.private_seg_size, 0+max(.L__assert_fail.private_seg_size)
	.set _Z38paged_attention_ll4mi_QKV_mfma4_kernelIDF16_DF16_LN4vllm18Fp8KVCacheDataTypeE0EDF16_Li16ELi128ELi256ELb1ELi4EEvPKT_PKT0_S7_ifPKiS9_S9_iPKfiiiPfSC_PS2_PT2_iSB_SB_.uses_vcc, or(1, .L__assert_fail.uses_vcc)
	.set _Z38paged_attention_ll4mi_QKV_mfma4_kernelIDF16_DF16_LN4vllm18Fp8KVCacheDataTypeE0EDF16_Li16ELi128ELi256ELb1ELi4EEvPKT_PKT0_S7_ifPKiS9_S9_iPKfiiiPfSC_PS2_PT2_iSB_SB_.uses_flat_scratch, or(0, .L__assert_fail.uses_flat_scratch)
	.set _Z38paged_attention_ll4mi_QKV_mfma4_kernelIDF16_DF16_LN4vllm18Fp8KVCacheDataTypeE0EDF16_Li16ELi128ELi256ELb1ELi4EEvPKT_PKT0_S7_ifPKiS9_S9_iPKfiiiPfSC_PS2_PT2_iSB_SB_.has_dyn_sized_stack, or(0, .L__assert_fail.has_dyn_sized_stack)
	.set _Z38paged_attention_ll4mi_QKV_mfma4_kernelIDF16_DF16_LN4vllm18Fp8KVCacheDataTypeE0EDF16_Li16ELi128ELi256ELb1ELi4EEvPKT_PKT0_S7_ifPKiS9_S9_iPKfiiiPfSC_PS2_PT2_iSB_SB_.has_recursion, or(0, .L__assert_fail.has_recursion)
	.set _Z38paged_attention_ll4mi_QKV_mfma4_kernelIDF16_DF16_LN4vllm18Fp8KVCacheDataTypeE0EDF16_Li16ELi128ELi256ELb1ELi4EEvPKT_PKT0_S7_ifPKiS9_S9_iPKfiiiPfSC_PS2_PT2_iSB_SB_.has_indirect_call, or(0, .L__assert_fail.has_indirect_call)
	.section	.AMDGPU.csdata,"",@progbits
; Kernel info:
; codeLenInByte = 68
; TotalNumSgprs: 36
; NumVgprs: 51
; ScratchSize: 64
; MemoryBound: 0
; FloatMode: 240
; IeeeMode: 1
; LDSByteSize: 0 bytes/workgroup (compile time only)
; SGPRBlocks: 0
; VGPRBlocks: 3
; NumSGPRsForWavesPerEU: 36
; NumVGPRsForWavesPerEU: 51
; NamedBarCnt: 0
; Occupancy: 16
; WaveLimiterHint : 1
; COMPUTE_PGM_RSRC2:SCRATCH_EN: 1
; COMPUTE_PGM_RSRC2:USER_SGPR: 2
; COMPUTE_PGM_RSRC2:TRAP_HANDLER: 0
; COMPUTE_PGM_RSRC2:TGID_X_EN: 1
; COMPUTE_PGM_RSRC2:TGID_Y_EN: 0
; COMPUTE_PGM_RSRC2:TGID_Z_EN: 0
; COMPUTE_PGM_RSRC2:TIDIG_COMP_CNT: 0
	.section	.text._Z39paged_attention_ll4mi_QKV_mfma16_kernelIDF16_DF16_LN4vllm18Fp8KVCacheDataTypeE0EDF16_Li16ELi128ELi256ELb1ELi5EEvPKT_PKT0_S7_ifPKiS9_S9_iPKfiiiPfSC_PS2_PT2_iSB_SB_,"axG",@progbits,_Z39paged_attention_ll4mi_QKV_mfma16_kernelIDF16_DF16_LN4vllm18Fp8KVCacheDataTypeE0EDF16_Li16ELi128ELi256ELb1ELi5EEvPKT_PKT0_S7_ifPKiS9_S9_iPKfiiiPfSC_PS2_PT2_iSB_SB_,comdat
	.protected	_Z39paged_attention_ll4mi_QKV_mfma16_kernelIDF16_DF16_LN4vllm18Fp8KVCacheDataTypeE0EDF16_Li16ELi128ELi256ELb1ELi5EEvPKT_PKT0_S7_ifPKiS9_S9_iPKfiiiPfSC_PS2_PT2_iSB_SB_ ; -- Begin function _Z39paged_attention_ll4mi_QKV_mfma16_kernelIDF16_DF16_LN4vllm18Fp8KVCacheDataTypeE0EDF16_Li16ELi128ELi256ELb1ELi5EEvPKT_PKT0_S7_ifPKiS9_S9_iPKfiiiPfSC_PS2_PT2_iSB_SB_
	.globl	_Z39paged_attention_ll4mi_QKV_mfma16_kernelIDF16_DF16_LN4vllm18Fp8KVCacheDataTypeE0EDF16_Li16ELi128ELi256ELb1ELi5EEvPKT_PKT0_S7_ifPKiS9_S9_iPKfiiiPfSC_PS2_PT2_iSB_SB_
	.p2align	8
	.type	_Z39paged_attention_ll4mi_QKV_mfma16_kernelIDF16_DF16_LN4vllm18Fp8KVCacheDataTypeE0EDF16_Li16ELi128ELi256ELb1ELi5EEvPKT_PKT0_S7_ifPKiS9_S9_iPKfiiiPfSC_PS2_PT2_iSB_SB_,@function
_Z39paged_attention_ll4mi_QKV_mfma16_kernelIDF16_DF16_LN4vllm18Fp8KVCacheDataTypeE0EDF16_Li16ELi128ELi256ELb1ELi5EEvPKT_PKT0_S7_ifPKiS9_S9_iPKfiiiPfSC_PS2_PT2_iSB_SB_: ; @_Z39paged_attention_ll4mi_QKV_mfma16_kernelIDF16_DF16_LN4vllm18Fp8KVCacheDataTypeE0EDF16_Li16ELi128ELi256ELb1ELi5EEvPKT_PKT0_S7_ifPKiS9_S9_iPKfiiiPfSC_PS2_PT2_iSB_SB_
; %bb.0:
	s_get_pc_i64 s[2:3]
	s_add_nc_u64 s[2:3], s[2:3], __PRETTY_FUNCTION__._Z39paged_attention_ll4mi_QKV_mfma16_kernelIDF16_DF16_LN4vllm18Fp8KVCacheDataTypeE0EDF16_Li16ELi128ELi256ELb1ELi5EEvPKT_PKT0_S7_ifPKiS9_S9_iPKfiiiPfSC_PS2_PT2_iSB_SB_@rel64+4
	s_delay_alu instid0(SALU_CYCLE_1)
	v_dual_mov_b32 v0, 0xbb3 :: v_dual_mov_b32 v1, s2
	v_mov_b32_e32 v2, s3
	s_add_nc_u64 s[8:9], s[0:1], 0x90
	s_get_pc_i64 s[0:1]
	s_add_nc_u64 s[0:1], s[0:1], __assert_fail@rel64+4
	s_mov_b32 s32, 0
	s_swap_pc_i64 s[30:31], s[0:1]
	.section	.rodata,"a",@progbits
	.p2align	6, 0x0
	.amdhsa_kernel _Z39paged_attention_ll4mi_QKV_mfma16_kernelIDF16_DF16_LN4vllm18Fp8KVCacheDataTypeE0EDF16_Li16ELi128ELi256ELb1ELi5EEvPKT_PKT0_S7_ifPKiS9_S9_iPKfiiiPfSC_PS2_PT2_iSB_SB_
		.amdhsa_group_segment_fixed_size 0
		.amdhsa_private_segment_fixed_size 64
		.amdhsa_kernarg_size 400
		.amdhsa_user_sgpr_count 2
		.amdhsa_user_sgpr_dispatch_ptr 0
		.amdhsa_user_sgpr_queue_ptr 0
		.amdhsa_user_sgpr_kernarg_segment_ptr 1
		.amdhsa_user_sgpr_dispatch_id 0
		.amdhsa_user_sgpr_kernarg_preload_length 0
		.amdhsa_user_sgpr_kernarg_preload_offset 0
		.amdhsa_user_sgpr_private_segment_size 0
		.amdhsa_wavefront_size32 1
		.amdhsa_uses_dynamic_stack 0
		.amdhsa_enable_private_segment 1
		.amdhsa_system_sgpr_workgroup_id_x 1
		.amdhsa_system_sgpr_workgroup_id_y 0
		.amdhsa_system_sgpr_workgroup_id_z 0
		.amdhsa_system_sgpr_workgroup_info 0
		.amdhsa_system_vgpr_workitem_id 0
		.amdhsa_next_free_vgpr 51
		.amdhsa_next_free_sgpr 34
		.amdhsa_named_barrier_count 0
		.amdhsa_reserve_vcc 1
		.amdhsa_float_round_mode_32 0
		.amdhsa_float_round_mode_16_64 0
		.amdhsa_float_denorm_mode_32 3
		.amdhsa_float_denorm_mode_16_64 3
		.amdhsa_fp16_overflow 0
		.amdhsa_memory_ordered 1
		.amdhsa_forward_progress 1
		.amdhsa_inst_pref_size 1
		.amdhsa_round_robin_scheduling 0
		.amdhsa_exception_fp_ieee_invalid_op 0
		.amdhsa_exception_fp_denorm_src 0
		.amdhsa_exception_fp_ieee_div_zero 0
		.amdhsa_exception_fp_ieee_overflow 0
		.amdhsa_exception_fp_ieee_underflow 0
		.amdhsa_exception_fp_ieee_inexact 0
		.amdhsa_exception_int_div_zero 0
	.end_amdhsa_kernel
	.section	.text._Z39paged_attention_ll4mi_QKV_mfma16_kernelIDF16_DF16_LN4vllm18Fp8KVCacheDataTypeE0EDF16_Li16ELi128ELi256ELb1ELi5EEvPKT_PKT0_S7_ifPKiS9_S9_iPKfiiiPfSC_PS2_PT2_iSB_SB_,"axG",@progbits,_Z39paged_attention_ll4mi_QKV_mfma16_kernelIDF16_DF16_LN4vllm18Fp8KVCacheDataTypeE0EDF16_Li16ELi128ELi256ELb1ELi5EEvPKT_PKT0_S7_ifPKiS9_S9_iPKfiiiPfSC_PS2_PT2_iSB_SB_,comdat
.Lfunc_end254:
	.size	_Z39paged_attention_ll4mi_QKV_mfma16_kernelIDF16_DF16_LN4vllm18Fp8KVCacheDataTypeE0EDF16_Li16ELi128ELi256ELb1ELi5EEvPKT_PKT0_S7_ifPKiS9_S9_iPKfiiiPfSC_PS2_PT2_iSB_SB_, .Lfunc_end254-_Z39paged_attention_ll4mi_QKV_mfma16_kernelIDF16_DF16_LN4vllm18Fp8KVCacheDataTypeE0EDF16_Li16ELi128ELi256ELb1ELi5EEvPKT_PKT0_S7_ifPKiS9_S9_iPKfiiiPfSC_PS2_PT2_iSB_SB_
                                        ; -- End function
	.set _Z39paged_attention_ll4mi_QKV_mfma16_kernelIDF16_DF16_LN4vllm18Fp8KVCacheDataTypeE0EDF16_Li16ELi128ELi256ELb1ELi5EEvPKT_PKT0_S7_ifPKiS9_S9_iPKfiiiPfSC_PS2_PT2_iSB_SB_.num_vgpr, max(3, .L__assert_fail.num_vgpr)
	.set _Z39paged_attention_ll4mi_QKV_mfma16_kernelIDF16_DF16_LN4vllm18Fp8KVCacheDataTypeE0EDF16_Li16ELi128ELi256ELb1ELi5EEvPKT_PKT0_S7_ifPKiS9_S9_iPKfiiiPfSC_PS2_PT2_iSB_SB_.num_agpr, max(0, .L__assert_fail.num_agpr)
	.set _Z39paged_attention_ll4mi_QKV_mfma16_kernelIDF16_DF16_LN4vllm18Fp8KVCacheDataTypeE0EDF16_Li16ELi128ELi256ELb1ELi5EEvPKT_PKT0_S7_ifPKiS9_S9_iPKfiiiPfSC_PS2_PT2_iSB_SB_.numbered_sgpr, max(33, .L__assert_fail.numbered_sgpr)
	.set _Z39paged_attention_ll4mi_QKV_mfma16_kernelIDF16_DF16_LN4vllm18Fp8KVCacheDataTypeE0EDF16_Li16ELi128ELi256ELb1ELi5EEvPKT_PKT0_S7_ifPKiS9_S9_iPKfiiiPfSC_PS2_PT2_iSB_SB_.num_named_barrier, max(0, .L__assert_fail.num_named_barrier)
	.set _Z39paged_attention_ll4mi_QKV_mfma16_kernelIDF16_DF16_LN4vllm18Fp8KVCacheDataTypeE0EDF16_Li16ELi128ELi256ELb1ELi5EEvPKT_PKT0_S7_ifPKiS9_S9_iPKfiiiPfSC_PS2_PT2_iSB_SB_.private_seg_size, 0+max(.L__assert_fail.private_seg_size)
	.set _Z39paged_attention_ll4mi_QKV_mfma16_kernelIDF16_DF16_LN4vllm18Fp8KVCacheDataTypeE0EDF16_Li16ELi128ELi256ELb1ELi5EEvPKT_PKT0_S7_ifPKiS9_S9_iPKfiiiPfSC_PS2_PT2_iSB_SB_.uses_vcc, or(1, .L__assert_fail.uses_vcc)
	.set _Z39paged_attention_ll4mi_QKV_mfma16_kernelIDF16_DF16_LN4vllm18Fp8KVCacheDataTypeE0EDF16_Li16ELi128ELi256ELb1ELi5EEvPKT_PKT0_S7_ifPKiS9_S9_iPKfiiiPfSC_PS2_PT2_iSB_SB_.uses_flat_scratch, or(0, .L__assert_fail.uses_flat_scratch)
	.set _Z39paged_attention_ll4mi_QKV_mfma16_kernelIDF16_DF16_LN4vllm18Fp8KVCacheDataTypeE0EDF16_Li16ELi128ELi256ELb1ELi5EEvPKT_PKT0_S7_ifPKiS9_S9_iPKfiiiPfSC_PS2_PT2_iSB_SB_.has_dyn_sized_stack, or(0, .L__assert_fail.has_dyn_sized_stack)
	.set _Z39paged_attention_ll4mi_QKV_mfma16_kernelIDF16_DF16_LN4vllm18Fp8KVCacheDataTypeE0EDF16_Li16ELi128ELi256ELb1ELi5EEvPKT_PKT0_S7_ifPKiS9_S9_iPKfiiiPfSC_PS2_PT2_iSB_SB_.has_recursion, or(0, .L__assert_fail.has_recursion)
	.set _Z39paged_attention_ll4mi_QKV_mfma16_kernelIDF16_DF16_LN4vllm18Fp8KVCacheDataTypeE0EDF16_Li16ELi128ELi256ELb1ELi5EEvPKT_PKT0_S7_ifPKiS9_S9_iPKfiiiPfSC_PS2_PT2_iSB_SB_.has_indirect_call, or(0, .L__assert_fail.has_indirect_call)
	.section	.AMDGPU.csdata,"",@progbits
; Kernel info:
; codeLenInByte = 68
; TotalNumSgprs: 36
; NumVgprs: 51
; ScratchSize: 64
; MemoryBound: 0
; FloatMode: 240
; IeeeMode: 1
; LDSByteSize: 0 bytes/workgroup (compile time only)
; SGPRBlocks: 0
; VGPRBlocks: 3
; NumSGPRsForWavesPerEU: 36
; NumVGPRsForWavesPerEU: 51
; NamedBarCnt: 0
; Occupancy: 16
; WaveLimiterHint : 1
; COMPUTE_PGM_RSRC2:SCRATCH_EN: 1
; COMPUTE_PGM_RSRC2:USER_SGPR: 2
; COMPUTE_PGM_RSRC2:TRAP_HANDLER: 0
; COMPUTE_PGM_RSRC2:TGID_X_EN: 1
; COMPUTE_PGM_RSRC2:TGID_Y_EN: 0
; COMPUTE_PGM_RSRC2:TGID_Z_EN: 0
; COMPUTE_PGM_RSRC2:TIDIG_COMP_CNT: 0
	.section	.text._Z39paged_attention_ll4mi_QKV_mfma16_kernelIDF16_DF16_LN4vllm18Fp8KVCacheDataTypeE0EDF16_Li16ELi128ELi256ELb1ELi6EEvPKT_PKT0_S7_ifPKiS9_S9_iPKfiiiPfSC_PS2_PT2_iSB_SB_,"axG",@progbits,_Z39paged_attention_ll4mi_QKV_mfma16_kernelIDF16_DF16_LN4vllm18Fp8KVCacheDataTypeE0EDF16_Li16ELi128ELi256ELb1ELi6EEvPKT_PKT0_S7_ifPKiS9_S9_iPKfiiiPfSC_PS2_PT2_iSB_SB_,comdat
	.protected	_Z39paged_attention_ll4mi_QKV_mfma16_kernelIDF16_DF16_LN4vllm18Fp8KVCacheDataTypeE0EDF16_Li16ELi128ELi256ELb1ELi6EEvPKT_PKT0_S7_ifPKiS9_S9_iPKfiiiPfSC_PS2_PT2_iSB_SB_ ; -- Begin function _Z39paged_attention_ll4mi_QKV_mfma16_kernelIDF16_DF16_LN4vllm18Fp8KVCacheDataTypeE0EDF16_Li16ELi128ELi256ELb1ELi6EEvPKT_PKT0_S7_ifPKiS9_S9_iPKfiiiPfSC_PS2_PT2_iSB_SB_
	.globl	_Z39paged_attention_ll4mi_QKV_mfma16_kernelIDF16_DF16_LN4vllm18Fp8KVCacheDataTypeE0EDF16_Li16ELi128ELi256ELb1ELi6EEvPKT_PKT0_S7_ifPKiS9_S9_iPKfiiiPfSC_PS2_PT2_iSB_SB_
	.p2align	8
	.type	_Z39paged_attention_ll4mi_QKV_mfma16_kernelIDF16_DF16_LN4vllm18Fp8KVCacheDataTypeE0EDF16_Li16ELi128ELi256ELb1ELi6EEvPKT_PKT0_S7_ifPKiS9_S9_iPKfiiiPfSC_PS2_PT2_iSB_SB_,@function
_Z39paged_attention_ll4mi_QKV_mfma16_kernelIDF16_DF16_LN4vllm18Fp8KVCacheDataTypeE0EDF16_Li16ELi128ELi256ELb1ELi6EEvPKT_PKT0_S7_ifPKiS9_S9_iPKfiiiPfSC_PS2_PT2_iSB_SB_: ; @_Z39paged_attention_ll4mi_QKV_mfma16_kernelIDF16_DF16_LN4vllm18Fp8KVCacheDataTypeE0EDF16_Li16ELi128ELi256ELb1ELi6EEvPKT_PKT0_S7_ifPKiS9_S9_iPKfiiiPfSC_PS2_PT2_iSB_SB_
; %bb.0:
	s_get_pc_i64 s[2:3]
	s_add_nc_u64 s[2:3], s[2:3], __PRETTY_FUNCTION__._Z39paged_attention_ll4mi_QKV_mfma16_kernelIDF16_DF16_LN4vllm18Fp8KVCacheDataTypeE0EDF16_Li16ELi128ELi256ELb1ELi6EEvPKT_PKT0_S7_ifPKiS9_S9_iPKfiiiPfSC_PS2_PT2_iSB_SB_@rel64+4
	s_delay_alu instid0(SALU_CYCLE_1)
	v_dual_mov_b32 v0, 0xbb3 :: v_dual_mov_b32 v1, s2
	v_mov_b32_e32 v2, s3
	s_add_nc_u64 s[8:9], s[0:1], 0x90
	s_get_pc_i64 s[0:1]
	s_add_nc_u64 s[0:1], s[0:1], __assert_fail@rel64+4
	s_mov_b32 s32, 0
	s_swap_pc_i64 s[30:31], s[0:1]
	.section	.rodata,"a",@progbits
	.p2align	6, 0x0
	.amdhsa_kernel _Z39paged_attention_ll4mi_QKV_mfma16_kernelIDF16_DF16_LN4vllm18Fp8KVCacheDataTypeE0EDF16_Li16ELi128ELi256ELb1ELi6EEvPKT_PKT0_S7_ifPKiS9_S9_iPKfiiiPfSC_PS2_PT2_iSB_SB_
		.amdhsa_group_segment_fixed_size 0
		.amdhsa_private_segment_fixed_size 64
		.amdhsa_kernarg_size 400
		.amdhsa_user_sgpr_count 2
		.amdhsa_user_sgpr_dispatch_ptr 0
		.amdhsa_user_sgpr_queue_ptr 0
		.amdhsa_user_sgpr_kernarg_segment_ptr 1
		.amdhsa_user_sgpr_dispatch_id 0
		.amdhsa_user_sgpr_kernarg_preload_length 0
		.amdhsa_user_sgpr_kernarg_preload_offset 0
		.amdhsa_user_sgpr_private_segment_size 0
		.amdhsa_wavefront_size32 1
		.amdhsa_uses_dynamic_stack 0
		.amdhsa_enable_private_segment 1
		.amdhsa_system_sgpr_workgroup_id_x 1
		.amdhsa_system_sgpr_workgroup_id_y 0
		.amdhsa_system_sgpr_workgroup_id_z 0
		.amdhsa_system_sgpr_workgroup_info 0
		.amdhsa_system_vgpr_workitem_id 0
		.amdhsa_next_free_vgpr 51
		.amdhsa_next_free_sgpr 34
		.amdhsa_named_barrier_count 0
		.amdhsa_reserve_vcc 1
		.amdhsa_float_round_mode_32 0
		.amdhsa_float_round_mode_16_64 0
		.amdhsa_float_denorm_mode_32 3
		.amdhsa_float_denorm_mode_16_64 3
		.amdhsa_fp16_overflow 0
		.amdhsa_memory_ordered 1
		.amdhsa_forward_progress 1
		.amdhsa_inst_pref_size 1
		.amdhsa_round_robin_scheduling 0
		.amdhsa_exception_fp_ieee_invalid_op 0
		.amdhsa_exception_fp_denorm_src 0
		.amdhsa_exception_fp_ieee_div_zero 0
		.amdhsa_exception_fp_ieee_overflow 0
		.amdhsa_exception_fp_ieee_underflow 0
		.amdhsa_exception_fp_ieee_inexact 0
		.amdhsa_exception_int_div_zero 0
	.end_amdhsa_kernel
	.section	.text._Z39paged_attention_ll4mi_QKV_mfma16_kernelIDF16_DF16_LN4vllm18Fp8KVCacheDataTypeE0EDF16_Li16ELi128ELi256ELb1ELi6EEvPKT_PKT0_S7_ifPKiS9_S9_iPKfiiiPfSC_PS2_PT2_iSB_SB_,"axG",@progbits,_Z39paged_attention_ll4mi_QKV_mfma16_kernelIDF16_DF16_LN4vllm18Fp8KVCacheDataTypeE0EDF16_Li16ELi128ELi256ELb1ELi6EEvPKT_PKT0_S7_ifPKiS9_S9_iPKfiiiPfSC_PS2_PT2_iSB_SB_,comdat
.Lfunc_end255:
	.size	_Z39paged_attention_ll4mi_QKV_mfma16_kernelIDF16_DF16_LN4vllm18Fp8KVCacheDataTypeE0EDF16_Li16ELi128ELi256ELb1ELi6EEvPKT_PKT0_S7_ifPKiS9_S9_iPKfiiiPfSC_PS2_PT2_iSB_SB_, .Lfunc_end255-_Z39paged_attention_ll4mi_QKV_mfma16_kernelIDF16_DF16_LN4vllm18Fp8KVCacheDataTypeE0EDF16_Li16ELi128ELi256ELb1ELi6EEvPKT_PKT0_S7_ifPKiS9_S9_iPKfiiiPfSC_PS2_PT2_iSB_SB_
                                        ; -- End function
	.set _Z39paged_attention_ll4mi_QKV_mfma16_kernelIDF16_DF16_LN4vllm18Fp8KVCacheDataTypeE0EDF16_Li16ELi128ELi256ELb1ELi6EEvPKT_PKT0_S7_ifPKiS9_S9_iPKfiiiPfSC_PS2_PT2_iSB_SB_.num_vgpr, max(3, .L__assert_fail.num_vgpr)
	.set _Z39paged_attention_ll4mi_QKV_mfma16_kernelIDF16_DF16_LN4vllm18Fp8KVCacheDataTypeE0EDF16_Li16ELi128ELi256ELb1ELi6EEvPKT_PKT0_S7_ifPKiS9_S9_iPKfiiiPfSC_PS2_PT2_iSB_SB_.num_agpr, max(0, .L__assert_fail.num_agpr)
	.set _Z39paged_attention_ll4mi_QKV_mfma16_kernelIDF16_DF16_LN4vllm18Fp8KVCacheDataTypeE0EDF16_Li16ELi128ELi256ELb1ELi6EEvPKT_PKT0_S7_ifPKiS9_S9_iPKfiiiPfSC_PS2_PT2_iSB_SB_.numbered_sgpr, max(33, .L__assert_fail.numbered_sgpr)
	.set _Z39paged_attention_ll4mi_QKV_mfma16_kernelIDF16_DF16_LN4vllm18Fp8KVCacheDataTypeE0EDF16_Li16ELi128ELi256ELb1ELi6EEvPKT_PKT0_S7_ifPKiS9_S9_iPKfiiiPfSC_PS2_PT2_iSB_SB_.num_named_barrier, max(0, .L__assert_fail.num_named_barrier)
	.set _Z39paged_attention_ll4mi_QKV_mfma16_kernelIDF16_DF16_LN4vllm18Fp8KVCacheDataTypeE0EDF16_Li16ELi128ELi256ELb1ELi6EEvPKT_PKT0_S7_ifPKiS9_S9_iPKfiiiPfSC_PS2_PT2_iSB_SB_.private_seg_size, 0+max(.L__assert_fail.private_seg_size)
	.set _Z39paged_attention_ll4mi_QKV_mfma16_kernelIDF16_DF16_LN4vllm18Fp8KVCacheDataTypeE0EDF16_Li16ELi128ELi256ELb1ELi6EEvPKT_PKT0_S7_ifPKiS9_S9_iPKfiiiPfSC_PS2_PT2_iSB_SB_.uses_vcc, or(1, .L__assert_fail.uses_vcc)
	.set _Z39paged_attention_ll4mi_QKV_mfma16_kernelIDF16_DF16_LN4vllm18Fp8KVCacheDataTypeE0EDF16_Li16ELi128ELi256ELb1ELi6EEvPKT_PKT0_S7_ifPKiS9_S9_iPKfiiiPfSC_PS2_PT2_iSB_SB_.uses_flat_scratch, or(0, .L__assert_fail.uses_flat_scratch)
	.set _Z39paged_attention_ll4mi_QKV_mfma16_kernelIDF16_DF16_LN4vllm18Fp8KVCacheDataTypeE0EDF16_Li16ELi128ELi256ELb1ELi6EEvPKT_PKT0_S7_ifPKiS9_S9_iPKfiiiPfSC_PS2_PT2_iSB_SB_.has_dyn_sized_stack, or(0, .L__assert_fail.has_dyn_sized_stack)
	.set _Z39paged_attention_ll4mi_QKV_mfma16_kernelIDF16_DF16_LN4vllm18Fp8KVCacheDataTypeE0EDF16_Li16ELi128ELi256ELb1ELi6EEvPKT_PKT0_S7_ifPKiS9_S9_iPKfiiiPfSC_PS2_PT2_iSB_SB_.has_recursion, or(0, .L__assert_fail.has_recursion)
	.set _Z39paged_attention_ll4mi_QKV_mfma16_kernelIDF16_DF16_LN4vllm18Fp8KVCacheDataTypeE0EDF16_Li16ELi128ELi256ELb1ELi6EEvPKT_PKT0_S7_ifPKiS9_S9_iPKfiiiPfSC_PS2_PT2_iSB_SB_.has_indirect_call, or(0, .L__assert_fail.has_indirect_call)
	.section	.AMDGPU.csdata,"",@progbits
; Kernel info:
; codeLenInByte = 68
; TotalNumSgprs: 36
; NumVgprs: 51
; ScratchSize: 64
; MemoryBound: 0
; FloatMode: 240
; IeeeMode: 1
; LDSByteSize: 0 bytes/workgroup (compile time only)
; SGPRBlocks: 0
; VGPRBlocks: 3
; NumSGPRsForWavesPerEU: 36
; NumVGPRsForWavesPerEU: 51
; NamedBarCnt: 0
; Occupancy: 16
; WaveLimiterHint : 1
; COMPUTE_PGM_RSRC2:SCRATCH_EN: 1
; COMPUTE_PGM_RSRC2:USER_SGPR: 2
; COMPUTE_PGM_RSRC2:TRAP_HANDLER: 0
; COMPUTE_PGM_RSRC2:TGID_X_EN: 1
; COMPUTE_PGM_RSRC2:TGID_Y_EN: 0
; COMPUTE_PGM_RSRC2:TGID_Z_EN: 0
; COMPUTE_PGM_RSRC2:TIDIG_COMP_CNT: 0
	.section	.text._Z39paged_attention_ll4mi_QKV_mfma16_kernelIDF16_DF16_LN4vllm18Fp8KVCacheDataTypeE0EDF16_Li16ELi128ELi256ELb1ELi7EEvPKT_PKT0_S7_ifPKiS9_S9_iPKfiiiPfSC_PS2_PT2_iSB_SB_,"axG",@progbits,_Z39paged_attention_ll4mi_QKV_mfma16_kernelIDF16_DF16_LN4vllm18Fp8KVCacheDataTypeE0EDF16_Li16ELi128ELi256ELb1ELi7EEvPKT_PKT0_S7_ifPKiS9_S9_iPKfiiiPfSC_PS2_PT2_iSB_SB_,comdat
	.protected	_Z39paged_attention_ll4mi_QKV_mfma16_kernelIDF16_DF16_LN4vllm18Fp8KVCacheDataTypeE0EDF16_Li16ELi128ELi256ELb1ELi7EEvPKT_PKT0_S7_ifPKiS9_S9_iPKfiiiPfSC_PS2_PT2_iSB_SB_ ; -- Begin function _Z39paged_attention_ll4mi_QKV_mfma16_kernelIDF16_DF16_LN4vllm18Fp8KVCacheDataTypeE0EDF16_Li16ELi128ELi256ELb1ELi7EEvPKT_PKT0_S7_ifPKiS9_S9_iPKfiiiPfSC_PS2_PT2_iSB_SB_
	.globl	_Z39paged_attention_ll4mi_QKV_mfma16_kernelIDF16_DF16_LN4vllm18Fp8KVCacheDataTypeE0EDF16_Li16ELi128ELi256ELb1ELi7EEvPKT_PKT0_S7_ifPKiS9_S9_iPKfiiiPfSC_PS2_PT2_iSB_SB_
	.p2align	8
	.type	_Z39paged_attention_ll4mi_QKV_mfma16_kernelIDF16_DF16_LN4vllm18Fp8KVCacheDataTypeE0EDF16_Li16ELi128ELi256ELb1ELi7EEvPKT_PKT0_S7_ifPKiS9_S9_iPKfiiiPfSC_PS2_PT2_iSB_SB_,@function
_Z39paged_attention_ll4mi_QKV_mfma16_kernelIDF16_DF16_LN4vllm18Fp8KVCacheDataTypeE0EDF16_Li16ELi128ELi256ELb1ELi7EEvPKT_PKT0_S7_ifPKiS9_S9_iPKfiiiPfSC_PS2_PT2_iSB_SB_: ; @_Z39paged_attention_ll4mi_QKV_mfma16_kernelIDF16_DF16_LN4vllm18Fp8KVCacheDataTypeE0EDF16_Li16ELi128ELi256ELb1ELi7EEvPKT_PKT0_S7_ifPKiS9_S9_iPKfiiiPfSC_PS2_PT2_iSB_SB_
; %bb.0:
	s_get_pc_i64 s[2:3]
	s_add_nc_u64 s[2:3], s[2:3], __PRETTY_FUNCTION__._Z39paged_attention_ll4mi_QKV_mfma16_kernelIDF16_DF16_LN4vllm18Fp8KVCacheDataTypeE0EDF16_Li16ELi128ELi256ELb1ELi7EEvPKT_PKT0_S7_ifPKiS9_S9_iPKfiiiPfSC_PS2_PT2_iSB_SB_@rel64+4
	s_delay_alu instid0(SALU_CYCLE_1)
	v_dual_mov_b32 v0, 0xbb3 :: v_dual_mov_b32 v1, s2
	v_mov_b32_e32 v2, s3
	s_add_nc_u64 s[8:9], s[0:1], 0x90
	s_get_pc_i64 s[0:1]
	s_add_nc_u64 s[0:1], s[0:1], __assert_fail@rel64+4
	s_mov_b32 s32, 0
	s_swap_pc_i64 s[30:31], s[0:1]
	.section	.rodata,"a",@progbits
	.p2align	6, 0x0
	.amdhsa_kernel _Z39paged_attention_ll4mi_QKV_mfma16_kernelIDF16_DF16_LN4vllm18Fp8KVCacheDataTypeE0EDF16_Li16ELi128ELi256ELb1ELi7EEvPKT_PKT0_S7_ifPKiS9_S9_iPKfiiiPfSC_PS2_PT2_iSB_SB_
		.amdhsa_group_segment_fixed_size 0
		.amdhsa_private_segment_fixed_size 64
		.amdhsa_kernarg_size 400
		.amdhsa_user_sgpr_count 2
		.amdhsa_user_sgpr_dispatch_ptr 0
		.amdhsa_user_sgpr_queue_ptr 0
		.amdhsa_user_sgpr_kernarg_segment_ptr 1
		.amdhsa_user_sgpr_dispatch_id 0
		.amdhsa_user_sgpr_kernarg_preload_length 0
		.amdhsa_user_sgpr_kernarg_preload_offset 0
		.amdhsa_user_sgpr_private_segment_size 0
		.amdhsa_wavefront_size32 1
		.amdhsa_uses_dynamic_stack 0
		.amdhsa_enable_private_segment 1
		.amdhsa_system_sgpr_workgroup_id_x 1
		.amdhsa_system_sgpr_workgroup_id_y 0
		.amdhsa_system_sgpr_workgroup_id_z 0
		.amdhsa_system_sgpr_workgroup_info 0
		.amdhsa_system_vgpr_workitem_id 0
		.amdhsa_next_free_vgpr 51
		.amdhsa_next_free_sgpr 34
		.amdhsa_named_barrier_count 0
		.amdhsa_reserve_vcc 1
		.amdhsa_float_round_mode_32 0
		.amdhsa_float_round_mode_16_64 0
		.amdhsa_float_denorm_mode_32 3
		.amdhsa_float_denorm_mode_16_64 3
		.amdhsa_fp16_overflow 0
		.amdhsa_memory_ordered 1
		.amdhsa_forward_progress 1
		.amdhsa_inst_pref_size 1
		.amdhsa_round_robin_scheduling 0
		.amdhsa_exception_fp_ieee_invalid_op 0
		.amdhsa_exception_fp_denorm_src 0
		.amdhsa_exception_fp_ieee_div_zero 0
		.amdhsa_exception_fp_ieee_overflow 0
		.amdhsa_exception_fp_ieee_underflow 0
		.amdhsa_exception_fp_ieee_inexact 0
		.amdhsa_exception_int_div_zero 0
	.end_amdhsa_kernel
	.section	.text._Z39paged_attention_ll4mi_QKV_mfma16_kernelIDF16_DF16_LN4vllm18Fp8KVCacheDataTypeE0EDF16_Li16ELi128ELi256ELb1ELi7EEvPKT_PKT0_S7_ifPKiS9_S9_iPKfiiiPfSC_PS2_PT2_iSB_SB_,"axG",@progbits,_Z39paged_attention_ll4mi_QKV_mfma16_kernelIDF16_DF16_LN4vllm18Fp8KVCacheDataTypeE0EDF16_Li16ELi128ELi256ELb1ELi7EEvPKT_PKT0_S7_ifPKiS9_S9_iPKfiiiPfSC_PS2_PT2_iSB_SB_,comdat
.Lfunc_end256:
	.size	_Z39paged_attention_ll4mi_QKV_mfma16_kernelIDF16_DF16_LN4vllm18Fp8KVCacheDataTypeE0EDF16_Li16ELi128ELi256ELb1ELi7EEvPKT_PKT0_S7_ifPKiS9_S9_iPKfiiiPfSC_PS2_PT2_iSB_SB_, .Lfunc_end256-_Z39paged_attention_ll4mi_QKV_mfma16_kernelIDF16_DF16_LN4vllm18Fp8KVCacheDataTypeE0EDF16_Li16ELi128ELi256ELb1ELi7EEvPKT_PKT0_S7_ifPKiS9_S9_iPKfiiiPfSC_PS2_PT2_iSB_SB_
                                        ; -- End function
	.set _Z39paged_attention_ll4mi_QKV_mfma16_kernelIDF16_DF16_LN4vllm18Fp8KVCacheDataTypeE0EDF16_Li16ELi128ELi256ELb1ELi7EEvPKT_PKT0_S7_ifPKiS9_S9_iPKfiiiPfSC_PS2_PT2_iSB_SB_.num_vgpr, max(3, .L__assert_fail.num_vgpr)
	.set _Z39paged_attention_ll4mi_QKV_mfma16_kernelIDF16_DF16_LN4vllm18Fp8KVCacheDataTypeE0EDF16_Li16ELi128ELi256ELb1ELi7EEvPKT_PKT0_S7_ifPKiS9_S9_iPKfiiiPfSC_PS2_PT2_iSB_SB_.num_agpr, max(0, .L__assert_fail.num_agpr)
	.set _Z39paged_attention_ll4mi_QKV_mfma16_kernelIDF16_DF16_LN4vllm18Fp8KVCacheDataTypeE0EDF16_Li16ELi128ELi256ELb1ELi7EEvPKT_PKT0_S7_ifPKiS9_S9_iPKfiiiPfSC_PS2_PT2_iSB_SB_.numbered_sgpr, max(33, .L__assert_fail.numbered_sgpr)
	.set _Z39paged_attention_ll4mi_QKV_mfma16_kernelIDF16_DF16_LN4vllm18Fp8KVCacheDataTypeE0EDF16_Li16ELi128ELi256ELb1ELi7EEvPKT_PKT0_S7_ifPKiS9_S9_iPKfiiiPfSC_PS2_PT2_iSB_SB_.num_named_barrier, max(0, .L__assert_fail.num_named_barrier)
	.set _Z39paged_attention_ll4mi_QKV_mfma16_kernelIDF16_DF16_LN4vllm18Fp8KVCacheDataTypeE0EDF16_Li16ELi128ELi256ELb1ELi7EEvPKT_PKT0_S7_ifPKiS9_S9_iPKfiiiPfSC_PS2_PT2_iSB_SB_.private_seg_size, 0+max(.L__assert_fail.private_seg_size)
	.set _Z39paged_attention_ll4mi_QKV_mfma16_kernelIDF16_DF16_LN4vllm18Fp8KVCacheDataTypeE0EDF16_Li16ELi128ELi256ELb1ELi7EEvPKT_PKT0_S7_ifPKiS9_S9_iPKfiiiPfSC_PS2_PT2_iSB_SB_.uses_vcc, or(1, .L__assert_fail.uses_vcc)
	.set _Z39paged_attention_ll4mi_QKV_mfma16_kernelIDF16_DF16_LN4vllm18Fp8KVCacheDataTypeE0EDF16_Li16ELi128ELi256ELb1ELi7EEvPKT_PKT0_S7_ifPKiS9_S9_iPKfiiiPfSC_PS2_PT2_iSB_SB_.uses_flat_scratch, or(0, .L__assert_fail.uses_flat_scratch)
	.set _Z39paged_attention_ll4mi_QKV_mfma16_kernelIDF16_DF16_LN4vllm18Fp8KVCacheDataTypeE0EDF16_Li16ELi128ELi256ELb1ELi7EEvPKT_PKT0_S7_ifPKiS9_S9_iPKfiiiPfSC_PS2_PT2_iSB_SB_.has_dyn_sized_stack, or(0, .L__assert_fail.has_dyn_sized_stack)
	.set _Z39paged_attention_ll4mi_QKV_mfma16_kernelIDF16_DF16_LN4vllm18Fp8KVCacheDataTypeE0EDF16_Li16ELi128ELi256ELb1ELi7EEvPKT_PKT0_S7_ifPKiS9_S9_iPKfiiiPfSC_PS2_PT2_iSB_SB_.has_recursion, or(0, .L__assert_fail.has_recursion)
	.set _Z39paged_attention_ll4mi_QKV_mfma16_kernelIDF16_DF16_LN4vllm18Fp8KVCacheDataTypeE0EDF16_Li16ELi128ELi256ELb1ELi7EEvPKT_PKT0_S7_ifPKiS9_S9_iPKfiiiPfSC_PS2_PT2_iSB_SB_.has_indirect_call, or(0, .L__assert_fail.has_indirect_call)
	.section	.AMDGPU.csdata,"",@progbits
; Kernel info:
; codeLenInByte = 68
; TotalNumSgprs: 36
; NumVgprs: 51
; ScratchSize: 64
; MemoryBound: 0
; FloatMode: 240
; IeeeMode: 1
; LDSByteSize: 0 bytes/workgroup (compile time only)
; SGPRBlocks: 0
; VGPRBlocks: 3
; NumSGPRsForWavesPerEU: 36
; NumVGPRsForWavesPerEU: 51
; NamedBarCnt: 0
; Occupancy: 16
; WaveLimiterHint : 1
; COMPUTE_PGM_RSRC2:SCRATCH_EN: 1
; COMPUTE_PGM_RSRC2:USER_SGPR: 2
; COMPUTE_PGM_RSRC2:TRAP_HANDLER: 0
; COMPUTE_PGM_RSRC2:TGID_X_EN: 1
; COMPUTE_PGM_RSRC2:TGID_Y_EN: 0
; COMPUTE_PGM_RSRC2:TGID_Z_EN: 0
; COMPUTE_PGM_RSRC2:TIDIG_COMP_CNT: 0
	.section	.text._Z39paged_attention_ll4mi_QKV_mfma16_kernelIDF16_DF16_LN4vllm18Fp8KVCacheDataTypeE0EDF16_Li16ELi128ELi256ELb1ELi8EEvPKT_PKT0_S7_ifPKiS9_S9_iPKfiiiPfSC_PS2_PT2_iSB_SB_,"axG",@progbits,_Z39paged_attention_ll4mi_QKV_mfma16_kernelIDF16_DF16_LN4vllm18Fp8KVCacheDataTypeE0EDF16_Li16ELi128ELi256ELb1ELi8EEvPKT_PKT0_S7_ifPKiS9_S9_iPKfiiiPfSC_PS2_PT2_iSB_SB_,comdat
	.protected	_Z39paged_attention_ll4mi_QKV_mfma16_kernelIDF16_DF16_LN4vllm18Fp8KVCacheDataTypeE0EDF16_Li16ELi128ELi256ELb1ELi8EEvPKT_PKT0_S7_ifPKiS9_S9_iPKfiiiPfSC_PS2_PT2_iSB_SB_ ; -- Begin function _Z39paged_attention_ll4mi_QKV_mfma16_kernelIDF16_DF16_LN4vllm18Fp8KVCacheDataTypeE0EDF16_Li16ELi128ELi256ELb1ELi8EEvPKT_PKT0_S7_ifPKiS9_S9_iPKfiiiPfSC_PS2_PT2_iSB_SB_
	.globl	_Z39paged_attention_ll4mi_QKV_mfma16_kernelIDF16_DF16_LN4vllm18Fp8KVCacheDataTypeE0EDF16_Li16ELi128ELi256ELb1ELi8EEvPKT_PKT0_S7_ifPKiS9_S9_iPKfiiiPfSC_PS2_PT2_iSB_SB_
	.p2align	8
	.type	_Z39paged_attention_ll4mi_QKV_mfma16_kernelIDF16_DF16_LN4vllm18Fp8KVCacheDataTypeE0EDF16_Li16ELi128ELi256ELb1ELi8EEvPKT_PKT0_S7_ifPKiS9_S9_iPKfiiiPfSC_PS2_PT2_iSB_SB_,@function
_Z39paged_attention_ll4mi_QKV_mfma16_kernelIDF16_DF16_LN4vllm18Fp8KVCacheDataTypeE0EDF16_Li16ELi128ELi256ELb1ELi8EEvPKT_PKT0_S7_ifPKiS9_S9_iPKfiiiPfSC_PS2_PT2_iSB_SB_: ; @_Z39paged_attention_ll4mi_QKV_mfma16_kernelIDF16_DF16_LN4vllm18Fp8KVCacheDataTypeE0EDF16_Li16ELi128ELi256ELb1ELi8EEvPKT_PKT0_S7_ifPKiS9_S9_iPKfiiiPfSC_PS2_PT2_iSB_SB_
; %bb.0:
	s_get_pc_i64 s[2:3]
	s_add_nc_u64 s[2:3], s[2:3], __PRETTY_FUNCTION__._Z39paged_attention_ll4mi_QKV_mfma16_kernelIDF16_DF16_LN4vllm18Fp8KVCacheDataTypeE0EDF16_Li16ELi128ELi256ELb1ELi8EEvPKT_PKT0_S7_ifPKiS9_S9_iPKfiiiPfSC_PS2_PT2_iSB_SB_@rel64+4
	s_delay_alu instid0(SALU_CYCLE_1)
	v_dual_mov_b32 v0, 0xbb3 :: v_dual_mov_b32 v1, s2
	v_mov_b32_e32 v2, s3
	s_add_nc_u64 s[8:9], s[0:1], 0x90
	s_get_pc_i64 s[0:1]
	s_add_nc_u64 s[0:1], s[0:1], __assert_fail@rel64+4
	s_mov_b32 s32, 0
	s_swap_pc_i64 s[30:31], s[0:1]
	.section	.rodata,"a",@progbits
	.p2align	6, 0x0
	.amdhsa_kernel _Z39paged_attention_ll4mi_QKV_mfma16_kernelIDF16_DF16_LN4vllm18Fp8KVCacheDataTypeE0EDF16_Li16ELi128ELi256ELb1ELi8EEvPKT_PKT0_S7_ifPKiS9_S9_iPKfiiiPfSC_PS2_PT2_iSB_SB_
		.amdhsa_group_segment_fixed_size 0
		.amdhsa_private_segment_fixed_size 64
		.amdhsa_kernarg_size 400
		.amdhsa_user_sgpr_count 2
		.amdhsa_user_sgpr_dispatch_ptr 0
		.amdhsa_user_sgpr_queue_ptr 0
		.amdhsa_user_sgpr_kernarg_segment_ptr 1
		.amdhsa_user_sgpr_dispatch_id 0
		.amdhsa_user_sgpr_kernarg_preload_length 0
		.amdhsa_user_sgpr_kernarg_preload_offset 0
		.amdhsa_user_sgpr_private_segment_size 0
		.amdhsa_wavefront_size32 1
		.amdhsa_uses_dynamic_stack 0
		.amdhsa_enable_private_segment 1
		.amdhsa_system_sgpr_workgroup_id_x 1
		.amdhsa_system_sgpr_workgroup_id_y 0
		.amdhsa_system_sgpr_workgroup_id_z 0
		.amdhsa_system_sgpr_workgroup_info 0
		.amdhsa_system_vgpr_workitem_id 0
		.amdhsa_next_free_vgpr 51
		.amdhsa_next_free_sgpr 34
		.amdhsa_named_barrier_count 0
		.amdhsa_reserve_vcc 1
		.amdhsa_float_round_mode_32 0
		.amdhsa_float_round_mode_16_64 0
		.amdhsa_float_denorm_mode_32 3
		.amdhsa_float_denorm_mode_16_64 3
		.amdhsa_fp16_overflow 0
		.amdhsa_memory_ordered 1
		.amdhsa_forward_progress 1
		.amdhsa_inst_pref_size 1
		.amdhsa_round_robin_scheduling 0
		.amdhsa_exception_fp_ieee_invalid_op 0
		.amdhsa_exception_fp_denorm_src 0
		.amdhsa_exception_fp_ieee_div_zero 0
		.amdhsa_exception_fp_ieee_overflow 0
		.amdhsa_exception_fp_ieee_underflow 0
		.amdhsa_exception_fp_ieee_inexact 0
		.amdhsa_exception_int_div_zero 0
	.end_amdhsa_kernel
	.section	.text._Z39paged_attention_ll4mi_QKV_mfma16_kernelIDF16_DF16_LN4vllm18Fp8KVCacheDataTypeE0EDF16_Li16ELi128ELi256ELb1ELi8EEvPKT_PKT0_S7_ifPKiS9_S9_iPKfiiiPfSC_PS2_PT2_iSB_SB_,"axG",@progbits,_Z39paged_attention_ll4mi_QKV_mfma16_kernelIDF16_DF16_LN4vllm18Fp8KVCacheDataTypeE0EDF16_Li16ELi128ELi256ELb1ELi8EEvPKT_PKT0_S7_ifPKiS9_S9_iPKfiiiPfSC_PS2_PT2_iSB_SB_,comdat
.Lfunc_end257:
	.size	_Z39paged_attention_ll4mi_QKV_mfma16_kernelIDF16_DF16_LN4vllm18Fp8KVCacheDataTypeE0EDF16_Li16ELi128ELi256ELb1ELi8EEvPKT_PKT0_S7_ifPKiS9_S9_iPKfiiiPfSC_PS2_PT2_iSB_SB_, .Lfunc_end257-_Z39paged_attention_ll4mi_QKV_mfma16_kernelIDF16_DF16_LN4vllm18Fp8KVCacheDataTypeE0EDF16_Li16ELi128ELi256ELb1ELi8EEvPKT_PKT0_S7_ifPKiS9_S9_iPKfiiiPfSC_PS2_PT2_iSB_SB_
                                        ; -- End function
	.set _Z39paged_attention_ll4mi_QKV_mfma16_kernelIDF16_DF16_LN4vllm18Fp8KVCacheDataTypeE0EDF16_Li16ELi128ELi256ELb1ELi8EEvPKT_PKT0_S7_ifPKiS9_S9_iPKfiiiPfSC_PS2_PT2_iSB_SB_.num_vgpr, max(3, .L__assert_fail.num_vgpr)
	.set _Z39paged_attention_ll4mi_QKV_mfma16_kernelIDF16_DF16_LN4vllm18Fp8KVCacheDataTypeE0EDF16_Li16ELi128ELi256ELb1ELi8EEvPKT_PKT0_S7_ifPKiS9_S9_iPKfiiiPfSC_PS2_PT2_iSB_SB_.num_agpr, max(0, .L__assert_fail.num_agpr)
	.set _Z39paged_attention_ll4mi_QKV_mfma16_kernelIDF16_DF16_LN4vllm18Fp8KVCacheDataTypeE0EDF16_Li16ELi128ELi256ELb1ELi8EEvPKT_PKT0_S7_ifPKiS9_S9_iPKfiiiPfSC_PS2_PT2_iSB_SB_.numbered_sgpr, max(33, .L__assert_fail.numbered_sgpr)
	.set _Z39paged_attention_ll4mi_QKV_mfma16_kernelIDF16_DF16_LN4vllm18Fp8KVCacheDataTypeE0EDF16_Li16ELi128ELi256ELb1ELi8EEvPKT_PKT0_S7_ifPKiS9_S9_iPKfiiiPfSC_PS2_PT2_iSB_SB_.num_named_barrier, max(0, .L__assert_fail.num_named_barrier)
	.set _Z39paged_attention_ll4mi_QKV_mfma16_kernelIDF16_DF16_LN4vllm18Fp8KVCacheDataTypeE0EDF16_Li16ELi128ELi256ELb1ELi8EEvPKT_PKT0_S7_ifPKiS9_S9_iPKfiiiPfSC_PS2_PT2_iSB_SB_.private_seg_size, 0+max(.L__assert_fail.private_seg_size)
	.set _Z39paged_attention_ll4mi_QKV_mfma16_kernelIDF16_DF16_LN4vllm18Fp8KVCacheDataTypeE0EDF16_Li16ELi128ELi256ELb1ELi8EEvPKT_PKT0_S7_ifPKiS9_S9_iPKfiiiPfSC_PS2_PT2_iSB_SB_.uses_vcc, or(1, .L__assert_fail.uses_vcc)
	.set _Z39paged_attention_ll4mi_QKV_mfma16_kernelIDF16_DF16_LN4vllm18Fp8KVCacheDataTypeE0EDF16_Li16ELi128ELi256ELb1ELi8EEvPKT_PKT0_S7_ifPKiS9_S9_iPKfiiiPfSC_PS2_PT2_iSB_SB_.uses_flat_scratch, or(0, .L__assert_fail.uses_flat_scratch)
	.set _Z39paged_attention_ll4mi_QKV_mfma16_kernelIDF16_DF16_LN4vllm18Fp8KVCacheDataTypeE0EDF16_Li16ELi128ELi256ELb1ELi8EEvPKT_PKT0_S7_ifPKiS9_S9_iPKfiiiPfSC_PS2_PT2_iSB_SB_.has_dyn_sized_stack, or(0, .L__assert_fail.has_dyn_sized_stack)
	.set _Z39paged_attention_ll4mi_QKV_mfma16_kernelIDF16_DF16_LN4vllm18Fp8KVCacheDataTypeE0EDF16_Li16ELi128ELi256ELb1ELi8EEvPKT_PKT0_S7_ifPKiS9_S9_iPKfiiiPfSC_PS2_PT2_iSB_SB_.has_recursion, or(0, .L__assert_fail.has_recursion)
	.set _Z39paged_attention_ll4mi_QKV_mfma16_kernelIDF16_DF16_LN4vllm18Fp8KVCacheDataTypeE0EDF16_Li16ELi128ELi256ELb1ELi8EEvPKT_PKT0_S7_ifPKiS9_S9_iPKfiiiPfSC_PS2_PT2_iSB_SB_.has_indirect_call, or(0, .L__assert_fail.has_indirect_call)
	.section	.AMDGPU.csdata,"",@progbits
; Kernel info:
; codeLenInByte = 68
; TotalNumSgprs: 36
; NumVgprs: 51
; ScratchSize: 64
; MemoryBound: 0
; FloatMode: 240
; IeeeMode: 1
; LDSByteSize: 0 bytes/workgroup (compile time only)
; SGPRBlocks: 0
; VGPRBlocks: 3
; NumSGPRsForWavesPerEU: 36
; NumVGPRsForWavesPerEU: 51
; NamedBarCnt: 0
; Occupancy: 16
; WaveLimiterHint : 1
; COMPUTE_PGM_RSRC2:SCRATCH_EN: 1
; COMPUTE_PGM_RSRC2:USER_SGPR: 2
; COMPUTE_PGM_RSRC2:TRAP_HANDLER: 0
; COMPUTE_PGM_RSRC2:TGID_X_EN: 1
; COMPUTE_PGM_RSRC2:TGID_Y_EN: 0
; COMPUTE_PGM_RSRC2:TGID_Z_EN: 0
; COMPUTE_PGM_RSRC2:TIDIG_COMP_CNT: 0
	.section	.text._Z39paged_attention_ll4mi_QKV_mfma16_kernelIDF16_DF16_LN4vllm18Fp8KVCacheDataTypeE0EDF16_Li16ELi128ELi256ELb1ELi9EEvPKT_PKT0_S7_ifPKiS9_S9_iPKfiiiPfSC_PS2_PT2_iSB_SB_,"axG",@progbits,_Z39paged_attention_ll4mi_QKV_mfma16_kernelIDF16_DF16_LN4vllm18Fp8KVCacheDataTypeE0EDF16_Li16ELi128ELi256ELb1ELi9EEvPKT_PKT0_S7_ifPKiS9_S9_iPKfiiiPfSC_PS2_PT2_iSB_SB_,comdat
	.protected	_Z39paged_attention_ll4mi_QKV_mfma16_kernelIDF16_DF16_LN4vllm18Fp8KVCacheDataTypeE0EDF16_Li16ELi128ELi256ELb1ELi9EEvPKT_PKT0_S7_ifPKiS9_S9_iPKfiiiPfSC_PS2_PT2_iSB_SB_ ; -- Begin function _Z39paged_attention_ll4mi_QKV_mfma16_kernelIDF16_DF16_LN4vllm18Fp8KVCacheDataTypeE0EDF16_Li16ELi128ELi256ELb1ELi9EEvPKT_PKT0_S7_ifPKiS9_S9_iPKfiiiPfSC_PS2_PT2_iSB_SB_
	.globl	_Z39paged_attention_ll4mi_QKV_mfma16_kernelIDF16_DF16_LN4vllm18Fp8KVCacheDataTypeE0EDF16_Li16ELi128ELi256ELb1ELi9EEvPKT_PKT0_S7_ifPKiS9_S9_iPKfiiiPfSC_PS2_PT2_iSB_SB_
	.p2align	8
	.type	_Z39paged_attention_ll4mi_QKV_mfma16_kernelIDF16_DF16_LN4vllm18Fp8KVCacheDataTypeE0EDF16_Li16ELi128ELi256ELb1ELi9EEvPKT_PKT0_S7_ifPKiS9_S9_iPKfiiiPfSC_PS2_PT2_iSB_SB_,@function
_Z39paged_attention_ll4mi_QKV_mfma16_kernelIDF16_DF16_LN4vllm18Fp8KVCacheDataTypeE0EDF16_Li16ELi128ELi256ELb1ELi9EEvPKT_PKT0_S7_ifPKiS9_S9_iPKfiiiPfSC_PS2_PT2_iSB_SB_: ; @_Z39paged_attention_ll4mi_QKV_mfma16_kernelIDF16_DF16_LN4vllm18Fp8KVCacheDataTypeE0EDF16_Li16ELi128ELi256ELb1ELi9EEvPKT_PKT0_S7_ifPKiS9_S9_iPKfiiiPfSC_PS2_PT2_iSB_SB_
; %bb.0:
	s_get_pc_i64 s[2:3]
	s_add_nc_u64 s[2:3], s[2:3], __PRETTY_FUNCTION__._Z39paged_attention_ll4mi_QKV_mfma16_kernelIDF16_DF16_LN4vllm18Fp8KVCacheDataTypeE0EDF16_Li16ELi128ELi256ELb1ELi9EEvPKT_PKT0_S7_ifPKiS9_S9_iPKfiiiPfSC_PS2_PT2_iSB_SB_@rel64+4
	s_delay_alu instid0(SALU_CYCLE_1)
	v_dual_mov_b32 v0, 0xbb3 :: v_dual_mov_b32 v1, s2
	v_mov_b32_e32 v2, s3
	s_add_nc_u64 s[8:9], s[0:1], 0x90
	s_get_pc_i64 s[0:1]
	s_add_nc_u64 s[0:1], s[0:1], __assert_fail@rel64+4
	s_mov_b32 s32, 0
	s_swap_pc_i64 s[30:31], s[0:1]
	.section	.rodata,"a",@progbits
	.p2align	6, 0x0
	.amdhsa_kernel _Z39paged_attention_ll4mi_QKV_mfma16_kernelIDF16_DF16_LN4vllm18Fp8KVCacheDataTypeE0EDF16_Li16ELi128ELi256ELb1ELi9EEvPKT_PKT0_S7_ifPKiS9_S9_iPKfiiiPfSC_PS2_PT2_iSB_SB_
		.amdhsa_group_segment_fixed_size 0
		.amdhsa_private_segment_fixed_size 64
		.amdhsa_kernarg_size 400
		.amdhsa_user_sgpr_count 2
		.amdhsa_user_sgpr_dispatch_ptr 0
		.amdhsa_user_sgpr_queue_ptr 0
		.amdhsa_user_sgpr_kernarg_segment_ptr 1
		.amdhsa_user_sgpr_dispatch_id 0
		.amdhsa_user_sgpr_kernarg_preload_length 0
		.amdhsa_user_sgpr_kernarg_preload_offset 0
		.amdhsa_user_sgpr_private_segment_size 0
		.amdhsa_wavefront_size32 1
		.amdhsa_uses_dynamic_stack 0
		.amdhsa_enable_private_segment 1
		.amdhsa_system_sgpr_workgroup_id_x 1
		.amdhsa_system_sgpr_workgroup_id_y 0
		.amdhsa_system_sgpr_workgroup_id_z 0
		.amdhsa_system_sgpr_workgroup_info 0
		.amdhsa_system_vgpr_workitem_id 0
		.amdhsa_next_free_vgpr 51
		.amdhsa_next_free_sgpr 34
		.amdhsa_named_barrier_count 0
		.amdhsa_reserve_vcc 1
		.amdhsa_float_round_mode_32 0
		.amdhsa_float_round_mode_16_64 0
		.amdhsa_float_denorm_mode_32 3
		.amdhsa_float_denorm_mode_16_64 3
		.amdhsa_fp16_overflow 0
		.amdhsa_memory_ordered 1
		.amdhsa_forward_progress 1
		.amdhsa_inst_pref_size 1
		.amdhsa_round_robin_scheduling 0
		.amdhsa_exception_fp_ieee_invalid_op 0
		.amdhsa_exception_fp_denorm_src 0
		.amdhsa_exception_fp_ieee_div_zero 0
		.amdhsa_exception_fp_ieee_overflow 0
		.amdhsa_exception_fp_ieee_underflow 0
		.amdhsa_exception_fp_ieee_inexact 0
		.amdhsa_exception_int_div_zero 0
	.end_amdhsa_kernel
	.section	.text._Z39paged_attention_ll4mi_QKV_mfma16_kernelIDF16_DF16_LN4vllm18Fp8KVCacheDataTypeE0EDF16_Li16ELi128ELi256ELb1ELi9EEvPKT_PKT0_S7_ifPKiS9_S9_iPKfiiiPfSC_PS2_PT2_iSB_SB_,"axG",@progbits,_Z39paged_attention_ll4mi_QKV_mfma16_kernelIDF16_DF16_LN4vllm18Fp8KVCacheDataTypeE0EDF16_Li16ELi128ELi256ELb1ELi9EEvPKT_PKT0_S7_ifPKiS9_S9_iPKfiiiPfSC_PS2_PT2_iSB_SB_,comdat
.Lfunc_end258:
	.size	_Z39paged_attention_ll4mi_QKV_mfma16_kernelIDF16_DF16_LN4vllm18Fp8KVCacheDataTypeE0EDF16_Li16ELi128ELi256ELb1ELi9EEvPKT_PKT0_S7_ifPKiS9_S9_iPKfiiiPfSC_PS2_PT2_iSB_SB_, .Lfunc_end258-_Z39paged_attention_ll4mi_QKV_mfma16_kernelIDF16_DF16_LN4vllm18Fp8KVCacheDataTypeE0EDF16_Li16ELi128ELi256ELb1ELi9EEvPKT_PKT0_S7_ifPKiS9_S9_iPKfiiiPfSC_PS2_PT2_iSB_SB_
                                        ; -- End function
	.set _Z39paged_attention_ll4mi_QKV_mfma16_kernelIDF16_DF16_LN4vllm18Fp8KVCacheDataTypeE0EDF16_Li16ELi128ELi256ELb1ELi9EEvPKT_PKT0_S7_ifPKiS9_S9_iPKfiiiPfSC_PS2_PT2_iSB_SB_.num_vgpr, max(3, .L__assert_fail.num_vgpr)
	.set _Z39paged_attention_ll4mi_QKV_mfma16_kernelIDF16_DF16_LN4vllm18Fp8KVCacheDataTypeE0EDF16_Li16ELi128ELi256ELb1ELi9EEvPKT_PKT0_S7_ifPKiS9_S9_iPKfiiiPfSC_PS2_PT2_iSB_SB_.num_agpr, max(0, .L__assert_fail.num_agpr)
	.set _Z39paged_attention_ll4mi_QKV_mfma16_kernelIDF16_DF16_LN4vllm18Fp8KVCacheDataTypeE0EDF16_Li16ELi128ELi256ELb1ELi9EEvPKT_PKT0_S7_ifPKiS9_S9_iPKfiiiPfSC_PS2_PT2_iSB_SB_.numbered_sgpr, max(33, .L__assert_fail.numbered_sgpr)
	.set _Z39paged_attention_ll4mi_QKV_mfma16_kernelIDF16_DF16_LN4vllm18Fp8KVCacheDataTypeE0EDF16_Li16ELi128ELi256ELb1ELi9EEvPKT_PKT0_S7_ifPKiS9_S9_iPKfiiiPfSC_PS2_PT2_iSB_SB_.num_named_barrier, max(0, .L__assert_fail.num_named_barrier)
	.set _Z39paged_attention_ll4mi_QKV_mfma16_kernelIDF16_DF16_LN4vllm18Fp8KVCacheDataTypeE0EDF16_Li16ELi128ELi256ELb1ELi9EEvPKT_PKT0_S7_ifPKiS9_S9_iPKfiiiPfSC_PS2_PT2_iSB_SB_.private_seg_size, 0+max(.L__assert_fail.private_seg_size)
	.set _Z39paged_attention_ll4mi_QKV_mfma16_kernelIDF16_DF16_LN4vllm18Fp8KVCacheDataTypeE0EDF16_Li16ELi128ELi256ELb1ELi9EEvPKT_PKT0_S7_ifPKiS9_S9_iPKfiiiPfSC_PS2_PT2_iSB_SB_.uses_vcc, or(1, .L__assert_fail.uses_vcc)
	.set _Z39paged_attention_ll4mi_QKV_mfma16_kernelIDF16_DF16_LN4vllm18Fp8KVCacheDataTypeE0EDF16_Li16ELi128ELi256ELb1ELi9EEvPKT_PKT0_S7_ifPKiS9_S9_iPKfiiiPfSC_PS2_PT2_iSB_SB_.uses_flat_scratch, or(0, .L__assert_fail.uses_flat_scratch)
	.set _Z39paged_attention_ll4mi_QKV_mfma16_kernelIDF16_DF16_LN4vllm18Fp8KVCacheDataTypeE0EDF16_Li16ELi128ELi256ELb1ELi9EEvPKT_PKT0_S7_ifPKiS9_S9_iPKfiiiPfSC_PS2_PT2_iSB_SB_.has_dyn_sized_stack, or(0, .L__assert_fail.has_dyn_sized_stack)
	.set _Z39paged_attention_ll4mi_QKV_mfma16_kernelIDF16_DF16_LN4vllm18Fp8KVCacheDataTypeE0EDF16_Li16ELi128ELi256ELb1ELi9EEvPKT_PKT0_S7_ifPKiS9_S9_iPKfiiiPfSC_PS2_PT2_iSB_SB_.has_recursion, or(0, .L__assert_fail.has_recursion)
	.set _Z39paged_attention_ll4mi_QKV_mfma16_kernelIDF16_DF16_LN4vllm18Fp8KVCacheDataTypeE0EDF16_Li16ELi128ELi256ELb1ELi9EEvPKT_PKT0_S7_ifPKiS9_S9_iPKfiiiPfSC_PS2_PT2_iSB_SB_.has_indirect_call, or(0, .L__assert_fail.has_indirect_call)
	.section	.AMDGPU.csdata,"",@progbits
; Kernel info:
; codeLenInByte = 68
; TotalNumSgprs: 36
; NumVgprs: 51
; ScratchSize: 64
; MemoryBound: 0
; FloatMode: 240
; IeeeMode: 1
; LDSByteSize: 0 bytes/workgroup (compile time only)
; SGPRBlocks: 0
; VGPRBlocks: 3
; NumSGPRsForWavesPerEU: 36
; NumVGPRsForWavesPerEU: 51
; NamedBarCnt: 0
; Occupancy: 16
; WaveLimiterHint : 1
; COMPUTE_PGM_RSRC2:SCRATCH_EN: 1
; COMPUTE_PGM_RSRC2:USER_SGPR: 2
; COMPUTE_PGM_RSRC2:TRAP_HANDLER: 0
; COMPUTE_PGM_RSRC2:TGID_X_EN: 1
; COMPUTE_PGM_RSRC2:TGID_Y_EN: 0
; COMPUTE_PGM_RSRC2:TGID_Z_EN: 0
; COMPUTE_PGM_RSRC2:TIDIG_COMP_CNT: 0
	.section	.text._Z39paged_attention_ll4mi_QKV_mfma16_kernelIDF16_DF16_LN4vllm18Fp8KVCacheDataTypeE0EDF16_Li16ELi128ELi256ELb1ELi10EEvPKT_PKT0_S7_ifPKiS9_S9_iPKfiiiPfSC_PS2_PT2_iSB_SB_,"axG",@progbits,_Z39paged_attention_ll4mi_QKV_mfma16_kernelIDF16_DF16_LN4vllm18Fp8KVCacheDataTypeE0EDF16_Li16ELi128ELi256ELb1ELi10EEvPKT_PKT0_S7_ifPKiS9_S9_iPKfiiiPfSC_PS2_PT2_iSB_SB_,comdat
	.protected	_Z39paged_attention_ll4mi_QKV_mfma16_kernelIDF16_DF16_LN4vllm18Fp8KVCacheDataTypeE0EDF16_Li16ELi128ELi256ELb1ELi10EEvPKT_PKT0_S7_ifPKiS9_S9_iPKfiiiPfSC_PS2_PT2_iSB_SB_ ; -- Begin function _Z39paged_attention_ll4mi_QKV_mfma16_kernelIDF16_DF16_LN4vllm18Fp8KVCacheDataTypeE0EDF16_Li16ELi128ELi256ELb1ELi10EEvPKT_PKT0_S7_ifPKiS9_S9_iPKfiiiPfSC_PS2_PT2_iSB_SB_
	.globl	_Z39paged_attention_ll4mi_QKV_mfma16_kernelIDF16_DF16_LN4vllm18Fp8KVCacheDataTypeE0EDF16_Li16ELi128ELi256ELb1ELi10EEvPKT_PKT0_S7_ifPKiS9_S9_iPKfiiiPfSC_PS2_PT2_iSB_SB_
	.p2align	8
	.type	_Z39paged_attention_ll4mi_QKV_mfma16_kernelIDF16_DF16_LN4vllm18Fp8KVCacheDataTypeE0EDF16_Li16ELi128ELi256ELb1ELi10EEvPKT_PKT0_S7_ifPKiS9_S9_iPKfiiiPfSC_PS2_PT2_iSB_SB_,@function
_Z39paged_attention_ll4mi_QKV_mfma16_kernelIDF16_DF16_LN4vllm18Fp8KVCacheDataTypeE0EDF16_Li16ELi128ELi256ELb1ELi10EEvPKT_PKT0_S7_ifPKiS9_S9_iPKfiiiPfSC_PS2_PT2_iSB_SB_: ; @_Z39paged_attention_ll4mi_QKV_mfma16_kernelIDF16_DF16_LN4vllm18Fp8KVCacheDataTypeE0EDF16_Li16ELi128ELi256ELb1ELi10EEvPKT_PKT0_S7_ifPKiS9_S9_iPKfiiiPfSC_PS2_PT2_iSB_SB_
; %bb.0:
	s_get_pc_i64 s[2:3]
	s_add_nc_u64 s[2:3], s[2:3], __PRETTY_FUNCTION__._Z39paged_attention_ll4mi_QKV_mfma16_kernelIDF16_DF16_LN4vllm18Fp8KVCacheDataTypeE0EDF16_Li16ELi128ELi256ELb1ELi10EEvPKT_PKT0_S7_ifPKiS9_S9_iPKfiiiPfSC_PS2_PT2_iSB_SB_@rel64+4
	s_delay_alu instid0(SALU_CYCLE_1)
	v_dual_mov_b32 v0, 0xbb3 :: v_dual_mov_b32 v1, s2
	v_mov_b32_e32 v2, s3
	s_add_nc_u64 s[8:9], s[0:1], 0x90
	s_get_pc_i64 s[0:1]
	s_add_nc_u64 s[0:1], s[0:1], __assert_fail@rel64+4
	s_mov_b32 s32, 0
	s_swap_pc_i64 s[30:31], s[0:1]
	.section	.rodata,"a",@progbits
	.p2align	6, 0x0
	.amdhsa_kernel _Z39paged_attention_ll4mi_QKV_mfma16_kernelIDF16_DF16_LN4vllm18Fp8KVCacheDataTypeE0EDF16_Li16ELi128ELi256ELb1ELi10EEvPKT_PKT0_S7_ifPKiS9_S9_iPKfiiiPfSC_PS2_PT2_iSB_SB_
		.amdhsa_group_segment_fixed_size 0
		.amdhsa_private_segment_fixed_size 64
		.amdhsa_kernarg_size 400
		.amdhsa_user_sgpr_count 2
		.amdhsa_user_sgpr_dispatch_ptr 0
		.amdhsa_user_sgpr_queue_ptr 0
		.amdhsa_user_sgpr_kernarg_segment_ptr 1
		.amdhsa_user_sgpr_dispatch_id 0
		.amdhsa_user_sgpr_kernarg_preload_length 0
		.amdhsa_user_sgpr_kernarg_preload_offset 0
		.amdhsa_user_sgpr_private_segment_size 0
		.amdhsa_wavefront_size32 1
		.amdhsa_uses_dynamic_stack 0
		.amdhsa_enable_private_segment 1
		.amdhsa_system_sgpr_workgroup_id_x 1
		.amdhsa_system_sgpr_workgroup_id_y 0
		.amdhsa_system_sgpr_workgroup_id_z 0
		.amdhsa_system_sgpr_workgroup_info 0
		.amdhsa_system_vgpr_workitem_id 0
		.amdhsa_next_free_vgpr 51
		.amdhsa_next_free_sgpr 34
		.amdhsa_named_barrier_count 0
		.amdhsa_reserve_vcc 1
		.amdhsa_float_round_mode_32 0
		.amdhsa_float_round_mode_16_64 0
		.amdhsa_float_denorm_mode_32 3
		.amdhsa_float_denorm_mode_16_64 3
		.amdhsa_fp16_overflow 0
		.amdhsa_memory_ordered 1
		.amdhsa_forward_progress 1
		.amdhsa_inst_pref_size 1
		.amdhsa_round_robin_scheduling 0
		.amdhsa_exception_fp_ieee_invalid_op 0
		.amdhsa_exception_fp_denorm_src 0
		.amdhsa_exception_fp_ieee_div_zero 0
		.amdhsa_exception_fp_ieee_overflow 0
		.amdhsa_exception_fp_ieee_underflow 0
		.amdhsa_exception_fp_ieee_inexact 0
		.amdhsa_exception_int_div_zero 0
	.end_amdhsa_kernel
	.section	.text._Z39paged_attention_ll4mi_QKV_mfma16_kernelIDF16_DF16_LN4vllm18Fp8KVCacheDataTypeE0EDF16_Li16ELi128ELi256ELb1ELi10EEvPKT_PKT0_S7_ifPKiS9_S9_iPKfiiiPfSC_PS2_PT2_iSB_SB_,"axG",@progbits,_Z39paged_attention_ll4mi_QKV_mfma16_kernelIDF16_DF16_LN4vllm18Fp8KVCacheDataTypeE0EDF16_Li16ELi128ELi256ELb1ELi10EEvPKT_PKT0_S7_ifPKiS9_S9_iPKfiiiPfSC_PS2_PT2_iSB_SB_,comdat
.Lfunc_end259:
	.size	_Z39paged_attention_ll4mi_QKV_mfma16_kernelIDF16_DF16_LN4vllm18Fp8KVCacheDataTypeE0EDF16_Li16ELi128ELi256ELb1ELi10EEvPKT_PKT0_S7_ifPKiS9_S9_iPKfiiiPfSC_PS2_PT2_iSB_SB_, .Lfunc_end259-_Z39paged_attention_ll4mi_QKV_mfma16_kernelIDF16_DF16_LN4vllm18Fp8KVCacheDataTypeE0EDF16_Li16ELi128ELi256ELb1ELi10EEvPKT_PKT0_S7_ifPKiS9_S9_iPKfiiiPfSC_PS2_PT2_iSB_SB_
                                        ; -- End function
	.set _Z39paged_attention_ll4mi_QKV_mfma16_kernelIDF16_DF16_LN4vllm18Fp8KVCacheDataTypeE0EDF16_Li16ELi128ELi256ELb1ELi10EEvPKT_PKT0_S7_ifPKiS9_S9_iPKfiiiPfSC_PS2_PT2_iSB_SB_.num_vgpr, max(3, .L__assert_fail.num_vgpr)
	.set _Z39paged_attention_ll4mi_QKV_mfma16_kernelIDF16_DF16_LN4vllm18Fp8KVCacheDataTypeE0EDF16_Li16ELi128ELi256ELb1ELi10EEvPKT_PKT0_S7_ifPKiS9_S9_iPKfiiiPfSC_PS2_PT2_iSB_SB_.num_agpr, max(0, .L__assert_fail.num_agpr)
	.set _Z39paged_attention_ll4mi_QKV_mfma16_kernelIDF16_DF16_LN4vllm18Fp8KVCacheDataTypeE0EDF16_Li16ELi128ELi256ELb1ELi10EEvPKT_PKT0_S7_ifPKiS9_S9_iPKfiiiPfSC_PS2_PT2_iSB_SB_.numbered_sgpr, max(33, .L__assert_fail.numbered_sgpr)
	.set _Z39paged_attention_ll4mi_QKV_mfma16_kernelIDF16_DF16_LN4vllm18Fp8KVCacheDataTypeE0EDF16_Li16ELi128ELi256ELb1ELi10EEvPKT_PKT0_S7_ifPKiS9_S9_iPKfiiiPfSC_PS2_PT2_iSB_SB_.num_named_barrier, max(0, .L__assert_fail.num_named_barrier)
	.set _Z39paged_attention_ll4mi_QKV_mfma16_kernelIDF16_DF16_LN4vllm18Fp8KVCacheDataTypeE0EDF16_Li16ELi128ELi256ELb1ELi10EEvPKT_PKT0_S7_ifPKiS9_S9_iPKfiiiPfSC_PS2_PT2_iSB_SB_.private_seg_size, 0+max(.L__assert_fail.private_seg_size)
	.set _Z39paged_attention_ll4mi_QKV_mfma16_kernelIDF16_DF16_LN4vllm18Fp8KVCacheDataTypeE0EDF16_Li16ELi128ELi256ELb1ELi10EEvPKT_PKT0_S7_ifPKiS9_S9_iPKfiiiPfSC_PS2_PT2_iSB_SB_.uses_vcc, or(1, .L__assert_fail.uses_vcc)
	.set _Z39paged_attention_ll4mi_QKV_mfma16_kernelIDF16_DF16_LN4vllm18Fp8KVCacheDataTypeE0EDF16_Li16ELi128ELi256ELb1ELi10EEvPKT_PKT0_S7_ifPKiS9_S9_iPKfiiiPfSC_PS2_PT2_iSB_SB_.uses_flat_scratch, or(0, .L__assert_fail.uses_flat_scratch)
	.set _Z39paged_attention_ll4mi_QKV_mfma16_kernelIDF16_DF16_LN4vllm18Fp8KVCacheDataTypeE0EDF16_Li16ELi128ELi256ELb1ELi10EEvPKT_PKT0_S7_ifPKiS9_S9_iPKfiiiPfSC_PS2_PT2_iSB_SB_.has_dyn_sized_stack, or(0, .L__assert_fail.has_dyn_sized_stack)
	.set _Z39paged_attention_ll4mi_QKV_mfma16_kernelIDF16_DF16_LN4vllm18Fp8KVCacheDataTypeE0EDF16_Li16ELi128ELi256ELb1ELi10EEvPKT_PKT0_S7_ifPKiS9_S9_iPKfiiiPfSC_PS2_PT2_iSB_SB_.has_recursion, or(0, .L__assert_fail.has_recursion)
	.set _Z39paged_attention_ll4mi_QKV_mfma16_kernelIDF16_DF16_LN4vllm18Fp8KVCacheDataTypeE0EDF16_Li16ELi128ELi256ELb1ELi10EEvPKT_PKT0_S7_ifPKiS9_S9_iPKfiiiPfSC_PS2_PT2_iSB_SB_.has_indirect_call, or(0, .L__assert_fail.has_indirect_call)
	.section	.AMDGPU.csdata,"",@progbits
; Kernel info:
; codeLenInByte = 68
; TotalNumSgprs: 36
; NumVgprs: 51
; ScratchSize: 64
; MemoryBound: 0
; FloatMode: 240
; IeeeMode: 1
; LDSByteSize: 0 bytes/workgroup (compile time only)
; SGPRBlocks: 0
; VGPRBlocks: 3
; NumSGPRsForWavesPerEU: 36
; NumVGPRsForWavesPerEU: 51
; NamedBarCnt: 0
; Occupancy: 16
; WaveLimiterHint : 1
; COMPUTE_PGM_RSRC2:SCRATCH_EN: 1
; COMPUTE_PGM_RSRC2:USER_SGPR: 2
; COMPUTE_PGM_RSRC2:TRAP_HANDLER: 0
; COMPUTE_PGM_RSRC2:TGID_X_EN: 1
; COMPUTE_PGM_RSRC2:TGID_Y_EN: 0
; COMPUTE_PGM_RSRC2:TGID_Z_EN: 0
; COMPUTE_PGM_RSRC2:TIDIG_COMP_CNT: 0
	.section	.text._Z39paged_attention_ll4mi_QKV_mfma16_kernelIDF16_DF16_LN4vllm18Fp8KVCacheDataTypeE0EDF16_Li16ELi128ELi256ELb1ELi11EEvPKT_PKT0_S7_ifPKiS9_S9_iPKfiiiPfSC_PS2_PT2_iSB_SB_,"axG",@progbits,_Z39paged_attention_ll4mi_QKV_mfma16_kernelIDF16_DF16_LN4vllm18Fp8KVCacheDataTypeE0EDF16_Li16ELi128ELi256ELb1ELi11EEvPKT_PKT0_S7_ifPKiS9_S9_iPKfiiiPfSC_PS2_PT2_iSB_SB_,comdat
	.protected	_Z39paged_attention_ll4mi_QKV_mfma16_kernelIDF16_DF16_LN4vllm18Fp8KVCacheDataTypeE0EDF16_Li16ELi128ELi256ELb1ELi11EEvPKT_PKT0_S7_ifPKiS9_S9_iPKfiiiPfSC_PS2_PT2_iSB_SB_ ; -- Begin function _Z39paged_attention_ll4mi_QKV_mfma16_kernelIDF16_DF16_LN4vllm18Fp8KVCacheDataTypeE0EDF16_Li16ELi128ELi256ELb1ELi11EEvPKT_PKT0_S7_ifPKiS9_S9_iPKfiiiPfSC_PS2_PT2_iSB_SB_
	.globl	_Z39paged_attention_ll4mi_QKV_mfma16_kernelIDF16_DF16_LN4vllm18Fp8KVCacheDataTypeE0EDF16_Li16ELi128ELi256ELb1ELi11EEvPKT_PKT0_S7_ifPKiS9_S9_iPKfiiiPfSC_PS2_PT2_iSB_SB_
	.p2align	8
	.type	_Z39paged_attention_ll4mi_QKV_mfma16_kernelIDF16_DF16_LN4vllm18Fp8KVCacheDataTypeE0EDF16_Li16ELi128ELi256ELb1ELi11EEvPKT_PKT0_S7_ifPKiS9_S9_iPKfiiiPfSC_PS2_PT2_iSB_SB_,@function
_Z39paged_attention_ll4mi_QKV_mfma16_kernelIDF16_DF16_LN4vllm18Fp8KVCacheDataTypeE0EDF16_Li16ELi128ELi256ELb1ELi11EEvPKT_PKT0_S7_ifPKiS9_S9_iPKfiiiPfSC_PS2_PT2_iSB_SB_: ; @_Z39paged_attention_ll4mi_QKV_mfma16_kernelIDF16_DF16_LN4vllm18Fp8KVCacheDataTypeE0EDF16_Li16ELi128ELi256ELb1ELi11EEvPKT_PKT0_S7_ifPKiS9_S9_iPKfiiiPfSC_PS2_PT2_iSB_SB_
; %bb.0:
	s_get_pc_i64 s[2:3]
	s_add_nc_u64 s[2:3], s[2:3], __PRETTY_FUNCTION__._Z39paged_attention_ll4mi_QKV_mfma16_kernelIDF16_DF16_LN4vllm18Fp8KVCacheDataTypeE0EDF16_Li16ELi128ELi256ELb1ELi11EEvPKT_PKT0_S7_ifPKiS9_S9_iPKfiiiPfSC_PS2_PT2_iSB_SB_@rel64+4
	s_delay_alu instid0(SALU_CYCLE_1)
	v_dual_mov_b32 v0, 0xbb3 :: v_dual_mov_b32 v1, s2
	v_mov_b32_e32 v2, s3
	s_add_nc_u64 s[8:9], s[0:1], 0x90
	s_get_pc_i64 s[0:1]
	s_add_nc_u64 s[0:1], s[0:1], __assert_fail@rel64+4
	s_mov_b32 s32, 0
	s_swap_pc_i64 s[30:31], s[0:1]
	.section	.rodata,"a",@progbits
	.p2align	6, 0x0
	.amdhsa_kernel _Z39paged_attention_ll4mi_QKV_mfma16_kernelIDF16_DF16_LN4vllm18Fp8KVCacheDataTypeE0EDF16_Li16ELi128ELi256ELb1ELi11EEvPKT_PKT0_S7_ifPKiS9_S9_iPKfiiiPfSC_PS2_PT2_iSB_SB_
		.amdhsa_group_segment_fixed_size 0
		.amdhsa_private_segment_fixed_size 64
		.amdhsa_kernarg_size 400
		.amdhsa_user_sgpr_count 2
		.amdhsa_user_sgpr_dispatch_ptr 0
		.amdhsa_user_sgpr_queue_ptr 0
		.amdhsa_user_sgpr_kernarg_segment_ptr 1
		.amdhsa_user_sgpr_dispatch_id 0
		.amdhsa_user_sgpr_kernarg_preload_length 0
		.amdhsa_user_sgpr_kernarg_preload_offset 0
		.amdhsa_user_sgpr_private_segment_size 0
		.amdhsa_wavefront_size32 1
		.amdhsa_uses_dynamic_stack 0
		.amdhsa_enable_private_segment 1
		.amdhsa_system_sgpr_workgroup_id_x 1
		.amdhsa_system_sgpr_workgroup_id_y 0
		.amdhsa_system_sgpr_workgroup_id_z 0
		.amdhsa_system_sgpr_workgroup_info 0
		.amdhsa_system_vgpr_workitem_id 0
		.amdhsa_next_free_vgpr 51
		.amdhsa_next_free_sgpr 34
		.amdhsa_named_barrier_count 0
		.amdhsa_reserve_vcc 1
		.amdhsa_float_round_mode_32 0
		.amdhsa_float_round_mode_16_64 0
		.amdhsa_float_denorm_mode_32 3
		.amdhsa_float_denorm_mode_16_64 3
		.amdhsa_fp16_overflow 0
		.amdhsa_memory_ordered 1
		.amdhsa_forward_progress 1
		.amdhsa_inst_pref_size 1
		.amdhsa_round_robin_scheduling 0
		.amdhsa_exception_fp_ieee_invalid_op 0
		.amdhsa_exception_fp_denorm_src 0
		.amdhsa_exception_fp_ieee_div_zero 0
		.amdhsa_exception_fp_ieee_overflow 0
		.amdhsa_exception_fp_ieee_underflow 0
		.amdhsa_exception_fp_ieee_inexact 0
		.amdhsa_exception_int_div_zero 0
	.end_amdhsa_kernel
	.section	.text._Z39paged_attention_ll4mi_QKV_mfma16_kernelIDF16_DF16_LN4vllm18Fp8KVCacheDataTypeE0EDF16_Li16ELi128ELi256ELb1ELi11EEvPKT_PKT0_S7_ifPKiS9_S9_iPKfiiiPfSC_PS2_PT2_iSB_SB_,"axG",@progbits,_Z39paged_attention_ll4mi_QKV_mfma16_kernelIDF16_DF16_LN4vllm18Fp8KVCacheDataTypeE0EDF16_Li16ELi128ELi256ELb1ELi11EEvPKT_PKT0_S7_ifPKiS9_S9_iPKfiiiPfSC_PS2_PT2_iSB_SB_,comdat
.Lfunc_end260:
	.size	_Z39paged_attention_ll4mi_QKV_mfma16_kernelIDF16_DF16_LN4vllm18Fp8KVCacheDataTypeE0EDF16_Li16ELi128ELi256ELb1ELi11EEvPKT_PKT0_S7_ifPKiS9_S9_iPKfiiiPfSC_PS2_PT2_iSB_SB_, .Lfunc_end260-_Z39paged_attention_ll4mi_QKV_mfma16_kernelIDF16_DF16_LN4vllm18Fp8KVCacheDataTypeE0EDF16_Li16ELi128ELi256ELb1ELi11EEvPKT_PKT0_S7_ifPKiS9_S9_iPKfiiiPfSC_PS2_PT2_iSB_SB_
                                        ; -- End function
	.set _Z39paged_attention_ll4mi_QKV_mfma16_kernelIDF16_DF16_LN4vllm18Fp8KVCacheDataTypeE0EDF16_Li16ELi128ELi256ELb1ELi11EEvPKT_PKT0_S7_ifPKiS9_S9_iPKfiiiPfSC_PS2_PT2_iSB_SB_.num_vgpr, max(3, .L__assert_fail.num_vgpr)
	.set _Z39paged_attention_ll4mi_QKV_mfma16_kernelIDF16_DF16_LN4vllm18Fp8KVCacheDataTypeE0EDF16_Li16ELi128ELi256ELb1ELi11EEvPKT_PKT0_S7_ifPKiS9_S9_iPKfiiiPfSC_PS2_PT2_iSB_SB_.num_agpr, max(0, .L__assert_fail.num_agpr)
	.set _Z39paged_attention_ll4mi_QKV_mfma16_kernelIDF16_DF16_LN4vllm18Fp8KVCacheDataTypeE0EDF16_Li16ELi128ELi256ELb1ELi11EEvPKT_PKT0_S7_ifPKiS9_S9_iPKfiiiPfSC_PS2_PT2_iSB_SB_.numbered_sgpr, max(33, .L__assert_fail.numbered_sgpr)
	.set _Z39paged_attention_ll4mi_QKV_mfma16_kernelIDF16_DF16_LN4vllm18Fp8KVCacheDataTypeE0EDF16_Li16ELi128ELi256ELb1ELi11EEvPKT_PKT0_S7_ifPKiS9_S9_iPKfiiiPfSC_PS2_PT2_iSB_SB_.num_named_barrier, max(0, .L__assert_fail.num_named_barrier)
	.set _Z39paged_attention_ll4mi_QKV_mfma16_kernelIDF16_DF16_LN4vllm18Fp8KVCacheDataTypeE0EDF16_Li16ELi128ELi256ELb1ELi11EEvPKT_PKT0_S7_ifPKiS9_S9_iPKfiiiPfSC_PS2_PT2_iSB_SB_.private_seg_size, 0+max(.L__assert_fail.private_seg_size)
	.set _Z39paged_attention_ll4mi_QKV_mfma16_kernelIDF16_DF16_LN4vllm18Fp8KVCacheDataTypeE0EDF16_Li16ELi128ELi256ELb1ELi11EEvPKT_PKT0_S7_ifPKiS9_S9_iPKfiiiPfSC_PS2_PT2_iSB_SB_.uses_vcc, or(1, .L__assert_fail.uses_vcc)
	.set _Z39paged_attention_ll4mi_QKV_mfma16_kernelIDF16_DF16_LN4vllm18Fp8KVCacheDataTypeE0EDF16_Li16ELi128ELi256ELb1ELi11EEvPKT_PKT0_S7_ifPKiS9_S9_iPKfiiiPfSC_PS2_PT2_iSB_SB_.uses_flat_scratch, or(0, .L__assert_fail.uses_flat_scratch)
	.set _Z39paged_attention_ll4mi_QKV_mfma16_kernelIDF16_DF16_LN4vllm18Fp8KVCacheDataTypeE0EDF16_Li16ELi128ELi256ELb1ELi11EEvPKT_PKT0_S7_ifPKiS9_S9_iPKfiiiPfSC_PS2_PT2_iSB_SB_.has_dyn_sized_stack, or(0, .L__assert_fail.has_dyn_sized_stack)
	.set _Z39paged_attention_ll4mi_QKV_mfma16_kernelIDF16_DF16_LN4vllm18Fp8KVCacheDataTypeE0EDF16_Li16ELi128ELi256ELb1ELi11EEvPKT_PKT0_S7_ifPKiS9_S9_iPKfiiiPfSC_PS2_PT2_iSB_SB_.has_recursion, or(0, .L__assert_fail.has_recursion)
	.set _Z39paged_attention_ll4mi_QKV_mfma16_kernelIDF16_DF16_LN4vllm18Fp8KVCacheDataTypeE0EDF16_Li16ELi128ELi256ELb1ELi11EEvPKT_PKT0_S7_ifPKiS9_S9_iPKfiiiPfSC_PS2_PT2_iSB_SB_.has_indirect_call, or(0, .L__assert_fail.has_indirect_call)
	.section	.AMDGPU.csdata,"",@progbits
; Kernel info:
; codeLenInByte = 68
; TotalNumSgprs: 36
; NumVgprs: 51
; ScratchSize: 64
; MemoryBound: 0
; FloatMode: 240
; IeeeMode: 1
; LDSByteSize: 0 bytes/workgroup (compile time only)
; SGPRBlocks: 0
; VGPRBlocks: 3
; NumSGPRsForWavesPerEU: 36
; NumVGPRsForWavesPerEU: 51
; NamedBarCnt: 0
; Occupancy: 16
; WaveLimiterHint : 1
; COMPUTE_PGM_RSRC2:SCRATCH_EN: 1
; COMPUTE_PGM_RSRC2:USER_SGPR: 2
; COMPUTE_PGM_RSRC2:TRAP_HANDLER: 0
; COMPUTE_PGM_RSRC2:TGID_X_EN: 1
; COMPUTE_PGM_RSRC2:TGID_Y_EN: 0
; COMPUTE_PGM_RSRC2:TGID_Z_EN: 0
; COMPUTE_PGM_RSRC2:TIDIG_COMP_CNT: 0
	.section	.text._Z39paged_attention_ll4mi_QKV_mfma16_kernelIDF16_DF16_LN4vllm18Fp8KVCacheDataTypeE0EDF16_Li16ELi128ELi256ELb1ELi12EEvPKT_PKT0_S7_ifPKiS9_S9_iPKfiiiPfSC_PS2_PT2_iSB_SB_,"axG",@progbits,_Z39paged_attention_ll4mi_QKV_mfma16_kernelIDF16_DF16_LN4vllm18Fp8KVCacheDataTypeE0EDF16_Li16ELi128ELi256ELb1ELi12EEvPKT_PKT0_S7_ifPKiS9_S9_iPKfiiiPfSC_PS2_PT2_iSB_SB_,comdat
	.protected	_Z39paged_attention_ll4mi_QKV_mfma16_kernelIDF16_DF16_LN4vllm18Fp8KVCacheDataTypeE0EDF16_Li16ELi128ELi256ELb1ELi12EEvPKT_PKT0_S7_ifPKiS9_S9_iPKfiiiPfSC_PS2_PT2_iSB_SB_ ; -- Begin function _Z39paged_attention_ll4mi_QKV_mfma16_kernelIDF16_DF16_LN4vllm18Fp8KVCacheDataTypeE0EDF16_Li16ELi128ELi256ELb1ELi12EEvPKT_PKT0_S7_ifPKiS9_S9_iPKfiiiPfSC_PS2_PT2_iSB_SB_
	.globl	_Z39paged_attention_ll4mi_QKV_mfma16_kernelIDF16_DF16_LN4vllm18Fp8KVCacheDataTypeE0EDF16_Li16ELi128ELi256ELb1ELi12EEvPKT_PKT0_S7_ifPKiS9_S9_iPKfiiiPfSC_PS2_PT2_iSB_SB_
	.p2align	8
	.type	_Z39paged_attention_ll4mi_QKV_mfma16_kernelIDF16_DF16_LN4vllm18Fp8KVCacheDataTypeE0EDF16_Li16ELi128ELi256ELb1ELi12EEvPKT_PKT0_S7_ifPKiS9_S9_iPKfiiiPfSC_PS2_PT2_iSB_SB_,@function
_Z39paged_attention_ll4mi_QKV_mfma16_kernelIDF16_DF16_LN4vllm18Fp8KVCacheDataTypeE0EDF16_Li16ELi128ELi256ELb1ELi12EEvPKT_PKT0_S7_ifPKiS9_S9_iPKfiiiPfSC_PS2_PT2_iSB_SB_: ; @_Z39paged_attention_ll4mi_QKV_mfma16_kernelIDF16_DF16_LN4vllm18Fp8KVCacheDataTypeE0EDF16_Li16ELi128ELi256ELb1ELi12EEvPKT_PKT0_S7_ifPKiS9_S9_iPKfiiiPfSC_PS2_PT2_iSB_SB_
; %bb.0:
	s_get_pc_i64 s[2:3]
	s_add_nc_u64 s[2:3], s[2:3], __PRETTY_FUNCTION__._Z39paged_attention_ll4mi_QKV_mfma16_kernelIDF16_DF16_LN4vllm18Fp8KVCacheDataTypeE0EDF16_Li16ELi128ELi256ELb1ELi12EEvPKT_PKT0_S7_ifPKiS9_S9_iPKfiiiPfSC_PS2_PT2_iSB_SB_@rel64+4
	s_delay_alu instid0(SALU_CYCLE_1)
	v_dual_mov_b32 v0, 0xbb3 :: v_dual_mov_b32 v1, s2
	v_mov_b32_e32 v2, s3
	s_add_nc_u64 s[8:9], s[0:1], 0x90
	s_get_pc_i64 s[0:1]
	s_add_nc_u64 s[0:1], s[0:1], __assert_fail@rel64+4
	s_mov_b32 s32, 0
	s_swap_pc_i64 s[30:31], s[0:1]
	.section	.rodata,"a",@progbits
	.p2align	6, 0x0
	.amdhsa_kernel _Z39paged_attention_ll4mi_QKV_mfma16_kernelIDF16_DF16_LN4vllm18Fp8KVCacheDataTypeE0EDF16_Li16ELi128ELi256ELb1ELi12EEvPKT_PKT0_S7_ifPKiS9_S9_iPKfiiiPfSC_PS2_PT2_iSB_SB_
		.amdhsa_group_segment_fixed_size 0
		.amdhsa_private_segment_fixed_size 64
		.amdhsa_kernarg_size 400
		.amdhsa_user_sgpr_count 2
		.amdhsa_user_sgpr_dispatch_ptr 0
		.amdhsa_user_sgpr_queue_ptr 0
		.amdhsa_user_sgpr_kernarg_segment_ptr 1
		.amdhsa_user_sgpr_dispatch_id 0
		.amdhsa_user_sgpr_kernarg_preload_length 0
		.amdhsa_user_sgpr_kernarg_preload_offset 0
		.amdhsa_user_sgpr_private_segment_size 0
		.amdhsa_wavefront_size32 1
		.amdhsa_uses_dynamic_stack 0
		.amdhsa_enable_private_segment 1
		.amdhsa_system_sgpr_workgroup_id_x 1
		.amdhsa_system_sgpr_workgroup_id_y 0
		.amdhsa_system_sgpr_workgroup_id_z 0
		.amdhsa_system_sgpr_workgroup_info 0
		.amdhsa_system_vgpr_workitem_id 0
		.amdhsa_next_free_vgpr 51
		.amdhsa_next_free_sgpr 34
		.amdhsa_named_barrier_count 0
		.amdhsa_reserve_vcc 1
		.amdhsa_float_round_mode_32 0
		.amdhsa_float_round_mode_16_64 0
		.amdhsa_float_denorm_mode_32 3
		.amdhsa_float_denorm_mode_16_64 3
		.amdhsa_fp16_overflow 0
		.amdhsa_memory_ordered 1
		.amdhsa_forward_progress 1
		.amdhsa_inst_pref_size 1
		.amdhsa_round_robin_scheduling 0
		.amdhsa_exception_fp_ieee_invalid_op 0
		.amdhsa_exception_fp_denorm_src 0
		.amdhsa_exception_fp_ieee_div_zero 0
		.amdhsa_exception_fp_ieee_overflow 0
		.amdhsa_exception_fp_ieee_underflow 0
		.amdhsa_exception_fp_ieee_inexact 0
		.amdhsa_exception_int_div_zero 0
	.end_amdhsa_kernel
	.section	.text._Z39paged_attention_ll4mi_QKV_mfma16_kernelIDF16_DF16_LN4vllm18Fp8KVCacheDataTypeE0EDF16_Li16ELi128ELi256ELb1ELi12EEvPKT_PKT0_S7_ifPKiS9_S9_iPKfiiiPfSC_PS2_PT2_iSB_SB_,"axG",@progbits,_Z39paged_attention_ll4mi_QKV_mfma16_kernelIDF16_DF16_LN4vllm18Fp8KVCacheDataTypeE0EDF16_Li16ELi128ELi256ELb1ELi12EEvPKT_PKT0_S7_ifPKiS9_S9_iPKfiiiPfSC_PS2_PT2_iSB_SB_,comdat
.Lfunc_end261:
	.size	_Z39paged_attention_ll4mi_QKV_mfma16_kernelIDF16_DF16_LN4vllm18Fp8KVCacheDataTypeE0EDF16_Li16ELi128ELi256ELb1ELi12EEvPKT_PKT0_S7_ifPKiS9_S9_iPKfiiiPfSC_PS2_PT2_iSB_SB_, .Lfunc_end261-_Z39paged_attention_ll4mi_QKV_mfma16_kernelIDF16_DF16_LN4vllm18Fp8KVCacheDataTypeE0EDF16_Li16ELi128ELi256ELb1ELi12EEvPKT_PKT0_S7_ifPKiS9_S9_iPKfiiiPfSC_PS2_PT2_iSB_SB_
                                        ; -- End function
	.set _Z39paged_attention_ll4mi_QKV_mfma16_kernelIDF16_DF16_LN4vllm18Fp8KVCacheDataTypeE0EDF16_Li16ELi128ELi256ELb1ELi12EEvPKT_PKT0_S7_ifPKiS9_S9_iPKfiiiPfSC_PS2_PT2_iSB_SB_.num_vgpr, max(3, .L__assert_fail.num_vgpr)
	.set _Z39paged_attention_ll4mi_QKV_mfma16_kernelIDF16_DF16_LN4vllm18Fp8KVCacheDataTypeE0EDF16_Li16ELi128ELi256ELb1ELi12EEvPKT_PKT0_S7_ifPKiS9_S9_iPKfiiiPfSC_PS2_PT2_iSB_SB_.num_agpr, max(0, .L__assert_fail.num_agpr)
	.set _Z39paged_attention_ll4mi_QKV_mfma16_kernelIDF16_DF16_LN4vllm18Fp8KVCacheDataTypeE0EDF16_Li16ELi128ELi256ELb1ELi12EEvPKT_PKT0_S7_ifPKiS9_S9_iPKfiiiPfSC_PS2_PT2_iSB_SB_.numbered_sgpr, max(33, .L__assert_fail.numbered_sgpr)
	.set _Z39paged_attention_ll4mi_QKV_mfma16_kernelIDF16_DF16_LN4vllm18Fp8KVCacheDataTypeE0EDF16_Li16ELi128ELi256ELb1ELi12EEvPKT_PKT0_S7_ifPKiS9_S9_iPKfiiiPfSC_PS2_PT2_iSB_SB_.num_named_barrier, max(0, .L__assert_fail.num_named_barrier)
	.set _Z39paged_attention_ll4mi_QKV_mfma16_kernelIDF16_DF16_LN4vllm18Fp8KVCacheDataTypeE0EDF16_Li16ELi128ELi256ELb1ELi12EEvPKT_PKT0_S7_ifPKiS9_S9_iPKfiiiPfSC_PS2_PT2_iSB_SB_.private_seg_size, 0+max(.L__assert_fail.private_seg_size)
	.set _Z39paged_attention_ll4mi_QKV_mfma16_kernelIDF16_DF16_LN4vllm18Fp8KVCacheDataTypeE0EDF16_Li16ELi128ELi256ELb1ELi12EEvPKT_PKT0_S7_ifPKiS9_S9_iPKfiiiPfSC_PS2_PT2_iSB_SB_.uses_vcc, or(1, .L__assert_fail.uses_vcc)
	.set _Z39paged_attention_ll4mi_QKV_mfma16_kernelIDF16_DF16_LN4vllm18Fp8KVCacheDataTypeE0EDF16_Li16ELi128ELi256ELb1ELi12EEvPKT_PKT0_S7_ifPKiS9_S9_iPKfiiiPfSC_PS2_PT2_iSB_SB_.uses_flat_scratch, or(0, .L__assert_fail.uses_flat_scratch)
	.set _Z39paged_attention_ll4mi_QKV_mfma16_kernelIDF16_DF16_LN4vllm18Fp8KVCacheDataTypeE0EDF16_Li16ELi128ELi256ELb1ELi12EEvPKT_PKT0_S7_ifPKiS9_S9_iPKfiiiPfSC_PS2_PT2_iSB_SB_.has_dyn_sized_stack, or(0, .L__assert_fail.has_dyn_sized_stack)
	.set _Z39paged_attention_ll4mi_QKV_mfma16_kernelIDF16_DF16_LN4vllm18Fp8KVCacheDataTypeE0EDF16_Li16ELi128ELi256ELb1ELi12EEvPKT_PKT0_S7_ifPKiS9_S9_iPKfiiiPfSC_PS2_PT2_iSB_SB_.has_recursion, or(0, .L__assert_fail.has_recursion)
	.set _Z39paged_attention_ll4mi_QKV_mfma16_kernelIDF16_DF16_LN4vllm18Fp8KVCacheDataTypeE0EDF16_Li16ELi128ELi256ELb1ELi12EEvPKT_PKT0_S7_ifPKiS9_S9_iPKfiiiPfSC_PS2_PT2_iSB_SB_.has_indirect_call, or(0, .L__assert_fail.has_indirect_call)
	.section	.AMDGPU.csdata,"",@progbits
; Kernel info:
; codeLenInByte = 68
; TotalNumSgprs: 36
; NumVgprs: 51
; ScratchSize: 64
; MemoryBound: 0
; FloatMode: 240
; IeeeMode: 1
; LDSByteSize: 0 bytes/workgroup (compile time only)
; SGPRBlocks: 0
; VGPRBlocks: 3
; NumSGPRsForWavesPerEU: 36
; NumVGPRsForWavesPerEU: 51
; NamedBarCnt: 0
; Occupancy: 16
; WaveLimiterHint : 1
; COMPUTE_PGM_RSRC2:SCRATCH_EN: 1
; COMPUTE_PGM_RSRC2:USER_SGPR: 2
; COMPUTE_PGM_RSRC2:TRAP_HANDLER: 0
; COMPUTE_PGM_RSRC2:TGID_X_EN: 1
; COMPUTE_PGM_RSRC2:TGID_Y_EN: 0
; COMPUTE_PGM_RSRC2:TGID_Z_EN: 0
; COMPUTE_PGM_RSRC2:TIDIG_COMP_CNT: 0
	.section	.text._Z39paged_attention_ll4mi_QKV_mfma16_kernelIDF16_DF16_LN4vllm18Fp8KVCacheDataTypeE0EDF16_Li16ELi128ELi256ELb1ELi13EEvPKT_PKT0_S7_ifPKiS9_S9_iPKfiiiPfSC_PS2_PT2_iSB_SB_,"axG",@progbits,_Z39paged_attention_ll4mi_QKV_mfma16_kernelIDF16_DF16_LN4vllm18Fp8KVCacheDataTypeE0EDF16_Li16ELi128ELi256ELb1ELi13EEvPKT_PKT0_S7_ifPKiS9_S9_iPKfiiiPfSC_PS2_PT2_iSB_SB_,comdat
	.protected	_Z39paged_attention_ll4mi_QKV_mfma16_kernelIDF16_DF16_LN4vllm18Fp8KVCacheDataTypeE0EDF16_Li16ELi128ELi256ELb1ELi13EEvPKT_PKT0_S7_ifPKiS9_S9_iPKfiiiPfSC_PS2_PT2_iSB_SB_ ; -- Begin function _Z39paged_attention_ll4mi_QKV_mfma16_kernelIDF16_DF16_LN4vllm18Fp8KVCacheDataTypeE0EDF16_Li16ELi128ELi256ELb1ELi13EEvPKT_PKT0_S7_ifPKiS9_S9_iPKfiiiPfSC_PS2_PT2_iSB_SB_
	.globl	_Z39paged_attention_ll4mi_QKV_mfma16_kernelIDF16_DF16_LN4vllm18Fp8KVCacheDataTypeE0EDF16_Li16ELi128ELi256ELb1ELi13EEvPKT_PKT0_S7_ifPKiS9_S9_iPKfiiiPfSC_PS2_PT2_iSB_SB_
	.p2align	8
	.type	_Z39paged_attention_ll4mi_QKV_mfma16_kernelIDF16_DF16_LN4vllm18Fp8KVCacheDataTypeE0EDF16_Li16ELi128ELi256ELb1ELi13EEvPKT_PKT0_S7_ifPKiS9_S9_iPKfiiiPfSC_PS2_PT2_iSB_SB_,@function
_Z39paged_attention_ll4mi_QKV_mfma16_kernelIDF16_DF16_LN4vllm18Fp8KVCacheDataTypeE0EDF16_Li16ELi128ELi256ELb1ELi13EEvPKT_PKT0_S7_ifPKiS9_S9_iPKfiiiPfSC_PS2_PT2_iSB_SB_: ; @_Z39paged_attention_ll4mi_QKV_mfma16_kernelIDF16_DF16_LN4vllm18Fp8KVCacheDataTypeE0EDF16_Li16ELi128ELi256ELb1ELi13EEvPKT_PKT0_S7_ifPKiS9_S9_iPKfiiiPfSC_PS2_PT2_iSB_SB_
; %bb.0:
	s_get_pc_i64 s[2:3]
	s_add_nc_u64 s[2:3], s[2:3], __PRETTY_FUNCTION__._Z39paged_attention_ll4mi_QKV_mfma16_kernelIDF16_DF16_LN4vllm18Fp8KVCacheDataTypeE0EDF16_Li16ELi128ELi256ELb1ELi13EEvPKT_PKT0_S7_ifPKiS9_S9_iPKfiiiPfSC_PS2_PT2_iSB_SB_@rel64+4
	s_delay_alu instid0(SALU_CYCLE_1)
	v_dual_mov_b32 v0, 0xbb3 :: v_dual_mov_b32 v1, s2
	v_mov_b32_e32 v2, s3
	s_add_nc_u64 s[8:9], s[0:1], 0x90
	s_get_pc_i64 s[0:1]
	s_add_nc_u64 s[0:1], s[0:1], __assert_fail@rel64+4
	s_mov_b32 s32, 0
	s_swap_pc_i64 s[30:31], s[0:1]
	.section	.rodata,"a",@progbits
	.p2align	6, 0x0
	.amdhsa_kernel _Z39paged_attention_ll4mi_QKV_mfma16_kernelIDF16_DF16_LN4vllm18Fp8KVCacheDataTypeE0EDF16_Li16ELi128ELi256ELb1ELi13EEvPKT_PKT0_S7_ifPKiS9_S9_iPKfiiiPfSC_PS2_PT2_iSB_SB_
		.amdhsa_group_segment_fixed_size 0
		.amdhsa_private_segment_fixed_size 64
		.amdhsa_kernarg_size 400
		.amdhsa_user_sgpr_count 2
		.amdhsa_user_sgpr_dispatch_ptr 0
		.amdhsa_user_sgpr_queue_ptr 0
		.amdhsa_user_sgpr_kernarg_segment_ptr 1
		.amdhsa_user_sgpr_dispatch_id 0
		.amdhsa_user_sgpr_kernarg_preload_length 0
		.amdhsa_user_sgpr_kernarg_preload_offset 0
		.amdhsa_user_sgpr_private_segment_size 0
		.amdhsa_wavefront_size32 1
		.amdhsa_uses_dynamic_stack 0
		.amdhsa_enable_private_segment 1
		.amdhsa_system_sgpr_workgroup_id_x 1
		.amdhsa_system_sgpr_workgroup_id_y 0
		.amdhsa_system_sgpr_workgroup_id_z 0
		.amdhsa_system_sgpr_workgroup_info 0
		.amdhsa_system_vgpr_workitem_id 0
		.amdhsa_next_free_vgpr 51
		.amdhsa_next_free_sgpr 34
		.amdhsa_named_barrier_count 0
		.amdhsa_reserve_vcc 1
		.amdhsa_float_round_mode_32 0
		.amdhsa_float_round_mode_16_64 0
		.amdhsa_float_denorm_mode_32 3
		.amdhsa_float_denorm_mode_16_64 3
		.amdhsa_fp16_overflow 0
		.amdhsa_memory_ordered 1
		.amdhsa_forward_progress 1
		.amdhsa_inst_pref_size 1
		.amdhsa_round_robin_scheduling 0
		.amdhsa_exception_fp_ieee_invalid_op 0
		.amdhsa_exception_fp_denorm_src 0
		.amdhsa_exception_fp_ieee_div_zero 0
		.amdhsa_exception_fp_ieee_overflow 0
		.amdhsa_exception_fp_ieee_underflow 0
		.amdhsa_exception_fp_ieee_inexact 0
		.amdhsa_exception_int_div_zero 0
	.end_amdhsa_kernel
	.section	.text._Z39paged_attention_ll4mi_QKV_mfma16_kernelIDF16_DF16_LN4vllm18Fp8KVCacheDataTypeE0EDF16_Li16ELi128ELi256ELb1ELi13EEvPKT_PKT0_S7_ifPKiS9_S9_iPKfiiiPfSC_PS2_PT2_iSB_SB_,"axG",@progbits,_Z39paged_attention_ll4mi_QKV_mfma16_kernelIDF16_DF16_LN4vllm18Fp8KVCacheDataTypeE0EDF16_Li16ELi128ELi256ELb1ELi13EEvPKT_PKT0_S7_ifPKiS9_S9_iPKfiiiPfSC_PS2_PT2_iSB_SB_,comdat
.Lfunc_end262:
	.size	_Z39paged_attention_ll4mi_QKV_mfma16_kernelIDF16_DF16_LN4vllm18Fp8KVCacheDataTypeE0EDF16_Li16ELi128ELi256ELb1ELi13EEvPKT_PKT0_S7_ifPKiS9_S9_iPKfiiiPfSC_PS2_PT2_iSB_SB_, .Lfunc_end262-_Z39paged_attention_ll4mi_QKV_mfma16_kernelIDF16_DF16_LN4vllm18Fp8KVCacheDataTypeE0EDF16_Li16ELi128ELi256ELb1ELi13EEvPKT_PKT0_S7_ifPKiS9_S9_iPKfiiiPfSC_PS2_PT2_iSB_SB_
                                        ; -- End function
	.set _Z39paged_attention_ll4mi_QKV_mfma16_kernelIDF16_DF16_LN4vllm18Fp8KVCacheDataTypeE0EDF16_Li16ELi128ELi256ELb1ELi13EEvPKT_PKT0_S7_ifPKiS9_S9_iPKfiiiPfSC_PS2_PT2_iSB_SB_.num_vgpr, max(3, .L__assert_fail.num_vgpr)
	.set _Z39paged_attention_ll4mi_QKV_mfma16_kernelIDF16_DF16_LN4vllm18Fp8KVCacheDataTypeE0EDF16_Li16ELi128ELi256ELb1ELi13EEvPKT_PKT0_S7_ifPKiS9_S9_iPKfiiiPfSC_PS2_PT2_iSB_SB_.num_agpr, max(0, .L__assert_fail.num_agpr)
	.set _Z39paged_attention_ll4mi_QKV_mfma16_kernelIDF16_DF16_LN4vllm18Fp8KVCacheDataTypeE0EDF16_Li16ELi128ELi256ELb1ELi13EEvPKT_PKT0_S7_ifPKiS9_S9_iPKfiiiPfSC_PS2_PT2_iSB_SB_.numbered_sgpr, max(33, .L__assert_fail.numbered_sgpr)
	.set _Z39paged_attention_ll4mi_QKV_mfma16_kernelIDF16_DF16_LN4vllm18Fp8KVCacheDataTypeE0EDF16_Li16ELi128ELi256ELb1ELi13EEvPKT_PKT0_S7_ifPKiS9_S9_iPKfiiiPfSC_PS2_PT2_iSB_SB_.num_named_barrier, max(0, .L__assert_fail.num_named_barrier)
	.set _Z39paged_attention_ll4mi_QKV_mfma16_kernelIDF16_DF16_LN4vllm18Fp8KVCacheDataTypeE0EDF16_Li16ELi128ELi256ELb1ELi13EEvPKT_PKT0_S7_ifPKiS9_S9_iPKfiiiPfSC_PS2_PT2_iSB_SB_.private_seg_size, 0+max(.L__assert_fail.private_seg_size)
	.set _Z39paged_attention_ll4mi_QKV_mfma16_kernelIDF16_DF16_LN4vllm18Fp8KVCacheDataTypeE0EDF16_Li16ELi128ELi256ELb1ELi13EEvPKT_PKT0_S7_ifPKiS9_S9_iPKfiiiPfSC_PS2_PT2_iSB_SB_.uses_vcc, or(1, .L__assert_fail.uses_vcc)
	.set _Z39paged_attention_ll4mi_QKV_mfma16_kernelIDF16_DF16_LN4vllm18Fp8KVCacheDataTypeE0EDF16_Li16ELi128ELi256ELb1ELi13EEvPKT_PKT0_S7_ifPKiS9_S9_iPKfiiiPfSC_PS2_PT2_iSB_SB_.uses_flat_scratch, or(0, .L__assert_fail.uses_flat_scratch)
	.set _Z39paged_attention_ll4mi_QKV_mfma16_kernelIDF16_DF16_LN4vllm18Fp8KVCacheDataTypeE0EDF16_Li16ELi128ELi256ELb1ELi13EEvPKT_PKT0_S7_ifPKiS9_S9_iPKfiiiPfSC_PS2_PT2_iSB_SB_.has_dyn_sized_stack, or(0, .L__assert_fail.has_dyn_sized_stack)
	.set _Z39paged_attention_ll4mi_QKV_mfma16_kernelIDF16_DF16_LN4vllm18Fp8KVCacheDataTypeE0EDF16_Li16ELi128ELi256ELb1ELi13EEvPKT_PKT0_S7_ifPKiS9_S9_iPKfiiiPfSC_PS2_PT2_iSB_SB_.has_recursion, or(0, .L__assert_fail.has_recursion)
	.set _Z39paged_attention_ll4mi_QKV_mfma16_kernelIDF16_DF16_LN4vllm18Fp8KVCacheDataTypeE0EDF16_Li16ELi128ELi256ELb1ELi13EEvPKT_PKT0_S7_ifPKiS9_S9_iPKfiiiPfSC_PS2_PT2_iSB_SB_.has_indirect_call, or(0, .L__assert_fail.has_indirect_call)
	.section	.AMDGPU.csdata,"",@progbits
; Kernel info:
; codeLenInByte = 68
; TotalNumSgprs: 36
; NumVgprs: 51
; ScratchSize: 64
; MemoryBound: 0
; FloatMode: 240
; IeeeMode: 1
; LDSByteSize: 0 bytes/workgroup (compile time only)
; SGPRBlocks: 0
; VGPRBlocks: 3
; NumSGPRsForWavesPerEU: 36
; NumVGPRsForWavesPerEU: 51
; NamedBarCnt: 0
; Occupancy: 16
; WaveLimiterHint : 1
; COMPUTE_PGM_RSRC2:SCRATCH_EN: 1
; COMPUTE_PGM_RSRC2:USER_SGPR: 2
; COMPUTE_PGM_RSRC2:TRAP_HANDLER: 0
; COMPUTE_PGM_RSRC2:TGID_X_EN: 1
; COMPUTE_PGM_RSRC2:TGID_Y_EN: 0
; COMPUTE_PGM_RSRC2:TGID_Z_EN: 0
; COMPUTE_PGM_RSRC2:TIDIG_COMP_CNT: 0
	.section	.text._Z39paged_attention_ll4mi_QKV_mfma16_kernelIDF16_DF16_LN4vllm18Fp8KVCacheDataTypeE0EDF16_Li16ELi128ELi256ELb1ELi14EEvPKT_PKT0_S7_ifPKiS9_S9_iPKfiiiPfSC_PS2_PT2_iSB_SB_,"axG",@progbits,_Z39paged_attention_ll4mi_QKV_mfma16_kernelIDF16_DF16_LN4vllm18Fp8KVCacheDataTypeE0EDF16_Li16ELi128ELi256ELb1ELi14EEvPKT_PKT0_S7_ifPKiS9_S9_iPKfiiiPfSC_PS2_PT2_iSB_SB_,comdat
	.protected	_Z39paged_attention_ll4mi_QKV_mfma16_kernelIDF16_DF16_LN4vllm18Fp8KVCacheDataTypeE0EDF16_Li16ELi128ELi256ELb1ELi14EEvPKT_PKT0_S7_ifPKiS9_S9_iPKfiiiPfSC_PS2_PT2_iSB_SB_ ; -- Begin function _Z39paged_attention_ll4mi_QKV_mfma16_kernelIDF16_DF16_LN4vllm18Fp8KVCacheDataTypeE0EDF16_Li16ELi128ELi256ELb1ELi14EEvPKT_PKT0_S7_ifPKiS9_S9_iPKfiiiPfSC_PS2_PT2_iSB_SB_
	.globl	_Z39paged_attention_ll4mi_QKV_mfma16_kernelIDF16_DF16_LN4vllm18Fp8KVCacheDataTypeE0EDF16_Li16ELi128ELi256ELb1ELi14EEvPKT_PKT0_S7_ifPKiS9_S9_iPKfiiiPfSC_PS2_PT2_iSB_SB_
	.p2align	8
	.type	_Z39paged_attention_ll4mi_QKV_mfma16_kernelIDF16_DF16_LN4vllm18Fp8KVCacheDataTypeE0EDF16_Li16ELi128ELi256ELb1ELi14EEvPKT_PKT0_S7_ifPKiS9_S9_iPKfiiiPfSC_PS2_PT2_iSB_SB_,@function
_Z39paged_attention_ll4mi_QKV_mfma16_kernelIDF16_DF16_LN4vllm18Fp8KVCacheDataTypeE0EDF16_Li16ELi128ELi256ELb1ELi14EEvPKT_PKT0_S7_ifPKiS9_S9_iPKfiiiPfSC_PS2_PT2_iSB_SB_: ; @_Z39paged_attention_ll4mi_QKV_mfma16_kernelIDF16_DF16_LN4vllm18Fp8KVCacheDataTypeE0EDF16_Li16ELi128ELi256ELb1ELi14EEvPKT_PKT0_S7_ifPKiS9_S9_iPKfiiiPfSC_PS2_PT2_iSB_SB_
; %bb.0:
	s_get_pc_i64 s[2:3]
	s_add_nc_u64 s[2:3], s[2:3], __PRETTY_FUNCTION__._Z39paged_attention_ll4mi_QKV_mfma16_kernelIDF16_DF16_LN4vllm18Fp8KVCacheDataTypeE0EDF16_Li16ELi128ELi256ELb1ELi14EEvPKT_PKT0_S7_ifPKiS9_S9_iPKfiiiPfSC_PS2_PT2_iSB_SB_@rel64+4
	s_delay_alu instid0(SALU_CYCLE_1)
	v_dual_mov_b32 v0, 0xbb3 :: v_dual_mov_b32 v1, s2
	v_mov_b32_e32 v2, s3
	s_add_nc_u64 s[8:9], s[0:1], 0x90
	s_get_pc_i64 s[0:1]
	s_add_nc_u64 s[0:1], s[0:1], __assert_fail@rel64+4
	s_mov_b32 s32, 0
	s_swap_pc_i64 s[30:31], s[0:1]
	.section	.rodata,"a",@progbits
	.p2align	6, 0x0
	.amdhsa_kernel _Z39paged_attention_ll4mi_QKV_mfma16_kernelIDF16_DF16_LN4vllm18Fp8KVCacheDataTypeE0EDF16_Li16ELi128ELi256ELb1ELi14EEvPKT_PKT0_S7_ifPKiS9_S9_iPKfiiiPfSC_PS2_PT2_iSB_SB_
		.amdhsa_group_segment_fixed_size 0
		.amdhsa_private_segment_fixed_size 64
		.amdhsa_kernarg_size 400
		.amdhsa_user_sgpr_count 2
		.amdhsa_user_sgpr_dispatch_ptr 0
		.amdhsa_user_sgpr_queue_ptr 0
		.amdhsa_user_sgpr_kernarg_segment_ptr 1
		.amdhsa_user_sgpr_dispatch_id 0
		.amdhsa_user_sgpr_kernarg_preload_length 0
		.amdhsa_user_sgpr_kernarg_preload_offset 0
		.amdhsa_user_sgpr_private_segment_size 0
		.amdhsa_wavefront_size32 1
		.amdhsa_uses_dynamic_stack 0
		.amdhsa_enable_private_segment 1
		.amdhsa_system_sgpr_workgroup_id_x 1
		.amdhsa_system_sgpr_workgroup_id_y 0
		.amdhsa_system_sgpr_workgroup_id_z 0
		.amdhsa_system_sgpr_workgroup_info 0
		.amdhsa_system_vgpr_workitem_id 0
		.amdhsa_next_free_vgpr 51
		.amdhsa_next_free_sgpr 34
		.amdhsa_named_barrier_count 0
		.amdhsa_reserve_vcc 1
		.amdhsa_float_round_mode_32 0
		.amdhsa_float_round_mode_16_64 0
		.amdhsa_float_denorm_mode_32 3
		.amdhsa_float_denorm_mode_16_64 3
		.amdhsa_fp16_overflow 0
		.amdhsa_memory_ordered 1
		.amdhsa_forward_progress 1
		.amdhsa_inst_pref_size 1
		.amdhsa_round_robin_scheduling 0
		.amdhsa_exception_fp_ieee_invalid_op 0
		.amdhsa_exception_fp_denorm_src 0
		.amdhsa_exception_fp_ieee_div_zero 0
		.amdhsa_exception_fp_ieee_overflow 0
		.amdhsa_exception_fp_ieee_underflow 0
		.amdhsa_exception_fp_ieee_inexact 0
		.amdhsa_exception_int_div_zero 0
	.end_amdhsa_kernel
	.section	.text._Z39paged_attention_ll4mi_QKV_mfma16_kernelIDF16_DF16_LN4vllm18Fp8KVCacheDataTypeE0EDF16_Li16ELi128ELi256ELb1ELi14EEvPKT_PKT0_S7_ifPKiS9_S9_iPKfiiiPfSC_PS2_PT2_iSB_SB_,"axG",@progbits,_Z39paged_attention_ll4mi_QKV_mfma16_kernelIDF16_DF16_LN4vllm18Fp8KVCacheDataTypeE0EDF16_Li16ELi128ELi256ELb1ELi14EEvPKT_PKT0_S7_ifPKiS9_S9_iPKfiiiPfSC_PS2_PT2_iSB_SB_,comdat
.Lfunc_end263:
	.size	_Z39paged_attention_ll4mi_QKV_mfma16_kernelIDF16_DF16_LN4vllm18Fp8KVCacheDataTypeE0EDF16_Li16ELi128ELi256ELb1ELi14EEvPKT_PKT0_S7_ifPKiS9_S9_iPKfiiiPfSC_PS2_PT2_iSB_SB_, .Lfunc_end263-_Z39paged_attention_ll4mi_QKV_mfma16_kernelIDF16_DF16_LN4vllm18Fp8KVCacheDataTypeE0EDF16_Li16ELi128ELi256ELb1ELi14EEvPKT_PKT0_S7_ifPKiS9_S9_iPKfiiiPfSC_PS2_PT2_iSB_SB_
                                        ; -- End function
	.set _Z39paged_attention_ll4mi_QKV_mfma16_kernelIDF16_DF16_LN4vllm18Fp8KVCacheDataTypeE0EDF16_Li16ELi128ELi256ELb1ELi14EEvPKT_PKT0_S7_ifPKiS9_S9_iPKfiiiPfSC_PS2_PT2_iSB_SB_.num_vgpr, max(3, .L__assert_fail.num_vgpr)
	.set _Z39paged_attention_ll4mi_QKV_mfma16_kernelIDF16_DF16_LN4vllm18Fp8KVCacheDataTypeE0EDF16_Li16ELi128ELi256ELb1ELi14EEvPKT_PKT0_S7_ifPKiS9_S9_iPKfiiiPfSC_PS2_PT2_iSB_SB_.num_agpr, max(0, .L__assert_fail.num_agpr)
	.set _Z39paged_attention_ll4mi_QKV_mfma16_kernelIDF16_DF16_LN4vllm18Fp8KVCacheDataTypeE0EDF16_Li16ELi128ELi256ELb1ELi14EEvPKT_PKT0_S7_ifPKiS9_S9_iPKfiiiPfSC_PS2_PT2_iSB_SB_.numbered_sgpr, max(33, .L__assert_fail.numbered_sgpr)
	.set _Z39paged_attention_ll4mi_QKV_mfma16_kernelIDF16_DF16_LN4vllm18Fp8KVCacheDataTypeE0EDF16_Li16ELi128ELi256ELb1ELi14EEvPKT_PKT0_S7_ifPKiS9_S9_iPKfiiiPfSC_PS2_PT2_iSB_SB_.num_named_barrier, max(0, .L__assert_fail.num_named_barrier)
	.set _Z39paged_attention_ll4mi_QKV_mfma16_kernelIDF16_DF16_LN4vllm18Fp8KVCacheDataTypeE0EDF16_Li16ELi128ELi256ELb1ELi14EEvPKT_PKT0_S7_ifPKiS9_S9_iPKfiiiPfSC_PS2_PT2_iSB_SB_.private_seg_size, 0+max(.L__assert_fail.private_seg_size)
	.set _Z39paged_attention_ll4mi_QKV_mfma16_kernelIDF16_DF16_LN4vllm18Fp8KVCacheDataTypeE0EDF16_Li16ELi128ELi256ELb1ELi14EEvPKT_PKT0_S7_ifPKiS9_S9_iPKfiiiPfSC_PS2_PT2_iSB_SB_.uses_vcc, or(1, .L__assert_fail.uses_vcc)
	.set _Z39paged_attention_ll4mi_QKV_mfma16_kernelIDF16_DF16_LN4vllm18Fp8KVCacheDataTypeE0EDF16_Li16ELi128ELi256ELb1ELi14EEvPKT_PKT0_S7_ifPKiS9_S9_iPKfiiiPfSC_PS2_PT2_iSB_SB_.uses_flat_scratch, or(0, .L__assert_fail.uses_flat_scratch)
	.set _Z39paged_attention_ll4mi_QKV_mfma16_kernelIDF16_DF16_LN4vllm18Fp8KVCacheDataTypeE0EDF16_Li16ELi128ELi256ELb1ELi14EEvPKT_PKT0_S7_ifPKiS9_S9_iPKfiiiPfSC_PS2_PT2_iSB_SB_.has_dyn_sized_stack, or(0, .L__assert_fail.has_dyn_sized_stack)
	.set _Z39paged_attention_ll4mi_QKV_mfma16_kernelIDF16_DF16_LN4vllm18Fp8KVCacheDataTypeE0EDF16_Li16ELi128ELi256ELb1ELi14EEvPKT_PKT0_S7_ifPKiS9_S9_iPKfiiiPfSC_PS2_PT2_iSB_SB_.has_recursion, or(0, .L__assert_fail.has_recursion)
	.set _Z39paged_attention_ll4mi_QKV_mfma16_kernelIDF16_DF16_LN4vllm18Fp8KVCacheDataTypeE0EDF16_Li16ELi128ELi256ELb1ELi14EEvPKT_PKT0_S7_ifPKiS9_S9_iPKfiiiPfSC_PS2_PT2_iSB_SB_.has_indirect_call, or(0, .L__assert_fail.has_indirect_call)
	.section	.AMDGPU.csdata,"",@progbits
; Kernel info:
; codeLenInByte = 68
; TotalNumSgprs: 36
; NumVgprs: 51
; ScratchSize: 64
; MemoryBound: 0
; FloatMode: 240
; IeeeMode: 1
; LDSByteSize: 0 bytes/workgroup (compile time only)
; SGPRBlocks: 0
; VGPRBlocks: 3
; NumSGPRsForWavesPerEU: 36
; NumVGPRsForWavesPerEU: 51
; NamedBarCnt: 0
; Occupancy: 16
; WaveLimiterHint : 1
; COMPUTE_PGM_RSRC2:SCRATCH_EN: 1
; COMPUTE_PGM_RSRC2:USER_SGPR: 2
; COMPUTE_PGM_RSRC2:TRAP_HANDLER: 0
; COMPUTE_PGM_RSRC2:TGID_X_EN: 1
; COMPUTE_PGM_RSRC2:TGID_Y_EN: 0
; COMPUTE_PGM_RSRC2:TGID_Z_EN: 0
; COMPUTE_PGM_RSRC2:TIDIG_COMP_CNT: 0
	.section	.text._Z39paged_attention_ll4mi_QKV_mfma16_kernelIDF16_DF16_LN4vllm18Fp8KVCacheDataTypeE0EDF16_Li16ELi128ELi256ELb1ELi15EEvPKT_PKT0_S7_ifPKiS9_S9_iPKfiiiPfSC_PS2_PT2_iSB_SB_,"axG",@progbits,_Z39paged_attention_ll4mi_QKV_mfma16_kernelIDF16_DF16_LN4vllm18Fp8KVCacheDataTypeE0EDF16_Li16ELi128ELi256ELb1ELi15EEvPKT_PKT0_S7_ifPKiS9_S9_iPKfiiiPfSC_PS2_PT2_iSB_SB_,comdat
	.protected	_Z39paged_attention_ll4mi_QKV_mfma16_kernelIDF16_DF16_LN4vllm18Fp8KVCacheDataTypeE0EDF16_Li16ELi128ELi256ELb1ELi15EEvPKT_PKT0_S7_ifPKiS9_S9_iPKfiiiPfSC_PS2_PT2_iSB_SB_ ; -- Begin function _Z39paged_attention_ll4mi_QKV_mfma16_kernelIDF16_DF16_LN4vllm18Fp8KVCacheDataTypeE0EDF16_Li16ELi128ELi256ELb1ELi15EEvPKT_PKT0_S7_ifPKiS9_S9_iPKfiiiPfSC_PS2_PT2_iSB_SB_
	.globl	_Z39paged_attention_ll4mi_QKV_mfma16_kernelIDF16_DF16_LN4vllm18Fp8KVCacheDataTypeE0EDF16_Li16ELi128ELi256ELb1ELi15EEvPKT_PKT0_S7_ifPKiS9_S9_iPKfiiiPfSC_PS2_PT2_iSB_SB_
	.p2align	8
	.type	_Z39paged_attention_ll4mi_QKV_mfma16_kernelIDF16_DF16_LN4vllm18Fp8KVCacheDataTypeE0EDF16_Li16ELi128ELi256ELb1ELi15EEvPKT_PKT0_S7_ifPKiS9_S9_iPKfiiiPfSC_PS2_PT2_iSB_SB_,@function
_Z39paged_attention_ll4mi_QKV_mfma16_kernelIDF16_DF16_LN4vllm18Fp8KVCacheDataTypeE0EDF16_Li16ELi128ELi256ELb1ELi15EEvPKT_PKT0_S7_ifPKiS9_S9_iPKfiiiPfSC_PS2_PT2_iSB_SB_: ; @_Z39paged_attention_ll4mi_QKV_mfma16_kernelIDF16_DF16_LN4vllm18Fp8KVCacheDataTypeE0EDF16_Li16ELi128ELi256ELb1ELi15EEvPKT_PKT0_S7_ifPKiS9_S9_iPKfiiiPfSC_PS2_PT2_iSB_SB_
; %bb.0:
	s_get_pc_i64 s[2:3]
	s_add_nc_u64 s[2:3], s[2:3], __PRETTY_FUNCTION__._Z39paged_attention_ll4mi_QKV_mfma16_kernelIDF16_DF16_LN4vllm18Fp8KVCacheDataTypeE0EDF16_Li16ELi128ELi256ELb1ELi15EEvPKT_PKT0_S7_ifPKiS9_S9_iPKfiiiPfSC_PS2_PT2_iSB_SB_@rel64+4
	s_delay_alu instid0(SALU_CYCLE_1)
	v_dual_mov_b32 v0, 0xbb3 :: v_dual_mov_b32 v1, s2
	v_mov_b32_e32 v2, s3
	s_add_nc_u64 s[8:9], s[0:1], 0x90
	s_get_pc_i64 s[0:1]
	s_add_nc_u64 s[0:1], s[0:1], __assert_fail@rel64+4
	s_mov_b32 s32, 0
	s_swap_pc_i64 s[30:31], s[0:1]
	.section	.rodata,"a",@progbits
	.p2align	6, 0x0
	.amdhsa_kernel _Z39paged_attention_ll4mi_QKV_mfma16_kernelIDF16_DF16_LN4vllm18Fp8KVCacheDataTypeE0EDF16_Li16ELi128ELi256ELb1ELi15EEvPKT_PKT0_S7_ifPKiS9_S9_iPKfiiiPfSC_PS2_PT2_iSB_SB_
		.amdhsa_group_segment_fixed_size 0
		.amdhsa_private_segment_fixed_size 64
		.amdhsa_kernarg_size 400
		.amdhsa_user_sgpr_count 2
		.amdhsa_user_sgpr_dispatch_ptr 0
		.amdhsa_user_sgpr_queue_ptr 0
		.amdhsa_user_sgpr_kernarg_segment_ptr 1
		.amdhsa_user_sgpr_dispatch_id 0
		.amdhsa_user_sgpr_kernarg_preload_length 0
		.amdhsa_user_sgpr_kernarg_preload_offset 0
		.amdhsa_user_sgpr_private_segment_size 0
		.amdhsa_wavefront_size32 1
		.amdhsa_uses_dynamic_stack 0
		.amdhsa_enable_private_segment 1
		.amdhsa_system_sgpr_workgroup_id_x 1
		.amdhsa_system_sgpr_workgroup_id_y 0
		.amdhsa_system_sgpr_workgroup_id_z 0
		.amdhsa_system_sgpr_workgroup_info 0
		.amdhsa_system_vgpr_workitem_id 0
		.amdhsa_next_free_vgpr 51
		.amdhsa_next_free_sgpr 34
		.amdhsa_named_barrier_count 0
		.amdhsa_reserve_vcc 1
		.amdhsa_float_round_mode_32 0
		.amdhsa_float_round_mode_16_64 0
		.amdhsa_float_denorm_mode_32 3
		.amdhsa_float_denorm_mode_16_64 3
		.amdhsa_fp16_overflow 0
		.amdhsa_memory_ordered 1
		.amdhsa_forward_progress 1
		.amdhsa_inst_pref_size 1
		.amdhsa_round_robin_scheduling 0
		.amdhsa_exception_fp_ieee_invalid_op 0
		.amdhsa_exception_fp_denorm_src 0
		.amdhsa_exception_fp_ieee_div_zero 0
		.amdhsa_exception_fp_ieee_overflow 0
		.amdhsa_exception_fp_ieee_underflow 0
		.amdhsa_exception_fp_ieee_inexact 0
		.amdhsa_exception_int_div_zero 0
	.end_amdhsa_kernel
	.section	.text._Z39paged_attention_ll4mi_QKV_mfma16_kernelIDF16_DF16_LN4vllm18Fp8KVCacheDataTypeE0EDF16_Li16ELi128ELi256ELb1ELi15EEvPKT_PKT0_S7_ifPKiS9_S9_iPKfiiiPfSC_PS2_PT2_iSB_SB_,"axG",@progbits,_Z39paged_attention_ll4mi_QKV_mfma16_kernelIDF16_DF16_LN4vllm18Fp8KVCacheDataTypeE0EDF16_Li16ELi128ELi256ELb1ELi15EEvPKT_PKT0_S7_ifPKiS9_S9_iPKfiiiPfSC_PS2_PT2_iSB_SB_,comdat
.Lfunc_end264:
	.size	_Z39paged_attention_ll4mi_QKV_mfma16_kernelIDF16_DF16_LN4vllm18Fp8KVCacheDataTypeE0EDF16_Li16ELi128ELi256ELb1ELi15EEvPKT_PKT0_S7_ifPKiS9_S9_iPKfiiiPfSC_PS2_PT2_iSB_SB_, .Lfunc_end264-_Z39paged_attention_ll4mi_QKV_mfma16_kernelIDF16_DF16_LN4vllm18Fp8KVCacheDataTypeE0EDF16_Li16ELi128ELi256ELb1ELi15EEvPKT_PKT0_S7_ifPKiS9_S9_iPKfiiiPfSC_PS2_PT2_iSB_SB_
                                        ; -- End function
	.set _Z39paged_attention_ll4mi_QKV_mfma16_kernelIDF16_DF16_LN4vllm18Fp8KVCacheDataTypeE0EDF16_Li16ELi128ELi256ELb1ELi15EEvPKT_PKT0_S7_ifPKiS9_S9_iPKfiiiPfSC_PS2_PT2_iSB_SB_.num_vgpr, max(3, .L__assert_fail.num_vgpr)
	.set _Z39paged_attention_ll4mi_QKV_mfma16_kernelIDF16_DF16_LN4vllm18Fp8KVCacheDataTypeE0EDF16_Li16ELi128ELi256ELb1ELi15EEvPKT_PKT0_S7_ifPKiS9_S9_iPKfiiiPfSC_PS2_PT2_iSB_SB_.num_agpr, max(0, .L__assert_fail.num_agpr)
	.set _Z39paged_attention_ll4mi_QKV_mfma16_kernelIDF16_DF16_LN4vllm18Fp8KVCacheDataTypeE0EDF16_Li16ELi128ELi256ELb1ELi15EEvPKT_PKT0_S7_ifPKiS9_S9_iPKfiiiPfSC_PS2_PT2_iSB_SB_.numbered_sgpr, max(33, .L__assert_fail.numbered_sgpr)
	.set _Z39paged_attention_ll4mi_QKV_mfma16_kernelIDF16_DF16_LN4vllm18Fp8KVCacheDataTypeE0EDF16_Li16ELi128ELi256ELb1ELi15EEvPKT_PKT0_S7_ifPKiS9_S9_iPKfiiiPfSC_PS2_PT2_iSB_SB_.num_named_barrier, max(0, .L__assert_fail.num_named_barrier)
	.set _Z39paged_attention_ll4mi_QKV_mfma16_kernelIDF16_DF16_LN4vllm18Fp8KVCacheDataTypeE0EDF16_Li16ELi128ELi256ELb1ELi15EEvPKT_PKT0_S7_ifPKiS9_S9_iPKfiiiPfSC_PS2_PT2_iSB_SB_.private_seg_size, 0+max(.L__assert_fail.private_seg_size)
	.set _Z39paged_attention_ll4mi_QKV_mfma16_kernelIDF16_DF16_LN4vllm18Fp8KVCacheDataTypeE0EDF16_Li16ELi128ELi256ELb1ELi15EEvPKT_PKT0_S7_ifPKiS9_S9_iPKfiiiPfSC_PS2_PT2_iSB_SB_.uses_vcc, or(1, .L__assert_fail.uses_vcc)
	.set _Z39paged_attention_ll4mi_QKV_mfma16_kernelIDF16_DF16_LN4vllm18Fp8KVCacheDataTypeE0EDF16_Li16ELi128ELi256ELb1ELi15EEvPKT_PKT0_S7_ifPKiS9_S9_iPKfiiiPfSC_PS2_PT2_iSB_SB_.uses_flat_scratch, or(0, .L__assert_fail.uses_flat_scratch)
	.set _Z39paged_attention_ll4mi_QKV_mfma16_kernelIDF16_DF16_LN4vllm18Fp8KVCacheDataTypeE0EDF16_Li16ELi128ELi256ELb1ELi15EEvPKT_PKT0_S7_ifPKiS9_S9_iPKfiiiPfSC_PS2_PT2_iSB_SB_.has_dyn_sized_stack, or(0, .L__assert_fail.has_dyn_sized_stack)
	.set _Z39paged_attention_ll4mi_QKV_mfma16_kernelIDF16_DF16_LN4vllm18Fp8KVCacheDataTypeE0EDF16_Li16ELi128ELi256ELb1ELi15EEvPKT_PKT0_S7_ifPKiS9_S9_iPKfiiiPfSC_PS2_PT2_iSB_SB_.has_recursion, or(0, .L__assert_fail.has_recursion)
	.set _Z39paged_attention_ll4mi_QKV_mfma16_kernelIDF16_DF16_LN4vllm18Fp8KVCacheDataTypeE0EDF16_Li16ELi128ELi256ELb1ELi15EEvPKT_PKT0_S7_ifPKiS9_S9_iPKfiiiPfSC_PS2_PT2_iSB_SB_.has_indirect_call, or(0, .L__assert_fail.has_indirect_call)
	.section	.AMDGPU.csdata,"",@progbits
; Kernel info:
; codeLenInByte = 68
; TotalNumSgprs: 36
; NumVgprs: 51
; ScratchSize: 64
; MemoryBound: 0
; FloatMode: 240
; IeeeMode: 1
; LDSByteSize: 0 bytes/workgroup (compile time only)
; SGPRBlocks: 0
; VGPRBlocks: 3
; NumSGPRsForWavesPerEU: 36
; NumVGPRsForWavesPerEU: 51
; NamedBarCnt: 0
; Occupancy: 16
; WaveLimiterHint : 1
; COMPUTE_PGM_RSRC2:SCRATCH_EN: 1
; COMPUTE_PGM_RSRC2:USER_SGPR: 2
; COMPUTE_PGM_RSRC2:TRAP_HANDLER: 0
; COMPUTE_PGM_RSRC2:TGID_X_EN: 1
; COMPUTE_PGM_RSRC2:TGID_Y_EN: 0
; COMPUTE_PGM_RSRC2:TGID_Z_EN: 0
; COMPUTE_PGM_RSRC2:TIDIG_COMP_CNT: 0
	.section	.text._Z39paged_attention_ll4mi_QKV_mfma16_kernelIDF16_DF16_LN4vllm18Fp8KVCacheDataTypeE0EDF16_Li16ELi128ELi256ELb1ELi16EEvPKT_PKT0_S7_ifPKiS9_S9_iPKfiiiPfSC_PS2_PT2_iSB_SB_,"axG",@progbits,_Z39paged_attention_ll4mi_QKV_mfma16_kernelIDF16_DF16_LN4vllm18Fp8KVCacheDataTypeE0EDF16_Li16ELi128ELi256ELb1ELi16EEvPKT_PKT0_S7_ifPKiS9_S9_iPKfiiiPfSC_PS2_PT2_iSB_SB_,comdat
	.protected	_Z39paged_attention_ll4mi_QKV_mfma16_kernelIDF16_DF16_LN4vllm18Fp8KVCacheDataTypeE0EDF16_Li16ELi128ELi256ELb1ELi16EEvPKT_PKT0_S7_ifPKiS9_S9_iPKfiiiPfSC_PS2_PT2_iSB_SB_ ; -- Begin function _Z39paged_attention_ll4mi_QKV_mfma16_kernelIDF16_DF16_LN4vllm18Fp8KVCacheDataTypeE0EDF16_Li16ELi128ELi256ELb1ELi16EEvPKT_PKT0_S7_ifPKiS9_S9_iPKfiiiPfSC_PS2_PT2_iSB_SB_
	.globl	_Z39paged_attention_ll4mi_QKV_mfma16_kernelIDF16_DF16_LN4vllm18Fp8KVCacheDataTypeE0EDF16_Li16ELi128ELi256ELb1ELi16EEvPKT_PKT0_S7_ifPKiS9_S9_iPKfiiiPfSC_PS2_PT2_iSB_SB_
	.p2align	8
	.type	_Z39paged_attention_ll4mi_QKV_mfma16_kernelIDF16_DF16_LN4vllm18Fp8KVCacheDataTypeE0EDF16_Li16ELi128ELi256ELb1ELi16EEvPKT_PKT0_S7_ifPKiS9_S9_iPKfiiiPfSC_PS2_PT2_iSB_SB_,@function
_Z39paged_attention_ll4mi_QKV_mfma16_kernelIDF16_DF16_LN4vllm18Fp8KVCacheDataTypeE0EDF16_Li16ELi128ELi256ELb1ELi16EEvPKT_PKT0_S7_ifPKiS9_S9_iPKfiiiPfSC_PS2_PT2_iSB_SB_: ; @_Z39paged_attention_ll4mi_QKV_mfma16_kernelIDF16_DF16_LN4vllm18Fp8KVCacheDataTypeE0EDF16_Li16ELi128ELi256ELb1ELi16EEvPKT_PKT0_S7_ifPKiS9_S9_iPKfiiiPfSC_PS2_PT2_iSB_SB_
; %bb.0:
	s_get_pc_i64 s[2:3]
	s_add_nc_u64 s[2:3], s[2:3], __PRETTY_FUNCTION__._Z39paged_attention_ll4mi_QKV_mfma16_kernelIDF16_DF16_LN4vllm18Fp8KVCacheDataTypeE0EDF16_Li16ELi128ELi256ELb1ELi16EEvPKT_PKT0_S7_ifPKiS9_S9_iPKfiiiPfSC_PS2_PT2_iSB_SB_@rel64+4
	s_delay_alu instid0(SALU_CYCLE_1)
	v_dual_mov_b32 v0, 0xbb3 :: v_dual_mov_b32 v1, s2
	v_mov_b32_e32 v2, s3
	s_add_nc_u64 s[8:9], s[0:1], 0x90
	s_get_pc_i64 s[0:1]
	s_add_nc_u64 s[0:1], s[0:1], __assert_fail@rel64+4
	s_mov_b32 s32, 0
	s_swap_pc_i64 s[30:31], s[0:1]
	.section	.rodata,"a",@progbits
	.p2align	6, 0x0
	.amdhsa_kernel _Z39paged_attention_ll4mi_QKV_mfma16_kernelIDF16_DF16_LN4vllm18Fp8KVCacheDataTypeE0EDF16_Li16ELi128ELi256ELb1ELi16EEvPKT_PKT0_S7_ifPKiS9_S9_iPKfiiiPfSC_PS2_PT2_iSB_SB_
		.amdhsa_group_segment_fixed_size 0
		.amdhsa_private_segment_fixed_size 64
		.amdhsa_kernarg_size 400
		.amdhsa_user_sgpr_count 2
		.amdhsa_user_sgpr_dispatch_ptr 0
		.amdhsa_user_sgpr_queue_ptr 0
		.amdhsa_user_sgpr_kernarg_segment_ptr 1
		.amdhsa_user_sgpr_dispatch_id 0
		.amdhsa_user_sgpr_kernarg_preload_length 0
		.amdhsa_user_sgpr_kernarg_preload_offset 0
		.amdhsa_user_sgpr_private_segment_size 0
		.amdhsa_wavefront_size32 1
		.amdhsa_uses_dynamic_stack 0
		.amdhsa_enable_private_segment 1
		.amdhsa_system_sgpr_workgroup_id_x 1
		.amdhsa_system_sgpr_workgroup_id_y 0
		.amdhsa_system_sgpr_workgroup_id_z 0
		.amdhsa_system_sgpr_workgroup_info 0
		.amdhsa_system_vgpr_workitem_id 0
		.amdhsa_next_free_vgpr 51
		.amdhsa_next_free_sgpr 34
		.amdhsa_named_barrier_count 0
		.amdhsa_reserve_vcc 1
		.amdhsa_float_round_mode_32 0
		.amdhsa_float_round_mode_16_64 0
		.amdhsa_float_denorm_mode_32 3
		.amdhsa_float_denorm_mode_16_64 3
		.amdhsa_fp16_overflow 0
		.amdhsa_memory_ordered 1
		.amdhsa_forward_progress 1
		.amdhsa_inst_pref_size 1
		.amdhsa_round_robin_scheduling 0
		.amdhsa_exception_fp_ieee_invalid_op 0
		.amdhsa_exception_fp_denorm_src 0
		.amdhsa_exception_fp_ieee_div_zero 0
		.amdhsa_exception_fp_ieee_overflow 0
		.amdhsa_exception_fp_ieee_underflow 0
		.amdhsa_exception_fp_ieee_inexact 0
		.amdhsa_exception_int_div_zero 0
	.end_amdhsa_kernel
	.section	.text._Z39paged_attention_ll4mi_QKV_mfma16_kernelIDF16_DF16_LN4vllm18Fp8KVCacheDataTypeE0EDF16_Li16ELi128ELi256ELb1ELi16EEvPKT_PKT0_S7_ifPKiS9_S9_iPKfiiiPfSC_PS2_PT2_iSB_SB_,"axG",@progbits,_Z39paged_attention_ll4mi_QKV_mfma16_kernelIDF16_DF16_LN4vllm18Fp8KVCacheDataTypeE0EDF16_Li16ELi128ELi256ELb1ELi16EEvPKT_PKT0_S7_ifPKiS9_S9_iPKfiiiPfSC_PS2_PT2_iSB_SB_,comdat
.Lfunc_end265:
	.size	_Z39paged_attention_ll4mi_QKV_mfma16_kernelIDF16_DF16_LN4vllm18Fp8KVCacheDataTypeE0EDF16_Li16ELi128ELi256ELb1ELi16EEvPKT_PKT0_S7_ifPKiS9_S9_iPKfiiiPfSC_PS2_PT2_iSB_SB_, .Lfunc_end265-_Z39paged_attention_ll4mi_QKV_mfma16_kernelIDF16_DF16_LN4vllm18Fp8KVCacheDataTypeE0EDF16_Li16ELi128ELi256ELb1ELi16EEvPKT_PKT0_S7_ifPKiS9_S9_iPKfiiiPfSC_PS2_PT2_iSB_SB_
                                        ; -- End function
	.set _Z39paged_attention_ll4mi_QKV_mfma16_kernelIDF16_DF16_LN4vllm18Fp8KVCacheDataTypeE0EDF16_Li16ELi128ELi256ELb1ELi16EEvPKT_PKT0_S7_ifPKiS9_S9_iPKfiiiPfSC_PS2_PT2_iSB_SB_.num_vgpr, max(3, .L__assert_fail.num_vgpr)
	.set _Z39paged_attention_ll4mi_QKV_mfma16_kernelIDF16_DF16_LN4vllm18Fp8KVCacheDataTypeE0EDF16_Li16ELi128ELi256ELb1ELi16EEvPKT_PKT0_S7_ifPKiS9_S9_iPKfiiiPfSC_PS2_PT2_iSB_SB_.num_agpr, max(0, .L__assert_fail.num_agpr)
	.set _Z39paged_attention_ll4mi_QKV_mfma16_kernelIDF16_DF16_LN4vllm18Fp8KVCacheDataTypeE0EDF16_Li16ELi128ELi256ELb1ELi16EEvPKT_PKT0_S7_ifPKiS9_S9_iPKfiiiPfSC_PS2_PT2_iSB_SB_.numbered_sgpr, max(33, .L__assert_fail.numbered_sgpr)
	.set _Z39paged_attention_ll4mi_QKV_mfma16_kernelIDF16_DF16_LN4vllm18Fp8KVCacheDataTypeE0EDF16_Li16ELi128ELi256ELb1ELi16EEvPKT_PKT0_S7_ifPKiS9_S9_iPKfiiiPfSC_PS2_PT2_iSB_SB_.num_named_barrier, max(0, .L__assert_fail.num_named_barrier)
	.set _Z39paged_attention_ll4mi_QKV_mfma16_kernelIDF16_DF16_LN4vllm18Fp8KVCacheDataTypeE0EDF16_Li16ELi128ELi256ELb1ELi16EEvPKT_PKT0_S7_ifPKiS9_S9_iPKfiiiPfSC_PS2_PT2_iSB_SB_.private_seg_size, 0+max(.L__assert_fail.private_seg_size)
	.set _Z39paged_attention_ll4mi_QKV_mfma16_kernelIDF16_DF16_LN4vllm18Fp8KVCacheDataTypeE0EDF16_Li16ELi128ELi256ELb1ELi16EEvPKT_PKT0_S7_ifPKiS9_S9_iPKfiiiPfSC_PS2_PT2_iSB_SB_.uses_vcc, or(1, .L__assert_fail.uses_vcc)
	.set _Z39paged_attention_ll4mi_QKV_mfma16_kernelIDF16_DF16_LN4vllm18Fp8KVCacheDataTypeE0EDF16_Li16ELi128ELi256ELb1ELi16EEvPKT_PKT0_S7_ifPKiS9_S9_iPKfiiiPfSC_PS2_PT2_iSB_SB_.uses_flat_scratch, or(0, .L__assert_fail.uses_flat_scratch)
	.set _Z39paged_attention_ll4mi_QKV_mfma16_kernelIDF16_DF16_LN4vllm18Fp8KVCacheDataTypeE0EDF16_Li16ELi128ELi256ELb1ELi16EEvPKT_PKT0_S7_ifPKiS9_S9_iPKfiiiPfSC_PS2_PT2_iSB_SB_.has_dyn_sized_stack, or(0, .L__assert_fail.has_dyn_sized_stack)
	.set _Z39paged_attention_ll4mi_QKV_mfma16_kernelIDF16_DF16_LN4vllm18Fp8KVCacheDataTypeE0EDF16_Li16ELi128ELi256ELb1ELi16EEvPKT_PKT0_S7_ifPKiS9_S9_iPKfiiiPfSC_PS2_PT2_iSB_SB_.has_recursion, or(0, .L__assert_fail.has_recursion)
	.set _Z39paged_attention_ll4mi_QKV_mfma16_kernelIDF16_DF16_LN4vllm18Fp8KVCacheDataTypeE0EDF16_Li16ELi128ELi256ELb1ELi16EEvPKT_PKT0_S7_ifPKiS9_S9_iPKfiiiPfSC_PS2_PT2_iSB_SB_.has_indirect_call, or(0, .L__assert_fail.has_indirect_call)
	.section	.AMDGPU.csdata,"",@progbits
; Kernel info:
; codeLenInByte = 68
; TotalNumSgprs: 36
; NumVgprs: 51
; ScratchSize: 64
; MemoryBound: 0
; FloatMode: 240
; IeeeMode: 1
; LDSByteSize: 0 bytes/workgroup (compile time only)
; SGPRBlocks: 0
; VGPRBlocks: 3
; NumSGPRsForWavesPerEU: 36
; NumVGPRsForWavesPerEU: 51
; NamedBarCnt: 0
; Occupancy: 16
; WaveLimiterHint : 1
; COMPUTE_PGM_RSRC2:SCRATCH_EN: 1
; COMPUTE_PGM_RSRC2:USER_SGPR: 2
; COMPUTE_PGM_RSRC2:TRAP_HANDLER: 0
; COMPUTE_PGM_RSRC2:TGID_X_EN: 1
; COMPUTE_PGM_RSRC2:TGID_Y_EN: 0
; COMPUTE_PGM_RSRC2:TGID_Z_EN: 0
; COMPUTE_PGM_RSRC2:TIDIG_COMP_CNT: 0
	.section	.text._Z35paged_attention_ll4mi_reduce_kernelIDF16_DF16_Li128ELi128ELi256ELi1EEvPT0_PKfS3_PKT_PKiS8_iS3_,"axG",@progbits,_Z35paged_attention_ll4mi_reduce_kernelIDF16_DF16_Li128ELi128ELi256ELi1EEvPT0_PKfS3_PKT_PKiS8_iS3_,comdat
	.protected	_Z35paged_attention_ll4mi_reduce_kernelIDF16_DF16_Li128ELi128ELi256ELi1EEvPT0_PKfS3_PKT_PKiS8_iS3_ ; -- Begin function _Z35paged_attention_ll4mi_reduce_kernelIDF16_DF16_Li128ELi128ELi256ELi1EEvPT0_PKfS3_PKT_PKiS8_iS3_
	.globl	_Z35paged_attention_ll4mi_reduce_kernelIDF16_DF16_Li128ELi128ELi256ELi1EEvPT0_PKfS3_PKT_PKiS8_iS3_
	.p2align	8
	.type	_Z35paged_attention_ll4mi_reduce_kernelIDF16_DF16_Li128ELi128ELi256ELi1EEvPT0_PKfS3_PKT_PKiS8_iS3_,@function
_Z35paged_attention_ll4mi_reduce_kernelIDF16_DF16_Li128ELi128ELi256ELi1EEvPT0_PKfS3_PKT_PKiS8_iS3_: ; @_Z35paged_attention_ll4mi_reduce_kernelIDF16_DF16_Li128ELi128ELi256ELi1EEvPT0_PKfS3_PKT_PKiS8_iS3_
; %bb.0:
	s_get_pc_i64 s[2:3]
	s_add_nc_u64 s[2:3], s[2:3], __PRETTY_FUNCTION__._Z35paged_attention_ll4mi_reduce_kernelIDF16_DF16_Li128ELi128ELi256ELi1EEvPT0_PKfS3_PKT_PKiS8_iS3_@rel64+4
	s_delay_alu instid0(SALU_CYCLE_1)
	v_dual_mov_b32 v0, 0xbdd :: v_dual_mov_b32 v1, s2
	v_mov_b32_e32 v2, s3
	s_add_nc_u64 s[8:9], s[0:1], 64
	s_get_pc_i64 s[0:1]
	s_add_nc_u64 s[0:1], s[0:1], __assert_fail@rel64+4
	s_mov_b32 s32, 0
	s_swap_pc_i64 s[30:31], s[0:1]
	.section	.rodata,"a",@progbits
	.p2align	6, 0x0
	.amdhsa_kernel _Z35paged_attention_ll4mi_reduce_kernelIDF16_DF16_Li128ELi128ELi256ELi1EEvPT0_PKfS3_PKT_PKiS8_iS3_
		.amdhsa_group_segment_fixed_size 0
		.amdhsa_private_segment_fixed_size 64
		.amdhsa_kernarg_size 320
		.amdhsa_user_sgpr_count 2
		.amdhsa_user_sgpr_dispatch_ptr 0
		.amdhsa_user_sgpr_queue_ptr 0
		.amdhsa_user_sgpr_kernarg_segment_ptr 1
		.amdhsa_user_sgpr_dispatch_id 0
		.amdhsa_user_sgpr_kernarg_preload_length 0
		.amdhsa_user_sgpr_kernarg_preload_offset 0
		.amdhsa_user_sgpr_private_segment_size 0
		.amdhsa_wavefront_size32 1
		.amdhsa_uses_dynamic_stack 0
		.amdhsa_enable_private_segment 1
		.amdhsa_system_sgpr_workgroup_id_x 1
		.amdhsa_system_sgpr_workgroup_id_y 0
		.amdhsa_system_sgpr_workgroup_id_z 0
		.amdhsa_system_sgpr_workgroup_info 0
		.amdhsa_system_vgpr_workitem_id 0
		.amdhsa_next_free_vgpr 51
		.amdhsa_next_free_sgpr 34
		.amdhsa_named_barrier_count 0
		.amdhsa_reserve_vcc 1
		.amdhsa_float_round_mode_32 0
		.amdhsa_float_round_mode_16_64 0
		.amdhsa_float_denorm_mode_32 3
		.amdhsa_float_denorm_mode_16_64 3
		.amdhsa_fp16_overflow 0
		.amdhsa_memory_ordered 1
		.amdhsa_forward_progress 1
		.amdhsa_inst_pref_size 1
		.amdhsa_round_robin_scheduling 0
		.amdhsa_exception_fp_ieee_invalid_op 0
		.amdhsa_exception_fp_denorm_src 0
		.amdhsa_exception_fp_ieee_div_zero 0
		.amdhsa_exception_fp_ieee_overflow 0
		.amdhsa_exception_fp_ieee_underflow 0
		.amdhsa_exception_fp_ieee_inexact 0
		.amdhsa_exception_int_div_zero 0
	.end_amdhsa_kernel
	.section	.text._Z35paged_attention_ll4mi_reduce_kernelIDF16_DF16_Li128ELi128ELi256ELi1EEvPT0_PKfS3_PKT_PKiS8_iS3_,"axG",@progbits,_Z35paged_attention_ll4mi_reduce_kernelIDF16_DF16_Li128ELi128ELi256ELi1EEvPT0_PKfS3_PKT_PKiS8_iS3_,comdat
.Lfunc_end266:
	.size	_Z35paged_attention_ll4mi_reduce_kernelIDF16_DF16_Li128ELi128ELi256ELi1EEvPT0_PKfS3_PKT_PKiS8_iS3_, .Lfunc_end266-_Z35paged_attention_ll4mi_reduce_kernelIDF16_DF16_Li128ELi128ELi256ELi1EEvPT0_PKfS3_PKT_PKiS8_iS3_
                                        ; -- End function
	.set _Z35paged_attention_ll4mi_reduce_kernelIDF16_DF16_Li128ELi128ELi256ELi1EEvPT0_PKfS3_PKT_PKiS8_iS3_.num_vgpr, max(3, .L__assert_fail.num_vgpr)
	.set _Z35paged_attention_ll4mi_reduce_kernelIDF16_DF16_Li128ELi128ELi256ELi1EEvPT0_PKfS3_PKT_PKiS8_iS3_.num_agpr, max(0, .L__assert_fail.num_agpr)
	.set _Z35paged_attention_ll4mi_reduce_kernelIDF16_DF16_Li128ELi128ELi256ELi1EEvPT0_PKfS3_PKT_PKiS8_iS3_.numbered_sgpr, max(33, .L__assert_fail.numbered_sgpr)
	.set _Z35paged_attention_ll4mi_reduce_kernelIDF16_DF16_Li128ELi128ELi256ELi1EEvPT0_PKfS3_PKT_PKiS8_iS3_.num_named_barrier, max(0, .L__assert_fail.num_named_barrier)
	.set _Z35paged_attention_ll4mi_reduce_kernelIDF16_DF16_Li128ELi128ELi256ELi1EEvPT0_PKfS3_PKT_PKiS8_iS3_.private_seg_size, 0+max(.L__assert_fail.private_seg_size)
	.set _Z35paged_attention_ll4mi_reduce_kernelIDF16_DF16_Li128ELi128ELi256ELi1EEvPT0_PKfS3_PKT_PKiS8_iS3_.uses_vcc, or(1, .L__assert_fail.uses_vcc)
	.set _Z35paged_attention_ll4mi_reduce_kernelIDF16_DF16_Li128ELi128ELi256ELi1EEvPT0_PKfS3_PKT_PKiS8_iS3_.uses_flat_scratch, or(0, .L__assert_fail.uses_flat_scratch)
	.set _Z35paged_attention_ll4mi_reduce_kernelIDF16_DF16_Li128ELi128ELi256ELi1EEvPT0_PKfS3_PKT_PKiS8_iS3_.has_dyn_sized_stack, or(0, .L__assert_fail.has_dyn_sized_stack)
	.set _Z35paged_attention_ll4mi_reduce_kernelIDF16_DF16_Li128ELi128ELi256ELi1EEvPT0_PKfS3_PKT_PKiS8_iS3_.has_recursion, or(0, .L__assert_fail.has_recursion)
	.set _Z35paged_attention_ll4mi_reduce_kernelIDF16_DF16_Li128ELi128ELi256ELi1EEvPT0_PKfS3_PKT_PKiS8_iS3_.has_indirect_call, or(0, .L__assert_fail.has_indirect_call)
	.section	.AMDGPU.csdata,"",@progbits
; Kernel info:
; codeLenInByte = 64
; TotalNumSgprs: 36
; NumVgprs: 51
; ScratchSize: 64
; MemoryBound: 0
; FloatMode: 240
; IeeeMode: 1
; LDSByteSize: 0 bytes/workgroup (compile time only)
; SGPRBlocks: 0
; VGPRBlocks: 3
; NumSGPRsForWavesPerEU: 36
; NumVGPRsForWavesPerEU: 51
; NamedBarCnt: 0
; Occupancy: 16
; WaveLimiterHint : 1
; COMPUTE_PGM_RSRC2:SCRATCH_EN: 1
; COMPUTE_PGM_RSRC2:USER_SGPR: 2
; COMPUTE_PGM_RSRC2:TRAP_HANDLER: 0
; COMPUTE_PGM_RSRC2:TGID_X_EN: 1
; COMPUTE_PGM_RSRC2:TGID_Y_EN: 0
; COMPUTE_PGM_RSRC2:TGID_Z_EN: 0
; COMPUTE_PGM_RSRC2:TIDIG_COMP_CNT: 0
	.section	.text._Z35paged_attention_ll4mi_reduce_kernelIDF16_DF16_Li128ELi128ELi256ELi2EEvPT0_PKfS3_PKT_PKiS8_iS3_,"axG",@progbits,_Z35paged_attention_ll4mi_reduce_kernelIDF16_DF16_Li128ELi128ELi256ELi2EEvPT0_PKfS3_PKT_PKiS8_iS3_,comdat
	.protected	_Z35paged_attention_ll4mi_reduce_kernelIDF16_DF16_Li128ELi128ELi256ELi2EEvPT0_PKfS3_PKT_PKiS8_iS3_ ; -- Begin function _Z35paged_attention_ll4mi_reduce_kernelIDF16_DF16_Li128ELi128ELi256ELi2EEvPT0_PKfS3_PKT_PKiS8_iS3_
	.globl	_Z35paged_attention_ll4mi_reduce_kernelIDF16_DF16_Li128ELi128ELi256ELi2EEvPT0_PKfS3_PKT_PKiS8_iS3_
	.p2align	8
	.type	_Z35paged_attention_ll4mi_reduce_kernelIDF16_DF16_Li128ELi128ELi256ELi2EEvPT0_PKfS3_PKT_PKiS8_iS3_,@function
_Z35paged_attention_ll4mi_reduce_kernelIDF16_DF16_Li128ELi128ELi256ELi2EEvPT0_PKfS3_PKT_PKiS8_iS3_: ; @_Z35paged_attention_ll4mi_reduce_kernelIDF16_DF16_Li128ELi128ELi256ELi2EEvPT0_PKfS3_PKT_PKiS8_iS3_
; %bb.0:
	s_get_pc_i64 s[2:3]
	s_add_nc_u64 s[2:3], s[2:3], __PRETTY_FUNCTION__._Z35paged_attention_ll4mi_reduce_kernelIDF16_DF16_Li128ELi128ELi256ELi2EEvPT0_PKfS3_PKT_PKiS8_iS3_@rel64+4
	s_delay_alu instid0(SALU_CYCLE_1)
	v_dual_mov_b32 v0, 0xbdd :: v_dual_mov_b32 v1, s2
	v_mov_b32_e32 v2, s3
	s_add_nc_u64 s[8:9], s[0:1], 64
	s_get_pc_i64 s[0:1]
	s_add_nc_u64 s[0:1], s[0:1], __assert_fail@rel64+4
	s_mov_b32 s32, 0
	s_swap_pc_i64 s[30:31], s[0:1]
	.section	.rodata,"a",@progbits
	.p2align	6, 0x0
	.amdhsa_kernel _Z35paged_attention_ll4mi_reduce_kernelIDF16_DF16_Li128ELi128ELi256ELi2EEvPT0_PKfS3_PKT_PKiS8_iS3_
		.amdhsa_group_segment_fixed_size 0
		.amdhsa_private_segment_fixed_size 64
		.amdhsa_kernarg_size 320
		.amdhsa_user_sgpr_count 2
		.amdhsa_user_sgpr_dispatch_ptr 0
		.amdhsa_user_sgpr_queue_ptr 0
		.amdhsa_user_sgpr_kernarg_segment_ptr 1
		.amdhsa_user_sgpr_dispatch_id 0
		.amdhsa_user_sgpr_kernarg_preload_length 0
		.amdhsa_user_sgpr_kernarg_preload_offset 0
		.amdhsa_user_sgpr_private_segment_size 0
		.amdhsa_wavefront_size32 1
		.amdhsa_uses_dynamic_stack 0
		.amdhsa_enable_private_segment 1
		.amdhsa_system_sgpr_workgroup_id_x 1
		.amdhsa_system_sgpr_workgroup_id_y 0
		.amdhsa_system_sgpr_workgroup_id_z 0
		.amdhsa_system_sgpr_workgroup_info 0
		.amdhsa_system_vgpr_workitem_id 0
		.amdhsa_next_free_vgpr 51
		.amdhsa_next_free_sgpr 34
		.amdhsa_named_barrier_count 0
		.amdhsa_reserve_vcc 1
		.amdhsa_float_round_mode_32 0
		.amdhsa_float_round_mode_16_64 0
		.amdhsa_float_denorm_mode_32 3
		.amdhsa_float_denorm_mode_16_64 3
		.amdhsa_fp16_overflow 0
		.amdhsa_memory_ordered 1
		.amdhsa_forward_progress 1
		.amdhsa_inst_pref_size 1
		.amdhsa_round_robin_scheduling 0
		.amdhsa_exception_fp_ieee_invalid_op 0
		.amdhsa_exception_fp_denorm_src 0
		.amdhsa_exception_fp_ieee_div_zero 0
		.amdhsa_exception_fp_ieee_overflow 0
		.amdhsa_exception_fp_ieee_underflow 0
		.amdhsa_exception_fp_ieee_inexact 0
		.amdhsa_exception_int_div_zero 0
	.end_amdhsa_kernel
	.section	.text._Z35paged_attention_ll4mi_reduce_kernelIDF16_DF16_Li128ELi128ELi256ELi2EEvPT0_PKfS3_PKT_PKiS8_iS3_,"axG",@progbits,_Z35paged_attention_ll4mi_reduce_kernelIDF16_DF16_Li128ELi128ELi256ELi2EEvPT0_PKfS3_PKT_PKiS8_iS3_,comdat
.Lfunc_end267:
	.size	_Z35paged_attention_ll4mi_reduce_kernelIDF16_DF16_Li128ELi128ELi256ELi2EEvPT0_PKfS3_PKT_PKiS8_iS3_, .Lfunc_end267-_Z35paged_attention_ll4mi_reduce_kernelIDF16_DF16_Li128ELi128ELi256ELi2EEvPT0_PKfS3_PKT_PKiS8_iS3_
                                        ; -- End function
	.set _Z35paged_attention_ll4mi_reduce_kernelIDF16_DF16_Li128ELi128ELi256ELi2EEvPT0_PKfS3_PKT_PKiS8_iS3_.num_vgpr, max(3, .L__assert_fail.num_vgpr)
	.set _Z35paged_attention_ll4mi_reduce_kernelIDF16_DF16_Li128ELi128ELi256ELi2EEvPT0_PKfS3_PKT_PKiS8_iS3_.num_agpr, max(0, .L__assert_fail.num_agpr)
	.set _Z35paged_attention_ll4mi_reduce_kernelIDF16_DF16_Li128ELi128ELi256ELi2EEvPT0_PKfS3_PKT_PKiS8_iS3_.numbered_sgpr, max(33, .L__assert_fail.numbered_sgpr)
	.set _Z35paged_attention_ll4mi_reduce_kernelIDF16_DF16_Li128ELi128ELi256ELi2EEvPT0_PKfS3_PKT_PKiS8_iS3_.num_named_barrier, max(0, .L__assert_fail.num_named_barrier)
	.set _Z35paged_attention_ll4mi_reduce_kernelIDF16_DF16_Li128ELi128ELi256ELi2EEvPT0_PKfS3_PKT_PKiS8_iS3_.private_seg_size, 0+max(.L__assert_fail.private_seg_size)
	.set _Z35paged_attention_ll4mi_reduce_kernelIDF16_DF16_Li128ELi128ELi256ELi2EEvPT0_PKfS3_PKT_PKiS8_iS3_.uses_vcc, or(1, .L__assert_fail.uses_vcc)
	.set _Z35paged_attention_ll4mi_reduce_kernelIDF16_DF16_Li128ELi128ELi256ELi2EEvPT0_PKfS3_PKT_PKiS8_iS3_.uses_flat_scratch, or(0, .L__assert_fail.uses_flat_scratch)
	.set _Z35paged_attention_ll4mi_reduce_kernelIDF16_DF16_Li128ELi128ELi256ELi2EEvPT0_PKfS3_PKT_PKiS8_iS3_.has_dyn_sized_stack, or(0, .L__assert_fail.has_dyn_sized_stack)
	.set _Z35paged_attention_ll4mi_reduce_kernelIDF16_DF16_Li128ELi128ELi256ELi2EEvPT0_PKfS3_PKT_PKiS8_iS3_.has_recursion, or(0, .L__assert_fail.has_recursion)
	.set _Z35paged_attention_ll4mi_reduce_kernelIDF16_DF16_Li128ELi128ELi256ELi2EEvPT0_PKfS3_PKT_PKiS8_iS3_.has_indirect_call, or(0, .L__assert_fail.has_indirect_call)
	.section	.AMDGPU.csdata,"",@progbits
; Kernel info:
; codeLenInByte = 64
; TotalNumSgprs: 36
; NumVgprs: 51
; ScratchSize: 64
; MemoryBound: 0
; FloatMode: 240
; IeeeMode: 1
; LDSByteSize: 0 bytes/workgroup (compile time only)
; SGPRBlocks: 0
; VGPRBlocks: 3
; NumSGPRsForWavesPerEU: 36
; NumVGPRsForWavesPerEU: 51
; NamedBarCnt: 0
; Occupancy: 16
; WaveLimiterHint : 1
; COMPUTE_PGM_RSRC2:SCRATCH_EN: 1
; COMPUTE_PGM_RSRC2:USER_SGPR: 2
; COMPUTE_PGM_RSRC2:TRAP_HANDLER: 0
; COMPUTE_PGM_RSRC2:TGID_X_EN: 1
; COMPUTE_PGM_RSRC2:TGID_Y_EN: 0
; COMPUTE_PGM_RSRC2:TGID_Z_EN: 0
; COMPUTE_PGM_RSRC2:TIDIG_COMP_CNT: 0
	.section	.text._Z35paged_attention_ll4mi_reduce_kernelIDF16_DF16_Li128ELi128ELi256ELi3EEvPT0_PKfS3_PKT_PKiS8_iS3_,"axG",@progbits,_Z35paged_attention_ll4mi_reduce_kernelIDF16_DF16_Li128ELi128ELi256ELi3EEvPT0_PKfS3_PKT_PKiS8_iS3_,comdat
	.protected	_Z35paged_attention_ll4mi_reduce_kernelIDF16_DF16_Li128ELi128ELi256ELi3EEvPT0_PKfS3_PKT_PKiS8_iS3_ ; -- Begin function _Z35paged_attention_ll4mi_reduce_kernelIDF16_DF16_Li128ELi128ELi256ELi3EEvPT0_PKfS3_PKT_PKiS8_iS3_
	.globl	_Z35paged_attention_ll4mi_reduce_kernelIDF16_DF16_Li128ELi128ELi256ELi3EEvPT0_PKfS3_PKT_PKiS8_iS3_
	.p2align	8
	.type	_Z35paged_attention_ll4mi_reduce_kernelIDF16_DF16_Li128ELi128ELi256ELi3EEvPT0_PKfS3_PKT_PKiS8_iS3_,@function
_Z35paged_attention_ll4mi_reduce_kernelIDF16_DF16_Li128ELi128ELi256ELi3EEvPT0_PKfS3_PKT_PKiS8_iS3_: ; @_Z35paged_attention_ll4mi_reduce_kernelIDF16_DF16_Li128ELi128ELi256ELi3EEvPT0_PKfS3_PKT_PKiS8_iS3_
; %bb.0:
	s_get_pc_i64 s[2:3]
	s_add_nc_u64 s[2:3], s[2:3], __PRETTY_FUNCTION__._Z35paged_attention_ll4mi_reduce_kernelIDF16_DF16_Li128ELi128ELi256ELi3EEvPT0_PKfS3_PKT_PKiS8_iS3_@rel64+4
	s_delay_alu instid0(SALU_CYCLE_1)
	v_dual_mov_b32 v0, 0xbdd :: v_dual_mov_b32 v1, s2
	v_mov_b32_e32 v2, s3
	s_add_nc_u64 s[8:9], s[0:1], 64
	s_get_pc_i64 s[0:1]
	s_add_nc_u64 s[0:1], s[0:1], __assert_fail@rel64+4
	s_mov_b32 s32, 0
	s_swap_pc_i64 s[30:31], s[0:1]
	.section	.rodata,"a",@progbits
	.p2align	6, 0x0
	.amdhsa_kernel _Z35paged_attention_ll4mi_reduce_kernelIDF16_DF16_Li128ELi128ELi256ELi3EEvPT0_PKfS3_PKT_PKiS8_iS3_
		.amdhsa_group_segment_fixed_size 0
		.amdhsa_private_segment_fixed_size 64
		.amdhsa_kernarg_size 320
		.amdhsa_user_sgpr_count 2
		.amdhsa_user_sgpr_dispatch_ptr 0
		.amdhsa_user_sgpr_queue_ptr 0
		.amdhsa_user_sgpr_kernarg_segment_ptr 1
		.amdhsa_user_sgpr_dispatch_id 0
		.amdhsa_user_sgpr_kernarg_preload_length 0
		.amdhsa_user_sgpr_kernarg_preload_offset 0
		.amdhsa_user_sgpr_private_segment_size 0
		.amdhsa_wavefront_size32 1
		.amdhsa_uses_dynamic_stack 0
		.amdhsa_enable_private_segment 1
		.amdhsa_system_sgpr_workgroup_id_x 1
		.amdhsa_system_sgpr_workgroup_id_y 0
		.amdhsa_system_sgpr_workgroup_id_z 0
		.amdhsa_system_sgpr_workgroup_info 0
		.amdhsa_system_vgpr_workitem_id 0
		.amdhsa_next_free_vgpr 51
		.amdhsa_next_free_sgpr 34
		.amdhsa_named_barrier_count 0
		.amdhsa_reserve_vcc 1
		.amdhsa_float_round_mode_32 0
		.amdhsa_float_round_mode_16_64 0
		.amdhsa_float_denorm_mode_32 3
		.amdhsa_float_denorm_mode_16_64 3
		.amdhsa_fp16_overflow 0
		.amdhsa_memory_ordered 1
		.amdhsa_forward_progress 1
		.amdhsa_inst_pref_size 1
		.amdhsa_round_robin_scheduling 0
		.amdhsa_exception_fp_ieee_invalid_op 0
		.amdhsa_exception_fp_denorm_src 0
		.amdhsa_exception_fp_ieee_div_zero 0
		.amdhsa_exception_fp_ieee_overflow 0
		.amdhsa_exception_fp_ieee_underflow 0
		.amdhsa_exception_fp_ieee_inexact 0
		.amdhsa_exception_int_div_zero 0
	.end_amdhsa_kernel
	.section	.text._Z35paged_attention_ll4mi_reduce_kernelIDF16_DF16_Li128ELi128ELi256ELi3EEvPT0_PKfS3_PKT_PKiS8_iS3_,"axG",@progbits,_Z35paged_attention_ll4mi_reduce_kernelIDF16_DF16_Li128ELi128ELi256ELi3EEvPT0_PKfS3_PKT_PKiS8_iS3_,comdat
.Lfunc_end268:
	.size	_Z35paged_attention_ll4mi_reduce_kernelIDF16_DF16_Li128ELi128ELi256ELi3EEvPT0_PKfS3_PKT_PKiS8_iS3_, .Lfunc_end268-_Z35paged_attention_ll4mi_reduce_kernelIDF16_DF16_Li128ELi128ELi256ELi3EEvPT0_PKfS3_PKT_PKiS8_iS3_
                                        ; -- End function
	.set _Z35paged_attention_ll4mi_reduce_kernelIDF16_DF16_Li128ELi128ELi256ELi3EEvPT0_PKfS3_PKT_PKiS8_iS3_.num_vgpr, max(3, .L__assert_fail.num_vgpr)
	.set _Z35paged_attention_ll4mi_reduce_kernelIDF16_DF16_Li128ELi128ELi256ELi3EEvPT0_PKfS3_PKT_PKiS8_iS3_.num_agpr, max(0, .L__assert_fail.num_agpr)
	.set _Z35paged_attention_ll4mi_reduce_kernelIDF16_DF16_Li128ELi128ELi256ELi3EEvPT0_PKfS3_PKT_PKiS8_iS3_.numbered_sgpr, max(33, .L__assert_fail.numbered_sgpr)
	.set _Z35paged_attention_ll4mi_reduce_kernelIDF16_DF16_Li128ELi128ELi256ELi3EEvPT0_PKfS3_PKT_PKiS8_iS3_.num_named_barrier, max(0, .L__assert_fail.num_named_barrier)
	.set _Z35paged_attention_ll4mi_reduce_kernelIDF16_DF16_Li128ELi128ELi256ELi3EEvPT0_PKfS3_PKT_PKiS8_iS3_.private_seg_size, 0+max(.L__assert_fail.private_seg_size)
	.set _Z35paged_attention_ll4mi_reduce_kernelIDF16_DF16_Li128ELi128ELi256ELi3EEvPT0_PKfS3_PKT_PKiS8_iS3_.uses_vcc, or(1, .L__assert_fail.uses_vcc)
	.set _Z35paged_attention_ll4mi_reduce_kernelIDF16_DF16_Li128ELi128ELi256ELi3EEvPT0_PKfS3_PKT_PKiS8_iS3_.uses_flat_scratch, or(0, .L__assert_fail.uses_flat_scratch)
	.set _Z35paged_attention_ll4mi_reduce_kernelIDF16_DF16_Li128ELi128ELi256ELi3EEvPT0_PKfS3_PKT_PKiS8_iS3_.has_dyn_sized_stack, or(0, .L__assert_fail.has_dyn_sized_stack)
	.set _Z35paged_attention_ll4mi_reduce_kernelIDF16_DF16_Li128ELi128ELi256ELi3EEvPT0_PKfS3_PKT_PKiS8_iS3_.has_recursion, or(0, .L__assert_fail.has_recursion)
	.set _Z35paged_attention_ll4mi_reduce_kernelIDF16_DF16_Li128ELi128ELi256ELi3EEvPT0_PKfS3_PKT_PKiS8_iS3_.has_indirect_call, or(0, .L__assert_fail.has_indirect_call)
	.section	.AMDGPU.csdata,"",@progbits
; Kernel info:
; codeLenInByte = 64
; TotalNumSgprs: 36
; NumVgprs: 51
; ScratchSize: 64
; MemoryBound: 0
; FloatMode: 240
; IeeeMode: 1
; LDSByteSize: 0 bytes/workgroup (compile time only)
; SGPRBlocks: 0
; VGPRBlocks: 3
; NumSGPRsForWavesPerEU: 36
; NumVGPRsForWavesPerEU: 51
; NamedBarCnt: 0
; Occupancy: 16
; WaveLimiterHint : 1
; COMPUTE_PGM_RSRC2:SCRATCH_EN: 1
; COMPUTE_PGM_RSRC2:USER_SGPR: 2
; COMPUTE_PGM_RSRC2:TRAP_HANDLER: 0
; COMPUTE_PGM_RSRC2:TGID_X_EN: 1
; COMPUTE_PGM_RSRC2:TGID_Y_EN: 0
; COMPUTE_PGM_RSRC2:TGID_Z_EN: 0
; COMPUTE_PGM_RSRC2:TIDIG_COMP_CNT: 0
	.section	.text._Z35paged_attention_ll4mi_reduce_kernelIDF16_DF16_Li128ELi128ELi256ELi4EEvPT0_PKfS3_PKT_PKiS8_iS3_,"axG",@progbits,_Z35paged_attention_ll4mi_reduce_kernelIDF16_DF16_Li128ELi128ELi256ELi4EEvPT0_PKfS3_PKT_PKiS8_iS3_,comdat
	.protected	_Z35paged_attention_ll4mi_reduce_kernelIDF16_DF16_Li128ELi128ELi256ELi4EEvPT0_PKfS3_PKT_PKiS8_iS3_ ; -- Begin function _Z35paged_attention_ll4mi_reduce_kernelIDF16_DF16_Li128ELi128ELi256ELi4EEvPT0_PKfS3_PKT_PKiS8_iS3_
	.globl	_Z35paged_attention_ll4mi_reduce_kernelIDF16_DF16_Li128ELi128ELi256ELi4EEvPT0_PKfS3_PKT_PKiS8_iS3_
	.p2align	8
	.type	_Z35paged_attention_ll4mi_reduce_kernelIDF16_DF16_Li128ELi128ELi256ELi4EEvPT0_PKfS3_PKT_PKiS8_iS3_,@function
_Z35paged_attention_ll4mi_reduce_kernelIDF16_DF16_Li128ELi128ELi256ELi4EEvPT0_PKfS3_PKT_PKiS8_iS3_: ; @_Z35paged_attention_ll4mi_reduce_kernelIDF16_DF16_Li128ELi128ELi256ELi4EEvPT0_PKfS3_PKT_PKiS8_iS3_
; %bb.0:
	s_get_pc_i64 s[2:3]
	s_add_nc_u64 s[2:3], s[2:3], __PRETTY_FUNCTION__._Z35paged_attention_ll4mi_reduce_kernelIDF16_DF16_Li128ELi128ELi256ELi4EEvPT0_PKfS3_PKT_PKiS8_iS3_@rel64+4
	s_delay_alu instid0(SALU_CYCLE_1)
	v_dual_mov_b32 v0, 0xbdd :: v_dual_mov_b32 v1, s2
	v_mov_b32_e32 v2, s3
	s_add_nc_u64 s[8:9], s[0:1], 64
	s_get_pc_i64 s[0:1]
	s_add_nc_u64 s[0:1], s[0:1], __assert_fail@rel64+4
	s_mov_b32 s32, 0
	s_swap_pc_i64 s[30:31], s[0:1]
	.section	.rodata,"a",@progbits
	.p2align	6, 0x0
	.amdhsa_kernel _Z35paged_attention_ll4mi_reduce_kernelIDF16_DF16_Li128ELi128ELi256ELi4EEvPT0_PKfS3_PKT_PKiS8_iS3_
		.amdhsa_group_segment_fixed_size 0
		.amdhsa_private_segment_fixed_size 64
		.amdhsa_kernarg_size 320
		.amdhsa_user_sgpr_count 2
		.amdhsa_user_sgpr_dispatch_ptr 0
		.amdhsa_user_sgpr_queue_ptr 0
		.amdhsa_user_sgpr_kernarg_segment_ptr 1
		.amdhsa_user_sgpr_dispatch_id 0
		.amdhsa_user_sgpr_kernarg_preload_length 0
		.amdhsa_user_sgpr_kernarg_preload_offset 0
		.amdhsa_user_sgpr_private_segment_size 0
		.amdhsa_wavefront_size32 1
		.amdhsa_uses_dynamic_stack 0
		.amdhsa_enable_private_segment 1
		.amdhsa_system_sgpr_workgroup_id_x 1
		.amdhsa_system_sgpr_workgroup_id_y 0
		.amdhsa_system_sgpr_workgroup_id_z 0
		.amdhsa_system_sgpr_workgroup_info 0
		.amdhsa_system_vgpr_workitem_id 0
		.amdhsa_next_free_vgpr 51
		.amdhsa_next_free_sgpr 34
		.amdhsa_named_barrier_count 0
		.amdhsa_reserve_vcc 1
		.amdhsa_float_round_mode_32 0
		.amdhsa_float_round_mode_16_64 0
		.amdhsa_float_denorm_mode_32 3
		.amdhsa_float_denorm_mode_16_64 3
		.amdhsa_fp16_overflow 0
		.amdhsa_memory_ordered 1
		.amdhsa_forward_progress 1
		.amdhsa_inst_pref_size 1
		.amdhsa_round_robin_scheduling 0
		.amdhsa_exception_fp_ieee_invalid_op 0
		.amdhsa_exception_fp_denorm_src 0
		.amdhsa_exception_fp_ieee_div_zero 0
		.amdhsa_exception_fp_ieee_overflow 0
		.amdhsa_exception_fp_ieee_underflow 0
		.amdhsa_exception_fp_ieee_inexact 0
		.amdhsa_exception_int_div_zero 0
	.end_amdhsa_kernel
	.section	.text._Z35paged_attention_ll4mi_reduce_kernelIDF16_DF16_Li128ELi128ELi256ELi4EEvPT0_PKfS3_PKT_PKiS8_iS3_,"axG",@progbits,_Z35paged_attention_ll4mi_reduce_kernelIDF16_DF16_Li128ELi128ELi256ELi4EEvPT0_PKfS3_PKT_PKiS8_iS3_,comdat
.Lfunc_end269:
	.size	_Z35paged_attention_ll4mi_reduce_kernelIDF16_DF16_Li128ELi128ELi256ELi4EEvPT0_PKfS3_PKT_PKiS8_iS3_, .Lfunc_end269-_Z35paged_attention_ll4mi_reduce_kernelIDF16_DF16_Li128ELi128ELi256ELi4EEvPT0_PKfS3_PKT_PKiS8_iS3_
                                        ; -- End function
	.set _Z35paged_attention_ll4mi_reduce_kernelIDF16_DF16_Li128ELi128ELi256ELi4EEvPT0_PKfS3_PKT_PKiS8_iS3_.num_vgpr, max(3, .L__assert_fail.num_vgpr)
	.set _Z35paged_attention_ll4mi_reduce_kernelIDF16_DF16_Li128ELi128ELi256ELi4EEvPT0_PKfS3_PKT_PKiS8_iS3_.num_agpr, max(0, .L__assert_fail.num_agpr)
	.set _Z35paged_attention_ll4mi_reduce_kernelIDF16_DF16_Li128ELi128ELi256ELi4EEvPT0_PKfS3_PKT_PKiS8_iS3_.numbered_sgpr, max(33, .L__assert_fail.numbered_sgpr)
	.set _Z35paged_attention_ll4mi_reduce_kernelIDF16_DF16_Li128ELi128ELi256ELi4EEvPT0_PKfS3_PKT_PKiS8_iS3_.num_named_barrier, max(0, .L__assert_fail.num_named_barrier)
	.set _Z35paged_attention_ll4mi_reduce_kernelIDF16_DF16_Li128ELi128ELi256ELi4EEvPT0_PKfS3_PKT_PKiS8_iS3_.private_seg_size, 0+max(.L__assert_fail.private_seg_size)
	.set _Z35paged_attention_ll4mi_reduce_kernelIDF16_DF16_Li128ELi128ELi256ELi4EEvPT0_PKfS3_PKT_PKiS8_iS3_.uses_vcc, or(1, .L__assert_fail.uses_vcc)
	.set _Z35paged_attention_ll4mi_reduce_kernelIDF16_DF16_Li128ELi128ELi256ELi4EEvPT0_PKfS3_PKT_PKiS8_iS3_.uses_flat_scratch, or(0, .L__assert_fail.uses_flat_scratch)
	.set _Z35paged_attention_ll4mi_reduce_kernelIDF16_DF16_Li128ELi128ELi256ELi4EEvPT0_PKfS3_PKT_PKiS8_iS3_.has_dyn_sized_stack, or(0, .L__assert_fail.has_dyn_sized_stack)
	.set _Z35paged_attention_ll4mi_reduce_kernelIDF16_DF16_Li128ELi128ELi256ELi4EEvPT0_PKfS3_PKT_PKiS8_iS3_.has_recursion, or(0, .L__assert_fail.has_recursion)
	.set _Z35paged_attention_ll4mi_reduce_kernelIDF16_DF16_Li128ELi128ELi256ELi4EEvPT0_PKfS3_PKT_PKiS8_iS3_.has_indirect_call, or(0, .L__assert_fail.has_indirect_call)
	.section	.AMDGPU.csdata,"",@progbits
; Kernel info:
; codeLenInByte = 64
; TotalNumSgprs: 36
; NumVgprs: 51
; ScratchSize: 64
; MemoryBound: 0
; FloatMode: 240
; IeeeMode: 1
; LDSByteSize: 0 bytes/workgroup (compile time only)
; SGPRBlocks: 0
; VGPRBlocks: 3
; NumSGPRsForWavesPerEU: 36
; NumVGPRsForWavesPerEU: 51
; NamedBarCnt: 0
; Occupancy: 16
; WaveLimiterHint : 1
; COMPUTE_PGM_RSRC2:SCRATCH_EN: 1
; COMPUTE_PGM_RSRC2:USER_SGPR: 2
; COMPUTE_PGM_RSRC2:TRAP_HANDLER: 0
; COMPUTE_PGM_RSRC2:TGID_X_EN: 1
; COMPUTE_PGM_RSRC2:TGID_Y_EN: 0
; COMPUTE_PGM_RSRC2:TGID_Z_EN: 0
; COMPUTE_PGM_RSRC2:TIDIG_COMP_CNT: 0
	.section	.text._Z35paged_attention_ll4mi_reduce_kernelIDF16_DF16_Li128ELi128ELi256ELi5EEvPT0_PKfS3_PKT_PKiS8_iS3_,"axG",@progbits,_Z35paged_attention_ll4mi_reduce_kernelIDF16_DF16_Li128ELi128ELi256ELi5EEvPT0_PKfS3_PKT_PKiS8_iS3_,comdat
	.protected	_Z35paged_attention_ll4mi_reduce_kernelIDF16_DF16_Li128ELi128ELi256ELi5EEvPT0_PKfS3_PKT_PKiS8_iS3_ ; -- Begin function _Z35paged_attention_ll4mi_reduce_kernelIDF16_DF16_Li128ELi128ELi256ELi5EEvPT0_PKfS3_PKT_PKiS8_iS3_
	.globl	_Z35paged_attention_ll4mi_reduce_kernelIDF16_DF16_Li128ELi128ELi256ELi5EEvPT0_PKfS3_PKT_PKiS8_iS3_
	.p2align	8
	.type	_Z35paged_attention_ll4mi_reduce_kernelIDF16_DF16_Li128ELi128ELi256ELi5EEvPT0_PKfS3_PKT_PKiS8_iS3_,@function
_Z35paged_attention_ll4mi_reduce_kernelIDF16_DF16_Li128ELi128ELi256ELi5EEvPT0_PKfS3_PKT_PKiS8_iS3_: ; @_Z35paged_attention_ll4mi_reduce_kernelIDF16_DF16_Li128ELi128ELi256ELi5EEvPT0_PKfS3_PKT_PKiS8_iS3_
; %bb.0:
	s_get_pc_i64 s[2:3]
	s_add_nc_u64 s[2:3], s[2:3], __PRETTY_FUNCTION__._Z35paged_attention_ll4mi_reduce_kernelIDF16_DF16_Li128ELi128ELi256ELi5EEvPT0_PKfS3_PKT_PKiS8_iS3_@rel64+4
	s_delay_alu instid0(SALU_CYCLE_1)
	v_dual_mov_b32 v0, 0xbdd :: v_dual_mov_b32 v1, s2
	v_mov_b32_e32 v2, s3
	s_add_nc_u64 s[8:9], s[0:1], 64
	s_get_pc_i64 s[0:1]
	s_add_nc_u64 s[0:1], s[0:1], __assert_fail@rel64+4
	s_mov_b32 s32, 0
	s_swap_pc_i64 s[30:31], s[0:1]
	.section	.rodata,"a",@progbits
	.p2align	6, 0x0
	.amdhsa_kernel _Z35paged_attention_ll4mi_reduce_kernelIDF16_DF16_Li128ELi128ELi256ELi5EEvPT0_PKfS3_PKT_PKiS8_iS3_
		.amdhsa_group_segment_fixed_size 0
		.amdhsa_private_segment_fixed_size 64
		.amdhsa_kernarg_size 320
		.amdhsa_user_sgpr_count 2
		.amdhsa_user_sgpr_dispatch_ptr 0
		.amdhsa_user_sgpr_queue_ptr 0
		.amdhsa_user_sgpr_kernarg_segment_ptr 1
		.amdhsa_user_sgpr_dispatch_id 0
		.amdhsa_user_sgpr_kernarg_preload_length 0
		.amdhsa_user_sgpr_kernarg_preload_offset 0
		.amdhsa_user_sgpr_private_segment_size 0
		.amdhsa_wavefront_size32 1
		.amdhsa_uses_dynamic_stack 0
		.amdhsa_enable_private_segment 1
		.amdhsa_system_sgpr_workgroup_id_x 1
		.amdhsa_system_sgpr_workgroup_id_y 0
		.amdhsa_system_sgpr_workgroup_id_z 0
		.amdhsa_system_sgpr_workgroup_info 0
		.amdhsa_system_vgpr_workitem_id 0
		.amdhsa_next_free_vgpr 51
		.amdhsa_next_free_sgpr 34
		.amdhsa_named_barrier_count 0
		.amdhsa_reserve_vcc 1
		.amdhsa_float_round_mode_32 0
		.amdhsa_float_round_mode_16_64 0
		.amdhsa_float_denorm_mode_32 3
		.amdhsa_float_denorm_mode_16_64 3
		.amdhsa_fp16_overflow 0
		.amdhsa_memory_ordered 1
		.amdhsa_forward_progress 1
		.amdhsa_inst_pref_size 1
		.amdhsa_round_robin_scheduling 0
		.amdhsa_exception_fp_ieee_invalid_op 0
		.amdhsa_exception_fp_denorm_src 0
		.amdhsa_exception_fp_ieee_div_zero 0
		.amdhsa_exception_fp_ieee_overflow 0
		.amdhsa_exception_fp_ieee_underflow 0
		.amdhsa_exception_fp_ieee_inexact 0
		.amdhsa_exception_int_div_zero 0
	.end_amdhsa_kernel
	.section	.text._Z35paged_attention_ll4mi_reduce_kernelIDF16_DF16_Li128ELi128ELi256ELi5EEvPT0_PKfS3_PKT_PKiS8_iS3_,"axG",@progbits,_Z35paged_attention_ll4mi_reduce_kernelIDF16_DF16_Li128ELi128ELi256ELi5EEvPT0_PKfS3_PKT_PKiS8_iS3_,comdat
.Lfunc_end270:
	.size	_Z35paged_attention_ll4mi_reduce_kernelIDF16_DF16_Li128ELi128ELi256ELi5EEvPT0_PKfS3_PKT_PKiS8_iS3_, .Lfunc_end270-_Z35paged_attention_ll4mi_reduce_kernelIDF16_DF16_Li128ELi128ELi256ELi5EEvPT0_PKfS3_PKT_PKiS8_iS3_
                                        ; -- End function
	.set _Z35paged_attention_ll4mi_reduce_kernelIDF16_DF16_Li128ELi128ELi256ELi5EEvPT0_PKfS3_PKT_PKiS8_iS3_.num_vgpr, max(3, .L__assert_fail.num_vgpr)
	.set _Z35paged_attention_ll4mi_reduce_kernelIDF16_DF16_Li128ELi128ELi256ELi5EEvPT0_PKfS3_PKT_PKiS8_iS3_.num_agpr, max(0, .L__assert_fail.num_agpr)
	.set _Z35paged_attention_ll4mi_reduce_kernelIDF16_DF16_Li128ELi128ELi256ELi5EEvPT0_PKfS3_PKT_PKiS8_iS3_.numbered_sgpr, max(33, .L__assert_fail.numbered_sgpr)
	.set _Z35paged_attention_ll4mi_reduce_kernelIDF16_DF16_Li128ELi128ELi256ELi5EEvPT0_PKfS3_PKT_PKiS8_iS3_.num_named_barrier, max(0, .L__assert_fail.num_named_barrier)
	.set _Z35paged_attention_ll4mi_reduce_kernelIDF16_DF16_Li128ELi128ELi256ELi5EEvPT0_PKfS3_PKT_PKiS8_iS3_.private_seg_size, 0+max(.L__assert_fail.private_seg_size)
	.set _Z35paged_attention_ll4mi_reduce_kernelIDF16_DF16_Li128ELi128ELi256ELi5EEvPT0_PKfS3_PKT_PKiS8_iS3_.uses_vcc, or(1, .L__assert_fail.uses_vcc)
	.set _Z35paged_attention_ll4mi_reduce_kernelIDF16_DF16_Li128ELi128ELi256ELi5EEvPT0_PKfS3_PKT_PKiS8_iS3_.uses_flat_scratch, or(0, .L__assert_fail.uses_flat_scratch)
	.set _Z35paged_attention_ll4mi_reduce_kernelIDF16_DF16_Li128ELi128ELi256ELi5EEvPT0_PKfS3_PKT_PKiS8_iS3_.has_dyn_sized_stack, or(0, .L__assert_fail.has_dyn_sized_stack)
	.set _Z35paged_attention_ll4mi_reduce_kernelIDF16_DF16_Li128ELi128ELi256ELi5EEvPT0_PKfS3_PKT_PKiS8_iS3_.has_recursion, or(0, .L__assert_fail.has_recursion)
	.set _Z35paged_attention_ll4mi_reduce_kernelIDF16_DF16_Li128ELi128ELi256ELi5EEvPT0_PKfS3_PKT_PKiS8_iS3_.has_indirect_call, or(0, .L__assert_fail.has_indirect_call)
	.section	.AMDGPU.csdata,"",@progbits
; Kernel info:
; codeLenInByte = 64
; TotalNumSgprs: 36
; NumVgprs: 51
; ScratchSize: 64
; MemoryBound: 0
; FloatMode: 240
; IeeeMode: 1
; LDSByteSize: 0 bytes/workgroup (compile time only)
; SGPRBlocks: 0
; VGPRBlocks: 3
; NumSGPRsForWavesPerEU: 36
; NumVGPRsForWavesPerEU: 51
; NamedBarCnt: 0
; Occupancy: 16
; WaveLimiterHint : 1
; COMPUTE_PGM_RSRC2:SCRATCH_EN: 1
; COMPUTE_PGM_RSRC2:USER_SGPR: 2
; COMPUTE_PGM_RSRC2:TRAP_HANDLER: 0
; COMPUTE_PGM_RSRC2:TGID_X_EN: 1
; COMPUTE_PGM_RSRC2:TGID_Y_EN: 0
; COMPUTE_PGM_RSRC2:TGID_Z_EN: 0
; COMPUTE_PGM_RSRC2:TIDIG_COMP_CNT: 0
	.section	.text._Z35paged_attention_ll4mi_reduce_kernelIDF16_DF16_Li128ELi128ELi256ELi6EEvPT0_PKfS3_PKT_PKiS8_iS3_,"axG",@progbits,_Z35paged_attention_ll4mi_reduce_kernelIDF16_DF16_Li128ELi128ELi256ELi6EEvPT0_PKfS3_PKT_PKiS8_iS3_,comdat
	.protected	_Z35paged_attention_ll4mi_reduce_kernelIDF16_DF16_Li128ELi128ELi256ELi6EEvPT0_PKfS3_PKT_PKiS8_iS3_ ; -- Begin function _Z35paged_attention_ll4mi_reduce_kernelIDF16_DF16_Li128ELi128ELi256ELi6EEvPT0_PKfS3_PKT_PKiS8_iS3_
	.globl	_Z35paged_attention_ll4mi_reduce_kernelIDF16_DF16_Li128ELi128ELi256ELi6EEvPT0_PKfS3_PKT_PKiS8_iS3_
	.p2align	8
	.type	_Z35paged_attention_ll4mi_reduce_kernelIDF16_DF16_Li128ELi128ELi256ELi6EEvPT0_PKfS3_PKT_PKiS8_iS3_,@function
_Z35paged_attention_ll4mi_reduce_kernelIDF16_DF16_Li128ELi128ELi256ELi6EEvPT0_PKfS3_PKT_PKiS8_iS3_: ; @_Z35paged_attention_ll4mi_reduce_kernelIDF16_DF16_Li128ELi128ELi256ELi6EEvPT0_PKfS3_PKT_PKiS8_iS3_
; %bb.0:
	s_get_pc_i64 s[2:3]
	s_add_nc_u64 s[2:3], s[2:3], __PRETTY_FUNCTION__._Z35paged_attention_ll4mi_reduce_kernelIDF16_DF16_Li128ELi128ELi256ELi6EEvPT0_PKfS3_PKT_PKiS8_iS3_@rel64+4
	s_delay_alu instid0(SALU_CYCLE_1)
	v_dual_mov_b32 v0, 0xbdd :: v_dual_mov_b32 v1, s2
	v_mov_b32_e32 v2, s3
	s_add_nc_u64 s[8:9], s[0:1], 64
	s_get_pc_i64 s[0:1]
	s_add_nc_u64 s[0:1], s[0:1], __assert_fail@rel64+4
	s_mov_b32 s32, 0
	s_swap_pc_i64 s[30:31], s[0:1]
	.section	.rodata,"a",@progbits
	.p2align	6, 0x0
	.amdhsa_kernel _Z35paged_attention_ll4mi_reduce_kernelIDF16_DF16_Li128ELi128ELi256ELi6EEvPT0_PKfS3_PKT_PKiS8_iS3_
		.amdhsa_group_segment_fixed_size 0
		.amdhsa_private_segment_fixed_size 64
		.amdhsa_kernarg_size 320
		.amdhsa_user_sgpr_count 2
		.amdhsa_user_sgpr_dispatch_ptr 0
		.amdhsa_user_sgpr_queue_ptr 0
		.amdhsa_user_sgpr_kernarg_segment_ptr 1
		.amdhsa_user_sgpr_dispatch_id 0
		.amdhsa_user_sgpr_kernarg_preload_length 0
		.amdhsa_user_sgpr_kernarg_preload_offset 0
		.amdhsa_user_sgpr_private_segment_size 0
		.amdhsa_wavefront_size32 1
		.amdhsa_uses_dynamic_stack 0
		.amdhsa_enable_private_segment 1
		.amdhsa_system_sgpr_workgroup_id_x 1
		.amdhsa_system_sgpr_workgroup_id_y 0
		.amdhsa_system_sgpr_workgroup_id_z 0
		.amdhsa_system_sgpr_workgroup_info 0
		.amdhsa_system_vgpr_workitem_id 0
		.amdhsa_next_free_vgpr 51
		.amdhsa_next_free_sgpr 34
		.amdhsa_named_barrier_count 0
		.amdhsa_reserve_vcc 1
		.amdhsa_float_round_mode_32 0
		.amdhsa_float_round_mode_16_64 0
		.amdhsa_float_denorm_mode_32 3
		.amdhsa_float_denorm_mode_16_64 3
		.amdhsa_fp16_overflow 0
		.amdhsa_memory_ordered 1
		.amdhsa_forward_progress 1
		.amdhsa_inst_pref_size 1
		.amdhsa_round_robin_scheduling 0
		.amdhsa_exception_fp_ieee_invalid_op 0
		.amdhsa_exception_fp_denorm_src 0
		.amdhsa_exception_fp_ieee_div_zero 0
		.amdhsa_exception_fp_ieee_overflow 0
		.amdhsa_exception_fp_ieee_underflow 0
		.amdhsa_exception_fp_ieee_inexact 0
		.amdhsa_exception_int_div_zero 0
	.end_amdhsa_kernel
	.section	.text._Z35paged_attention_ll4mi_reduce_kernelIDF16_DF16_Li128ELi128ELi256ELi6EEvPT0_PKfS3_PKT_PKiS8_iS3_,"axG",@progbits,_Z35paged_attention_ll4mi_reduce_kernelIDF16_DF16_Li128ELi128ELi256ELi6EEvPT0_PKfS3_PKT_PKiS8_iS3_,comdat
.Lfunc_end271:
	.size	_Z35paged_attention_ll4mi_reduce_kernelIDF16_DF16_Li128ELi128ELi256ELi6EEvPT0_PKfS3_PKT_PKiS8_iS3_, .Lfunc_end271-_Z35paged_attention_ll4mi_reduce_kernelIDF16_DF16_Li128ELi128ELi256ELi6EEvPT0_PKfS3_PKT_PKiS8_iS3_
                                        ; -- End function
	.set _Z35paged_attention_ll4mi_reduce_kernelIDF16_DF16_Li128ELi128ELi256ELi6EEvPT0_PKfS3_PKT_PKiS8_iS3_.num_vgpr, max(3, .L__assert_fail.num_vgpr)
	.set _Z35paged_attention_ll4mi_reduce_kernelIDF16_DF16_Li128ELi128ELi256ELi6EEvPT0_PKfS3_PKT_PKiS8_iS3_.num_agpr, max(0, .L__assert_fail.num_agpr)
	.set _Z35paged_attention_ll4mi_reduce_kernelIDF16_DF16_Li128ELi128ELi256ELi6EEvPT0_PKfS3_PKT_PKiS8_iS3_.numbered_sgpr, max(33, .L__assert_fail.numbered_sgpr)
	.set _Z35paged_attention_ll4mi_reduce_kernelIDF16_DF16_Li128ELi128ELi256ELi6EEvPT0_PKfS3_PKT_PKiS8_iS3_.num_named_barrier, max(0, .L__assert_fail.num_named_barrier)
	.set _Z35paged_attention_ll4mi_reduce_kernelIDF16_DF16_Li128ELi128ELi256ELi6EEvPT0_PKfS3_PKT_PKiS8_iS3_.private_seg_size, 0+max(.L__assert_fail.private_seg_size)
	.set _Z35paged_attention_ll4mi_reduce_kernelIDF16_DF16_Li128ELi128ELi256ELi6EEvPT0_PKfS3_PKT_PKiS8_iS3_.uses_vcc, or(1, .L__assert_fail.uses_vcc)
	.set _Z35paged_attention_ll4mi_reduce_kernelIDF16_DF16_Li128ELi128ELi256ELi6EEvPT0_PKfS3_PKT_PKiS8_iS3_.uses_flat_scratch, or(0, .L__assert_fail.uses_flat_scratch)
	.set _Z35paged_attention_ll4mi_reduce_kernelIDF16_DF16_Li128ELi128ELi256ELi6EEvPT0_PKfS3_PKT_PKiS8_iS3_.has_dyn_sized_stack, or(0, .L__assert_fail.has_dyn_sized_stack)
	.set _Z35paged_attention_ll4mi_reduce_kernelIDF16_DF16_Li128ELi128ELi256ELi6EEvPT0_PKfS3_PKT_PKiS8_iS3_.has_recursion, or(0, .L__assert_fail.has_recursion)
	.set _Z35paged_attention_ll4mi_reduce_kernelIDF16_DF16_Li128ELi128ELi256ELi6EEvPT0_PKfS3_PKT_PKiS8_iS3_.has_indirect_call, or(0, .L__assert_fail.has_indirect_call)
	.section	.AMDGPU.csdata,"",@progbits
; Kernel info:
; codeLenInByte = 64
; TotalNumSgprs: 36
; NumVgprs: 51
; ScratchSize: 64
; MemoryBound: 0
; FloatMode: 240
; IeeeMode: 1
; LDSByteSize: 0 bytes/workgroup (compile time only)
; SGPRBlocks: 0
; VGPRBlocks: 3
; NumSGPRsForWavesPerEU: 36
; NumVGPRsForWavesPerEU: 51
; NamedBarCnt: 0
; Occupancy: 16
; WaveLimiterHint : 1
; COMPUTE_PGM_RSRC2:SCRATCH_EN: 1
; COMPUTE_PGM_RSRC2:USER_SGPR: 2
; COMPUTE_PGM_RSRC2:TRAP_HANDLER: 0
; COMPUTE_PGM_RSRC2:TGID_X_EN: 1
; COMPUTE_PGM_RSRC2:TGID_Y_EN: 0
; COMPUTE_PGM_RSRC2:TGID_Z_EN: 0
; COMPUTE_PGM_RSRC2:TIDIG_COMP_CNT: 0
	.section	.text._Z35paged_attention_ll4mi_reduce_kernelIDF16_DF16_Li128ELi128ELi256ELi7EEvPT0_PKfS3_PKT_PKiS8_iS3_,"axG",@progbits,_Z35paged_attention_ll4mi_reduce_kernelIDF16_DF16_Li128ELi128ELi256ELi7EEvPT0_PKfS3_PKT_PKiS8_iS3_,comdat
	.protected	_Z35paged_attention_ll4mi_reduce_kernelIDF16_DF16_Li128ELi128ELi256ELi7EEvPT0_PKfS3_PKT_PKiS8_iS3_ ; -- Begin function _Z35paged_attention_ll4mi_reduce_kernelIDF16_DF16_Li128ELi128ELi256ELi7EEvPT0_PKfS3_PKT_PKiS8_iS3_
	.globl	_Z35paged_attention_ll4mi_reduce_kernelIDF16_DF16_Li128ELi128ELi256ELi7EEvPT0_PKfS3_PKT_PKiS8_iS3_
	.p2align	8
	.type	_Z35paged_attention_ll4mi_reduce_kernelIDF16_DF16_Li128ELi128ELi256ELi7EEvPT0_PKfS3_PKT_PKiS8_iS3_,@function
_Z35paged_attention_ll4mi_reduce_kernelIDF16_DF16_Li128ELi128ELi256ELi7EEvPT0_PKfS3_PKT_PKiS8_iS3_: ; @_Z35paged_attention_ll4mi_reduce_kernelIDF16_DF16_Li128ELi128ELi256ELi7EEvPT0_PKfS3_PKT_PKiS8_iS3_
; %bb.0:
	s_get_pc_i64 s[2:3]
	s_add_nc_u64 s[2:3], s[2:3], __PRETTY_FUNCTION__._Z35paged_attention_ll4mi_reduce_kernelIDF16_DF16_Li128ELi128ELi256ELi7EEvPT0_PKfS3_PKT_PKiS8_iS3_@rel64+4
	s_delay_alu instid0(SALU_CYCLE_1)
	v_dual_mov_b32 v0, 0xbdd :: v_dual_mov_b32 v1, s2
	v_mov_b32_e32 v2, s3
	s_add_nc_u64 s[8:9], s[0:1], 64
	s_get_pc_i64 s[0:1]
	s_add_nc_u64 s[0:1], s[0:1], __assert_fail@rel64+4
	s_mov_b32 s32, 0
	s_swap_pc_i64 s[30:31], s[0:1]
	.section	.rodata,"a",@progbits
	.p2align	6, 0x0
	.amdhsa_kernel _Z35paged_attention_ll4mi_reduce_kernelIDF16_DF16_Li128ELi128ELi256ELi7EEvPT0_PKfS3_PKT_PKiS8_iS3_
		.amdhsa_group_segment_fixed_size 0
		.amdhsa_private_segment_fixed_size 64
		.amdhsa_kernarg_size 320
		.amdhsa_user_sgpr_count 2
		.amdhsa_user_sgpr_dispatch_ptr 0
		.amdhsa_user_sgpr_queue_ptr 0
		.amdhsa_user_sgpr_kernarg_segment_ptr 1
		.amdhsa_user_sgpr_dispatch_id 0
		.amdhsa_user_sgpr_kernarg_preload_length 0
		.amdhsa_user_sgpr_kernarg_preload_offset 0
		.amdhsa_user_sgpr_private_segment_size 0
		.amdhsa_wavefront_size32 1
		.amdhsa_uses_dynamic_stack 0
		.amdhsa_enable_private_segment 1
		.amdhsa_system_sgpr_workgroup_id_x 1
		.amdhsa_system_sgpr_workgroup_id_y 0
		.amdhsa_system_sgpr_workgroup_id_z 0
		.amdhsa_system_sgpr_workgroup_info 0
		.amdhsa_system_vgpr_workitem_id 0
		.amdhsa_next_free_vgpr 51
		.amdhsa_next_free_sgpr 34
		.amdhsa_named_barrier_count 0
		.amdhsa_reserve_vcc 1
		.amdhsa_float_round_mode_32 0
		.amdhsa_float_round_mode_16_64 0
		.amdhsa_float_denorm_mode_32 3
		.amdhsa_float_denorm_mode_16_64 3
		.amdhsa_fp16_overflow 0
		.amdhsa_memory_ordered 1
		.amdhsa_forward_progress 1
		.amdhsa_inst_pref_size 1
		.amdhsa_round_robin_scheduling 0
		.amdhsa_exception_fp_ieee_invalid_op 0
		.amdhsa_exception_fp_denorm_src 0
		.amdhsa_exception_fp_ieee_div_zero 0
		.amdhsa_exception_fp_ieee_overflow 0
		.amdhsa_exception_fp_ieee_underflow 0
		.amdhsa_exception_fp_ieee_inexact 0
		.amdhsa_exception_int_div_zero 0
	.end_amdhsa_kernel
	.section	.text._Z35paged_attention_ll4mi_reduce_kernelIDF16_DF16_Li128ELi128ELi256ELi7EEvPT0_PKfS3_PKT_PKiS8_iS3_,"axG",@progbits,_Z35paged_attention_ll4mi_reduce_kernelIDF16_DF16_Li128ELi128ELi256ELi7EEvPT0_PKfS3_PKT_PKiS8_iS3_,comdat
.Lfunc_end272:
	.size	_Z35paged_attention_ll4mi_reduce_kernelIDF16_DF16_Li128ELi128ELi256ELi7EEvPT0_PKfS3_PKT_PKiS8_iS3_, .Lfunc_end272-_Z35paged_attention_ll4mi_reduce_kernelIDF16_DF16_Li128ELi128ELi256ELi7EEvPT0_PKfS3_PKT_PKiS8_iS3_
                                        ; -- End function
	.set _Z35paged_attention_ll4mi_reduce_kernelIDF16_DF16_Li128ELi128ELi256ELi7EEvPT0_PKfS3_PKT_PKiS8_iS3_.num_vgpr, max(3, .L__assert_fail.num_vgpr)
	.set _Z35paged_attention_ll4mi_reduce_kernelIDF16_DF16_Li128ELi128ELi256ELi7EEvPT0_PKfS3_PKT_PKiS8_iS3_.num_agpr, max(0, .L__assert_fail.num_agpr)
	.set _Z35paged_attention_ll4mi_reduce_kernelIDF16_DF16_Li128ELi128ELi256ELi7EEvPT0_PKfS3_PKT_PKiS8_iS3_.numbered_sgpr, max(33, .L__assert_fail.numbered_sgpr)
	.set _Z35paged_attention_ll4mi_reduce_kernelIDF16_DF16_Li128ELi128ELi256ELi7EEvPT0_PKfS3_PKT_PKiS8_iS3_.num_named_barrier, max(0, .L__assert_fail.num_named_barrier)
	.set _Z35paged_attention_ll4mi_reduce_kernelIDF16_DF16_Li128ELi128ELi256ELi7EEvPT0_PKfS3_PKT_PKiS8_iS3_.private_seg_size, 0+max(.L__assert_fail.private_seg_size)
	.set _Z35paged_attention_ll4mi_reduce_kernelIDF16_DF16_Li128ELi128ELi256ELi7EEvPT0_PKfS3_PKT_PKiS8_iS3_.uses_vcc, or(1, .L__assert_fail.uses_vcc)
	.set _Z35paged_attention_ll4mi_reduce_kernelIDF16_DF16_Li128ELi128ELi256ELi7EEvPT0_PKfS3_PKT_PKiS8_iS3_.uses_flat_scratch, or(0, .L__assert_fail.uses_flat_scratch)
	.set _Z35paged_attention_ll4mi_reduce_kernelIDF16_DF16_Li128ELi128ELi256ELi7EEvPT0_PKfS3_PKT_PKiS8_iS3_.has_dyn_sized_stack, or(0, .L__assert_fail.has_dyn_sized_stack)
	.set _Z35paged_attention_ll4mi_reduce_kernelIDF16_DF16_Li128ELi128ELi256ELi7EEvPT0_PKfS3_PKT_PKiS8_iS3_.has_recursion, or(0, .L__assert_fail.has_recursion)
	.set _Z35paged_attention_ll4mi_reduce_kernelIDF16_DF16_Li128ELi128ELi256ELi7EEvPT0_PKfS3_PKT_PKiS8_iS3_.has_indirect_call, or(0, .L__assert_fail.has_indirect_call)
	.section	.AMDGPU.csdata,"",@progbits
; Kernel info:
; codeLenInByte = 64
; TotalNumSgprs: 36
; NumVgprs: 51
; ScratchSize: 64
; MemoryBound: 0
; FloatMode: 240
; IeeeMode: 1
; LDSByteSize: 0 bytes/workgroup (compile time only)
; SGPRBlocks: 0
; VGPRBlocks: 3
; NumSGPRsForWavesPerEU: 36
; NumVGPRsForWavesPerEU: 51
; NamedBarCnt: 0
; Occupancy: 16
; WaveLimiterHint : 1
; COMPUTE_PGM_RSRC2:SCRATCH_EN: 1
; COMPUTE_PGM_RSRC2:USER_SGPR: 2
; COMPUTE_PGM_RSRC2:TRAP_HANDLER: 0
; COMPUTE_PGM_RSRC2:TGID_X_EN: 1
; COMPUTE_PGM_RSRC2:TGID_Y_EN: 0
; COMPUTE_PGM_RSRC2:TGID_Z_EN: 0
; COMPUTE_PGM_RSRC2:TIDIG_COMP_CNT: 0
	.section	.text._Z35paged_attention_ll4mi_reduce_kernelIDF16_DF16_Li128ELi128ELi256ELi8EEvPT0_PKfS3_PKT_PKiS8_iS3_,"axG",@progbits,_Z35paged_attention_ll4mi_reduce_kernelIDF16_DF16_Li128ELi128ELi256ELi8EEvPT0_PKfS3_PKT_PKiS8_iS3_,comdat
	.protected	_Z35paged_attention_ll4mi_reduce_kernelIDF16_DF16_Li128ELi128ELi256ELi8EEvPT0_PKfS3_PKT_PKiS8_iS3_ ; -- Begin function _Z35paged_attention_ll4mi_reduce_kernelIDF16_DF16_Li128ELi128ELi256ELi8EEvPT0_PKfS3_PKT_PKiS8_iS3_
	.globl	_Z35paged_attention_ll4mi_reduce_kernelIDF16_DF16_Li128ELi128ELi256ELi8EEvPT0_PKfS3_PKT_PKiS8_iS3_
	.p2align	8
	.type	_Z35paged_attention_ll4mi_reduce_kernelIDF16_DF16_Li128ELi128ELi256ELi8EEvPT0_PKfS3_PKT_PKiS8_iS3_,@function
_Z35paged_attention_ll4mi_reduce_kernelIDF16_DF16_Li128ELi128ELi256ELi8EEvPT0_PKfS3_PKT_PKiS8_iS3_: ; @_Z35paged_attention_ll4mi_reduce_kernelIDF16_DF16_Li128ELi128ELi256ELi8EEvPT0_PKfS3_PKT_PKiS8_iS3_
; %bb.0:
	s_get_pc_i64 s[2:3]
	s_add_nc_u64 s[2:3], s[2:3], __PRETTY_FUNCTION__._Z35paged_attention_ll4mi_reduce_kernelIDF16_DF16_Li128ELi128ELi256ELi8EEvPT0_PKfS3_PKT_PKiS8_iS3_@rel64+4
	s_delay_alu instid0(SALU_CYCLE_1)
	v_dual_mov_b32 v0, 0xbdd :: v_dual_mov_b32 v1, s2
	v_mov_b32_e32 v2, s3
	s_add_nc_u64 s[8:9], s[0:1], 64
	s_get_pc_i64 s[0:1]
	s_add_nc_u64 s[0:1], s[0:1], __assert_fail@rel64+4
	s_mov_b32 s32, 0
	s_swap_pc_i64 s[30:31], s[0:1]
	.section	.rodata,"a",@progbits
	.p2align	6, 0x0
	.amdhsa_kernel _Z35paged_attention_ll4mi_reduce_kernelIDF16_DF16_Li128ELi128ELi256ELi8EEvPT0_PKfS3_PKT_PKiS8_iS3_
		.amdhsa_group_segment_fixed_size 0
		.amdhsa_private_segment_fixed_size 64
		.amdhsa_kernarg_size 320
		.amdhsa_user_sgpr_count 2
		.amdhsa_user_sgpr_dispatch_ptr 0
		.amdhsa_user_sgpr_queue_ptr 0
		.amdhsa_user_sgpr_kernarg_segment_ptr 1
		.amdhsa_user_sgpr_dispatch_id 0
		.amdhsa_user_sgpr_kernarg_preload_length 0
		.amdhsa_user_sgpr_kernarg_preload_offset 0
		.amdhsa_user_sgpr_private_segment_size 0
		.amdhsa_wavefront_size32 1
		.amdhsa_uses_dynamic_stack 0
		.amdhsa_enable_private_segment 1
		.amdhsa_system_sgpr_workgroup_id_x 1
		.amdhsa_system_sgpr_workgroup_id_y 0
		.amdhsa_system_sgpr_workgroup_id_z 0
		.amdhsa_system_sgpr_workgroup_info 0
		.amdhsa_system_vgpr_workitem_id 0
		.amdhsa_next_free_vgpr 51
		.amdhsa_next_free_sgpr 34
		.amdhsa_named_barrier_count 0
		.amdhsa_reserve_vcc 1
		.amdhsa_float_round_mode_32 0
		.amdhsa_float_round_mode_16_64 0
		.amdhsa_float_denorm_mode_32 3
		.amdhsa_float_denorm_mode_16_64 3
		.amdhsa_fp16_overflow 0
		.amdhsa_memory_ordered 1
		.amdhsa_forward_progress 1
		.amdhsa_inst_pref_size 1
		.amdhsa_round_robin_scheduling 0
		.amdhsa_exception_fp_ieee_invalid_op 0
		.amdhsa_exception_fp_denorm_src 0
		.amdhsa_exception_fp_ieee_div_zero 0
		.amdhsa_exception_fp_ieee_overflow 0
		.amdhsa_exception_fp_ieee_underflow 0
		.amdhsa_exception_fp_ieee_inexact 0
		.amdhsa_exception_int_div_zero 0
	.end_amdhsa_kernel
	.section	.text._Z35paged_attention_ll4mi_reduce_kernelIDF16_DF16_Li128ELi128ELi256ELi8EEvPT0_PKfS3_PKT_PKiS8_iS3_,"axG",@progbits,_Z35paged_attention_ll4mi_reduce_kernelIDF16_DF16_Li128ELi128ELi256ELi8EEvPT0_PKfS3_PKT_PKiS8_iS3_,comdat
.Lfunc_end273:
	.size	_Z35paged_attention_ll4mi_reduce_kernelIDF16_DF16_Li128ELi128ELi256ELi8EEvPT0_PKfS3_PKT_PKiS8_iS3_, .Lfunc_end273-_Z35paged_attention_ll4mi_reduce_kernelIDF16_DF16_Li128ELi128ELi256ELi8EEvPT0_PKfS3_PKT_PKiS8_iS3_
                                        ; -- End function
	.set _Z35paged_attention_ll4mi_reduce_kernelIDF16_DF16_Li128ELi128ELi256ELi8EEvPT0_PKfS3_PKT_PKiS8_iS3_.num_vgpr, max(3, .L__assert_fail.num_vgpr)
	.set _Z35paged_attention_ll4mi_reduce_kernelIDF16_DF16_Li128ELi128ELi256ELi8EEvPT0_PKfS3_PKT_PKiS8_iS3_.num_agpr, max(0, .L__assert_fail.num_agpr)
	.set _Z35paged_attention_ll4mi_reduce_kernelIDF16_DF16_Li128ELi128ELi256ELi8EEvPT0_PKfS3_PKT_PKiS8_iS3_.numbered_sgpr, max(33, .L__assert_fail.numbered_sgpr)
	.set _Z35paged_attention_ll4mi_reduce_kernelIDF16_DF16_Li128ELi128ELi256ELi8EEvPT0_PKfS3_PKT_PKiS8_iS3_.num_named_barrier, max(0, .L__assert_fail.num_named_barrier)
	.set _Z35paged_attention_ll4mi_reduce_kernelIDF16_DF16_Li128ELi128ELi256ELi8EEvPT0_PKfS3_PKT_PKiS8_iS3_.private_seg_size, 0+max(.L__assert_fail.private_seg_size)
	.set _Z35paged_attention_ll4mi_reduce_kernelIDF16_DF16_Li128ELi128ELi256ELi8EEvPT0_PKfS3_PKT_PKiS8_iS3_.uses_vcc, or(1, .L__assert_fail.uses_vcc)
	.set _Z35paged_attention_ll4mi_reduce_kernelIDF16_DF16_Li128ELi128ELi256ELi8EEvPT0_PKfS3_PKT_PKiS8_iS3_.uses_flat_scratch, or(0, .L__assert_fail.uses_flat_scratch)
	.set _Z35paged_attention_ll4mi_reduce_kernelIDF16_DF16_Li128ELi128ELi256ELi8EEvPT0_PKfS3_PKT_PKiS8_iS3_.has_dyn_sized_stack, or(0, .L__assert_fail.has_dyn_sized_stack)
	.set _Z35paged_attention_ll4mi_reduce_kernelIDF16_DF16_Li128ELi128ELi256ELi8EEvPT0_PKfS3_PKT_PKiS8_iS3_.has_recursion, or(0, .L__assert_fail.has_recursion)
	.set _Z35paged_attention_ll4mi_reduce_kernelIDF16_DF16_Li128ELi128ELi256ELi8EEvPT0_PKfS3_PKT_PKiS8_iS3_.has_indirect_call, or(0, .L__assert_fail.has_indirect_call)
	.section	.AMDGPU.csdata,"",@progbits
; Kernel info:
; codeLenInByte = 64
; TotalNumSgprs: 36
; NumVgprs: 51
; ScratchSize: 64
; MemoryBound: 0
; FloatMode: 240
; IeeeMode: 1
; LDSByteSize: 0 bytes/workgroup (compile time only)
; SGPRBlocks: 0
; VGPRBlocks: 3
; NumSGPRsForWavesPerEU: 36
; NumVGPRsForWavesPerEU: 51
; NamedBarCnt: 0
; Occupancy: 16
; WaveLimiterHint : 1
; COMPUTE_PGM_RSRC2:SCRATCH_EN: 1
; COMPUTE_PGM_RSRC2:USER_SGPR: 2
; COMPUTE_PGM_RSRC2:TRAP_HANDLER: 0
; COMPUTE_PGM_RSRC2:TGID_X_EN: 1
; COMPUTE_PGM_RSRC2:TGID_Y_EN: 0
; COMPUTE_PGM_RSRC2:TGID_Z_EN: 0
; COMPUTE_PGM_RSRC2:TIDIG_COMP_CNT: 0
	.section	.text._Z39paged_attention_ll4mi_QKV_mfma16_kernelIDF16_DF16_LN4vllm18Fp8KVCacheDataTypeE0EDF16_Li16ELi128ELi256ELb1ELi1EEvPKT_PKT0_S7_ifPKiS9_S9_iPKfiiiPfSC_PS2_PT2_iSB_SB_,"axG",@progbits,_Z39paged_attention_ll4mi_QKV_mfma16_kernelIDF16_DF16_LN4vllm18Fp8KVCacheDataTypeE0EDF16_Li16ELi128ELi256ELb1ELi1EEvPKT_PKT0_S7_ifPKiS9_S9_iPKfiiiPfSC_PS2_PT2_iSB_SB_,comdat
	.protected	_Z39paged_attention_ll4mi_QKV_mfma16_kernelIDF16_DF16_LN4vllm18Fp8KVCacheDataTypeE0EDF16_Li16ELi128ELi256ELb1ELi1EEvPKT_PKT0_S7_ifPKiS9_S9_iPKfiiiPfSC_PS2_PT2_iSB_SB_ ; -- Begin function _Z39paged_attention_ll4mi_QKV_mfma16_kernelIDF16_DF16_LN4vllm18Fp8KVCacheDataTypeE0EDF16_Li16ELi128ELi256ELb1ELi1EEvPKT_PKT0_S7_ifPKiS9_S9_iPKfiiiPfSC_PS2_PT2_iSB_SB_
	.globl	_Z39paged_attention_ll4mi_QKV_mfma16_kernelIDF16_DF16_LN4vllm18Fp8KVCacheDataTypeE0EDF16_Li16ELi128ELi256ELb1ELi1EEvPKT_PKT0_S7_ifPKiS9_S9_iPKfiiiPfSC_PS2_PT2_iSB_SB_
	.p2align	8
	.type	_Z39paged_attention_ll4mi_QKV_mfma16_kernelIDF16_DF16_LN4vllm18Fp8KVCacheDataTypeE0EDF16_Li16ELi128ELi256ELb1ELi1EEvPKT_PKT0_S7_ifPKiS9_S9_iPKfiiiPfSC_PS2_PT2_iSB_SB_,@function
_Z39paged_attention_ll4mi_QKV_mfma16_kernelIDF16_DF16_LN4vllm18Fp8KVCacheDataTypeE0EDF16_Li16ELi128ELi256ELb1ELi1EEvPKT_PKT0_S7_ifPKiS9_S9_iPKfiiiPfSC_PS2_PT2_iSB_SB_: ; @_Z39paged_attention_ll4mi_QKV_mfma16_kernelIDF16_DF16_LN4vllm18Fp8KVCacheDataTypeE0EDF16_Li16ELi128ELi256ELb1ELi1EEvPKT_PKT0_S7_ifPKiS9_S9_iPKfiiiPfSC_PS2_PT2_iSB_SB_
; %bb.0:
	s_get_pc_i64 s[2:3]
	s_add_nc_u64 s[2:3], s[2:3], __PRETTY_FUNCTION__._Z39paged_attention_ll4mi_QKV_mfma16_kernelIDF16_DF16_LN4vllm18Fp8KVCacheDataTypeE0EDF16_Li16ELi128ELi256ELb1ELi1EEvPKT_PKT0_S7_ifPKiS9_S9_iPKfiiiPfSC_PS2_PT2_iSB_SB_@rel64+4
	s_delay_alu instid0(SALU_CYCLE_1)
	v_dual_mov_b32 v0, 0xbb3 :: v_dual_mov_b32 v1, s2
	v_mov_b32_e32 v2, s3
	s_add_nc_u64 s[8:9], s[0:1], 0x90
	s_get_pc_i64 s[0:1]
	s_add_nc_u64 s[0:1], s[0:1], __assert_fail@rel64+4
	s_mov_b32 s32, 0
	s_swap_pc_i64 s[30:31], s[0:1]
	.section	.rodata,"a",@progbits
	.p2align	6, 0x0
	.amdhsa_kernel _Z39paged_attention_ll4mi_QKV_mfma16_kernelIDF16_DF16_LN4vllm18Fp8KVCacheDataTypeE0EDF16_Li16ELi128ELi256ELb1ELi1EEvPKT_PKT0_S7_ifPKiS9_S9_iPKfiiiPfSC_PS2_PT2_iSB_SB_
		.amdhsa_group_segment_fixed_size 0
		.amdhsa_private_segment_fixed_size 64
		.amdhsa_kernarg_size 400
		.amdhsa_user_sgpr_count 2
		.amdhsa_user_sgpr_dispatch_ptr 0
		.amdhsa_user_sgpr_queue_ptr 0
		.amdhsa_user_sgpr_kernarg_segment_ptr 1
		.amdhsa_user_sgpr_dispatch_id 0
		.amdhsa_user_sgpr_kernarg_preload_length 0
		.amdhsa_user_sgpr_kernarg_preload_offset 0
		.amdhsa_user_sgpr_private_segment_size 0
		.amdhsa_wavefront_size32 1
		.amdhsa_uses_dynamic_stack 0
		.amdhsa_enable_private_segment 1
		.amdhsa_system_sgpr_workgroup_id_x 1
		.amdhsa_system_sgpr_workgroup_id_y 0
		.amdhsa_system_sgpr_workgroup_id_z 0
		.amdhsa_system_sgpr_workgroup_info 0
		.amdhsa_system_vgpr_workitem_id 0
		.amdhsa_next_free_vgpr 51
		.amdhsa_next_free_sgpr 34
		.amdhsa_named_barrier_count 0
		.amdhsa_reserve_vcc 1
		.amdhsa_float_round_mode_32 0
		.amdhsa_float_round_mode_16_64 0
		.amdhsa_float_denorm_mode_32 3
		.amdhsa_float_denorm_mode_16_64 3
		.amdhsa_fp16_overflow 0
		.amdhsa_memory_ordered 1
		.amdhsa_forward_progress 1
		.amdhsa_inst_pref_size 1
		.amdhsa_round_robin_scheduling 0
		.amdhsa_exception_fp_ieee_invalid_op 0
		.amdhsa_exception_fp_denorm_src 0
		.amdhsa_exception_fp_ieee_div_zero 0
		.amdhsa_exception_fp_ieee_overflow 0
		.amdhsa_exception_fp_ieee_underflow 0
		.amdhsa_exception_fp_ieee_inexact 0
		.amdhsa_exception_int_div_zero 0
	.end_amdhsa_kernel
	.section	.text._Z39paged_attention_ll4mi_QKV_mfma16_kernelIDF16_DF16_LN4vllm18Fp8KVCacheDataTypeE0EDF16_Li16ELi128ELi256ELb1ELi1EEvPKT_PKT0_S7_ifPKiS9_S9_iPKfiiiPfSC_PS2_PT2_iSB_SB_,"axG",@progbits,_Z39paged_attention_ll4mi_QKV_mfma16_kernelIDF16_DF16_LN4vllm18Fp8KVCacheDataTypeE0EDF16_Li16ELi128ELi256ELb1ELi1EEvPKT_PKT0_S7_ifPKiS9_S9_iPKfiiiPfSC_PS2_PT2_iSB_SB_,comdat
.Lfunc_end274:
	.size	_Z39paged_attention_ll4mi_QKV_mfma16_kernelIDF16_DF16_LN4vllm18Fp8KVCacheDataTypeE0EDF16_Li16ELi128ELi256ELb1ELi1EEvPKT_PKT0_S7_ifPKiS9_S9_iPKfiiiPfSC_PS2_PT2_iSB_SB_, .Lfunc_end274-_Z39paged_attention_ll4mi_QKV_mfma16_kernelIDF16_DF16_LN4vllm18Fp8KVCacheDataTypeE0EDF16_Li16ELi128ELi256ELb1ELi1EEvPKT_PKT0_S7_ifPKiS9_S9_iPKfiiiPfSC_PS2_PT2_iSB_SB_
                                        ; -- End function
	.set _Z39paged_attention_ll4mi_QKV_mfma16_kernelIDF16_DF16_LN4vllm18Fp8KVCacheDataTypeE0EDF16_Li16ELi128ELi256ELb1ELi1EEvPKT_PKT0_S7_ifPKiS9_S9_iPKfiiiPfSC_PS2_PT2_iSB_SB_.num_vgpr, max(3, .L__assert_fail.num_vgpr)
	.set _Z39paged_attention_ll4mi_QKV_mfma16_kernelIDF16_DF16_LN4vllm18Fp8KVCacheDataTypeE0EDF16_Li16ELi128ELi256ELb1ELi1EEvPKT_PKT0_S7_ifPKiS9_S9_iPKfiiiPfSC_PS2_PT2_iSB_SB_.num_agpr, max(0, .L__assert_fail.num_agpr)
	.set _Z39paged_attention_ll4mi_QKV_mfma16_kernelIDF16_DF16_LN4vllm18Fp8KVCacheDataTypeE0EDF16_Li16ELi128ELi256ELb1ELi1EEvPKT_PKT0_S7_ifPKiS9_S9_iPKfiiiPfSC_PS2_PT2_iSB_SB_.numbered_sgpr, max(33, .L__assert_fail.numbered_sgpr)
	.set _Z39paged_attention_ll4mi_QKV_mfma16_kernelIDF16_DF16_LN4vllm18Fp8KVCacheDataTypeE0EDF16_Li16ELi128ELi256ELb1ELi1EEvPKT_PKT0_S7_ifPKiS9_S9_iPKfiiiPfSC_PS2_PT2_iSB_SB_.num_named_barrier, max(0, .L__assert_fail.num_named_barrier)
	.set _Z39paged_attention_ll4mi_QKV_mfma16_kernelIDF16_DF16_LN4vllm18Fp8KVCacheDataTypeE0EDF16_Li16ELi128ELi256ELb1ELi1EEvPKT_PKT0_S7_ifPKiS9_S9_iPKfiiiPfSC_PS2_PT2_iSB_SB_.private_seg_size, 0+max(.L__assert_fail.private_seg_size)
	.set _Z39paged_attention_ll4mi_QKV_mfma16_kernelIDF16_DF16_LN4vllm18Fp8KVCacheDataTypeE0EDF16_Li16ELi128ELi256ELb1ELi1EEvPKT_PKT0_S7_ifPKiS9_S9_iPKfiiiPfSC_PS2_PT2_iSB_SB_.uses_vcc, or(1, .L__assert_fail.uses_vcc)
	.set _Z39paged_attention_ll4mi_QKV_mfma16_kernelIDF16_DF16_LN4vllm18Fp8KVCacheDataTypeE0EDF16_Li16ELi128ELi256ELb1ELi1EEvPKT_PKT0_S7_ifPKiS9_S9_iPKfiiiPfSC_PS2_PT2_iSB_SB_.uses_flat_scratch, or(0, .L__assert_fail.uses_flat_scratch)
	.set _Z39paged_attention_ll4mi_QKV_mfma16_kernelIDF16_DF16_LN4vllm18Fp8KVCacheDataTypeE0EDF16_Li16ELi128ELi256ELb1ELi1EEvPKT_PKT0_S7_ifPKiS9_S9_iPKfiiiPfSC_PS2_PT2_iSB_SB_.has_dyn_sized_stack, or(0, .L__assert_fail.has_dyn_sized_stack)
	.set _Z39paged_attention_ll4mi_QKV_mfma16_kernelIDF16_DF16_LN4vllm18Fp8KVCacheDataTypeE0EDF16_Li16ELi128ELi256ELb1ELi1EEvPKT_PKT0_S7_ifPKiS9_S9_iPKfiiiPfSC_PS2_PT2_iSB_SB_.has_recursion, or(0, .L__assert_fail.has_recursion)
	.set _Z39paged_attention_ll4mi_QKV_mfma16_kernelIDF16_DF16_LN4vllm18Fp8KVCacheDataTypeE0EDF16_Li16ELi128ELi256ELb1ELi1EEvPKT_PKT0_S7_ifPKiS9_S9_iPKfiiiPfSC_PS2_PT2_iSB_SB_.has_indirect_call, or(0, .L__assert_fail.has_indirect_call)
	.section	.AMDGPU.csdata,"",@progbits
; Kernel info:
; codeLenInByte = 68
; TotalNumSgprs: 36
; NumVgprs: 51
; ScratchSize: 64
; MemoryBound: 0
; FloatMode: 240
; IeeeMode: 1
; LDSByteSize: 0 bytes/workgroup (compile time only)
; SGPRBlocks: 0
; VGPRBlocks: 3
; NumSGPRsForWavesPerEU: 36
; NumVGPRsForWavesPerEU: 51
; NamedBarCnt: 0
; Occupancy: 16
; WaveLimiterHint : 1
; COMPUTE_PGM_RSRC2:SCRATCH_EN: 1
; COMPUTE_PGM_RSRC2:USER_SGPR: 2
; COMPUTE_PGM_RSRC2:TRAP_HANDLER: 0
; COMPUTE_PGM_RSRC2:TGID_X_EN: 1
; COMPUTE_PGM_RSRC2:TGID_Y_EN: 0
; COMPUTE_PGM_RSRC2:TGID_Z_EN: 0
; COMPUTE_PGM_RSRC2:TIDIG_COMP_CNT: 0
	.section	.text._Z39paged_attention_ll4mi_QKV_mfma16_kernelIDF16_DF16_LN4vllm18Fp8KVCacheDataTypeE0EDF16_Li16ELi128ELi256ELb1ELi2EEvPKT_PKT0_S7_ifPKiS9_S9_iPKfiiiPfSC_PS2_PT2_iSB_SB_,"axG",@progbits,_Z39paged_attention_ll4mi_QKV_mfma16_kernelIDF16_DF16_LN4vllm18Fp8KVCacheDataTypeE0EDF16_Li16ELi128ELi256ELb1ELi2EEvPKT_PKT0_S7_ifPKiS9_S9_iPKfiiiPfSC_PS2_PT2_iSB_SB_,comdat
	.protected	_Z39paged_attention_ll4mi_QKV_mfma16_kernelIDF16_DF16_LN4vllm18Fp8KVCacheDataTypeE0EDF16_Li16ELi128ELi256ELb1ELi2EEvPKT_PKT0_S7_ifPKiS9_S9_iPKfiiiPfSC_PS2_PT2_iSB_SB_ ; -- Begin function _Z39paged_attention_ll4mi_QKV_mfma16_kernelIDF16_DF16_LN4vllm18Fp8KVCacheDataTypeE0EDF16_Li16ELi128ELi256ELb1ELi2EEvPKT_PKT0_S7_ifPKiS9_S9_iPKfiiiPfSC_PS2_PT2_iSB_SB_
	.globl	_Z39paged_attention_ll4mi_QKV_mfma16_kernelIDF16_DF16_LN4vllm18Fp8KVCacheDataTypeE0EDF16_Li16ELi128ELi256ELb1ELi2EEvPKT_PKT0_S7_ifPKiS9_S9_iPKfiiiPfSC_PS2_PT2_iSB_SB_
	.p2align	8
	.type	_Z39paged_attention_ll4mi_QKV_mfma16_kernelIDF16_DF16_LN4vllm18Fp8KVCacheDataTypeE0EDF16_Li16ELi128ELi256ELb1ELi2EEvPKT_PKT0_S7_ifPKiS9_S9_iPKfiiiPfSC_PS2_PT2_iSB_SB_,@function
_Z39paged_attention_ll4mi_QKV_mfma16_kernelIDF16_DF16_LN4vllm18Fp8KVCacheDataTypeE0EDF16_Li16ELi128ELi256ELb1ELi2EEvPKT_PKT0_S7_ifPKiS9_S9_iPKfiiiPfSC_PS2_PT2_iSB_SB_: ; @_Z39paged_attention_ll4mi_QKV_mfma16_kernelIDF16_DF16_LN4vllm18Fp8KVCacheDataTypeE0EDF16_Li16ELi128ELi256ELb1ELi2EEvPKT_PKT0_S7_ifPKiS9_S9_iPKfiiiPfSC_PS2_PT2_iSB_SB_
; %bb.0:
	s_get_pc_i64 s[2:3]
	s_add_nc_u64 s[2:3], s[2:3], __PRETTY_FUNCTION__._Z39paged_attention_ll4mi_QKV_mfma16_kernelIDF16_DF16_LN4vllm18Fp8KVCacheDataTypeE0EDF16_Li16ELi128ELi256ELb1ELi2EEvPKT_PKT0_S7_ifPKiS9_S9_iPKfiiiPfSC_PS2_PT2_iSB_SB_@rel64+4
	s_delay_alu instid0(SALU_CYCLE_1)
	v_dual_mov_b32 v0, 0xbb3 :: v_dual_mov_b32 v1, s2
	v_mov_b32_e32 v2, s3
	s_add_nc_u64 s[8:9], s[0:1], 0x90
	s_get_pc_i64 s[0:1]
	s_add_nc_u64 s[0:1], s[0:1], __assert_fail@rel64+4
	s_mov_b32 s32, 0
	s_swap_pc_i64 s[30:31], s[0:1]
	.section	.rodata,"a",@progbits
	.p2align	6, 0x0
	.amdhsa_kernel _Z39paged_attention_ll4mi_QKV_mfma16_kernelIDF16_DF16_LN4vllm18Fp8KVCacheDataTypeE0EDF16_Li16ELi128ELi256ELb1ELi2EEvPKT_PKT0_S7_ifPKiS9_S9_iPKfiiiPfSC_PS2_PT2_iSB_SB_
		.amdhsa_group_segment_fixed_size 0
		.amdhsa_private_segment_fixed_size 64
		.amdhsa_kernarg_size 400
		.amdhsa_user_sgpr_count 2
		.amdhsa_user_sgpr_dispatch_ptr 0
		.amdhsa_user_sgpr_queue_ptr 0
		.amdhsa_user_sgpr_kernarg_segment_ptr 1
		.amdhsa_user_sgpr_dispatch_id 0
		.amdhsa_user_sgpr_kernarg_preload_length 0
		.amdhsa_user_sgpr_kernarg_preload_offset 0
		.amdhsa_user_sgpr_private_segment_size 0
		.amdhsa_wavefront_size32 1
		.amdhsa_uses_dynamic_stack 0
		.amdhsa_enable_private_segment 1
		.amdhsa_system_sgpr_workgroup_id_x 1
		.amdhsa_system_sgpr_workgroup_id_y 0
		.amdhsa_system_sgpr_workgroup_id_z 0
		.amdhsa_system_sgpr_workgroup_info 0
		.amdhsa_system_vgpr_workitem_id 0
		.amdhsa_next_free_vgpr 51
		.amdhsa_next_free_sgpr 34
		.amdhsa_named_barrier_count 0
		.amdhsa_reserve_vcc 1
		.amdhsa_float_round_mode_32 0
		.amdhsa_float_round_mode_16_64 0
		.amdhsa_float_denorm_mode_32 3
		.amdhsa_float_denorm_mode_16_64 3
		.amdhsa_fp16_overflow 0
		.amdhsa_memory_ordered 1
		.amdhsa_forward_progress 1
		.amdhsa_inst_pref_size 1
		.amdhsa_round_robin_scheduling 0
		.amdhsa_exception_fp_ieee_invalid_op 0
		.amdhsa_exception_fp_denorm_src 0
		.amdhsa_exception_fp_ieee_div_zero 0
		.amdhsa_exception_fp_ieee_overflow 0
		.amdhsa_exception_fp_ieee_underflow 0
		.amdhsa_exception_fp_ieee_inexact 0
		.amdhsa_exception_int_div_zero 0
	.end_amdhsa_kernel
	.section	.text._Z39paged_attention_ll4mi_QKV_mfma16_kernelIDF16_DF16_LN4vllm18Fp8KVCacheDataTypeE0EDF16_Li16ELi128ELi256ELb1ELi2EEvPKT_PKT0_S7_ifPKiS9_S9_iPKfiiiPfSC_PS2_PT2_iSB_SB_,"axG",@progbits,_Z39paged_attention_ll4mi_QKV_mfma16_kernelIDF16_DF16_LN4vllm18Fp8KVCacheDataTypeE0EDF16_Li16ELi128ELi256ELb1ELi2EEvPKT_PKT0_S7_ifPKiS9_S9_iPKfiiiPfSC_PS2_PT2_iSB_SB_,comdat
.Lfunc_end275:
	.size	_Z39paged_attention_ll4mi_QKV_mfma16_kernelIDF16_DF16_LN4vllm18Fp8KVCacheDataTypeE0EDF16_Li16ELi128ELi256ELb1ELi2EEvPKT_PKT0_S7_ifPKiS9_S9_iPKfiiiPfSC_PS2_PT2_iSB_SB_, .Lfunc_end275-_Z39paged_attention_ll4mi_QKV_mfma16_kernelIDF16_DF16_LN4vllm18Fp8KVCacheDataTypeE0EDF16_Li16ELi128ELi256ELb1ELi2EEvPKT_PKT0_S7_ifPKiS9_S9_iPKfiiiPfSC_PS2_PT2_iSB_SB_
                                        ; -- End function
	.set _Z39paged_attention_ll4mi_QKV_mfma16_kernelIDF16_DF16_LN4vllm18Fp8KVCacheDataTypeE0EDF16_Li16ELi128ELi256ELb1ELi2EEvPKT_PKT0_S7_ifPKiS9_S9_iPKfiiiPfSC_PS2_PT2_iSB_SB_.num_vgpr, max(3, .L__assert_fail.num_vgpr)
	.set _Z39paged_attention_ll4mi_QKV_mfma16_kernelIDF16_DF16_LN4vllm18Fp8KVCacheDataTypeE0EDF16_Li16ELi128ELi256ELb1ELi2EEvPKT_PKT0_S7_ifPKiS9_S9_iPKfiiiPfSC_PS2_PT2_iSB_SB_.num_agpr, max(0, .L__assert_fail.num_agpr)
	.set _Z39paged_attention_ll4mi_QKV_mfma16_kernelIDF16_DF16_LN4vllm18Fp8KVCacheDataTypeE0EDF16_Li16ELi128ELi256ELb1ELi2EEvPKT_PKT0_S7_ifPKiS9_S9_iPKfiiiPfSC_PS2_PT2_iSB_SB_.numbered_sgpr, max(33, .L__assert_fail.numbered_sgpr)
	.set _Z39paged_attention_ll4mi_QKV_mfma16_kernelIDF16_DF16_LN4vllm18Fp8KVCacheDataTypeE0EDF16_Li16ELi128ELi256ELb1ELi2EEvPKT_PKT0_S7_ifPKiS9_S9_iPKfiiiPfSC_PS2_PT2_iSB_SB_.num_named_barrier, max(0, .L__assert_fail.num_named_barrier)
	.set _Z39paged_attention_ll4mi_QKV_mfma16_kernelIDF16_DF16_LN4vllm18Fp8KVCacheDataTypeE0EDF16_Li16ELi128ELi256ELb1ELi2EEvPKT_PKT0_S7_ifPKiS9_S9_iPKfiiiPfSC_PS2_PT2_iSB_SB_.private_seg_size, 0+max(.L__assert_fail.private_seg_size)
	.set _Z39paged_attention_ll4mi_QKV_mfma16_kernelIDF16_DF16_LN4vllm18Fp8KVCacheDataTypeE0EDF16_Li16ELi128ELi256ELb1ELi2EEvPKT_PKT0_S7_ifPKiS9_S9_iPKfiiiPfSC_PS2_PT2_iSB_SB_.uses_vcc, or(1, .L__assert_fail.uses_vcc)
	.set _Z39paged_attention_ll4mi_QKV_mfma16_kernelIDF16_DF16_LN4vllm18Fp8KVCacheDataTypeE0EDF16_Li16ELi128ELi256ELb1ELi2EEvPKT_PKT0_S7_ifPKiS9_S9_iPKfiiiPfSC_PS2_PT2_iSB_SB_.uses_flat_scratch, or(0, .L__assert_fail.uses_flat_scratch)
	.set _Z39paged_attention_ll4mi_QKV_mfma16_kernelIDF16_DF16_LN4vllm18Fp8KVCacheDataTypeE0EDF16_Li16ELi128ELi256ELb1ELi2EEvPKT_PKT0_S7_ifPKiS9_S9_iPKfiiiPfSC_PS2_PT2_iSB_SB_.has_dyn_sized_stack, or(0, .L__assert_fail.has_dyn_sized_stack)
	.set _Z39paged_attention_ll4mi_QKV_mfma16_kernelIDF16_DF16_LN4vllm18Fp8KVCacheDataTypeE0EDF16_Li16ELi128ELi256ELb1ELi2EEvPKT_PKT0_S7_ifPKiS9_S9_iPKfiiiPfSC_PS2_PT2_iSB_SB_.has_recursion, or(0, .L__assert_fail.has_recursion)
	.set _Z39paged_attention_ll4mi_QKV_mfma16_kernelIDF16_DF16_LN4vllm18Fp8KVCacheDataTypeE0EDF16_Li16ELi128ELi256ELb1ELi2EEvPKT_PKT0_S7_ifPKiS9_S9_iPKfiiiPfSC_PS2_PT2_iSB_SB_.has_indirect_call, or(0, .L__assert_fail.has_indirect_call)
	.section	.AMDGPU.csdata,"",@progbits
; Kernel info:
; codeLenInByte = 68
; TotalNumSgprs: 36
; NumVgprs: 51
; ScratchSize: 64
; MemoryBound: 0
; FloatMode: 240
; IeeeMode: 1
; LDSByteSize: 0 bytes/workgroup (compile time only)
; SGPRBlocks: 0
; VGPRBlocks: 3
; NumSGPRsForWavesPerEU: 36
; NumVGPRsForWavesPerEU: 51
; NamedBarCnt: 0
; Occupancy: 16
; WaveLimiterHint : 1
; COMPUTE_PGM_RSRC2:SCRATCH_EN: 1
; COMPUTE_PGM_RSRC2:USER_SGPR: 2
; COMPUTE_PGM_RSRC2:TRAP_HANDLER: 0
; COMPUTE_PGM_RSRC2:TGID_X_EN: 1
; COMPUTE_PGM_RSRC2:TGID_Y_EN: 0
; COMPUTE_PGM_RSRC2:TGID_Z_EN: 0
; COMPUTE_PGM_RSRC2:TIDIG_COMP_CNT: 0
	.section	.text._Z39paged_attention_ll4mi_QKV_mfma16_kernelIDF16_DF16_LN4vllm18Fp8KVCacheDataTypeE0EDF16_Li16ELi128ELi256ELb1ELi3EEvPKT_PKT0_S7_ifPKiS9_S9_iPKfiiiPfSC_PS2_PT2_iSB_SB_,"axG",@progbits,_Z39paged_attention_ll4mi_QKV_mfma16_kernelIDF16_DF16_LN4vllm18Fp8KVCacheDataTypeE0EDF16_Li16ELi128ELi256ELb1ELi3EEvPKT_PKT0_S7_ifPKiS9_S9_iPKfiiiPfSC_PS2_PT2_iSB_SB_,comdat
	.protected	_Z39paged_attention_ll4mi_QKV_mfma16_kernelIDF16_DF16_LN4vllm18Fp8KVCacheDataTypeE0EDF16_Li16ELi128ELi256ELb1ELi3EEvPKT_PKT0_S7_ifPKiS9_S9_iPKfiiiPfSC_PS2_PT2_iSB_SB_ ; -- Begin function _Z39paged_attention_ll4mi_QKV_mfma16_kernelIDF16_DF16_LN4vllm18Fp8KVCacheDataTypeE0EDF16_Li16ELi128ELi256ELb1ELi3EEvPKT_PKT0_S7_ifPKiS9_S9_iPKfiiiPfSC_PS2_PT2_iSB_SB_
	.globl	_Z39paged_attention_ll4mi_QKV_mfma16_kernelIDF16_DF16_LN4vllm18Fp8KVCacheDataTypeE0EDF16_Li16ELi128ELi256ELb1ELi3EEvPKT_PKT0_S7_ifPKiS9_S9_iPKfiiiPfSC_PS2_PT2_iSB_SB_
	.p2align	8
	.type	_Z39paged_attention_ll4mi_QKV_mfma16_kernelIDF16_DF16_LN4vllm18Fp8KVCacheDataTypeE0EDF16_Li16ELi128ELi256ELb1ELi3EEvPKT_PKT0_S7_ifPKiS9_S9_iPKfiiiPfSC_PS2_PT2_iSB_SB_,@function
_Z39paged_attention_ll4mi_QKV_mfma16_kernelIDF16_DF16_LN4vllm18Fp8KVCacheDataTypeE0EDF16_Li16ELi128ELi256ELb1ELi3EEvPKT_PKT0_S7_ifPKiS9_S9_iPKfiiiPfSC_PS2_PT2_iSB_SB_: ; @_Z39paged_attention_ll4mi_QKV_mfma16_kernelIDF16_DF16_LN4vllm18Fp8KVCacheDataTypeE0EDF16_Li16ELi128ELi256ELb1ELi3EEvPKT_PKT0_S7_ifPKiS9_S9_iPKfiiiPfSC_PS2_PT2_iSB_SB_
; %bb.0:
	s_get_pc_i64 s[2:3]
	s_add_nc_u64 s[2:3], s[2:3], __PRETTY_FUNCTION__._Z39paged_attention_ll4mi_QKV_mfma16_kernelIDF16_DF16_LN4vllm18Fp8KVCacheDataTypeE0EDF16_Li16ELi128ELi256ELb1ELi3EEvPKT_PKT0_S7_ifPKiS9_S9_iPKfiiiPfSC_PS2_PT2_iSB_SB_@rel64+4
	s_delay_alu instid0(SALU_CYCLE_1)
	v_dual_mov_b32 v0, 0xbb3 :: v_dual_mov_b32 v1, s2
	v_mov_b32_e32 v2, s3
	s_add_nc_u64 s[8:9], s[0:1], 0x90
	s_get_pc_i64 s[0:1]
	s_add_nc_u64 s[0:1], s[0:1], __assert_fail@rel64+4
	s_mov_b32 s32, 0
	s_swap_pc_i64 s[30:31], s[0:1]
	.section	.rodata,"a",@progbits
	.p2align	6, 0x0
	.amdhsa_kernel _Z39paged_attention_ll4mi_QKV_mfma16_kernelIDF16_DF16_LN4vllm18Fp8KVCacheDataTypeE0EDF16_Li16ELi128ELi256ELb1ELi3EEvPKT_PKT0_S7_ifPKiS9_S9_iPKfiiiPfSC_PS2_PT2_iSB_SB_
		.amdhsa_group_segment_fixed_size 0
		.amdhsa_private_segment_fixed_size 64
		.amdhsa_kernarg_size 400
		.amdhsa_user_sgpr_count 2
		.amdhsa_user_sgpr_dispatch_ptr 0
		.amdhsa_user_sgpr_queue_ptr 0
		.amdhsa_user_sgpr_kernarg_segment_ptr 1
		.amdhsa_user_sgpr_dispatch_id 0
		.amdhsa_user_sgpr_kernarg_preload_length 0
		.amdhsa_user_sgpr_kernarg_preload_offset 0
		.amdhsa_user_sgpr_private_segment_size 0
		.amdhsa_wavefront_size32 1
		.amdhsa_uses_dynamic_stack 0
		.amdhsa_enable_private_segment 1
		.amdhsa_system_sgpr_workgroup_id_x 1
		.amdhsa_system_sgpr_workgroup_id_y 0
		.amdhsa_system_sgpr_workgroup_id_z 0
		.amdhsa_system_sgpr_workgroup_info 0
		.amdhsa_system_vgpr_workitem_id 0
		.amdhsa_next_free_vgpr 51
		.amdhsa_next_free_sgpr 34
		.amdhsa_named_barrier_count 0
		.amdhsa_reserve_vcc 1
		.amdhsa_float_round_mode_32 0
		.amdhsa_float_round_mode_16_64 0
		.amdhsa_float_denorm_mode_32 3
		.amdhsa_float_denorm_mode_16_64 3
		.amdhsa_fp16_overflow 0
		.amdhsa_memory_ordered 1
		.amdhsa_forward_progress 1
		.amdhsa_inst_pref_size 1
		.amdhsa_round_robin_scheduling 0
		.amdhsa_exception_fp_ieee_invalid_op 0
		.amdhsa_exception_fp_denorm_src 0
		.amdhsa_exception_fp_ieee_div_zero 0
		.amdhsa_exception_fp_ieee_overflow 0
		.amdhsa_exception_fp_ieee_underflow 0
		.amdhsa_exception_fp_ieee_inexact 0
		.amdhsa_exception_int_div_zero 0
	.end_amdhsa_kernel
	.section	.text._Z39paged_attention_ll4mi_QKV_mfma16_kernelIDF16_DF16_LN4vllm18Fp8KVCacheDataTypeE0EDF16_Li16ELi128ELi256ELb1ELi3EEvPKT_PKT0_S7_ifPKiS9_S9_iPKfiiiPfSC_PS2_PT2_iSB_SB_,"axG",@progbits,_Z39paged_attention_ll4mi_QKV_mfma16_kernelIDF16_DF16_LN4vllm18Fp8KVCacheDataTypeE0EDF16_Li16ELi128ELi256ELb1ELi3EEvPKT_PKT0_S7_ifPKiS9_S9_iPKfiiiPfSC_PS2_PT2_iSB_SB_,comdat
.Lfunc_end276:
	.size	_Z39paged_attention_ll4mi_QKV_mfma16_kernelIDF16_DF16_LN4vllm18Fp8KVCacheDataTypeE0EDF16_Li16ELi128ELi256ELb1ELi3EEvPKT_PKT0_S7_ifPKiS9_S9_iPKfiiiPfSC_PS2_PT2_iSB_SB_, .Lfunc_end276-_Z39paged_attention_ll4mi_QKV_mfma16_kernelIDF16_DF16_LN4vllm18Fp8KVCacheDataTypeE0EDF16_Li16ELi128ELi256ELb1ELi3EEvPKT_PKT0_S7_ifPKiS9_S9_iPKfiiiPfSC_PS2_PT2_iSB_SB_
                                        ; -- End function
	.set _Z39paged_attention_ll4mi_QKV_mfma16_kernelIDF16_DF16_LN4vllm18Fp8KVCacheDataTypeE0EDF16_Li16ELi128ELi256ELb1ELi3EEvPKT_PKT0_S7_ifPKiS9_S9_iPKfiiiPfSC_PS2_PT2_iSB_SB_.num_vgpr, max(3, .L__assert_fail.num_vgpr)
	.set _Z39paged_attention_ll4mi_QKV_mfma16_kernelIDF16_DF16_LN4vllm18Fp8KVCacheDataTypeE0EDF16_Li16ELi128ELi256ELb1ELi3EEvPKT_PKT0_S7_ifPKiS9_S9_iPKfiiiPfSC_PS2_PT2_iSB_SB_.num_agpr, max(0, .L__assert_fail.num_agpr)
	.set _Z39paged_attention_ll4mi_QKV_mfma16_kernelIDF16_DF16_LN4vllm18Fp8KVCacheDataTypeE0EDF16_Li16ELi128ELi256ELb1ELi3EEvPKT_PKT0_S7_ifPKiS9_S9_iPKfiiiPfSC_PS2_PT2_iSB_SB_.numbered_sgpr, max(33, .L__assert_fail.numbered_sgpr)
	.set _Z39paged_attention_ll4mi_QKV_mfma16_kernelIDF16_DF16_LN4vllm18Fp8KVCacheDataTypeE0EDF16_Li16ELi128ELi256ELb1ELi3EEvPKT_PKT0_S7_ifPKiS9_S9_iPKfiiiPfSC_PS2_PT2_iSB_SB_.num_named_barrier, max(0, .L__assert_fail.num_named_barrier)
	.set _Z39paged_attention_ll4mi_QKV_mfma16_kernelIDF16_DF16_LN4vllm18Fp8KVCacheDataTypeE0EDF16_Li16ELi128ELi256ELb1ELi3EEvPKT_PKT0_S7_ifPKiS9_S9_iPKfiiiPfSC_PS2_PT2_iSB_SB_.private_seg_size, 0+max(.L__assert_fail.private_seg_size)
	.set _Z39paged_attention_ll4mi_QKV_mfma16_kernelIDF16_DF16_LN4vllm18Fp8KVCacheDataTypeE0EDF16_Li16ELi128ELi256ELb1ELi3EEvPKT_PKT0_S7_ifPKiS9_S9_iPKfiiiPfSC_PS2_PT2_iSB_SB_.uses_vcc, or(1, .L__assert_fail.uses_vcc)
	.set _Z39paged_attention_ll4mi_QKV_mfma16_kernelIDF16_DF16_LN4vllm18Fp8KVCacheDataTypeE0EDF16_Li16ELi128ELi256ELb1ELi3EEvPKT_PKT0_S7_ifPKiS9_S9_iPKfiiiPfSC_PS2_PT2_iSB_SB_.uses_flat_scratch, or(0, .L__assert_fail.uses_flat_scratch)
	.set _Z39paged_attention_ll4mi_QKV_mfma16_kernelIDF16_DF16_LN4vllm18Fp8KVCacheDataTypeE0EDF16_Li16ELi128ELi256ELb1ELi3EEvPKT_PKT0_S7_ifPKiS9_S9_iPKfiiiPfSC_PS2_PT2_iSB_SB_.has_dyn_sized_stack, or(0, .L__assert_fail.has_dyn_sized_stack)
	.set _Z39paged_attention_ll4mi_QKV_mfma16_kernelIDF16_DF16_LN4vllm18Fp8KVCacheDataTypeE0EDF16_Li16ELi128ELi256ELb1ELi3EEvPKT_PKT0_S7_ifPKiS9_S9_iPKfiiiPfSC_PS2_PT2_iSB_SB_.has_recursion, or(0, .L__assert_fail.has_recursion)
	.set _Z39paged_attention_ll4mi_QKV_mfma16_kernelIDF16_DF16_LN4vllm18Fp8KVCacheDataTypeE0EDF16_Li16ELi128ELi256ELb1ELi3EEvPKT_PKT0_S7_ifPKiS9_S9_iPKfiiiPfSC_PS2_PT2_iSB_SB_.has_indirect_call, or(0, .L__assert_fail.has_indirect_call)
	.section	.AMDGPU.csdata,"",@progbits
; Kernel info:
; codeLenInByte = 68
; TotalNumSgprs: 36
; NumVgprs: 51
; ScratchSize: 64
; MemoryBound: 0
; FloatMode: 240
; IeeeMode: 1
; LDSByteSize: 0 bytes/workgroup (compile time only)
; SGPRBlocks: 0
; VGPRBlocks: 3
; NumSGPRsForWavesPerEU: 36
; NumVGPRsForWavesPerEU: 51
; NamedBarCnt: 0
; Occupancy: 16
; WaveLimiterHint : 1
; COMPUTE_PGM_RSRC2:SCRATCH_EN: 1
; COMPUTE_PGM_RSRC2:USER_SGPR: 2
; COMPUTE_PGM_RSRC2:TRAP_HANDLER: 0
; COMPUTE_PGM_RSRC2:TGID_X_EN: 1
; COMPUTE_PGM_RSRC2:TGID_Y_EN: 0
; COMPUTE_PGM_RSRC2:TGID_Z_EN: 0
; COMPUTE_PGM_RSRC2:TIDIG_COMP_CNT: 0
	.section	.text._Z39paged_attention_ll4mi_QKV_mfma16_kernelIDF16_DF16_LN4vllm18Fp8KVCacheDataTypeE0EDF16_Li16ELi128ELi256ELb1ELi4EEvPKT_PKT0_S7_ifPKiS9_S9_iPKfiiiPfSC_PS2_PT2_iSB_SB_,"axG",@progbits,_Z39paged_attention_ll4mi_QKV_mfma16_kernelIDF16_DF16_LN4vllm18Fp8KVCacheDataTypeE0EDF16_Li16ELi128ELi256ELb1ELi4EEvPKT_PKT0_S7_ifPKiS9_S9_iPKfiiiPfSC_PS2_PT2_iSB_SB_,comdat
	.protected	_Z39paged_attention_ll4mi_QKV_mfma16_kernelIDF16_DF16_LN4vllm18Fp8KVCacheDataTypeE0EDF16_Li16ELi128ELi256ELb1ELi4EEvPKT_PKT0_S7_ifPKiS9_S9_iPKfiiiPfSC_PS2_PT2_iSB_SB_ ; -- Begin function _Z39paged_attention_ll4mi_QKV_mfma16_kernelIDF16_DF16_LN4vllm18Fp8KVCacheDataTypeE0EDF16_Li16ELi128ELi256ELb1ELi4EEvPKT_PKT0_S7_ifPKiS9_S9_iPKfiiiPfSC_PS2_PT2_iSB_SB_
	.globl	_Z39paged_attention_ll4mi_QKV_mfma16_kernelIDF16_DF16_LN4vllm18Fp8KVCacheDataTypeE0EDF16_Li16ELi128ELi256ELb1ELi4EEvPKT_PKT0_S7_ifPKiS9_S9_iPKfiiiPfSC_PS2_PT2_iSB_SB_
	.p2align	8
	.type	_Z39paged_attention_ll4mi_QKV_mfma16_kernelIDF16_DF16_LN4vllm18Fp8KVCacheDataTypeE0EDF16_Li16ELi128ELi256ELb1ELi4EEvPKT_PKT0_S7_ifPKiS9_S9_iPKfiiiPfSC_PS2_PT2_iSB_SB_,@function
_Z39paged_attention_ll4mi_QKV_mfma16_kernelIDF16_DF16_LN4vllm18Fp8KVCacheDataTypeE0EDF16_Li16ELi128ELi256ELb1ELi4EEvPKT_PKT0_S7_ifPKiS9_S9_iPKfiiiPfSC_PS2_PT2_iSB_SB_: ; @_Z39paged_attention_ll4mi_QKV_mfma16_kernelIDF16_DF16_LN4vllm18Fp8KVCacheDataTypeE0EDF16_Li16ELi128ELi256ELb1ELi4EEvPKT_PKT0_S7_ifPKiS9_S9_iPKfiiiPfSC_PS2_PT2_iSB_SB_
; %bb.0:
	s_get_pc_i64 s[2:3]
	s_add_nc_u64 s[2:3], s[2:3], __PRETTY_FUNCTION__._Z39paged_attention_ll4mi_QKV_mfma16_kernelIDF16_DF16_LN4vllm18Fp8KVCacheDataTypeE0EDF16_Li16ELi128ELi256ELb1ELi4EEvPKT_PKT0_S7_ifPKiS9_S9_iPKfiiiPfSC_PS2_PT2_iSB_SB_@rel64+4
	s_delay_alu instid0(SALU_CYCLE_1)
	v_dual_mov_b32 v0, 0xbb3 :: v_dual_mov_b32 v1, s2
	v_mov_b32_e32 v2, s3
	s_add_nc_u64 s[8:9], s[0:1], 0x90
	s_get_pc_i64 s[0:1]
	s_add_nc_u64 s[0:1], s[0:1], __assert_fail@rel64+4
	s_mov_b32 s32, 0
	s_swap_pc_i64 s[30:31], s[0:1]
	.section	.rodata,"a",@progbits
	.p2align	6, 0x0
	.amdhsa_kernel _Z39paged_attention_ll4mi_QKV_mfma16_kernelIDF16_DF16_LN4vllm18Fp8KVCacheDataTypeE0EDF16_Li16ELi128ELi256ELb1ELi4EEvPKT_PKT0_S7_ifPKiS9_S9_iPKfiiiPfSC_PS2_PT2_iSB_SB_
		.amdhsa_group_segment_fixed_size 0
		.amdhsa_private_segment_fixed_size 64
		.amdhsa_kernarg_size 400
		.amdhsa_user_sgpr_count 2
		.amdhsa_user_sgpr_dispatch_ptr 0
		.amdhsa_user_sgpr_queue_ptr 0
		.amdhsa_user_sgpr_kernarg_segment_ptr 1
		.amdhsa_user_sgpr_dispatch_id 0
		.amdhsa_user_sgpr_kernarg_preload_length 0
		.amdhsa_user_sgpr_kernarg_preload_offset 0
		.amdhsa_user_sgpr_private_segment_size 0
		.amdhsa_wavefront_size32 1
		.amdhsa_uses_dynamic_stack 0
		.amdhsa_enable_private_segment 1
		.amdhsa_system_sgpr_workgroup_id_x 1
		.amdhsa_system_sgpr_workgroup_id_y 0
		.amdhsa_system_sgpr_workgroup_id_z 0
		.amdhsa_system_sgpr_workgroup_info 0
		.amdhsa_system_vgpr_workitem_id 0
		.amdhsa_next_free_vgpr 51
		.amdhsa_next_free_sgpr 34
		.amdhsa_named_barrier_count 0
		.amdhsa_reserve_vcc 1
		.amdhsa_float_round_mode_32 0
		.amdhsa_float_round_mode_16_64 0
		.amdhsa_float_denorm_mode_32 3
		.amdhsa_float_denorm_mode_16_64 3
		.amdhsa_fp16_overflow 0
		.amdhsa_memory_ordered 1
		.amdhsa_forward_progress 1
		.amdhsa_inst_pref_size 1
		.amdhsa_round_robin_scheduling 0
		.amdhsa_exception_fp_ieee_invalid_op 0
		.amdhsa_exception_fp_denorm_src 0
		.amdhsa_exception_fp_ieee_div_zero 0
		.amdhsa_exception_fp_ieee_overflow 0
		.amdhsa_exception_fp_ieee_underflow 0
		.amdhsa_exception_fp_ieee_inexact 0
		.amdhsa_exception_int_div_zero 0
	.end_amdhsa_kernel
	.section	.text._Z39paged_attention_ll4mi_QKV_mfma16_kernelIDF16_DF16_LN4vllm18Fp8KVCacheDataTypeE0EDF16_Li16ELi128ELi256ELb1ELi4EEvPKT_PKT0_S7_ifPKiS9_S9_iPKfiiiPfSC_PS2_PT2_iSB_SB_,"axG",@progbits,_Z39paged_attention_ll4mi_QKV_mfma16_kernelIDF16_DF16_LN4vllm18Fp8KVCacheDataTypeE0EDF16_Li16ELi128ELi256ELb1ELi4EEvPKT_PKT0_S7_ifPKiS9_S9_iPKfiiiPfSC_PS2_PT2_iSB_SB_,comdat
.Lfunc_end277:
	.size	_Z39paged_attention_ll4mi_QKV_mfma16_kernelIDF16_DF16_LN4vllm18Fp8KVCacheDataTypeE0EDF16_Li16ELi128ELi256ELb1ELi4EEvPKT_PKT0_S7_ifPKiS9_S9_iPKfiiiPfSC_PS2_PT2_iSB_SB_, .Lfunc_end277-_Z39paged_attention_ll4mi_QKV_mfma16_kernelIDF16_DF16_LN4vllm18Fp8KVCacheDataTypeE0EDF16_Li16ELi128ELi256ELb1ELi4EEvPKT_PKT0_S7_ifPKiS9_S9_iPKfiiiPfSC_PS2_PT2_iSB_SB_
                                        ; -- End function
	.set _Z39paged_attention_ll4mi_QKV_mfma16_kernelIDF16_DF16_LN4vllm18Fp8KVCacheDataTypeE0EDF16_Li16ELi128ELi256ELb1ELi4EEvPKT_PKT0_S7_ifPKiS9_S9_iPKfiiiPfSC_PS2_PT2_iSB_SB_.num_vgpr, max(3, .L__assert_fail.num_vgpr)
	.set _Z39paged_attention_ll4mi_QKV_mfma16_kernelIDF16_DF16_LN4vllm18Fp8KVCacheDataTypeE0EDF16_Li16ELi128ELi256ELb1ELi4EEvPKT_PKT0_S7_ifPKiS9_S9_iPKfiiiPfSC_PS2_PT2_iSB_SB_.num_agpr, max(0, .L__assert_fail.num_agpr)
	.set _Z39paged_attention_ll4mi_QKV_mfma16_kernelIDF16_DF16_LN4vllm18Fp8KVCacheDataTypeE0EDF16_Li16ELi128ELi256ELb1ELi4EEvPKT_PKT0_S7_ifPKiS9_S9_iPKfiiiPfSC_PS2_PT2_iSB_SB_.numbered_sgpr, max(33, .L__assert_fail.numbered_sgpr)
	.set _Z39paged_attention_ll4mi_QKV_mfma16_kernelIDF16_DF16_LN4vllm18Fp8KVCacheDataTypeE0EDF16_Li16ELi128ELi256ELb1ELi4EEvPKT_PKT0_S7_ifPKiS9_S9_iPKfiiiPfSC_PS2_PT2_iSB_SB_.num_named_barrier, max(0, .L__assert_fail.num_named_barrier)
	.set _Z39paged_attention_ll4mi_QKV_mfma16_kernelIDF16_DF16_LN4vllm18Fp8KVCacheDataTypeE0EDF16_Li16ELi128ELi256ELb1ELi4EEvPKT_PKT0_S7_ifPKiS9_S9_iPKfiiiPfSC_PS2_PT2_iSB_SB_.private_seg_size, 0+max(.L__assert_fail.private_seg_size)
	.set _Z39paged_attention_ll4mi_QKV_mfma16_kernelIDF16_DF16_LN4vllm18Fp8KVCacheDataTypeE0EDF16_Li16ELi128ELi256ELb1ELi4EEvPKT_PKT0_S7_ifPKiS9_S9_iPKfiiiPfSC_PS2_PT2_iSB_SB_.uses_vcc, or(1, .L__assert_fail.uses_vcc)
	.set _Z39paged_attention_ll4mi_QKV_mfma16_kernelIDF16_DF16_LN4vllm18Fp8KVCacheDataTypeE0EDF16_Li16ELi128ELi256ELb1ELi4EEvPKT_PKT0_S7_ifPKiS9_S9_iPKfiiiPfSC_PS2_PT2_iSB_SB_.uses_flat_scratch, or(0, .L__assert_fail.uses_flat_scratch)
	.set _Z39paged_attention_ll4mi_QKV_mfma16_kernelIDF16_DF16_LN4vllm18Fp8KVCacheDataTypeE0EDF16_Li16ELi128ELi256ELb1ELi4EEvPKT_PKT0_S7_ifPKiS9_S9_iPKfiiiPfSC_PS2_PT2_iSB_SB_.has_dyn_sized_stack, or(0, .L__assert_fail.has_dyn_sized_stack)
	.set _Z39paged_attention_ll4mi_QKV_mfma16_kernelIDF16_DF16_LN4vllm18Fp8KVCacheDataTypeE0EDF16_Li16ELi128ELi256ELb1ELi4EEvPKT_PKT0_S7_ifPKiS9_S9_iPKfiiiPfSC_PS2_PT2_iSB_SB_.has_recursion, or(0, .L__assert_fail.has_recursion)
	.set _Z39paged_attention_ll4mi_QKV_mfma16_kernelIDF16_DF16_LN4vllm18Fp8KVCacheDataTypeE0EDF16_Li16ELi128ELi256ELb1ELi4EEvPKT_PKT0_S7_ifPKiS9_S9_iPKfiiiPfSC_PS2_PT2_iSB_SB_.has_indirect_call, or(0, .L__assert_fail.has_indirect_call)
	.section	.AMDGPU.csdata,"",@progbits
; Kernel info:
; codeLenInByte = 68
; TotalNumSgprs: 36
; NumVgprs: 51
; ScratchSize: 64
; MemoryBound: 0
; FloatMode: 240
; IeeeMode: 1
; LDSByteSize: 0 bytes/workgroup (compile time only)
; SGPRBlocks: 0
; VGPRBlocks: 3
; NumSGPRsForWavesPerEU: 36
; NumVGPRsForWavesPerEU: 51
; NamedBarCnt: 0
; Occupancy: 16
; WaveLimiterHint : 1
; COMPUTE_PGM_RSRC2:SCRATCH_EN: 1
; COMPUTE_PGM_RSRC2:USER_SGPR: 2
; COMPUTE_PGM_RSRC2:TRAP_HANDLER: 0
; COMPUTE_PGM_RSRC2:TGID_X_EN: 1
; COMPUTE_PGM_RSRC2:TGID_Y_EN: 0
; COMPUTE_PGM_RSRC2:TGID_Z_EN: 0
; COMPUTE_PGM_RSRC2:TIDIG_COMP_CNT: 0
	.section	.text._Z35paged_attention_ll4mi_reduce_kernelIDF16_DF16_Li128ELi128ELi256ELi9EEvPT0_PKfS3_PKT_PKiS8_iS3_,"axG",@progbits,_Z35paged_attention_ll4mi_reduce_kernelIDF16_DF16_Li128ELi128ELi256ELi9EEvPT0_PKfS3_PKT_PKiS8_iS3_,comdat
	.protected	_Z35paged_attention_ll4mi_reduce_kernelIDF16_DF16_Li128ELi128ELi256ELi9EEvPT0_PKfS3_PKT_PKiS8_iS3_ ; -- Begin function _Z35paged_attention_ll4mi_reduce_kernelIDF16_DF16_Li128ELi128ELi256ELi9EEvPT0_PKfS3_PKT_PKiS8_iS3_
	.globl	_Z35paged_attention_ll4mi_reduce_kernelIDF16_DF16_Li128ELi128ELi256ELi9EEvPT0_PKfS3_PKT_PKiS8_iS3_
	.p2align	8
	.type	_Z35paged_attention_ll4mi_reduce_kernelIDF16_DF16_Li128ELi128ELi256ELi9EEvPT0_PKfS3_PKT_PKiS8_iS3_,@function
_Z35paged_attention_ll4mi_reduce_kernelIDF16_DF16_Li128ELi128ELi256ELi9EEvPT0_PKfS3_PKT_PKiS8_iS3_: ; @_Z35paged_attention_ll4mi_reduce_kernelIDF16_DF16_Li128ELi128ELi256ELi9EEvPT0_PKfS3_PKT_PKiS8_iS3_
; %bb.0:
	s_get_pc_i64 s[2:3]
	s_add_nc_u64 s[2:3], s[2:3], __PRETTY_FUNCTION__._Z35paged_attention_ll4mi_reduce_kernelIDF16_DF16_Li128ELi128ELi256ELi9EEvPT0_PKfS3_PKT_PKiS8_iS3_@rel64+4
	s_delay_alu instid0(SALU_CYCLE_1)
	v_dual_mov_b32 v0, 0xbdd :: v_dual_mov_b32 v1, s2
	v_mov_b32_e32 v2, s3
	s_add_nc_u64 s[8:9], s[0:1], 64
	s_get_pc_i64 s[0:1]
	s_add_nc_u64 s[0:1], s[0:1], __assert_fail@rel64+4
	s_mov_b32 s32, 0
	s_swap_pc_i64 s[30:31], s[0:1]
	.section	.rodata,"a",@progbits
	.p2align	6, 0x0
	.amdhsa_kernel _Z35paged_attention_ll4mi_reduce_kernelIDF16_DF16_Li128ELi128ELi256ELi9EEvPT0_PKfS3_PKT_PKiS8_iS3_
		.amdhsa_group_segment_fixed_size 0
		.amdhsa_private_segment_fixed_size 64
		.amdhsa_kernarg_size 320
		.amdhsa_user_sgpr_count 2
		.amdhsa_user_sgpr_dispatch_ptr 0
		.amdhsa_user_sgpr_queue_ptr 0
		.amdhsa_user_sgpr_kernarg_segment_ptr 1
		.amdhsa_user_sgpr_dispatch_id 0
		.amdhsa_user_sgpr_kernarg_preload_length 0
		.amdhsa_user_sgpr_kernarg_preload_offset 0
		.amdhsa_user_sgpr_private_segment_size 0
		.amdhsa_wavefront_size32 1
		.amdhsa_uses_dynamic_stack 0
		.amdhsa_enable_private_segment 1
		.amdhsa_system_sgpr_workgroup_id_x 1
		.amdhsa_system_sgpr_workgroup_id_y 0
		.amdhsa_system_sgpr_workgroup_id_z 0
		.amdhsa_system_sgpr_workgroup_info 0
		.amdhsa_system_vgpr_workitem_id 0
		.amdhsa_next_free_vgpr 51
		.amdhsa_next_free_sgpr 34
		.amdhsa_named_barrier_count 0
		.amdhsa_reserve_vcc 1
		.amdhsa_float_round_mode_32 0
		.amdhsa_float_round_mode_16_64 0
		.amdhsa_float_denorm_mode_32 3
		.amdhsa_float_denorm_mode_16_64 3
		.amdhsa_fp16_overflow 0
		.amdhsa_memory_ordered 1
		.amdhsa_forward_progress 1
		.amdhsa_inst_pref_size 1
		.amdhsa_round_robin_scheduling 0
		.amdhsa_exception_fp_ieee_invalid_op 0
		.amdhsa_exception_fp_denorm_src 0
		.amdhsa_exception_fp_ieee_div_zero 0
		.amdhsa_exception_fp_ieee_overflow 0
		.amdhsa_exception_fp_ieee_underflow 0
		.amdhsa_exception_fp_ieee_inexact 0
		.amdhsa_exception_int_div_zero 0
	.end_amdhsa_kernel
	.section	.text._Z35paged_attention_ll4mi_reduce_kernelIDF16_DF16_Li128ELi128ELi256ELi9EEvPT0_PKfS3_PKT_PKiS8_iS3_,"axG",@progbits,_Z35paged_attention_ll4mi_reduce_kernelIDF16_DF16_Li128ELi128ELi256ELi9EEvPT0_PKfS3_PKT_PKiS8_iS3_,comdat
.Lfunc_end278:
	.size	_Z35paged_attention_ll4mi_reduce_kernelIDF16_DF16_Li128ELi128ELi256ELi9EEvPT0_PKfS3_PKT_PKiS8_iS3_, .Lfunc_end278-_Z35paged_attention_ll4mi_reduce_kernelIDF16_DF16_Li128ELi128ELi256ELi9EEvPT0_PKfS3_PKT_PKiS8_iS3_
                                        ; -- End function
	.set _Z35paged_attention_ll4mi_reduce_kernelIDF16_DF16_Li128ELi128ELi256ELi9EEvPT0_PKfS3_PKT_PKiS8_iS3_.num_vgpr, max(3, .L__assert_fail.num_vgpr)
	.set _Z35paged_attention_ll4mi_reduce_kernelIDF16_DF16_Li128ELi128ELi256ELi9EEvPT0_PKfS3_PKT_PKiS8_iS3_.num_agpr, max(0, .L__assert_fail.num_agpr)
	.set _Z35paged_attention_ll4mi_reduce_kernelIDF16_DF16_Li128ELi128ELi256ELi9EEvPT0_PKfS3_PKT_PKiS8_iS3_.numbered_sgpr, max(33, .L__assert_fail.numbered_sgpr)
	.set _Z35paged_attention_ll4mi_reduce_kernelIDF16_DF16_Li128ELi128ELi256ELi9EEvPT0_PKfS3_PKT_PKiS8_iS3_.num_named_barrier, max(0, .L__assert_fail.num_named_barrier)
	.set _Z35paged_attention_ll4mi_reduce_kernelIDF16_DF16_Li128ELi128ELi256ELi9EEvPT0_PKfS3_PKT_PKiS8_iS3_.private_seg_size, 0+max(.L__assert_fail.private_seg_size)
	.set _Z35paged_attention_ll4mi_reduce_kernelIDF16_DF16_Li128ELi128ELi256ELi9EEvPT0_PKfS3_PKT_PKiS8_iS3_.uses_vcc, or(1, .L__assert_fail.uses_vcc)
	.set _Z35paged_attention_ll4mi_reduce_kernelIDF16_DF16_Li128ELi128ELi256ELi9EEvPT0_PKfS3_PKT_PKiS8_iS3_.uses_flat_scratch, or(0, .L__assert_fail.uses_flat_scratch)
	.set _Z35paged_attention_ll4mi_reduce_kernelIDF16_DF16_Li128ELi128ELi256ELi9EEvPT0_PKfS3_PKT_PKiS8_iS3_.has_dyn_sized_stack, or(0, .L__assert_fail.has_dyn_sized_stack)
	.set _Z35paged_attention_ll4mi_reduce_kernelIDF16_DF16_Li128ELi128ELi256ELi9EEvPT0_PKfS3_PKT_PKiS8_iS3_.has_recursion, or(0, .L__assert_fail.has_recursion)
	.set _Z35paged_attention_ll4mi_reduce_kernelIDF16_DF16_Li128ELi128ELi256ELi9EEvPT0_PKfS3_PKT_PKiS8_iS3_.has_indirect_call, or(0, .L__assert_fail.has_indirect_call)
	.section	.AMDGPU.csdata,"",@progbits
; Kernel info:
; codeLenInByte = 64
; TotalNumSgprs: 36
; NumVgprs: 51
; ScratchSize: 64
; MemoryBound: 0
; FloatMode: 240
; IeeeMode: 1
; LDSByteSize: 0 bytes/workgroup (compile time only)
; SGPRBlocks: 0
; VGPRBlocks: 3
; NumSGPRsForWavesPerEU: 36
; NumVGPRsForWavesPerEU: 51
; NamedBarCnt: 0
; Occupancy: 16
; WaveLimiterHint : 1
; COMPUTE_PGM_RSRC2:SCRATCH_EN: 1
; COMPUTE_PGM_RSRC2:USER_SGPR: 2
; COMPUTE_PGM_RSRC2:TRAP_HANDLER: 0
; COMPUTE_PGM_RSRC2:TGID_X_EN: 1
; COMPUTE_PGM_RSRC2:TGID_Y_EN: 0
; COMPUTE_PGM_RSRC2:TGID_Z_EN: 0
; COMPUTE_PGM_RSRC2:TIDIG_COMP_CNT: 0
	.section	.text._Z35paged_attention_ll4mi_reduce_kernelIDF16_DF16_Li128ELi128ELi256ELi10EEvPT0_PKfS3_PKT_PKiS8_iS3_,"axG",@progbits,_Z35paged_attention_ll4mi_reduce_kernelIDF16_DF16_Li128ELi128ELi256ELi10EEvPT0_PKfS3_PKT_PKiS8_iS3_,comdat
	.protected	_Z35paged_attention_ll4mi_reduce_kernelIDF16_DF16_Li128ELi128ELi256ELi10EEvPT0_PKfS3_PKT_PKiS8_iS3_ ; -- Begin function _Z35paged_attention_ll4mi_reduce_kernelIDF16_DF16_Li128ELi128ELi256ELi10EEvPT0_PKfS3_PKT_PKiS8_iS3_
	.globl	_Z35paged_attention_ll4mi_reduce_kernelIDF16_DF16_Li128ELi128ELi256ELi10EEvPT0_PKfS3_PKT_PKiS8_iS3_
	.p2align	8
	.type	_Z35paged_attention_ll4mi_reduce_kernelIDF16_DF16_Li128ELi128ELi256ELi10EEvPT0_PKfS3_PKT_PKiS8_iS3_,@function
_Z35paged_attention_ll4mi_reduce_kernelIDF16_DF16_Li128ELi128ELi256ELi10EEvPT0_PKfS3_PKT_PKiS8_iS3_: ; @_Z35paged_attention_ll4mi_reduce_kernelIDF16_DF16_Li128ELi128ELi256ELi10EEvPT0_PKfS3_PKT_PKiS8_iS3_
; %bb.0:
	s_get_pc_i64 s[2:3]
	s_add_nc_u64 s[2:3], s[2:3], __PRETTY_FUNCTION__._Z35paged_attention_ll4mi_reduce_kernelIDF16_DF16_Li128ELi128ELi256ELi10EEvPT0_PKfS3_PKT_PKiS8_iS3_@rel64+4
	s_delay_alu instid0(SALU_CYCLE_1)
	v_dual_mov_b32 v0, 0xbdd :: v_dual_mov_b32 v1, s2
	v_mov_b32_e32 v2, s3
	s_add_nc_u64 s[8:9], s[0:1], 64
	s_get_pc_i64 s[0:1]
	s_add_nc_u64 s[0:1], s[0:1], __assert_fail@rel64+4
	s_mov_b32 s32, 0
	s_swap_pc_i64 s[30:31], s[0:1]
	.section	.rodata,"a",@progbits
	.p2align	6, 0x0
	.amdhsa_kernel _Z35paged_attention_ll4mi_reduce_kernelIDF16_DF16_Li128ELi128ELi256ELi10EEvPT0_PKfS3_PKT_PKiS8_iS3_
		.amdhsa_group_segment_fixed_size 0
		.amdhsa_private_segment_fixed_size 64
		.amdhsa_kernarg_size 320
		.amdhsa_user_sgpr_count 2
		.amdhsa_user_sgpr_dispatch_ptr 0
		.amdhsa_user_sgpr_queue_ptr 0
		.amdhsa_user_sgpr_kernarg_segment_ptr 1
		.amdhsa_user_sgpr_dispatch_id 0
		.amdhsa_user_sgpr_kernarg_preload_length 0
		.amdhsa_user_sgpr_kernarg_preload_offset 0
		.amdhsa_user_sgpr_private_segment_size 0
		.amdhsa_wavefront_size32 1
		.amdhsa_uses_dynamic_stack 0
		.amdhsa_enable_private_segment 1
		.amdhsa_system_sgpr_workgroup_id_x 1
		.amdhsa_system_sgpr_workgroup_id_y 0
		.amdhsa_system_sgpr_workgroup_id_z 0
		.amdhsa_system_sgpr_workgroup_info 0
		.amdhsa_system_vgpr_workitem_id 0
		.amdhsa_next_free_vgpr 51
		.amdhsa_next_free_sgpr 34
		.amdhsa_named_barrier_count 0
		.amdhsa_reserve_vcc 1
		.amdhsa_float_round_mode_32 0
		.amdhsa_float_round_mode_16_64 0
		.amdhsa_float_denorm_mode_32 3
		.amdhsa_float_denorm_mode_16_64 3
		.amdhsa_fp16_overflow 0
		.amdhsa_memory_ordered 1
		.amdhsa_forward_progress 1
		.amdhsa_inst_pref_size 1
		.amdhsa_round_robin_scheduling 0
		.amdhsa_exception_fp_ieee_invalid_op 0
		.amdhsa_exception_fp_denorm_src 0
		.amdhsa_exception_fp_ieee_div_zero 0
		.amdhsa_exception_fp_ieee_overflow 0
		.amdhsa_exception_fp_ieee_underflow 0
		.amdhsa_exception_fp_ieee_inexact 0
		.amdhsa_exception_int_div_zero 0
	.end_amdhsa_kernel
	.section	.text._Z35paged_attention_ll4mi_reduce_kernelIDF16_DF16_Li128ELi128ELi256ELi10EEvPT0_PKfS3_PKT_PKiS8_iS3_,"axG",@progbits,_Z35paged_attention_ll4mi_reduce_kernelIDF16_DF16_Li128ELi128ELi256ELi10EEvPT0_PKfS3_PKT_PKiS8_iS3_,comdat
.Lfunc_end279:
	.size	_Z35paged_attention_ll4mi_reduce_kernelIDF16_DF16_Li128ELi128ELi256ELi10EEvPT0_PKfS3_PKT_PKiS8_iS3_, .Lfunc_end279-_Z35paged_attention_ll4mi_reduce_kernelIDF16_DF16_Li128ELi128ELi256ELi10EEvPT0_PKfS3_PKT_PKiS8_iS3_
                                        ; -- End function
	.set _Z35paged_attention_ll4mi_reduce_kernelIDF16_DF16_Li128ELi128ELi256ELi10EEvPT0_PKfS3_PKT_PKiS8_iS3_.num_vgpr, max(3, .L__assert_fail.num_vgpr)
	.set _Z35paged_attention_ll4mi_reduce_kernelIDF16_DF16_Li128ELi128ELi256ELi10EEvPT0_PKfS3_PKT_PKiS8_iS3_.num_agpr, max(0, .L__assert_fail.num_agpr)
	.set _Z35paged_attention_ll4mi_reduce_kernelIDF16_DF16_Li128ELi128ELi256ELi10EEvPT0_PKfS3_PKT_PKiS8_iS3_.numbered_sgpr, max(33, .L__assert_fail.numbered_sgpr)
	.set _Z35paged_attention_ll4mi_reduce_kernelIDF16_DF16_Li128ELi128ELi256ELi10EEvPT0_PKfS3_PKT_PKiS8_iS3_.num_named_barrier, max(0, .L__assert_fail.num_named_barrier)
	.set _Z35paged_attention_ll4mi_reduce_kernelIDF16_DF16_Li128ELi128ELi256ELi10EEvPT0_PKfS3_PKT_PKiS8_iS3_.private_seg_size, 0+max(.L__assert_fail.private_seg_size)
	.set _Z35paged_attention_ll4mi_reduce_kernelIDF16_DF16_Li128ELi128ELi256ELi10EEvPT0_PKfS3_PKT_PKiS8_iS3_.uses_vcc, or(1, .L__assert_fail.uses_vcc)
	.set _Z35paged_attention_ll4mi_reduce_kernelIDF16_DF16_Li128ELi128ELi256ELi10EEvPT0_PKfS3_PKT_PKiS8_iS3_.uses_flat_scratch, or(0, .L__assert_fail.uses_flat_scratch)
	.set _Z35paged_attention_ll4mi_reduce_kernelIDF16_DF16_Li128ELi128ELi256ELi10EEvPT0_PKfS3_PKT_PKiS8_iS3_.has_dyn_sized_stack, or(0, .L__assert_fail.has_dyn_sized_stack)
	.set _Z35paged_attention_ll4mi_reduce_kernelIDF16_DF16_Li128ELi128ELi256ELi10EEvPT0_PKfS3_PKT_PKiS8_iS3_.has_recursion, or(0, .L__assert_fail.has_recursion)
	.set _Z35paged_attention_ll4mi_reduce_kernelIDF16_DF16_Li128ELi128ELi256ELi10EEvPT0_PKfS3_PKT_PKiS8_iS3_.has_indirect_call, or(0, .L__assert_fail.has_indirect_call)
	.section	.AMDGPU.csdata,"",@progbits
; Kernel info:
; codeLenInByte = 64
; TotalNumSgprs: 36
; NumVgprs: 51
; ScratchSize: 64
; MemoryBound: 0
; FloatMode: 240
; IeeeMode: 1
; LDSByteSize: 0 bytes/workgroup (compile time only)
; SGPRBlocks: 0
; VGPRBlocks: 3
; NumSGPRsForWavesPerEU: 36
; NumVGPRsForWavesPerEU: 51
; NamedBarCnt: 0
; Occupancy: 16
; WaveLimiterHint : 1
; COMPUTE_PGM_RSRC2:SCRATCH_EN: 1
; COMPUTE_PGM_RSRC2:USER_SGPR: 2
; COMPUTE_PGM_RSRC2:TRAP_HANDLER: 0
; COMPUTE_PGM_RSRC2:TGID_X_EN: 1
; COMPUTE_PGM_RSRC2:TGID_Y_EN: 0
; COMPUTE_PGM_RSRC2:TGID_Z_EN: 0
; COMPUTE_PGM_RSRC2:TIDIG_COMP_CNT: 0
	.section	.text._Z35paged_attention_ll4mi_reduce_kernelIDF16_DF16_Li128ELi128ELi256ELi11EEvPT0_PKfS3_PKT_PKiS8_iS3_,"axG",@progbits,_Z35paged_attention_ll4mi_reduce_kernelIDF16_DF16_Li128ELi128ELi256ELi11EEvPT0_PKfS3_PKT_PKiS8_iS3_,comdat
	.protected	_Z35paged_attention_ll4mi_reduce_kernelIDF16_DF16_Li128ELi128ELi256ELi11EEvPT0_PKfS3_PKT_PKiS8_iS3_ ; -- Begin function _Z35paged_attention_ll4mi_reduce_kernelIDF16_DF16_Li128ELi128ELi256ELi11EEvPT0_PKfS3_PKT_PKiS8_iS3_
	.globl	_Z35paged_attention_ll4mi_reduce_kernelIDF16_DF16_Li128ELi128ELi256ELi11EEvPT0_PKfS3_PKT_PKiS8_iS3_
	.p2align	8
	.type	_Z35paged_attention_ll4mi_reduce_kernelIDF16_DF16_Li128ELi128ELi256ELi11EEvPT0_PKfS3_PKT_PKiS8_iS3_,@function
_Z35paged_attention_ll4mi_reduce_kernelIDF16_DF16_Li128ELi128ELi256ELi11EEvPT0_PKfS3_PKT_PKiS8_iS3_: ; @_Z35paged_attention_ll4mi_reduce_kernelIDF16_DF16_Li128ELi128ELi256ELi11EEvPT0_PKfS3_PKT_PKiS8_iS3_
; %bb.0:
	s_get_pc_i64 s[2:3]
	s_add_nc_u64 s[2:3], s[2:3], __PRETTY_FUNCTION__._Z35paged_attention_ll4mi_reduce_kernelIDF16_DF16_Li128ELi128ELi256ELi11EEvPT0_PKfS3_PKT_PKiS8_iS3_@rel64+4
	s_delay_alu instid0(SALU_CYCLE_1)
	v_dual_mov_b32 v0, 0xbdd :: v_dual_mov_b32 v1, s2
	v_mov_b32_e32 v2, s3
	s_add_nc_u64 s[8:9], s[0:1], 64
	s_get_pc_i64 s[0:1]
	s_add_nc_u64 s[0:1], s[0:1], __assert_fail@rel64+4
	s_mov_b32 s32, 0
	s_swap_pc_i64 s[30:31], s[0:1]
	.section	.rodata,"a",@progbits
	.p2align	6, 0x0
	.amdhsa_kernel _Z35paged_attention_ll4mi_reduce_kernelIDF16_DF16_Li128ELi128ELi256ELi11EEvPT0_PKfS3_PKT_PKiS8_iS3_
		.amdhsa_group_segment_fixed_size 0
		.amdhsa_private_segment_fixed_size 64
		.amdhsa_kernarg_size 320
		.amdhsa_user_sgpr_count 2
		.amdhsa_user_sgpr_dispatch_ptr 0
		.amdhsa_user_sgpr_queue_ptr 0
		.amdhsa_user_sgpr_kernarg_segment_ptr 1
		.amdhsa_user_sgpr_dispatch_id 0
		.amdhsa_user_sgpr_kernarg_preload_length 0
		.amdhsa_user_sgpr_kernarg_preload_offset 0
		.amdhsa_user_sgpr_private_segment_size 0
		.amdhsa_wavefront_size32 1
		.amdhsa_uses_dynamic_stack 0
		.amdhsa_enable_private_segment 1
		.amdhsa_system_sgpr_workgroup_id_x 1
		.amdhsa_system_sgpr_workgroup_id_y 0
		.amdhsa_system_sgpr_workgroup_id_z 0
		.amdhsa_system_sgpr_workgroup_info 0
		.amdhsa_system_vgpr_workitem_id 0
		.amdhsa_next_free_vgpr 51
		.amdhsa_next_free_sgpr 34
		.amdhsa_named_barrier_count 0
		.amdhsa_reserve_vcc 1
		.amdhsa_float_round_mode_32 0
		.amdhsa_float_round_mode_16_64 0
		.amdhsa_float_denorm_mode_32 3
		.amdhsa_float_denorm_mode_16_64 3
		.amdhsa_fp16_overflow 0
		.amdhsa_memory_ordered 1
		.amdhsa_forward_progress 1
		.amdhsa_inst_pref_size 1
		.amdhsa_round_robin_scheduling 0
		.amdhsa_exception_fp_ieee_invalid_op 0
		.amdhsa_exception_fp_denorm_src 0
		.amdhsa_exception_fp_ieee_div_zero 0
		.amdhsa_exception_fp_ieee_overflow 0
		.amdhsa_exception_fp_ieee_underflow 0
		.amdhsa_exception_fp_ieee_inexact 0
		.amdhsa_exception_int_div_zero 0
	.end_amdhsa_kernel
	.section	.text._Z35paged_attention_ll4mi_reduce_kernelIDF16_DF16_Li128ELi128ELi256ELi11EEvPT0_PKfS3_PKT_PKiS8_iS3_,"axG",@progbits,_Z35paged_attention_ll4mi_reduce_kernelIDF16_DF16_Li128ELi128ELi256ELi11EEvPT0_PKfS3_PKT_PKiS8_iS3_,comdat
.Lfunc_end280:
	.size	_Z35paged_attention_ll4mi_reduce_kernelIDF16_DF16_Li128ELi128ELi256ELi11EEvPT0_PKfS3_PKT_PKiS8_iS3_, .Lfunc_end280-_Z35paged_attention_ll4mi_reduce_kernelIDF16_DF16_Li128ELi128ELi256ELi11EEvPT0_PKfS3_PKT_PKiS8_iS3_
                                        ; -- End function
	.set _Z35paged_attention_ll4mi_reduce_kernelIDF16_DF16_Li128ELi128ELi256ELi11EEvPT0_PKfS3_PKT_PKiS8_iS3_.num_vgpr, max(3, .L__assert_fail.num_vgpr)
	.set _Z35paged_attention_ll4mi_reduce_kernelIDF16_DF16_Li128ELi128ELi256ELi11EEvPT0_PKfS3_PKT_PKiS8_iS3_.num_agpr, max(0, .L__assert_fail.num_agpr)
	.set _Z35paged_attention_ll4mi_reduce_kernelIDF16_DF16_Li128ELi128ELi256ELi11EEvPT0_PKfS3_PKT_PKiS8_iS3_.numbered_sgpr, max(33, .L__assert_fail.numbered_sgpr)
	.set _Z35paged_attention_ll4mi_reduce_kernelIDF16_DF16_Li128ELi128ELi256ELi11EEvPT0_PKfS3_PKT_PKiS8_iS3_.num_named_barrier, max(0, .L__assert_fail.num_named_barrier)
	.set _Z35paged_attention_ll4mi_reduce_kernelIDF16_DF16_Li128ELi128ELi256ELi11EEvPT0_PKfS3_PKT_PKiS8_iS3_.private_seg_size, 0+max(.L__assert_fail.private_seg_size)
	.set _Z35paged_attention_ll4mi_reduce_kernelIDF16_DF16_Li128ELi128ELi256ELi11EEvPT0_PKfS3_PKT_PKiS8_iS3_.uses_vcc, or(1, .L__assert_fail.uses_vcc)
	.set _Z35paged_attention_ll4mi_reduce_kernelIDF16_DF16_Li128ELi128ELi256ELi11EEvPT0_PKfS3_PKT_PKiS8_iS3_.uses_flat_scratch, or(0, .L__assert_fail.uses_flat_scratch)
	.set _Z35paged_attention_ll4mi_reduce_kernelIDF16_DF16_Li128ELi128ELi256ELi11EEvPT0_PKfS3_PKT_PKiS8_iS3_.has_dyn_sized_stack, or(0, .L__assert_fail.has_dyn_sized_stack)
	.set _Z35paged_attention_ll4mi_reduce_kernelIDF16_DF16_Li128ELi128ELi256ELi11EEvPT0_PKfS3_PKT_PKiS8_iS3_.has_recursion, or(0, .L__assert_fail.has_recursion)
	.set _Z35paged_attention_ll4mi_reduce_kernelIDF16_DF16_Li128ELi128ELi256ELi11EEvPT0_PKfS3_PKT_PKiS8_iS3_.has_indirect_call, or(0, .L__assert_fail.has_indirect_call)
	.section	.AMDGPU.csdata,"",@progbits
; Kernel info:
; codeLenInByte = 64
; TotalNumSgprs: 36
; NumVgprs: 51
; ScratchSize: 64
; MemoryBound: 0
; FloatMode: 240
; IeeeMode: 1
; LDSByteSize: 0 bytes/workgroup (compile time only)
; SGPRBlocks: 0
; VGPRBlocks: 3
; NumSGPRsForWavesPerEU: 36
; NumVGPRsForWavesPerEU: 51
; NamedBarCnt: 0
; Occupancy: 16
; WaveLimiterHint : 1
; COMPUTE_PGM_RSRC2:SCRATCH_EN: 1
; COMPUTE_PGM_RSRC2:USER_SGPR: 2
; COMPUTE_PGM_RSRC2:TRAP_HANDLER: 0
; COMPUTE_PGM_RSRC2:TGID_X_EN: 1
; COMPUTE_PGM_RSRC2:TGID_Y_EN: 0
; COMPUTE_PGM_RSRC2:TGID_Z_EN: 0
; COMPUTE_PGM_RSRC2:TIDIG_COMP_CNT: 0
	.section	.text._Z35paged_attention_ll4mi_reduce_kernelIDF16_DF16_Li128ELi128ELi256ELi12EEvPT0_PKfS3_PKT_PKiS8_iS3_,"axG",@progbits,_Z35paged_attention_ll4mi_reduce_kernelIDF16_DF16_Li128ELi128ELi256ELi12EEvPT0_PKfS3_PKT_PKiS8_iS3_,comdat
	.protected	_Z35paged_attention_ll4mi_reduce_kernelIDF16_DF16_Li128ELi128ELi256ELi12EEvPT0_PKfS3_PKT_PKiS8_iS3_ ; -- Begin function _Z35paged_attention_ll4mi_reduce_kernelIDF16_DF16_Li128ELi128ELi256ELi12EEvPT0_PKfS3_PKT_PKiS8_iS3_
	.globl	_Z35paged_attention_ll4mi_reduce_kernelIDF16_DF16_Li128ELi128ELi256ELi12EEvPT0_PKfS3_PKT_PKiS8_iS3_
	.p2align	8
	.type	_Z35paged_attention_ll4mi_reduce_kernelIDF16_DF16_Li128ELi128ELi256ELi12EEvPT0_PKfS3_PKT_PKiS8_iS3_,@function
_Z35paged_attention_ll4mi_reduce_kernelIDF16_DF16_Li128ELi128ELi256ELi12EEvPT0_PKfS3_PKT_PKiS8_iS3_: ; @_Z35paged_attention_ll4mi_reduce_kernelIDF16_DF16_Li128ELi128ELi256ELi12EEvPT0_PKfS3_PKT_PKiS8_iS3_
; %bb.0:
	s_get_pc_i64 s[2:3]
	s_add_nc_u64 s[2:3], s[2:3], __PRETTY_FUNCTION__._Z35paged_attention_ll4mi_reduce_kernelIDF16_DF16_Li128ELi128ELi256ELi12EEvPT0_PKfS3_PKT_PKiS8_iS3_@rel64+4
	s_delay_alu instid0(SALU_CYCLE_1)
	v_dual_mov_b32 v0, 0xbdd :: v_dual_mov_b32 v1, s2
	v_mov_b32_e32 v2, s3
	s_add_nc_u64 s[8:9], s[0:1], 64
	s_get_pc_i64 s[0:1]
	s_add_nc_u64 s[0:1], s[0:1], __assert_fail@rel64+4
	s_mov_b32 s32, 0
	s_swap_pc_i64 s[30:31], s[0:1]
	.section	.rodata,"a",@progbits
	.p2align	6, 0x0
	.amdhsa_kernel _Z35paged_attention_ll4mi_reduce_kernelIDF16_DF16_Li128ELi128ELi256ELi12EEvPT0_PKfS3_PKT_PKiS8_iS3_
		.amdhsa_group_segment_fixed_size 0
		.amdhsa_private_segment_fixed_size 64
		.amdhsa_kernarg_size 320
		.amdhsa_user_sgpr_count 2
		.amdhsa_user_sgpr_dispatch_ptr 0
		.amdhsa_user_sgpr_queue_ptr 0
		.amdhsa_user_sgpr_kernarg_segment_ptr 1
		.amdhsa_user_sgpr_dispatch_id 0
		.amdhsa_user_sgpr_kernarg_preload_length 0
		.amdhsa_user_sgpr_kernarg_preload_offset 0
		.amdhsa_user_sgpr_private_segment_size 0
		.amdhsa_wavefront_size32 1
		.amdhsa_uses_dynamic_stack 0
		.amdhsa_enable_private_segment 1
		.amdhsa_system_sgpr_workgroup_id_x 1
		.amdhsa_system_sgpr_workgroup_id_y 0
		.amdhsa_system_sgpr_workgroup_id_z 0
		.amdhsa_system_sgpr_workgroup_info 0
		.amdhsa_system_vgpr_workitem_id 0
		.amdhsa_next_free_vgpr 51
		.amdhsa_next_free_sgpr 34
		.amdhsa_named_barrier_count 0
		.amdhsa_reserve_vcc 1
		.amdhsa_float_round_mode_32 0
		.amdhsa_float_round_mode_16_64 0
		.amdhsa_float_denorm_mode_32 3
		.amdhsa_float_denorm_mode_16_64 3
		.amdhsa_fp16_overflow 0
		.amdhsa_memory_ordered 1
		.amdhsa_forward_progress 1
		.amdhsa_inst_pref_size 1
		.amdhsa_round_robin_scheduling 0
		.amdhsa_exception_fp_ieee_invalid_op 0
		.amdhsa_exception_fp_denorm_src 0
		.amdhsa_exception_fp_ieee_div_zero 0
		.amdhsa_exception_fp_ieee_overflow 0
		.amdhsa_exception_fp_ieee_underflow 0
		.amdhsa_exception_fp_ieee_inexact 0
		.amdhsa_exception_int_div_zero 0
	.end_amdhsa_kernel
	.section	.text._Z35paged_attention_ll4mi_reduce_kernelIDF16_DF16_Li128ELi128ELi256ELi12EEvPT0_PKfS3_PKT_PKiS8_iS3_,"axG",@progbits,_Z35paged_attention_ll4mi_reduce_kernelIDF16_DF16_Li128ELi128ELi256ELi12EEvPT0_PKfS3_PKT_PKiS8_iS3_,comdat
.Lfunc_end281:
	.size	_Z35paged_attention_ll4mi_reduce_kernelIDF16_DF16_Li128ELi128ELi256ELi12EEvPT0_PKfS3_PKT_PKiS8_iS3_, .Lfunc_end281-_Z35paged_attention_ll4mi_reduce_kernelIDF16_DF16_Li128ELi128ELi256ELi12EEvPT0_PKfS3_PKT_PKiS8_iS3_
                                        ; -- End function
	.set _Z35paged_attention_ll4mi_reduce_kernelIDF16_DF16_Li128ELi128ELi256ELi12EEvPT0_PKfS3_PKT_PKiS8_iS3_.num_vgpr, max(3, .L__assert_fail.num_vgpr)
	.set _Z35paged_attention_ll4mi_reduce_kernelIDF16_DF16_Li128ELi128ELi256ELi12EEvPT0_PKfS3_PKT_PKiS8_iS3_.num_agpr, max(0, .L__assert_fail.num_agpr)
	.set _Z35paged_attention_ll4mi_reduce_kernelIDF16_DF16_Li128ELi128ELi256ELi12EEvPT0_PKfS3_PKT_PKiS8_iS3_.numbered_sgpr, max(33, .L__assert_fail.numbered_sgpr)
	.set _Z35paged_attention_ll4mi_reduce_kernelIDF16_DF16_Li128ELi128ELi256ELi12EEvPT0_PKfS3_PKT_PKiS8_iS3_.num_named_barrier, max(0, .L__assert_fail.num_named_barrier)
	.set _Z35paged_attention_ll4mi_reduce_kernelIDF16_DF16_Li128ELi128ELi256ELi12EEvPT0_PKfS3_PKT_PKiS8_iS3_.private_seg_size, 0+max(.L__assert_fail.private_seg_size)
	.set _Z35paged_attention_ll4mi_reduce_kernelIDF16_DF16_Li128ELi128ELi256ELi12EEvPT0_PKfS3_PKT_PKiS8_iS3_.uses_vcc, or(1, .L__assert_fail.uses_vcc)
	.set _Z35paged_attention_ll4mi_reduce_kernelIDF16_DF16_Li128ELi128ELi256ELi12EEvPT0_PKfS3_PKT_PKiS8_iS3_.uses_flat_scratch, or(0, .L__assert_fail.uses_flat_scratch)
	.set _Z35paged_attention_ll4mi_reduce_kernelIDF16_DF16_Li128ELi128ELi256ELi12EEvPT0_PKfS3_PKT_PKiS8_iS3_.has_dyn_sized_stack, or(0, .L__assert_fail.has_dyn_sized_stack)
	.set _Z35paged_attention_ll4mi_reduce_kernelIDF16_DF16_Li128ELi128ELi256ELi12EEvPT0_PKfS3_PKT_PKiS8_iS3_.has_recursion, or(0, .L__assert_fail.has_recursion)
	.set _Z35paged_attention_ll4mi_reduce_kernelIDF16_DF16_Li128ELi128ELi256ELi12EEvPT0_PKfS3_PKT_PKiS8_iS3_.has_indirect_call, or(0, .L__assert_fail.has_indirect_call)
	.section	.AMDGPU.csdata,"",@progbits
; Kernel info:
; codeLenInByte = 64
; TotalNumSgprs: 36
; NumVgprs: 51
; ScratchSize: 64
; MemoryBound: 0
; FloatMode: 240
; IeeeMode: 1
; LDSByteSize: 0 bytes/workgroup (compile time only)
; SGPRBlocks: 0
; VGPRBlocks: 3
; NumSGPRsForWavesPerEU: 36
; NumVGPRsForWavesPerEU: 51
; NamedBarCnt: 0
; Occupancy: 16
; WaveLimiterHint : 1
; COMPUTE_PGM_RSRC2:SCRATCH_EN: 1
; COMPUTE_PGM_RSRC2:USER_SGPR: 2
; COMPUTE_PGM_RSRC2:TRAP_HANDLER: 0
; COMPUTE_PGM_RSRC2:TGID_X_EN: 1
; COMPUTE_PGM_RSRC2:TGID_Y_EN: 0
; COMPUTE_PGM_RSRC2:TGID_Z_EN: 0
; COMPUTE_PGM_RSRC2:TIDIG_COMP_CNT: 0
	.section	.text._Z35paged_attention_ll4mi_reduce_kernelIDF16_DF16_Li128ELi128ELi256ELi13EEvPT0_PKfS3_PKT_PKiS8_iS3_,"axG",@progbits,_Z35paged_attention_ll4mi_reduce_kernelIDF16_DF16_Li128ELi128ELi256ELi13EEvPT0_PKfS3_PKT_PKiS8_iS3_,comdat
	.protected	_Z35paged_attention_ll4mi_reduce_kernelIDF16_DF16_Li128ELi128ELi256ELi13EEvPT0_PKfS3_PKT_PKiS8_iS3_ ; -- Begin function _Z35paged_attention_ll4mi_reduce_kernelIDF16_DF16_Li128ELi128ELi256ELi13EEvPT0_PKfS3_PKT_PKiS8_iS3_
	.globl	_Z35paged_attention_ll4mi_reduce_kernelIDF16_DF16_Li128ELi128ELi256ELi13EEvPT0_PKfS3_PKT_PKiS8_iS3_
	.p2align	8
	.type	_Z35paged_attention_ll4mi_reduce_kernelIDF16_DF16_Li128ELi128ELi256ELi13EEvPT0_PKfS3_PKT_PKiS8_iS3_,@function
_Z35paged_attention_ll4mi_reduce_kernelIDF16_DF16_Li128ELi128ELi256ELi13EEvPT0_PKfS3_PKT_PKiS8_iS3_: ; @_Z35paged_attention_ll4mi_reduce_kernelIDF16_DF16_Li128ELi128ELi256ELi13EEvPT0_PKfS3_PKT_PKiS8_iS3_
; %bb.0:
	s_get_pc_i64 s[2:3]
	s_add_nc_u64 s[2:3], s[2:3], __PRETTY_FUNCTION__._Z35paged_attention_ll4mi_reduce_kernelIDF16_DF16_Li128ELi128ELi256ELi13EEvPT0_PKfS3_PKT_PKiS8_iS3_@rel64+4
	s_delay_alu instid0(SALU_CYCLE_1)
	v_dual_mov_b32 v0, 0xbdd :: v_dual_mov_b32 v1, s2
	v_mov_b32_e32 v2, s3
	s_add_nc_u64 s[8:9], s[0:1], 64
	s_get_pc_i64 s[0:1]
	s_add_nc_u64 s[0:1], s[0:1], __assert_fail@rel64+4
	s_mov_b32 s32, 0
	s_swap_pc_i64 s[30:31], s[0:1]
	.section	.rodata,"a",@progbits
	.p2align	6, 0x0
	.amdhsa_kernel _Z35paged_attention_ll4mi_reduce_kernelIDF16_DF16_Li128ELi128ELi256ELi13EEvPT0_PKfS3_PKT_PKiS8_iS3_
		.amdhsa_group_segment_fixed_size 0
		.amdhsa_private_segment_fixed_size 64
		.amdhsa_kernarg_size 320
		.amdhsa_user_sgpr_count 2
		.amdhsa_user_sgpr_dispatch_ptr 0
		.amdhsa_user_sgpr_queue_ptr 0
		.amdhsa_user_sgpr_kernarg_segment_ptr 1
		.amdhsa_user_sgpr_dispatch_id 0
		.amdhsa_user_sgpr_kernarg_preload_length 0
		.amdhsa_user_sgpr_kernarg_preload_offset 0
		.amdhsa_user_sgpr_private_segment_size 0
		.amdhsa_wavefront_size32 1
		.amdhsa_uses_dynamic_stack 0
		.amdhsa_enable_private_segment 1
		.amdhsa_system_sgpr_workgroup_id_x 1
		.amdhsa_system_sgpr_workgroup_id_y 0
		.amdhsa_system_sgpr_workgroup_id_z 0
		.amdhsa_system_sgpr_workgroup_info 0
		.amdhsa_system_vgpr_workitem_id 0
		.amdhsa_next_free_vgpr 51
		.amdhsa_next_free_sgpr 34
		.amdhsa_named_barrier_count 0
		.amdhsa_reserve_vcc 1
		.amdhsa_float_round_mode_32 0
		.amdhsa_float_round_mode_16_64 0
		.amdhsa_float_denorm_mode_32 3
		.amdhsa_float_denorm_mode_16_64 3
		.amdhsa_fp16_overflow 0
		.amdhsa_memory_ordered 1
		.amdhsa_forward_progress 1
		.amdhsa_inst_pref_size 1
		.amdhsa_round_robin_scheduling 0
		.amdhsa_exception_fp_ieee_invalid_op 0
		.amdhsa_exception_fp_denorm_src 0
		.amdhsa_exception_fp_ieee_div_zero 0
		.amdhsa_exception_fp_ieee_overflow 0
		.amdhsa_exception_fp_ieee_underflow 0
		.amdhsa_exception_fp_ieee_inexact 0
		.amdhsa_exception_int_div_zero 0
	.end_amdhsa_kernel
	.section	.text._Z35paged_attention_ll4mi_reduce_kernelIDF16_DF16_Li128ELi128ELi256ELi13EEvPT0_PKfS3_PKT_PKiS8_iS3_,"axG",@progbits,_Z35paged_attention_ll4mi_reduce_kernelIDF16_DF16_Li128ELi128ELi256ELi13EEvPT0_PKfS3_PKT_PKiS8_iS3_,comdat
.Lfunc_end282:
	.size	_Z35paged_attention_ll4mi_reduce_kernelIDF16_DF16_Li128ELi128ELi256ELi13EEvPT0_PKfS3_PKT_PKiS8_iS3_, .Lfunc_end282-_Z35paged_attention_ll4mi_reduce_kernelIDF16_DF16_Li128ELi128ELi256ELi13EEvPT0_PKfS3_PKT_PKiS8_iS3_
                                        ; -- End function
	.set _Z35paged_attention_ll4mi_reduce_kernelIDF16_DF16_Li128ELi128ELi256ELi13EEvPT0_PKfS3_PKT_PKiS8_iS3_.num_vgpr, max(3, .L__assert_fail.num_vgpr)
	.set _Z35paged_attention_ll4mi_reduce_kernelIDF16_DF16_Li128ELi128ELi256ELi13EEvPT0_PKfS3_PKT_PKiS8_iS3_.num_agpr, max(0, .L__assert_fail.num_agpr)
	.set _Z35paged_attention_ll4mi_reduce_kernelIDF16_DF16_Li128ELi128ELi256ELi13EEvPT0_PKfS3_PKT_PKiS8_iS3_.numbered_sgpr, max(33, .L__assert_fail.numbered_sgpr)
	.set _Z35paged_attention_ll4mi_reduce_kernelIDF16_DF16_Li128ELi128ELi256ELi13EEvPT0_PKfS3_PKT_PKiS8_iS3_.num_named_barrier, max(0, .L__assert_fail.num_named_barrier)
	.set _Z35paged_attention_ll4mi_reduce_kernelIDF16_DF16_Li128ELi128ELi256ELi13EEvPT0_PKfS3_PKT_PKiS8_iS3_.private_seg_size, 0+max(.L__assert_fail.private_seg_size)
	.set _Z35paged_attention_ll4mi_reduce_kernelIDF16_DF16_Li128ELi128ELi256ELi13EEvPT0_PKfS3_PKT_PKiS8_iS3_.uses_vcc, or(1, .L__assert_fail.uses_vcc)
	.set _Z35paged_attention_ll4mi_reduce_kernelIDF16_DF16_Li128ELi128ELi256ELi13EEvPT0_PKfS3_PKT_PKiS8_iS3_.uses_flat_scratch, or(0, .L__assert_fail.uses_flat_scratch)
	.set _Z35paged_attention_ll4mi_reduce_kernelIDF16_DF16_Li128ELi128ELi256ELi13EEvPT0_PKfS3_PKT_PKiS8_iS3_.has_dyn_sized_stack, or(0, .L__assert_fail.has_dyn_sized_stack)
	.set _Z35paged_attention_ll4mi_reduce_kernelIDF16_DF16_Li128ELi128ELi256ELi13EEvPT0_PKfS3_PKT_PKiS8_iS3_.has_recursion, or(0, .L__assert_fail.has_recursion)
	.set _Z35paged_attention_ll4mi_reduce_kernelIDF16_DF16_Li128ELi128ELi256ELi13EEvPT0_PKfS3_PKT_PKiS8_iS3_.has_indirect_call, or(0, .L__assert_fail.has_indirect_call)
	.section	.AMDGPU.csdata,"",@progbits
; Kernel info:
; codeLenInByte = 64
; TotalNumSgprs: 36
; NumVgprs: 51
; ScratchSize: 64
; MemoryBound: 0
; FloatMode: 240
; IeeeMode: 1
; LDSByteSize: 0 bytes/workgroup (compile time only)
; SGPRBlocks: 0
; VGPRBlocks: 3
; NumSGPRsForWavesPerEU: 36
; NumVGPRsForWavesPerEU: 51
; NamedBarCnt: 0
; Occupancy: 16
; WaveLimiterHint : 1
; COMPUTE_PGM_RSRC2:SCRATCH_EN: 1
; COMPUTE_PGM_RSRC2:USER_SGPR: 2
; COMPUTE_PGM_RSRC2:TRAP_HANDLER: 0
; COMPUTE_PGM_RSRC2:TGID_X_EN: 1
; COMPUTE_PGM_RSRC2:TGID_Y_EN: 0
; COMPUTE_PGM_RSRC2:TGID_Z_EN: 0
; COMPUTE_PGM_RSRC2:TIDIG_COMP_CNT: 0
	.section	.text._Z35paged_attention_ll4mi_reduce_kernelIDF16_DF16_Li128ELi128ELi256ELi14EEvPT0_PKfS3_PKT_PKiS8_iS3_,"axG",@progbits,_Z35paged_attention_ll4mi_reduce_kernelIDF16_DF16_Li128ELi128ELi256ELi14EEvPT0_PKfS3_PKT_PKiS8_iS3_,comdat
	.protected	_Z35paged_attention_ll4mi_reduce_kernelIDF16_DF16_Li128ELi128ELi256ELi14EEvPT0_PKfS3_PKT_PKiS8_iS3_ ; -- Begin function _Z35paged_attention_ll4mi_reduce_kernelIDF16_DF16_Li128ELi128ELi256ELi14EEvPT0_PKfS3_PKT_PKiS8_iS3_
	.globl	_Z35paged_attention_ll4mi_reduce_kernelIDF16_DF16_Li128ELi128ELi256ELi14EEvPT0_PKfS3_PKT_PKiS8_iS3_
	.p2align	8
	.type	_Z35paged_attention_ll4mi_reduce_kernelIDF16_DF16_Li128ELi128ELi256ELi14EEvPT0_PKfS3_PKT_PKiS8_iS3_,@function
_Z35paged_attention_ll4mi_reduce_kernelIDF16_DF16_Li128ELi128ELi256ELi14EEvPT0_PKfS3_PKT_PKiS8_iS3_: ; @_Z35paged_attention_ll4mi_reduce_kernelIDF16_DF16_Li128ELi128ELi256ELi14EEvPT0_PKfS3_PKT_PKiS8_iS3_
; %bb.0:
	s_get_pc_i64 s[2:3]
	s_add_nc_u64 s[2:3], s[2:3], __PRETTY_FUNCTION__._Z35paged_attention_ll4mi_reduce_kernelIDF16_DF16_Li128ELi128ELi256ELi14EEvPT0_PKfS3_PKT_PKiS8_iS3_@rel64+4
	s_delay_alu instid0(SALU_CYCLE_1)
	v_dual_mov_b32 v0, 0xbdd :: v_dual_mov_b32 v1, s2
	v_mov_b32_e32 v2, s3
	s_add_nc_u64 s[8:9], s[0:1], 64
	s_get_pc_i64 s[0:1]
	s_add_nc_u64 s[0:1], s[0:1], __assert_fail@rel64+4
	s_mov_b32 s32, 0
	s_swap_pc_i64 s[30:31], s[0:1]
	.section	.rodata,"a",@progbits
	.p2align	6, 0x0
	.amdhsa_kernel _Z35paged_attention_ll4mi_reduce_kernelIDF16_DF16_Li128ELi128ELi256ELi14EEvPT0_PKfS3_PKT_PKiS8_iS3_
		.amdhsa_group_segment_fixed_size 0
		.amdhsa_private_segment_fixed_size 64
		.amdhsa_kernarg_size 320
		.amdhsa_user_sgpr_count 2
		.amdhsa_user_sgpr_dispatch_ptr 0
		.amdhsa_user_sgpr_queue_ptr 0
		.amdhsa_user_sgpr_kernarg_segment_ptr 1
		.amdhsa_user_sgpr_dispatch_id 0
		.amdhsa_user_sgpr_kernarg_preload_length 0
		.amdhsa_user_sgpr_kernarg_preload_offset 0
		.amdhsa_user_sgpr_private_segment_size 0
		.amdhsa_wavefront_size32 1
		.amdhsa_uses_dynamic_stack 0
		.amdhsa_enable_private_segment 1
		.amdhsa_system_sgpr_workgroup_id_x 1
		.amdhsa_system_sgpr_workgroup_id_y 0
		.amdhsa_system_sgpr_workgroup_id_z 0
		.amdhsa_system_sgpr_workgroup_info 0
		.amdhsa_system_vgpr_workitem_id 0
		.amdhsa_next_free_vgpr 51
		.amdhsa_next_free_sgpr 34
		.amdhsa_named_barrier_count 0
		.amdhsa_reserve_vcc 1
		.amdhsa_float_round_mode_32 0
		.amdhsa_float_round_mode_16_64 0
		.amdhsa_float_denorm_mode_32 3
		.amdhsa_float_denorm_mode_16_64 3
		.amdhsa_fp16_overflow 0
		.amdhsa_memory_ordered 1
		.amdhsa_forward_progress 1
		.amdhsa_inst_pref_size 1
		.amdhsa_round_robin_scheduling 0
		.amdhsa_exception_fp_ieee_invalid_op 0
		.amdhsa_exception_fp_denorm_src 0
		.amdhsa_exception_fp_ieee_div_zero 0
		.amdhsa_exception_fp_ieee_overflow 0
		.amdhsa_exception_fp_ieee_underflow 0
		.amdhsa_exception_fp_ieee_inexact 0
		.amdhsa_exception_int_div_zero 0
	.end_amdhsa_kernel
	.section	.text._Z35paged_attention_ll4mi_reduce_kernelIDF16_DF16_Li128ELi128ELi256ELi14EEvPT0_PKfS3_PKT_PKiS8_iS3_,"axG",@progbits,_Z35paged_attention_ll4mi_reduce_kernelIDF16_DF16_Li128ELi128ELi256ELi14EEvPT0_PKfS3_PKT_PKiS8_iS3_,comdat
.Lfunc_end283:
	.size	_Z35paged_attention_ll4mi_reduce_kernelIDF16_DF16_Li128ELi128ELi256ELi14EEvPT0_PKfS3_PKT_PKiS8_iS3_, .Lfunc_end283-_Z35paged_attention_ll4mi_reduce_kernelIDF16_DF16_Li128ELi128ELi256ELi14EEvPT0_PKfS3_PKT_PKiS8_iS3_
                                        ; -- End function
	.set _Z35paged_attention_ll4mi_reduce_kernelIDF16_DF16_Li128ELi128ELi256ELi14EEvPT0_PKfS3_PKT_PKiS8_iS3_.num_vgpr, max(3, .L__assert_fail.num_vgpr)
	.set _Z35paged_attention_ll4mi_reduce_kernelIDF16_DF16_Li128ELi128ELi256ELi14EEvPT0_PKfS3_PKT_PKiS8_iS3_.num_agpr, max(0, .L__assert_fail.num_agpr)
	.set _Z35paged_attention_ll4mi_reduce_kernelIDF16_DF16_Li128ELi128ELi256ELi14EEvPT0_PKfS3_PKT_PKiS8_iS3_.numbered_sgpr, max(33, .L__assert_fail.numbered_sgpr)
	.set _Z35paged_attention_ll4mi_reduce_kernelIDF16_DF16_Li128ELi128ELi256ELi14EEvPT0_PKfS3_PKT_PKiS8_iS3_.num_named_barrier, max(0, .L__assert_fail.num_named_barrier)
	.set _Z35paged_attention_ll4mi_reduce_kernelIDF16_DF16_Li128ELi128ELi256ELi14EEvPT0_PKfS3_PKT_PKiS8_iS3_.private_seg_size, 0+max(.L__assert_fail.private_seg_size)
	.set _Z35paged_attention_ll4mi_reduce_kernelIDF16_DF16_Li128ELi128ELi256ELi14EEvPT0_PKfS3_PKT_PKiS8_iS3_.uses_vcc, or(1, .L__assert_fail.uses_vcc)
	.set _Z35paged_attention_ll4mi_reduce_kernelIDF16_DF16_Li128ELi128ELi256ELi14EEvPT0_PKfS3_PKT_PKiS8_iS3_.uses_flat_scratch, or(0, .L__assert_fail.uses_flat_scratch)
	.set _Z35paged_attention_ll4mi_reduce_kernelIDF16_DF16_Li128ELi128ELi256ELi14EEvPT0_PKfS3_PKT_PKiS8_iS3_.has_dyn_sized_stack, or(0, .L__assert_fail.has_dyn_sized_stack)
	.set _Z35paged_attention_ll4mi_reduce_kernelIDF16_DF16_Li128ELi128ELi256ELi14EEvPT0_PKfS3_PKT_PKiS8_iS3_.has_recursion, or(0, .L__assert_fail.has_recursion)
	.set _Z35paged_attention_ll4mi_reduce_kernelIDF16_DF16_Li128ELi128ELi256ELi14EEvPT0_PKfS3_PKT_PKiS8_iS3_.has_indirect_call, or(0, .L__assert_fail.has_indirect_call)
	.section	.AMDGPU.csdata,"",@progbits
; Kernel info:
; codeLenInByte = 64
; TotalNumSgprs: 36
; NumVgprs: 51
; ScratchSize: 64
; MemoryBound: 0
; FloatMode: 240
; IeeeMode: 1
; LDSByteSize: 0 bytes/workgroup (compile time only)
; SGPRBlocks: 0
; VGPRBlocks: 3
; NumSGPRsForWavesPerEU: 36
; NumVGPRsForWavesPerEU: 51
; NamedBarCnt: 0
; Occupancy: 16
; WaveLimiterHint : 1
; COMPUTE_PGM_RSRC2:SCRATCH_EN: 1
; COMPUTE_PGM_RSRC2:USER_SGPR: 2
; COMPUTE_PGM_RSRC2:TRAP_HANDLER: 0
; COMPUTE_PGM_RSRC2:TGID_X_EN: 1
; COMPUTE_PGM_RSRC2:TGID_Y_EN: 0
; COMPUTE_PGM_RSRC2:TGID_Z_EN: 0
; COMPUTE_PGM_RSRC2:TIDIG_COMP_CNT: 0
	.section	.text._Z35paged_attention_ll4mi_reduce_kernelIDF16_DF16_Li128ELi128ELi256ELi15EEvPT0_PKfS3_PKT_PKiS8_iS3_,"axG",@progbits,_Z35paged_attention_ll4mi_reduce_kernelIDF16_DF16_Li128ELi128ELi256ELi15EEvPT0_PKfS3_PKT_PKiS8_iS3_,comdat
	.protected	_Z35paged_attention_ll4mi_reduce_kernelIDF16_DF16_Li128ELi128ELi256ELi15EEvPT0_PKfS3_PKT_PKiS8_iS3_ ; -- Begin function _Z35paged_attention_ll4mi_reduce_kernelIDF16_DF16_Li128ELi128ELi256ELi15EEvPT0_PKfS3_PKT_PKiS8_iS3_
	.globl	_Z35paged_attention_ll4mi_reduce_kernelIDF16_DF16_Li128ELi128ELi256ELi15EEvPT0_PKfS3_PKT_PKiS8_iS3_
	.p2align	8
	.type	_Z35paged_attention_ll4mi_reduce_kernelIDF16_DF16_Li128ELi128ELi256ELi15EEvPT0_PKfS3_PKT_PKiS8_iS3_,@function
_Z35paged_attention_ll4mi_reduce_kernelIDF16_DF16_Li128ELi128ELi256ELi15EEvPT0_PKfS3_PKT_PKiS8_iS3_: ; @_Z35paged_attention_ll4mi_reduce_kernelIDF16_DF16_Li128ELi128ELi256ELi15EEvPT0_PKfS3_PKT_PKiS8_iS3_
; %bb.0:
	s_get_pc_i64 s[2:3]
	s_add_nc_u64 s[2:3], s[2:3], __PRETTY_FUNCTION__._Z35paged_attention_ll4mi_reduce_kernelIDF16_DF16_Li128ELi128ELi256ELi15EEvPT0_PKfS3_PKT_PKiS8_iS3_@rel64+4
	s_delay_alu instid0(SALU_CYCLE_1)
	v_dual_mov_b32 v0, 0xbdd :: v_dual_mov_b32 v1, s2
	v_mov_b32_e32 v2, s3
	s_add_nc_u64 s[8:9], s[0:1], 64
	s_get_pc_i64 s[0:1]
	s_add_nc_u64 s[0:1], s[0:1], __assert_fail@rel64+4
	s_mov_b32 s32, 0
	s_swap_pc_i64 s[30:31], s[0:1]
	.section	.rodata,"a",@progbits
	.p2align	6, 0x0
	.amdhsa_kernel _Z35paged_attention_ll4mi_reduce_kernelIDF16_DF16_Li128ELi128ELi256ELi15EEvPT0_PKfS3_PKT_PKiS8_iS3_
		.amdhsa_group_segment_fixed_size 0
		.amdhsa_private_segment_fixed_size 64
		.amdhsa_kernarg_size 320
		.amdhsa_user_sgpr_count 2
		.amdhsa_user_sgpr_dispatch_ptr 0
		.amdhsa_user_sgpr_queue_ptr 0
		.amdhsa_user_sgpr_kernarg_segment_ptr 1
		.amdhsa_user_sgpr_dispatch_id 0
		.amdhsa_user_sgpr_kernarg_preload_length 0
		.amdhsa_user_sgpr_kernarg_preload_offset 0
		.amdhsa_user_sgpr_private_segment_size 0
		.amdhsa_wavefront_size32 1
		.amdhsa_uses_dynamic_stack 0
		.amdhsa_enable_private_segment 1
		.amdhsa_system_sgpr_workgroup_id_x 1
		.amdhsa_system_sgpr_workgroup_id_y 0
		.amdhsa_system_sgpr_workgroup_id_z 0
		.amdhsa_system_sgpr_workgroup_info 0
		.amdhsa_system_vgpr_workitem_id 0
		.amdhsa_next_free_vgpr 51
		.amdhsa_next_free_sgpr 34
		.amdhsa_named_barrier_count 0
		.amdhsa_reserve_vcc 1
		.amdhsa_float_round_mode_32 0
		.amdhsa_float_round_mode_16_64 0
		.amdhsa_float_denorm_mode_32 3
		.amdhsa_float_denorm_mode_16_64 3
		.amdhsa_fp16_overflow 0
		.amdhsa_memory_ordered 1
		.amdhsa_forward_progress 1
		.amdhsa_inst_pref_size 1
		.amdhsa_round_robin_scheduling 0
		.amdhsa_exception_fp_ieee_invalid_op 0
		.amdhsa_exception_fp_denorm_src 0
		.amdhsa_exception_fp_ieee_div_zero 0
		.amdhsa_exception_fp_ieee_overflow 0
		.amdhsa_exception_fp_ieee_underflow 0
		.amdhsa_exception_fp_ieee_inexact 0
		.amdhsa_exception_int_div_zero 0
	.end_amdhsa_kernel
	.section	.text._Z35paged_attention_ll4mi_reduce_kernelIDF16_DF16_Li128ELi128ELi256ELi15EEvPT0_PKfS3_PKT_PKiS8_iS3_,"axG",@progbits,_Z35paged_attention_ll4mi_reduce_kernelIDF16_DF16_Li128ELi128ELi256ELi15EEvPT0_PKfS3_PKT_PKiS8_iS3_,comdat
.Lfunc_end284:
	.size	_Z35paged_attention_ll4mi_reduce_kernelIDF16_DF16_Li128ELi128ELi256ELi15EEvPT0_PKfS3_PKT_PKiS8_iS3_, .Lfunc_end284-_Z35paged_attention_ll4mi_reduce_kernelIDF16_DF16_Li128ELi128ELi256ELi15EEvPT0_PKfS3_PKT_PKiS8_iS3_
                                        ; -- End function
	.set _Z35paged_attention_ll4mi_reduce_kernelIDF16_DF16_Li128ELi128ELi256ELi15EEvPT0_PKfS3_PKT_PKiS8_iS3_.num_vgpr, max(3, .L__assert_fail.num_vgpr)
	.set _Z35paged_attention_ll4mi_reduce_kernelIDF16_DF16_Li128ELi128ELi256ELi15EEvPT0_PKfS3_PKT_PKiS8_iS3_.num_agpr, max(0, .L__assert_fail.num_agpr)
	.set _Z35paged_attention_ll4mi_reduce_kernelIDF16_DF16_Li128ELi128ELi256ELi15EEvPT0_PKfS3_PKT_PKiS8_iS3_.numbered_sgpr, max(33, .L__assert_fail.numbered_sgpr)
	.set _Z35paged_attention_ll4mi_reduce_kernelIDF16_DF16_Li128ELi128ELi256ELi15EEvPT0_PKfS3_PKT_PKiS8_iS3_.num_named_barrier, max(0, .L__assert_fail.num_named_barrier)
	.set _Z35paged_attention_ll4mi_reduce_kernelIDF16_DF16_Li128ELi128ELi256ELi15EEvPT0_PKfS3_PKT_PKiS8_iS3_.private_seg_size, 0+max(.L__assert_fail.private_seg_size)
	.set _Z35paged_attention_ll4mi_reduce_kernelIDF16_DF16_Li128ELi128ELi256ELi15EEvPT0_PKfS3_PKT_PKiS8_iS3_.uses_vcc, or(1, .L__assert_fail.uses_vcc)
	.set _Z35paged_attention_ll4mi_reduce_kernelIDF16_DF16_Li128ELi128ELi256ELi15EEvPT0_PKfS3_PKT_PKiS8_iS3_.uses_flat_scratch, or(0, .L__assert_fail.uses_flat_scratch)
	.set _Z35paged_attention_ll4mi_reduce_kernelIDF16_DF16_Li128ELi128ELi256ELi15EEvPT0_PKfS3_PKT_PKiS8_iS3_.has_dyn_sized_stack, or(0, .L__assert_fail.has_dyn_sized_stack)
	.set _Z35paged_attention_ll4mi_reduce_kernelIDF16_DF16_Li128ELi128ELi256ELi15EEvPT0_PKfS3_PKT_PKiS8_iS3_.has_recursion, or(0, .L__assert_fail.has_recursion)
	.set _Z35paged_attention_ll4mi_reduce_kernelIDF16_DF16_Li128ELi128ELi256ELi15EEvPT0_PKfS3_PKT_PKiS8_iS3_.has_indirect_call, or(0, .L__assert_fail.has_indirect_call)
	.section	.AMDGPU.csdata,"",@progbits
; Kernel info:
; codeLenInByte = 64
; TotalNumSgprs: 36
; NumVgprs: 51
; ScratchSize: 64
; MemoryBound: 0
; FloatMode: 240
; IeeeMode: 1
; LDSByteSize: 0 bytes/workgroup (compile time only)
; SGPRBlocks: 0
; VGPRBlocks: 3
; NumSGPRsForWavesPerEU: 36
; NumVGPRsForWavesPerEU: 51
; NamedBarCnt: 0
; Occupancy: 16
; WaveLimiterHint : 1
; COMPUTE_PGM_RSRC2:SCRATCH_EN: 1
; COMPUTE_PGM_RSRC2:USER_SGPR: 2
; COMPUTE_PGM_RSRC2:TRAP_HANDLER: 0
; COMPUTE_PGM_RSRC2:TGID_X_EN: 1
; COMPUTE_PGM_RSRC2:TGID_Y_EN: 0
; COMPUTE_PGM_RSRC2:TGID_Z_EN: 0
; COMPUTE_PGM_RSRC2:TIDIG_COMP_CNT: 0
	.section	.text._Z35paged_attention_ll4mi_reduce_kernelIDF16_DF16_Li128ELi128ELi256ELi16EEvPT0_PKfS3_PKT_PKiS8_iS3_,"axG",@progbits,_Z35paged_attention_ll4mi_reduce_kernelIDF16_DF16_Li128ELi128ELi256ELi16EEvPT0_PKfS3_PKT_PKiS8_iS3_,comdat
	.protected	_Z35paged_attention_ll4mi_reduce_kernelIDF16_DF16_Li128ELi128ELi256ELi16EEvPT0_PKfS3_PKT_PKiS8_iS3_ ; -- Begin function _Z35paged_attention_ll4mi_reduce_kernelIDF16_DF16_Li128ELi128ELi256ELi16EEvPT0_PKfS3_PKT_PKiS8_iS3_
	.globl	_Z35paged_attention_ll4mi_reduce_kernelIDF16_DF16_Li128ELi128ELi256ELi16EEvPT0_PKfS3_PKT_PKiS8_iS3_
	.p2align	8
	.type	_Z35paged_attention_ll4mi_reduce_kernelIDF16_DF16_Li128ELi128ELi256ELi16EEvPT0_PKfS3_PKT_PKiS8_iS3_,@function
_Z35paged_attention_ll4mi_reduce_kernelIDF16_DF16_Li128ELi128ELi256ELi16EEvPT0_PKfS3_PKT_PKiS8_iS3_: ; @_Z35paged_attention_ll4mi_reduce_kernelIDF16_DF16_Li128ELi128ELi256ELi16EEvPT0_PKfS3_PKT_PKiS8_iS3_
; %bb.0:
	s_get_pc_i64 s[2:3]
	s_add_nc_u64 s[2:3], s[2:3], __PRETTY_FUNCTION__._Z35paged_attention_ll4mi_reduce_kernelIDF16_DF16_Li128ELi128ELi256ELi16EEvPT0_PKfS3_PKT_PKiS8_iS3_@rel64+4
	s_delay_alu instid0(SALU_CYCLE_1)
	v_dual_mov_b32 v0, 0xbdd :: v_dual_mov_b32 v1, s2
	v_mov_b32_e32 v2, s3
	s_add_nc_u64 s[8:9], s[0:1], 64
	s_get_pc_i64 s[0:1]
	s_add_nc_u64 s[0:1], s[0:1], __assert_fail@rel64+4
	s_mov_b32 s32, 0
	s_swap_pc_i64 s[30:31], s[0:1]
	.section	.rodata,"a",@progbits
	.p2align	6, 0x0
	.amdhsa_kernel _Z35paged_attention_ll4mi_reduce_kernelIDF16_DF16_Li128ELi128ELi256ELi16EEvPT0_PKfS3_PKT_PKiS8_iS3_
		.amdhsa_group_segment_fixed_size 0
		.amdhsa_private_segment_fixed_size 64
		.amdhsa_kernarg_size 320
		.amdhsa_user_sgpr_count 2
		.amdhsa_user_sgpr_dispatch_ptr 0
		.amdhsa_user_sgpr_queue_ptr 0
		.amdhsa_user_sgpr_kernarg_segment_ptr 1
		.amdhsa_user_sgpr_dispatch_id 0
		.amdhsa_user_sgpr_kernarg_preload_length 0
		.amdhsa_user_sgpr_kernarg_preload_offset 0
		.amdhsa_user_sgpr_private_segment_size 0
		.amdhsa_wavefront_size32 1
		.amdhsa_uses_dynamic_stack 0
		.amdhsa_enable_private_segment 1
		.amdhsa_system_sgpr_workgroup_id_x 1
		.amdhsa_system_sgpr_workgroup_id_y 0
		.amdhsa_system_sgpr_workgroup_id_z 0
		.amdhsa_system_sgpr_workgroup_info 0
		.amdhsa_system_vgpr_workitem_id 0
		.amdhsa_next_free_vgpr 51
		.amdhsa_next_free_sgpr 34
		.amdhsa_named_barrier_count 0
		.amdhsa_reserve_vcc 1
		.amdhsa_float_round_mode_32 0
		.amdhsa_float_round_mode_16_64 0
		.amdhsa_float_denorm_mode_32 3
		.amdhsa_float_denorm_mode_16_64 3
		.amdhsa_fp16_overflow 0
		.amdhsa_memory_ordered 1
		.amdhsa_forward_progress 1
		.amdhsa_inst_pref_size 1
		.amdhsa_round_robin_scheduling 0
		.amdhsa_exception_fp_ieee_invalid_op 0
		.amdhsa_exception_fp_denorm_src 0
		.amdhsa_exception_fp_ieee_div_zero 0
		.amdhsa_exception_fp_ieee_overflow 0
		.amdhsa_exception_fp_ieee_underflow 0
		.amdhsa_exception_fp_ieee_inexact 0
		.amdhsa_exception_int_div_zero 0
	.end_amdhsa_kernel
	.section	.text._Z35paged_attention_ll4mi_reduce_kernelIDF16_DF16_Li128ELi128ELi256ELi16EEvPT0_PKfS3_PKT_PKiS8_iS3_,"axG",@progbits,_Z35paged_attention_ll4mi_reduce_kernelIDF16_DF16_Li128ELi128ELi256ELi16EEvPT0_PKfS3_PKT_PKiS8_iS3_,comdat
.Lfunc_end285:
	.size	_Z35paged_attention_ll4mi_reduce_kernelIDF16_DF16_Li128ELi128ELi256ELi16EEvPT0_PKfS3_PKT_PKiS8_iS3_, .Lfunc_end285-_Z35paged_attention_ll4mi_reduce_kernelIDF16_DF16_Li128ELi128ELi256ELi16EEvPT0_PKfS3_PKT_PKiS8_iS3_
                                        ; -- End function
	.set _Z35paged_attention_ll4mi_reduce_kernelIDF16_DF16_Li128ELi128ELi256ELi16EEvPT0_PKfS3_PKT_PKiS8_iS3_.num_vgpr, max(3, .L__assert_fail.num_vgpr)
	.set _Z35paged_attention_ll4mi_reduce_kernelIDF16_DF16_Li128ELi128ELi256ELi16EEvPT0_PKfS3_PKT_PKiS8_iS3_.num_agpr, max(0, .L__assert_fail.num_agpr)
	.set _Z35paged_attention_ll4mi_reduce_kernelIDF16_DF16_Li128ELi128ELi256ELi16EEvPT0_PKfS3_PKT_PKiS8_iS3_.numbered_sgpr, max(33, .L__assert_fail.numbered_sgpr)
	.set _Z35paged_attention_ll4mi_reduce_kernelIDF16_DF16_Li128ELi128ELi256ELi16EEvPT0_PKfS3_PKT_PKiS8_iS3_.num_named_barrier, max(0, .L__assert_fail.num_named_barrier)
	.set _Z35paged_attention_ll4mi_reduce_kernelIDF16_DF16_Li128ELi128ELi256ELi16EEvPT0_PKfS3_PKT_PKiS8_iS3_.private_seg_size, 0+max(.L__assert_fail.private_seg_size)
	.set _Z35paged_attention_ll4mi_reduce_kernelIDF16_DF16_Li128ELi128ELi256ELi16EEvPT0_PKfS3_PKT_PKiS8_iS3_.uses_vcc, or(1, .L__assert_fail.uses_vcc)
	.set _Z35paged_attention_ll4mi_reduce_kernelIDF16_DF16_Li128ELi128ELi256ELi16EEvPT0_PKfS3_PKT_PKiS8_iS3_.uses_flat_scratch, or(0, .L__assert_fail.uses_flat_scratch)
	.set _Z35paged_attention_ll4mi_reduce_kernelIDF16_DF16_Li128ELi128ELi256ELi16EEvPT0_PKfS3_PKT_PKiS8_iS3_.has_dyn_sized_stack, or(0, .L__assert_fail.has_dyn_sized_stack)
	.set _Z35paged_attention_ll4mi_reduce_kernelIDF16_DF16_Li128ELi128ELi256ELi16EEvPT0_PKfS3_PKT_PKiS8_iS3_.has_recursion, or(0, .L__assert_fail.has_recursion)
	.set _Z35paged_attention_ll4mi_reduce_kernelIDF16_DF16_Li128ELi128ELi256ELi16EEvPT0_PKfS3_PKT_PKiS8_iS3_.has_indirect_call, or(0, .L__assert_fail.has_indirect_call)
	.section	.AMDGPU.csdata,"",@progbits
; Kernel info:
; codeLenInByte = 64
; TotalNumSgprs: 36
; NumVgprs: 51
; ScratchSize: 64
; MemoryBound: 0
; FloatMode: 240
; IeeeMode: 1
; LDSByteSize: 0 bytes/workgroup (compile time only)
; SGPRBlocks: 0
; VGPRBlocks: 3
; NumSGPRsForWavesPerEU: 36
; NumVGPRsForWavesPerEU: 51
; NamedBarCnt: 0
; Occupancy: 16
; WaveLimiterHint : 1
; COMPUTE_PGM_RSRC2:SCRATCH_EN: 1
; COMPUTE_PGM_RSRC2:USER_SGPR: 2
; COMPUTE_PGM_RSRC2:TRAP_HANDLER: 0
; COMPUTE_PGM_RSRC2:TGID_X_EN: 1
; COMPUTE_PGM_RSRC2:TGID_Y_EN: 0
; COMPUTE_PGM_RSRC2:TGID_Z_EN: 0
; COMPUTE_PGM_RSRC2:TIDIG_COMP_CNT: 0
	.section	.text._Z38paged_attention_ll4mi_QKV_mfma4_kernelIDF16_DF16_LN4vllm18Fp8KVCacheDataTypeE0EDF16_Li16ELi128ELi256ELb0ELi1EEvPKT_PKT0_S7_ifPKiS9_S9_iPKfiiiPfSC_PS2_PT2_iSB_SB_,"axG",@progbits,_Z38paged_attention_ll4mi_QKV_mfma4_kernelIDF16_DF16_LN4vllm18Fp8KVCacheDataTypeE0EDF16_Li16ELi128ELi256ELb0ELi1EEvPKT_PKT0_S7_ifPKiS9_S9_iPKfiiiPfSC_PS2_PT2_iSB_SB_,comdat
	.protected	_Z38paged_attention_ll4mi_QKV_mfma4_kernelIDF16_DF16_LN4vllm18Fp8KVCacheDataTypeE0EDF16_Li16ELi128ELi256ELb0ELi1EEvPKT_PKT0_S7_ifPKiS9_S9_iPKfiiiPfSC_PS2_PT2_iSB_SB_ ; -- Begin function _Z38paged_attention_ll4mi_QKV_mfma4_kernelIDF16_DF16_LN4vllm18Fp8KVCacheDataTypeE0EDF16_Li16ELi128ELi256ELb0ELi1EEvPKT_PKT0_S7_ifPKiS9_S9_iPKfiiiPfSC_PS2_PT2_iSB_SB_
	.globl	_Z38paged_attention_ll4mi_QKV_mfma4_kernelIDF16_DF16_LN4vllm18Fp8KVCacheDataTypeE0EDF16_Li16ELi128ELi256ELb0ELi1EEvPKT_PKT0_S7_ifPKiS9_S9_iPKfiiiPfSC_PS2_PT2_iSB_SB_
	.p2align	8
	.type	_Z38paged_attention_ll4mi_QKV_mfma4_kernelIDF16_DF16_LN4vllm18Fp8KVCacheDataTypeE0EDF16_Li16ELi128ELi256ELb0ELi1EEvPKT_PKT0_S7_ifPKiS9_S9_iPKfiiiPfSC_PS2_PT2_iSB_SB_,@function
_Z38paged_attention_ll4mi_QKV_mfma4_kernelIDF16_DF16_LN4vllm18Fp8KVCacheDataTypeE0EDF16_Li16ELi128ELi256ELb0ELi1EEvPKT_PKT0_S7_ifPKiS9_S9_iPKfiiiPfSC_PS2_PT2_iSB_SB_: ; @_Z38paged_attention_ll4mi_QKV_mfma4_kernelIDF16_DF16_LN4vllm18Fp8KVCacheDataTypeE0EDF16_Li16ELi128ELi256ELb0ELi1EEvPKT_PKT0_S7_ifPKiS9_S9_iPKfiiiPfSC_PS2_PT2_iSB_SB_
; %bb.0:
	s_get_pc_i64 s[2:3]
	s_add_nc_u64 s[2:3], s[2:3], __PRETTY_FUNCTION__._Z38paged_attention_ll4mi_QKV_mfma4_kernelIDF16_DF16_LN4vllm18Fp8KVCacheDataTypeE0EDF16_Li16ELi128ELi256ELb0ELi1EEvPKT_PKT0_S7_ifPKiS9_S9_iPKfiiiPfSC_PS2_PT2_iSB_SB_@rel64+4
	s_delay_alu instid0(SALU_CYCLE_1)
	v_dual_mov_b32 v0, 0xbce :: v_dual_mov_b32 v1, s2
	v_mov_b32_e32 v2, s3
	s_add_nc_u64 s[8:9], s[0:1], 0x90
	s_get_pc_i64 s[0:1]
	s_add_nc_u64 s[0:1], s[0:1], __assert_fail@rel64+4
	s_mov_b32 s32, 0
	s_swap_pc_i64 s[30:31], s[0:1]
	.section	.rodata,"a",@progbits
	.p2align	6, 0x0
	.amdhsa_kernel _Z38paged_attention_ll4mi_QKV_mfma4_kernelIDF16_DF16_LN4vllm18Fp8KVCacheDataTypeE0EDF16_Li16ELi128ELi256ELb0ELi1EEvPKT_PKT0_S7_ifPKiS9_S9_iPKfiiiPfSC_PS2_PT2_iSB_SB_
		.amdhsa_group_segment_fixed_size 0
		.amdhsa_private_segment_fixed_size 64
		.amdhsa_kernarg_size 400
		.amdhsa_user_sgpr_count 2
		.amdhsa_user_sgpr_dispatch_ptr 0
		.amdhsa_user_sgpr_queue_ptr 0
		.amdhsa_user_sgpr_kernarg_segment_ptr 1
		.amdhsa_user_sgpr_dispatch_id 0
		.amdhsa_user_sgpr_kernarg_preload_length 0
		.amdhsa_user_sgpr_kernarg_preload_offset 0
		.amdhsa_user_sgpr_private_segment_size 0
		.amdhsa_wavefront_size32 1
		.amdhsa_uses_dynamic_stack 0
		.amdhsa_enable_private_segment 1
		.amdhsa_system_sgpr_workgroup_id_x 1
		.amdhsa_system_sgpr_workgroup_id_y 0
		.amdhsa_system_sgpr_workgroup_id_z 0
		.amdhsa_system_sgpr_workgroup_info 0
		.amdhsa_system_vgpr_workitem_id 0
		.amdhsa_next_free_vgpr 51
		.amdhsa_next_free_sgpr 34
		.amdhsa_named_barrier_count 0
		.amdhsa_reserve_vcc 1
		.amdhsa_float_round_mode_32 0
		.amdhsa_float_round_mode_16_64 0
		.amdhsa_float_denorm_mode_32 3
		.amdhsa_float_denorm_mode_16_64 3
		.amdhsa_fp16_overflow 0
		.amdhsa_memory_ordered 1
		.amdhsa_forward_progress 1
		.amdhsa_inst_pref_size 1
		.amdhsa_round_robin_scheduling 0
		.amdhsa_exception_fp_ieee_invalid_op 0
		.amdhsa_exception_fp_denorm_src 0
		.amdhsa_exception_fp_ieee_div_zero 0
		.amdhsa_exception_fp_ieee_overflow 0
		.amdhsa_exception_fp_ieee_underflow 0
		.amdhsa_exception_fp_ieee_inexact 0
		.amdhsa_exception_int_div_zero 0
	.end_amdhsa_kernel
	.section	.text._Z38paged_attention_ll4mi_QKV_mfma4_kernelIDF16_DF16_LN4vllm18Fp8KVCacheDataTypeE0EDF16_Li16ELi128ELi256ELb0ELi1EEvPKT_PKT0_S7_ifPKiS9_S9_iPKfiiiPfSC_PS2_PT2_iSB_SB_,"axG",@progbits,_Z38paged_attention_ll4mi_QKV_mfma4_kernelIDF16_DF16_LN4vllm18Fp8KVCacheDataTypeE0EDF16_Li16ELi128ELi256ELb0ELi1EEvPKT_PKT0_S7_ifPKiS9_S9_iPKfiiiPfSC_PS2_PT2_iSB_SB_,comdat
.Lfunc_end286:
	.size	_Z38paged_attention_ll4mi_QKV_mfma4_kernelIDF16_DF16_LN4vllm18Fp8KVCacheDataTypeE0EDF16_Li16ELi128ELi256ELb0ELi1EEvPKT_PKT0_S7_ifPKiS9_S9_iPKfiiiPfSC_PS2_PT2_iSB_SB_, .Lfunc_end286-_Z38paged_attention_ll4mi_QKV_mfma4_kernelIDF16_DF16_LN4vllm18Fp8KVCacheDataTypeE0EDF16_Li16ELi128ELi256ELb0ELi1EEvPKT_PKT0_S7_ifPKiS9_S9_iPKfiiiPfSC_PS2_PT2_iSB_SB_
                                        ; -- End function
	.set _Z38paged_attention_ll4mi_QKV_mfma4_kernelIDF16_DF16_LN4vllm18Fp8KVCacheDataTypeE0EDF16_Li16ELi128ELi256ELb0ELi1EEvPKT_PKT0_S7_ifPKiS9_S9_iPKfiiiPfSC_PS2_PT2_iSB_SB_.num_vgpr, max(3, .L__assert_fail.num_vgpr)
	.set _Z38paged_attention_ll4mi_QKV_mfma4_kernelIDF16_DF16_LN4vllm18Fp8KVCacheDataTypeE0EDF16_Li16ELi128ELi256ELb0ELi1EEvPKT_PKT0_S7_ifPKiS9_S9_iPKfiiiPfSC_PS2_PT2_iSB_SB_.num_agpr, max(0, .L__assert_fail.num_agpr)
	.set _Z38paged_attention_ll4mi_QKV_mfma4_kernelIDF16_DF16_LN4vllm18Fp8KVCacheDataTypeE0EDF16_Li16ELi128ELi256ELb0ELi1EEvPKT_PKT0_S7_ifPKiS9_S9_iPKfiiiPfSC_PS2_PT2_iSB_SB_.numbered_sgpr, max(33, .L__assert_fail.numbered_sgpr)
	.set _Z38paged_attention_ll4mi_QKV_mfma4_kernelIDF16_DF16_LN4vllm18Fp8KVCacheDataTypeE0EDF16_Li16ELi128ELi256ELb0ELi1EEvPKT_PKT0_S7_ifPKiS9_S9_iPKfiiiPfSC_PS2_PT2_iSB_SB_.num_named_barrier, max(0, .L__assert_fail.num_named_barrier)
	.set _Z38paged_attention_ll4mi_QKV_mfma4_kernelIDF16_DF16_LN4vllm18Fp8KVCacheDataTypeE0EDF16_Li16ELi128ELi256ELb0ELi1EEvPKT_PKT0_S7_ifPKiS9_S9_iPKfiiiPfSC_PS2_PT2_iSB_SB_.private_seg_size, 0+max(.L__assert_fail.private_seg_size)
	.set _Z38paged_attention_ll4mi_QKV_mfma4_kernelIDF16_DF16_LN4vllm18Fp8KVCacheDataTypeE0EDF16_Li16ELi128ELi256ELb0ELi1EEvPKT_PKT0_S7_ifPKiS9_S9_iPKfiiiPfSC_PS2_PT2_iSB_SB_.uses_vcc, or(1, .L__assert_fail.uses_vcc)
	.set _Z38paged_attention_ll4mi_QKV_mfma4_kernelIDF16_DF16_LN4vllm18Fp8KVCacheDataTypeE0EDF16_Li16ELi128ELi256ELb0ELi1EEvPKT_PKT0_S7_ifPKiS9_S9_iPKfiiiPfSC_PS2_PT2_iSB_SB_.uses_flat_scratch, or(0, .L__assert_fail.uses_flat_scratch)
	.set _Z38paged_attention_ll4mi_QKV_mfma4_kernelIDF16_DF16_LN4vllm18Fp8KVCacheDataTypeE0EDF16_Li16ELi128ELi256ELb0ELi1EEvPKT_PKT0_S7_ifPKiS9_S9_iPKfiiiPfSC_PS2_PT2_iSB_SB_.has_dyn_sized_stack, or(0, .L__assert_fail.has_dyn_sized_stack)
	.set _Z38paged_attention_ll4mi_QKV_mfma4_kernelIDF16_DF16_LN4vllm18Fp8KVCacheDataTypeE0EDF16_Li16ELi128ELi256ELb0ELi1EEvPKT_PKT0_S7_ifPKiS9_S9_iPKfiiiPfSC_PS2_PT2_iSB_SB_.has_recursion, or(0, .L__assert_fail.has_recursion)
	.set _Z38paged_attention_ll4mi_QKV_mfma4_kernelIDF16_DF16_LN4vllm18Fp8KVCacheDataTypeE0EDF16_Li16ELi128ELi256ELb0ELi1EEvPKT_PKT0_S7_ifPKiS9_S9_iPKfiiiPfSC_PS2_PT2_iSB_SB_.has_indirect_call, or(0, .L__assert_fail.has_indirect_call)
	.section	.AMDGPU.csdata,"",@progbits
; Kernel info:
; codeLenInByte = 68
; TotalNumSgprs: 36
; NumVgprs: 51
; ScratchSize: 64
; MemoryBound: 0
; FloatMode: 240
; IeeeMode: 1
; LDSByteSize: 0 bytes/workgroup (compile time only)
; SGPRBlocks: 0
; VGPRBlocks: 3
; NumSGPRsForWavesPerEU: 36
; NumVGPRsForWavesPerEU: 51
; NamedBarCnt: 0
; Occupancy: 16
; WaveLimiterHint : 1
; COMPUTE_PGM_RSRC2:SCRATCH_EN: 1
; COMPUTE_PGM_RSRC2:USER_SGPR: 2
; COMPUTE_PGM_RSRC2:TRAP_HANDLER: 0
; COMPUTE_PGM_RSRC2:TGID_X_EN: 1
; COMPUTE_PGM_RSRC2:TGID_Y_EN: 0
; COMPUTE_PGM_RSRC2:TGID_Z_EN: 0
; COMPUTE_PGM_RSRC2:TIDIG_COMP_CNT: 0
	.section	.text._Z38paged_attention_ll4mi_QKV_mfma4_kernelIDF16_DF16_LN4vllm18Fp8KVCacheDataTypeE0EDF16_Li16ELi128ELi256ELb0ELi2EEvPKT_PKT0_S7_ifPKiS9_S9_iPKfiiiPfSC_PS2_PT2_iSB_SB_,"axG",@progbits,_Z38paged_attention_ll4mi_QKV_mfma4_kernelIDF16_DF16_LN4vllm18Fp8KVCacheDataTypeE0EDF16_Li16ELi128ELi256ELb0ELi2EEvPKT_PKT0_S7_ifPKiS9_S9_iPKfiiiPfSC_PS2_PT2_iSB_SB_,comdat
	.protected	_Z38paged_attention_ll4mi_QKV_mfma4_kernelIDF16_DF16_LN4vllm18Fp8KVCacheDataTypeE0EDF16_Li16ELi128ELi256ELb0ELi2EEvPKT_PKT0_S7_ifPKiS9_S9_iPKfiiiPfSC_PS2_PT2_iSB_SB_ ; -- Begin function _Z38paged_attention_ll4mi_QKV_mfma4_kernelIDF16_DF16_LN4vllm18Fp8KVCacheDataTypeE0EDF16_Li16ELi128ELi256ELb0ELi2EEvPKT_PKT0_S7_ifPKiS9_S9_iPKfiiiPfSC_PS2_PT2_iSB_SB_
	.globl	_Z38paged_attention_ll4mi_QKV_mfma4_kernelIDF16_DF16_LN4vllm18Fp8KVCacheDataTypeE0EDF16_Li16ELi128ELi256ELb0ELi2EEvPKT_PKT0_S7_ifPKiS9_S9_iPKfiiiPfSC_PS2_PT2_iSB_SB_
	.p2align	8
	.type	_Z38paged_attention_ll4mi_QKV_mfma4_kernelIDF16_DF16_LN4vllm18Fp8KVCacheDataTypeE0EDF16_Li16ELi128ELi256ELb0ELi2EEvPKT_PKT0_S7_ifPKiS9_S9_iPKfiiiPfSC_PS2_PT2_iSB_SB_,@function
_Z38paged_attention_ll4mi_QKV_mfma4_kernelIDF16_DF16_LN4vllm18Fp8KVCacheDataTypeE0EDF16_Li16ELi128ELi256ELb0ELi2EEvPKT_PKT0_S7_ifPKiS9_S9_iPKfiiiPfSC_PS2_PT2_iSB_SB_: ; @_Z38paged_attention_ll4mi_QKV_mfma4_kernelIDF16_DF16_LN4vllm18Fp8KVCacheDataTypeE0EDF16_Li16ELi128ELi256ELb0ELi2EEvPKT_PKT0_S7_ifPKiS9_S9_iPKfiiiPfSC_PS2_PT2_iSB_SB_
; %bb.0:
	s_get_pc_i64 s[2:3]
	s_add_nc_u64 s[2:3], s[2:3], __PRETTY_FUNCTION__._Z38paged_attention_ll4mi_QKV_mfma4_kernelIDF16_DF16_LN4vllm18Fp8KVCacheDataTypeE0EDF16_Li16ELi128ELi256ELb0ELi2EEvPKT_PKT0_S7_ifPKiS9_S9_iPKfiiiPfSC_PS2_PT2_iSB_SB_@rel64+4
	s_delay_alu instid0(SALU_CYCLE_1)
	v_dual_mov_b32 v0, 0xbce :: v_dual_mov_b32 v1, s2
	v_mov_b32_e32 v2, s3
	s_add_nc_u64 s[8:9], s[0:1], 0x90
	s_get_pc_i64 s[0:1]
	s_add_nc_u64 s[0:1], s[0:1], __assert_fail@rel64+4
	s_mov_b32 s32, 0
	s_swap_pc_i64 s[30:31], s[0:1]
	.section	.rodata,"a",@progbits
	.p2align	6, 0x0
	.amdhsa_kernel _Z38paged_attention_ll4mi_QKV_mfma4_kernelIDF16_DF16_LN4vllm18Fp8KVCacheDataTypeE0EDF16_Li16ELi128ELi256ELb0ELi2EEvPKT_PKT0_S7_ifPKiS9_S9_iPKfiiiPfSC_PS2_PT2_iSB_SB_
		.amdhsa_group_segment_fixed_size 0
		.amdhsa_private_segment_fixed_size 64
		.amdhsa_kernarg_size 400
		.amdhsa_user_sgpr_count 2
		.amdhsa_user_sgpr_dispatch_ptr 0
		.amdhsa_user_sgpr_queue_ptr 0
		.amdhsa_user_sgpr_kernarg_segment_ptr 1
		.amdhsa_user_sgpr_dispatch_id 0
		.amdhsa_user_sgpr_kernarg_preload_length 0
		.amdhsa_user_sgpr_kernarg_preload_offset 0
		.amdhsa_user_sgpr_private_segment_size 0
		.amdhsa_wavefront_size32 1
		.amdhsa_uses_dynamic_stack 0
		.amdhsa_enable_private_segment 1
		.amdhsa_system_sgpr_workgroup_id_x 1
		.amdhsa_system_sgpr_workgroup_id_y 0
		.amdhsa_system_sgpr_workgroup_id_z 0
		.amdhsa_system_sgpr_workgroup_info 0
		.amdhsa_system_vgpr_workitem_id 0
		.amdhsa_next_free_vgpr 51
		.amdhsa_next_free_sgpr 34
		.amdhsa_named_barrier_count 0
		.amdhsa_reserve_vcc 1
		.amdhsa_float_round_mode_32 0
		.amdhsa_float_round_mode_16_64 0
		.amdhsa_float_denorm_mode_32 3
		.amdhsa_float_denorm_mode_16_64 3
		.amdhsa_fp16_overflow 0
		.amdhsa_memory_ordered 1
		.amdhsa_forward_progress 1
		.amdhsa_inst_pref_size 1
		.amdhsa_round_robin_scheduling 0
		.amdhsa_exception_fp_ieee_invalid_op 0
		.amdhsa_exception_fp_denorm_src 0
		.amdhsa_exception_fp_ieee_div_zero 0
		.amdhsa_exception_fp_ieee_overflow 0
		.amdhsa_exception_fp_ieee_underflow 0
		.amdhsa_exception_fp_ieee_inexact 0
		.amdhsa_exception_int_div_zero 0
	.end_amdhsa_kernel
	.section	.text._Z38paged_attention_ll4mi_QKV_mfma4_kernelIDF16_DF16_LN4vllm18Fp8KVCacheDataTypeE0EDF16_Li16ELi128ELi256ELb0ELi2EEvPKT_PKT0_S7_ifPKiS9_S9_iPKfiiiPfSC_PS2_PT2_iSB_SB_,"axG",@progbits,_Z38paged_attention_ll4mi_QKV_mfma4_kernelIDF16_DF16_LN4vllm18Fp8KVCacheDataTypeE0EDF16_Li16ELi128ELi256ELb0ELi2EEvPKT_PKT0_S7_ifPKiS9_S9_iPKfiiiPfSC_PS2_PT2_iSB_SB_,comdat
.Lfunc_end287:
	.size	_Z38paged_attention_ll4mi_QKV_mfma4_kernelIDF16_DF16_LN4vllm18Fp8KVCacheDataTypeE0EDF16_Li16ELi128ELi256ELb0ELi2EEvPKT_PKT0_S7_ifPKiS9_S9_iPKfiiiPfSC_PS2_PT2_iSB_SB_, .Lfunc_end287-_Z38paged_attention_ll4mi_QKV_mfma4_kernelIDF16_DF16_LN4vllm18Fp8KVCacheDataTypeE0EDF16_Li16ELi128ELi256ELb0ELi2EEvPKT_PKT0_S7_ifPKiS9_S9_iPKfiiiPfSC_PS2_PT2_iSB_SB_
                                        ; -- End function
	.set _Z38paged_attention_ll4mi_QKV_mfma4_kernelIDF16_DF16_LN4vllm18Fp8KVCacheDataTypeE0EDF16_Li16ELi128ELi256ELb0ELi2EEvPKT_PKT0_S7_ifPKiS9_S9_iPKfiiiPfSC_PS2_PT2_iSB_SB_.num_vgpr, max(3, .L__assert_fail.num_vgpr)
	.set _Z38paged_attention_ll4mi_QKV_mfma4_kernelIDF16_DF16_LN4vllm18Fp8KVCacheDataTypeE0EDF16_Li16ELi128ELi256ELb0ELi2EEvPKT_PKT0_S7_ifPKiS9_S9_iPKfiiiPfSC_PS2_PT2_iSB_SB_.num_agpr, max(0, .L__assert_fail.num_agpr)
	.set _Z38paged_attention_ll4mi_QKV_mfma4_kernelIDF16_DF16_LN4vllm18Fp8KVCacheDataTypeE0EDF16_Li16ELi128ELi256ELb0ELi2EEvPKT_PKT0_S7_ifPKiS9_S9_iPKfiiiPfSC_PS2_PT2_iSB_SB_.numbered_sgpr, max(33, .L__assert_fail.numbered_sgpr)
	.set _Z38paged_attention_ll4mi_QKV_mfma4_kernelIDF16_DF16_LN4vllm18Fp8KVCacheDataTypeE0EDF16_Li16ELi128ELi256ELb0ELi2EEvPKT_PKT0_S7_ifPKiS9_S9_iPKfiiiPfSC_PS2_PT2_iSB_SB_.num_named_barrier, max(0, .L__assert_fail.num_named_barrier)
	.set _Z38paged_attention_ll4mi_QKV_mfma4_kernelIDF16_DF16_LN4vllm18Fp8KVCacheDataTypeE0EDF16_Li16ELi128ELi256ELb0ELi2EEvPKT_PKT0_S7_ifPKiS9_S9_iPKfiiiPfSC_PS2_PT2_iSB_SB_.private_seg_size, 0+max(.L__assert_fail.private_seg_size)
	.set _Z38paged_attention_ll4mi_QKV_mfma4_kernelIDF16_DF16_LN4vllm18Fp8KVCacheDataTypeE0EDF16_Li16ELi128ELi256ELb0ELi2EEvPKT_PKT0_S7_ifPKiS9_S9_iPKfiiiPfSC_PS2_PT2_iSB_SB_.uses_vcc, or(1, .L__assert_fail.uses_vcc)
	.set _Z38paged_attention_ll4mi_QKV_mfma4_kernelIDF16_DF16_LN4vllm18Fp8KVCacheDataTypeE0EDF16_Li16ELi128ELi256ELb0ELi2EEvPKT_PKT0_S7_ifPKiS9_S9_iPKfiiiPfSC_PS2_PT2_iSB_SB_.uses_flat_scratch, or(0, .L__assert_fail.uses_flat_scratch)
	.set _Z38paged_attention_ll4mi_QKV_mfma4_kernelIDF16_DF16_LN4vllm18Fp8KVCacheDataTypeE0EDF16_Li16ELi128ELi256ELb0ELi2EEvPKT_PKT0_S7_ifPKiS9_S9_iPKfiiiPfSC_PS2_PT2_iSB_SB_.has_dyn_sized_stack, or(0, .L__assert_fail.has_dyn_sized_stack)
	.set _Z38paged_attention_ll4mi_QKV_mfma4_kernelIDF16_DF16_LN4vllm18Fp8KVCacheDataTypeE0EDF16_Li16ELi128ELi256ELb0ELi2EEvPKT_PKT0_S7_ifPKiS9_S9_iPKfiiiPfSC_PS2_PT2_iSB_SB_.has_recursion, or(0, .L__assert_fail.has_recursion)
	.set _Z38paged_attention_ll4mi_QKV_mfma4_kernelIDF16_DF16_LN4vllm18Fp8KVCacheDataTypeE0EDF16_Li16ELi128ELi256ELb0ELi2EEvPKT_PKT0_S7_ifPKiS9_S9_iPKfiiiPfSC_PS2_PT2_iSB_SB_.has_indirect_call, or(0, .L__assert_fail.has_indirect_call)
	.section	.AMDGPU.csdata,"",@progbits
; Kernel info:
; codeLenInByte = 68
; TotalNumSgprs: 36
; NumVgprs: 51
; ScratchSize: 64
; MemoryBound: 0
; FloatMode: 240
; IeeeMode: 1
; LDSByteSize: 0 bytes/workgroup (compile time only)
; SGPRBlocks: 0
; VGPRBlocks: 3
; NumSGPRsForWavesPerEU: 36
; NumVGPRsForWavesPerEU: 51
; NamedBarCnt: 0
; Occupancy: 16
; WaveLimiterHint : 1
; COMPUTE_PGM_RSRC2:SCRATCH_EN: 1
; COMPUTE_PGM_RSRC2:USER_SGPR: 2
; COMPUTE_PGM_RSRC2:TRAP_HANDLER: 0
; COMPUTE_PGM_RSRC2:TGID_X_EN: 1
; COMPUTE_PGM_RSRC2:TGID_Y_EN: 0
; COMPUTE_PGM_RSRC2:TGID_Z_EN: 0
; COMPUTE_PGM_RSRC2:TIDIG_COMP_CNT: 0
	.section	.text._Z38paged_attention_ll4mi_QKV_mfma4_kernelIDF16_DF16_LN4vllm18Fp8KVCacheDataTypeE0EDF16_Li16ELi128ELi256ELb0ELi3EEvPKT_PKT0_S7_ifPKiS9_S9_iPKfiiiPfSC_PS2_PT2_iSB_SB_,"axG",@progbits,_Z38paged_attention_ll4mi_QKV_mfma4_kernelIDF16_DF16_LN4vllm18Fp8KVCacheDataTypeE0EDF16_Li16ELi128ELi256ELb0ELi3EEvPKT_PKT0_S7_ifPKiS9_S9_iPKfiiiPfSC_PS2_PT2_iSB_SB_,comdat
	.protected	_Z38paged_attention_ll4mi_QKV_mfma4_kernelIDF16_DF16_LN4vllm18Fp8KVCacheDataTypeE0EDF16_Li16ELi128ELi256ELb0ELi3EEvPKT_PKT0_S7_ifPKiS9_S9_iPKfiiiPfSC_PS2_PT2_iSB_SB_ ; -- Begin function _Z38paged_attention_ll4mi_QKV_mfma4_kernelIDF16_DF16_LN4vllm18Fp8KVCacheDataTypeE0EDF16_Li16ELi128ELi256ELb0ELi3EEvPKT_PKT0_S7_ifPKiS9_S9_iPKfiiiPfSC_PS2_PT2_iSB_SB_
	.globl	_Z38paged_attention_ll4mi_QKV_mfma4_kernelIDF16_DF16_LN4vllm18Fp8KVCacheDataTypeE0EDF16_Li16ELi128ELi256ELb0ELi3EEvPKT_PKT0_S7_ifPKiS9_S9_iPKfiiiPfSC_PS2_PT2_iSB_SB_
	.p2align	8
	.type	_Z38paged_attention_ll4mi_QKV_mfma4_kernelIDF16_DF16_LN4vllm18Fp8KVCacheDataTypeE0EDF16_Li16ELi128ELi256ELb0ELi3EEvPKT_PKT0_S7_ifPKiS9_S9_iPKfiiiPfSC_PS2_PT2_iSB_SB_,@function
_Z38paged_attention_ll4mi_QKV_mfma4_kernelIDF16_DF16_LN4vllm18Fp8KVCacheDataTypeE0EDF16_Li16ELi128ELi256ELb0ELi3EEvPKT_PKT0_S7_ifPKiS9_S9_iPKfiiiPfSC_PS2_PT2_iSB_SB_: ; @_Z38paged_attention_ll4mi_QKV_mfma4_kernelIDF16_DF16_LN4vllm18Fp8KVCacheDataTypeE0EDF16_Li16ELi128ELi256ELb0ELi3EEvPKT_PKT0_S7_ifPKiS9_S9_iPKfiiiPfSC_PS2_PT2_iSB_SB_
; %bb.0:
	s_get_pc_i64 s[2:3]
	s_add_nc_u64 s[2:3], s[2:3], __PRETTY_FUNCTION__._Z38paged_attention_ll4mi_QKV_mfma4_kernelIDF16_DF16_LN4vllm18Fp8KVCacheDataTypeE0EDF16_Li16ELi128ELi256ELb0ELi3EEvPKT_PKT0_S7_ifPKiS9_S9_iPKfiiiPfSC_PS2_PT2_iSB_SB_@rel64+4
	s_delay_alu instid0(SALU_CYCLE_1)
	v_dual_mov_b32 v0, 0xbce :: v_dual_mov_b32 v1, s2
	v_mov_b32_e32 v2, s3
	s_add_nc_u64 s[8:9], s[0:1], 0x90
	s_get_pc_i64 s[0:1]
	s_add_nc_u64 s[0:1], s[0:1], __assert_fail@rel64+4
	s_mov_b32 s32, 0
	s_swap_pc_i64 s[30:31], s[0:1]
	.section	.rodata,"a",@progbits
	.p2align	6, 0x0
	.amdhsa_kernel _Z38paged_attention_ll4mi_QKV_mfma4_kernelIDF16_DF16_LN4vllm18Fp8KVCacheDataTypeE0EDF16_Li16ELi128ELi256ELb0ELi3EEvPKT_PKT0_S7_ifPKiS9_S9_iPKfiiiPfSC_PS2_PT2_iSB_SB_
		.amdhsa_group_segment_fixed_size 0
		.amdhsa_private_segment_fixed_size 64
		.amdhsa_kernarg_size 400
		.amdhsa_user_sgpr_count 2
		.amdhsa_user_sgpr_dispatch_ptr 0
		.amdhsa_user_sgpr_queue_ptr 0
		.amdhsa_user_sgpr_kernarg_segment_ptr 1
		.amdhsa_user_sgpr_dispatch_id 0
		.amdhsa_user_sgpr_kernarg_preload_length 0
		.amdhsa_user_sgpr_kernarg_preload_offset 0
		.amdhsa_user_sgpr_private_segment_size 0
		.amdhsa_wavefront_size32 1
		.amdhsa_uses_dynamic_stack 0
		.amdhsa_enable_private_segment 1
		.amdhsa_system_sgpr_workgroup_id_x 1
		.amdhsa_system_sgpr_workgroup_id_y 0
		.amdhsa_system_sgpr_workgroup_id_z 0
		.amdhsa_system_sgpr_workgroup_info 0
		.amdhsa_system_vgpr_workitem_id 0
		.amdhsa_next_free_vgpr 51
		.amdhsa_next_free_sgpr 34
		.amdhsa_named_barrier_count 0
		.amdhsa_reserve_vcc 1
		.amdhsa_float_round_mode_32 0
		.amdhsa_float_round_mode_16_64 0
		.amdhsa_float_denorm_mode_32 3
		.amdhsa_float_denorm_mode_16_64 3
		.amdhsa_fp16_overflow 0
		.amdhsa_memory_ordered 1
		.amdhsa_forward_progress 1
		.amdhsa_inst_pref_size 1
		.amdhsa_round_robin_scheduling 0
		.amdhsa_exception_fp_ieee_invalid_op 0
		.amdhsa_exception_fp_denorm_src 0
		.amdhsa_exception_fp_ieee_div_zero 0
		.amdhsa_exception_fp_ieee_overflow 0
		.amdhsa_exception_fp_ieee_underflow 0
		.amdhsa_exception_fp_ieee_inexact 0
		.amdhsa_exception_int_div_zero 0
	.end_amdhsa_kernel
	.section	.text._Z38paged_attention_ll4mi_QKV_mfma4_kernelIDF16_DF16_LN4vllm18Fp8KVCacheDataTypeE0EDF16_Li16ELi128ELi256ELb0ELi3EEvPKT_PKT0_S7_ifPKiS9_S9_iPKfiiiPfSC_PS2_PT2_iSB_SB_,"axG",@progbits,_Z38paged_attention_ll4mi_QKV_mfma4_kernelIDF16_DF16_LN4vllm18Fp8KVCacheDataTypeE0EDF16_Li16ELi128ELi256ELb0ELi3EEvPKT_PKT0_S7_ifPKiS9_S9_iPKfiiiPfSC_PS2_PT2_iSB_SB_,comdat
.Lfunc_end288:
	.size	_Z38paged_attention_ll4mi_QKV_mfma4_kernelIDF16_DF16_LN4vllm18Fp8KVCacheDataTypeE0EDF16_Li16ELi128ELi256ELb0ELi3EEvPKT_PKT0_S7_ifPKiS9_S9_iPKfiiiPfSC_PS2_PT2_iSB_SB_, .Lfunc_end288-_Z38paged_attention_ll4mi_QKV_mfma4_kernelIDF16_DF16_LN4vllm18Fp8KVCacheDataTypeE0EDF16_Li16ELi128ELi256ELb0ELi3EEvPKT_PKT0_S7_ifPKiS9_S9_iPKfiiiPfSC_PS2_PT2_iSB_SB_
                                        ; -- End function
	.set _Z38paged_attention_ll4mi_QKV_mfma4_kernelIDF16_DF16_LN4vllm18Fp8KVCacheDataTypeE0EDF16_Li16ELi128ELi256ELb0ELi3EEvPKT_PKT0_S7_ifPKiS9_S9_iPKfiiiPfSC_PS2_PT2_iSB_SB_.num_vgpr, max(3, .L__assert_fail.num_vgpr)
	.set _Z38paged_attention_ll4mi_QKV_mfma4_kernelIDF16_DF16_LN4vllm18Fp8KVCacheDataTypeE0EDF16_Li16ELi128ELi256ELb0ELi3EEvPKT_PKT0_S7_ifPKiS9_S9_iPKfiiiPfSC_PS2_PT2_iSB_SB_.num_agpr, max(0, .L__assert_fail.num_agpr)
	.set _Z38paged_attention_ll4mi_QKV_mfma4_kernelIDF16_DF16_LN4vllm18Fp8KVCacheDataTypeE0EDF16_Li16ELi128ELi256ELb0ELi3EEvPKT_PKT0_S7_ifPKiS9_S9_iPKfiiiPfSC_PS2_PT2_iSB_SB_.numbered_sgpr, max(33, .L__assert_fail.numbered_sgpr)
	.set _Z38paged_attention_ll4mi_QKV_mfma4_kernelIDF16_DF16_LN4vllm18Fp8KVCacheDataTypeE0EDF16_Li16ELi128ELi256ELb0ELi3EEvPKT_PKT0_S7_ifPKiS9_S9_iPKfiiiPfSC_PS2_PT2_iSB_SB_.num_named_barrier, max(0, .L__assert_fail.num_named_barrier)
	.set _Z38paged_attention_ll4mi_QKV_mfma4_kernelIDF16_DF16_LN4vllm18Fp8KVCacheDataTypeE0EDF16_Li16ELi128ELi256ELb0ELi3EEvPKT_PKT0_S7_ifPKiS9_S9_iPKfiiiPfSC_PS2_PT2_iSB_SB_.private_seg_size, 0+max(.L__assert_fail.private_seg_size)
	.set _Z38paged_attention_ll4mi_QKV_mfma4_kernelIDF16_DF16_LN4vllm18Fp8KVCacheDataTypeE0EDF16_Li16ELi128ELi256ELb0ELi3EEvPKT_PKT0_S7_ifPKiS9_S9_iPKfiiiPfSC_PS2_PT2_iSB_SB_.uses_vcc, or(1, .L__assert_fail.uses_vcc)
	.set _Z38paged_attention_ll4mi_QKV_mfma4_kernelIDF16_DF16_LN4vllm18Fp8KVCacheDataTypeE0EDF16_Li16ELi128ELi256ELb0ELi3EEvPKT_PKT0_S7_ifPKiS9_S9_iPKfiiiPfSC_PS2_PT2_iSB_SB_.uses_flat_scratch, or(0, .L__assert_fail.uses_flat_scratch)
	.set _Z38paged_attention_ll4mi_QKV_mfma4_kernelIDF16_DF16_LN4vllm18Fp8KVCacheDataTypeE0EDF16_Li16ELi128ELi256ELb0ELi3EEvPKT_PKT0_S7_ifPKiS9_S9_iPKfiiiPfSC_PS2_PT2_iSB_SB_.has_dyn_sized_stack, or(0, .L__assert_fail.has_dyn_sized_stack)
	.set _Z38paged_attention_ll4mi_QKV_mfma4_kernelIDF16_DF16_LN4vllm18Fp8KVCacheDataTypeE0EDF16_Li16ELi128ELi256ELb0ELi3EEvPKT_PKT0_S7_ifPKiS9_S9_iPKfiiiPfSC_PS2_PT2_iSB_SB_.has_recursion, or(0, .L__assert_fail.has_recursion)
	.set _Z38paged_attention_ll4mi_QKV_mfma4_kernelIDF16_DF16_LN4vllm18Fp8KVCacheDataTypeE0EDF16_Li16ELi128ELi256ELb0ELi3EEvPKT_PKT0_S7_ifPKiS9_S9_iPKfiiiPfSC_PS2_PT2_iSB_SB_.has_indirect_call, or(0, .L__assert_fail.has_indirect_call)
	.section	.AMDGPU.csdata,"",@progbits
; Kernel info:
; codeLenInByte = 68
; TotalNumSgprs: 36
; NumVgprs: 51
; ScratchSize: 64
; MemoryBound: 0
; FloatMode: 240
; IeeeMode: 1
; LDSByteSize: 0 bytes/workgroup (compile time only)
; SGPRBlocks: 0
; VGPRBlocks: 3
; NumSGPRsForWavesPerEU: 36
; NumVGPRsForWavesPerEU: 51
; NamedBarCnt: 0
; Occupancy: 16
; WaveLimiterHint : 1
; COMPUTE_PGM_RSRC2:SCRATCH_EN: 1
; COMPUTE_PGM_RSRC2:USER_SGPR: 2
; COMPUTE_PGM_RSRC2:TRAP_HANDLER: 0
; COMPUTE_PGM_RSRC2:TGID_X_EN: 1
; COMPUTE_PGM_RSRC2:TGID_Y_EN: 0
; COMPUTE_PGM_RSRC2:TGID_Z_EN: 0
; COMPUTE_PGM_RSRC2:TIDIG_COMP_CNT: 0
	.section	.text._Z38paged_attention_ll4mi_QKV_mfma4_kernelIDF16_DF16_LN4vllm18Fp8KVCacheDataTypeE0EDF16_Li16ELi128ELi256ELb0ELi4EEvPKT_PKT0_S7_ifPKiS9_S9_iPKfiiiPfSC_PS2_PT2_iSB_SB_,"axG",@progbits,_Z38paged_attention_ll4mi_QKV_mfma4_kernelIDF16_DF16_LN4vllm18Fp8KVCacheDataTypeE0EDF16_Li16ELi128ELi256ELb0ELi4EEvPKT_PKT0_S7_ifPKiS9_S9_iPKfiiiPfSC_PS2_PT2_iSB_SB_,comdat
	.protected	_Z38paged_attention_ll4mi_QKV_mfma4_kernelIDF16_DF16_LN4vllm18Fp8KVCacheDataTypeE0EDF16_Li16ELi128ELi256ELb0ELi4EEvPKT_PKT0_S7_ifPKiS9_S9_iPKfiiiPfSC_PS2_PT2_iSB_SB_ ; -- Begin function _Z38paged_attention_ll4mi_QKV_mfma4_kernelIDF16_DF16_LN4vllm18Fp8KVCacheDataTypeE0EDF16_Li16ELi128ELi256ELb0ELi4EEvPKT_PKT0_S7_ifPKiS9_S9_iPKfiiiPfSC_PS2_PT2_iSB_SB_
	.globl	_Z38paged_attention_ll4mi_QKV_mfma4_kernelIDF16_DF16_LN4vllm18Fp8KVCacheDataTypeE0EDF16_Li16ELi128ELi256ELb0ELi4EEvPKT_PKT0_S7_ifPKiS9_S9_iPKfiiiPfSC_PS2_PT2_iSB_SB_
	.p2align	8
	.type	_Z38paged_attention_ll4mi_QKV_mfma4_kernelIDF16_DF16_LN4vllm18Fp8KVCacheDataTypeE0EDF16_Li16ELi128ELi256ELb0ELi4EEvPKT_PKT0_S7_ifPKiS9_S9_iPKfiiiPfSC_PS2_PT2_iSB_SB_,@function
_Z38paged_attention_ll4mi_QKV_mfma4_kernelIDF16_DF16_LN4vllm18Fp8KVCacheDataTypeE0EDF16_Li16ELi128ELi256ELb0ELi4EEvPKT_PKT0_S7_ifPKiS9_S9_iPKfiiiPfSC_PS2_PT2_iSB_SB_: ; @_Z38paged_attention_ll4mi_QKV_mfma4_kernelIDF16_DF16_LN4vllm18Fp8KVCacheDataTypeE0EDF16_Li16ELi128ELi256ELb0ELi4EEvPKT_PKT0_S7_ifPKiS9_S9_iPKfiiiPfSC_PS2_PT2_iSB_SB_
; %bb.0:
	s_get_pc_i64 s[2:3]
	s_add_nc_u64 s[2:3], s[2:3], __PRETTY_FUNCTION__._Z38paged_attention_ll4mi_QKV_mfma4_kernelIDF16_DF16_LN4vllm18Fp8KVCacheDataTypeE0EDF16_Li16ELi128ELi256ELb0ELi4EEvPKT_PKT0_S7_ifPKiS9_S9_iPKfiiiPfSC_PS2_PT2_iSB_SB_@rel64+4
	s_delay_alu instid0(SALU_CYCLE_1)
	v_dual_mov_b32 v0, 0xbce :: v_dual_mov_b32 v1, s2
	v_mov_b32_e32 v2, s3
	s_add_nc_u64 s[8:9], s[0:1], 0x90
	s_get_pc_i64 s[0:1]
	s_add_nc_u64 s[0:1], s[0:1], __assert_fail@rel64+4
	s_mov_b32 s32, 0
	s_swap_pc_i64 s[30:31], s[0:1]
	.section	.rodata,"a",@progbits
	.p2align	6, 0x0
	.amdhsa_kernel _Z38paged_attention_ll4mi_QKV_mfma4_kernelIDF16_DF16_LN4vllm18Fp8KVCacheDataTypeE0EDF16_Li16ELi128ELi256ELb0ELi4EEvPKT_PKT0_S7_ifPKiS9_S9_iPKfiiiPfSC_PS2_PT2_iSB_SB_
		.amdhsa_group_segment_fixed_size 0
		.amdhsa_private_segment_fixed_size 64
		.amdhsa_kernarg_size 400
		.amdhsa_user_sgpr_count 2
		.amdhsa_user_sgpr_dispatch_ptr 0
		.amdhsa_user_sgpr_queue_ptr 0
		.amdhsa_user_sgpr_kernarg_segment_ptr 1
		.amdhsa_user_sgpr_dispatch_id 0
		.amdhsa_user_sgpr_kernarg_preload_length 0
		.amdhsa_user_sgpr_kernarg_preload_offset 0
		.amdhsa_user_sgpr_private_segment_size 0
		.amdhsa_wavefront_size32 1
		.amdhsa_uses_dynamic_stack 0
		.amdhsa_enable_private_segment 1
		.amdhsa_system_sgpr_workgroup_id_x 1
		.amdhsa_system_sgpr_workgroup_id_y 0
		.amdhsa_system_sgpr_workgroup_id_z 0
		.amdhsa_system_sgpr_workgroup_info 0
		.amdhsa_system_vgpr_workitem_id 0
		.amdhsa_next_free_vgpr 51
		.amdhsa_next_free_sgpr 34
		.amdhsa_named_barrier_count 0
		.amdhsa_reserve_vcc 1
		.amdhsa_float_round_mode_32 0
		.amdhsa_float_round_mode_16_64 0
		.amdhsa_float_denorm_mode_32 3
		.amdhsa_float_denorm_mode_16_64 3
		.amdhsa_fp16_overflow 0
		.amdhsa_memory_ordered 1
		.amdhsa_forward_progress 1
		.amdhsa_inst_pref_size 1
		.amdhsa_round_robin_scheduling 0
		.amdhsa_exception_fp_ieee_invalid_op 0
		.amdhsa_exception_fp_denorm_src 0
		.amdhsa_exception_fp_ieee_div_zero 0
		.amdhsa_exception_fp_ieee_overflow 0
		.amdhsa_exception_fp_ieee_underflow 0
		.amdhsa_exception_fp_ieee_inexact 0
		.amdhsa_exception_int_div_zero 0
	.end_amdhsa_kernel
	.section	.text._Z38paged_attention_ll4mi_QKV_mfma4_kernelIDF16_DF16_LN4vllm18Fp8KVCacheDataTypeE0EDF16_Li16ELi128ELi256ELb0ELi4EEvPKT_PKT0_S7_ifPKiS9_S9_iPKfiiiPfSC_PS2_PT2_iSB_SB_,"axG",@progbits,_Z38paged_attention_ll4mi_QKV_mfma4_kernelIDF16_DF16_LN4vllm18Fp8KVCacheDataTypeE0EDF16_Li16ELi128ELi256ELb0ELi4EEvPKT_PKT0_S7_ifPKiS9_S9_iPKfiiiPfSC_PS2_PT2_iSB_SB_,comdat
.Lfunc_end289:
	.size	_Z38paged_attention_ll4mi_QKV_mfma4_kernelIDF16_DF16_LN4vllm18Fp8KVCacheDataTypeE0EDF16_Li16ELi128ELi256ELb0ELi4EEvPKT_PKT0_S7_ifPKiS9_S9_iPKfiiiPfSC_PS2_PT2_iSB_SB_, .Lfunc_end289-_Z38paged_attention_ll4mi_QKV_mfma4_kernelIDF16_DF16_LN4vllm18Fp8KVCacheDataTypeE0EDF16_Li16ELi128ELi256ELb0ELi4EEvPKT_PKT0_S7_ifPKiS9_S9_iPKfiiiPfSC_PS2_PT2_iSB_SB_
                                        ; -- End function
	.set _Z38paged_attention_ll4mi_QKV_mfma4_kernelIDF16_DF16_LN4vllm18Fp8KVCacheDataTypeE0EDF16_Li16ELi128ELi256ELb0ELi4EEvPKT_PKT0_S7_ifPKiS9_S9_iPKfiiiPfSC_PS2_PT2_iSB_SB_.num_vgpr, max(3, .L__assert_fail.num_vgpr)
	.set _Z38paged_attention_ll4mi_QKV_mfma4_kernelIDF16_DF16_LN4vllm18Fp8KVCacheDataTypeE0EDF16_Li16ELi128ELi256ELb0ELi4EEvPKT_PKT0_S7_ifPKiS9_S9_iPKfiiiPfSC_PS2_PT2_iSB_SB_.num_agpr, max(0, .L__assert_fail.num_agpr)
	.set _Z38paged_attention_ll4mi_QKV_mfma4_kernelIDF16_DF16_LN4vllm18Fp8KVCacheDataTypeE0EDF16_Li16ELi128ELi256ELb0ELi4EEvPKT_PKT0_S7_ifPKiS9_S9_iPKfiiiPfSC_PS2_PT2_iSB_SB_.numbered_sgpr, max(33, .L__assert_fail.numbered_sgpr)
	.set _Z38paged_attention_ll4mi_QKV_mfma4_kernelIDF16_DF16_LN4vllm18Fp8KVCacheDataTypeE0EDF16_Li16ELi128ELi256ELb0ELi4EEvPKT_PKT0_S7_ifPKiS9_S9_iPKfiiiPfSC_PS2_PT2_iSB_SB_.num_named_barrier, max(0, .L__assert_fail.num_named_barrier)
	.set _Z38paged_attention_ll4mi_QKV_mfma4_kernelIDF16_DF16_LN4vllm18Fp8KVCacheDataTypeE0EDF16_Li16ELi128ELi256ELb0ELi4EEvPKT_PKT0_S7_ifPKiS9_S9_iPKfiiiPfSC_PS2_PT2_iSB_SB_.private_seg_size, 0+max(.L__assert_fail.private_seg_size)
	.set _Z38paged_attention_ll4mi_QKV_mfma4_kernelIDF16_DF16_LN4vllm18Fp8KVCacheDataTypeE0EDF16_Li16ELi128ELi256ELb0ELi4EEvPKT_PKT0_S7_ifPKiS9_S9_iPKfiiiPfSC_PS2_PT2_iSB_SB_.uses_vcc, or(1, .L__assert_fail.uses_vcc)
	.set _Z38paged_attention_ll4mi_QKV_mfma4_kernelIDF16_DF16_LN4vllm18Fp8KVCacheDataTypeE0EDF16_Li16ELi128ELi256ELb0ELi4EEvPKT_PKT0_S7_ifPKiS9_S9_iPKfiiiPfSC_PS2_PT2_iSB_SB_.uses_flat_scratch, or(0, .L__assert_fail.uses_flat_scratch)
	.set _Z38paged_attention_ll4mi_QKV_mfma4_kernelIDF16_DF16_LN4vllm18Fp8KVCacheDataTypeE0EDF16_Li16ELi128ELi256ELb0ELi4EEvPKT_PKT0_S7_ifPKiS9_S9_iPKfiiiPfSC_PS2_PT2_iSB_SB_.has_dyn_sized_stack, or(0, .L__assert_fail.has_dyn_sized_stack)
	.set _Z38paged_attention_ll4mi_QKV_mfma4_kernelIDF16_DF16_LN4vllm18Fp8KVCacheDataTypeE0EDF16_Li16ELi128ELi256ELb0ELi4EEvPKT_PKT0_S7_ifPKiS9_S9_iPKfiiiPfSC_PS2_PT2_iSB_SB_.has_recursion, or(0, .L__assert_fail.has_recursion)
	.set _Z38paged_attention_ll4mi_QKV_mfma4_kernelIDF16_DF16_LN4vllm18Fp8KVCacheDataTypeE0EDF16_Li16ELi128ELi256ELb0ELi4EEvPKT_PKT0_S7_ifPKiS9_S9_iPKfiiiPfSC_PS2_PT2_iSB_SB_.has_indirect_call, or(0, .L__assert_fail.has_indirect_call)
	.section	.AMDGPU.csdata,"",@progbits
; Kernel info:
; codeLenInByte = 68
; TotalNumSgprs: 36
; NumVgprs: 51
; ScratchSize: 64
; MemoryBound: 0
; FloatMode: 240
; IeeeMode: 1
; LDSByteSize: 0 bytes/workgroup (compile time only)
; SGPRBlocks: 0
; VGPRBlocks: 3
; NumSGPRsForWavesPerEU: 36
; NumVGPRsForWavesPerEU: 51
; NamedBarCnt: 0
; Occupancy: 16
; WaveLimiterHint : 1
; COMPUTE_PGM_RSRC2:SCRATCH_EN: 1
; COMPUTE_PGM_RSRC2:USER_SGPR: 2
; COMPUTE_PGM_RSRC2:TRAP_HANDLER: 0
; COMPUTE_PGM_RSRC2:TGID_X_EN: 1
; COMPUTE_PGM_RSRC2:TGID_Y_EN: 0
; COMPUTE_PGM_RSRC2:TGID_Z_EN: 0
; COMPUTE_PGM_RSRC2:TIDIG_COMP_CNT: 0
	.section	.text._Z39paged_attention_ll4mi_QKV_mfma16_kernelIDF16_DF16_LN4vllm18Fp8KVCacheDataTypeE0EDF16_Li16ELi128ELi256ELb0ELi5EEvPKT_PKT0_S7_ifPKiS9_S9_iPKfiiiPfSC_PS2_PT2_iSB_SB_,"axG",@progbits,_Z39paged_attention_ll4mi_QKV_mfma16_kernelIDF16_DF16_LN4vllm18Fp8KVCacheDataTypeE0EDF16_Li16ELi128ELi256ELb0ELi5EEvPKT_PKT0_S7_ifPKiS9_S9_iPKfiiiPfSC_PS2_PT2_iSB_SB_,comdat
	.protected	_Z39paged_attention_ll4mi_QKV_mfma16_kernelIDF16_DF16_LN4vllm18Fp8KVCacheDataTypeE0EDF16_Li16ELi128ELi256ELb0ELi5EEvPKT_PKT0_S7_ifPKiS9_S9_iPKfiiiPfSC_PS2_PT2_iSB_SB_ ; -- Begin function _Z39paged_attention_ll4mi_QKV_mfma16_kernelIDF16_DF16_LN4vllm18Fp8KVCacheDataTypeE0EDF16_Li16ELi128ELi256ELb0ELi5EEvPKT_PKT0_S7_ifPKiS9_S9_iPKfiiiPfSC_PS2_PT2_iSB_SB_
	.globl	_Z39paged_attention_ll4mi_QKV_mfma16_kernelIDF16_DF16_LN4vllm18Fp8KVCacheDataTypeE0EDF16_Li16ELi128ELi256ELb0ELi5EEvPKT_PKT0_S7_ifPKiS9_S9_iPKfiiiPfSC_PS2_PT2_iSB_SB_
	.p2align	8
	.type	_Z39paged_attention_ll4mi_QKV_mfma16_kernelIDF16_DF16_LN4vllm18Fp8KVCacheDataTypeE0EDF16_Li16ELi128ELi256ELb0ELi5EEvPKT_PKT0_S7_ifPKiS9_S9_iPKfiiiPfSC_PS2_PT2_iSB_SB_,@function
_Z39paged_attention_ll4mi_QKV_mfma16_kernelIDF16_DF16_LN4vllm18Fp8KVCacheDataTypeE0EDF16_Li16ELi128ELi256ELb0ELi5EEvPKT_PKT0_S7_ifPKiS9_S9_iPKfiiiPfSC_PS2_PT2_iSB_SB_: ; @_Z39paged_attention_ll4mi_QKV_mfma16_kernelIDF16_DF16_LN4vllm18Fp8KVCacheDataTypeE0EDF16_Li16ELi128ELi256ELb0ELi5EEvPKT_PKT0_S7_ifPKiS9_S9_iPKfiiiPfSC_PS2_PT2_iSB_SB_
; %bb.0:
	s_get_pc_i64 s[2:3]
	s_add_nc_u64 s[2:3], s[2:3], __PRETTY_FUNCTION__._Z39paged_attention_ll4mi_QKV_mfma16_kernelIDF16_DF16_LN4vllm18Fp8KVCacheDataTypeE0EDF16_Li16ELi128ELi256ELb0ELi5EEvPKT_PKT0_S7_ifPKiS9_S9_iPKfiiiPfSC_PS2_PT2_iSB_SB_@rel64+4
	s_delay_alu instid0(SALU_CYCLE_1)
	v_dual_mov_b32 v0, 0xbb3 :: v_dual_mov_b32 v1, s2
	v_mov_b32_e32 v2, s3
	s_add_nc_u64 s[8:9], s[0:1], 0x90
	s_get_pc_i64 s[0:1]
	s_add_nc_u64 s[0:1], s[0:1], __assert_fail@rel64+4
	s_mov_b32 s32, 0
	s_swap_pc_i64 s[30:31], s[0:1]
	.section	.rodata,"a",@progbits
	.p2align	6, 0x0
	.amdhsa_kernel _Z39paged_attention_ll4mi_QKV_mfma16_kernelIDF16_DF16_LN4vllm18Fp8KVCacheDataTypeE0EDF16_Li16ELi128ELi256ELb0ELi5EEvPKT_PKT0_S7_ifPKiS9_S9_iPKfiiiPfSC_PS2_PT2_iSB_SB_
		.amdhsa_group_segment_fixed_size 0
		.amdhsa_private_segment_fixed_size 64
		.amdhsa_kernarg_size 400
		.amdhsa_user_sgpr_count 2
		.amdhsa_user_sgpr_dispatch_ptr 0
		.amdhsa_user_sgpr_queue_ptr 0
		.amdhsa_user_sgpr_kernarg_segment_ptr 1
		.amdhsa_user_sgpr_dispatch_id 0
		.amdhsa_user_sgpr_kernarg_preload_length 0
		.amdhsa_user_sgpr_kernarg_preload_offset 0
		.amdhsa_user_sgpr_private_segment_size 0
		.amdhsa_wavefront_size32 1
		.amdhsa_uses_dynamic_stack 0
		.amdhsa_enable_private_segment 1
		.amdhsa_system_sgpr_workgroup_id_x 1
		.amdhsa_system_sgpr_workgroup_id_y 0
		.amdhsa_system_sgpr_workgroup_id_z 0
		.amdhsa_system_sgpr_workgroup_info 0
		.amdhsa_system_vgpr_workitem_id 0
		.amdhsa_next_free_vgpr 51
		.amdhsa_next_free_sgpr 34
		.amdhsa_named_barrier_count 0
		.amdhsa_reserve_vcc 1
		.amdhsa_float_round_mode_32 0
		.amdhsa_float_round_mode_16_64 0
		.amdhsa_float_denorm_mode_32 3
		.amdhsa_float_denorm_mode_16_64 3
		.amdhsa_fp16_overflow 0
		.amdhsa_memory_ordered 1
		.amdhsa_forward_progress 1
		.amdhsa_inst_pref_size 1
		.amdhsa_round_robin_scheduling 0
		.amdhsa_exception_fp_ieee_invalid_op 0
		.amdhsa_exception_fp_denorm_src 0
		.amdhsa_exception_fp_ieee_div_zero 0
		.amdhsa_exception_fp_ieee_overflow 0
		.amdhsa_exception_fp_ieee_underflow 0
		.amdhsa_exception_fp_ieee_inexact 0
		.amdhsa_exception_int_div_zero 0
	.end_amdhsa_kernel
	.section	.text._Z39paged_attention_ll4mi_QKV_mfma16_kernelIDF16_DF16_LN4vllm18Fp8KVCacheDataTypeE0EDF16_Li16ELi128ELi256ELb0ELi5EEvPKT_PKT0_S7_ifPKiS9_S9_iPKfiiiPfSC_PS2_PT2_iSB_SB_,"axG",@progbits,_Z39paged_attention_ll4mi_QKV_mfma16_kernelIDF16_DF16_LN4vllm18Fp8KVCacheDataTypeE0EDF16_Li16ELi128ELi256ELb0ELi5EEvPKT_PKT0_S7_ifPKiS9_S9_iPKfiiiPfSC_PS2_PT2_iSB_SB_,comdat
.Lfunc_end290:
	.size	_Z39paged_attention_ll4mi_QKV_mfma16_kernelIDF16_DF16_LN4vllm18Fp8KVCacheDataTypeE0EDF16_Li16ELi128ELi256ELb0ELi5EEvPKT_PKT0_S7_ifPKiS9_S9_iPKfiiiPfSC_PS2_PT2_iSB_SB_, .Lfunc_end290-_Z39paged_attention_ll4mi_QKV_mfma16_kernelIDF16_DF16_LN4vllm18Fp8KVCacheDataTypeE0EDF16_Li16ELi128ELi256ELb0ELi5EEvPKT_PKT0_S7_ifPKiS9_S9_iPKfiiiPfSC_PS2_PT2_iSB_SB_
                                        ; -- End function
	.set _Z39paged_attention_ll4mi_QKV_mfma16_kernelIDF16_DF16_LN4vllm18Fp8KVCacheDataTypeE0EDF16_Li16ELi128ELi256ELb0ELi5EEvPKT_PKT0_S7_ifPKiS9_S9_iPKfiiiPfSC_PS2_PT2_iSB_SB_.num_vgpr, max(3, .L__assert_fail.num_vgpr)
	.set _Z39paged_attention_ll4mi_QKV_mfma16_kernelIDF16_DF16_LN4vllm18Fp8KVCacheDataTypeE0EDF16_Li16ELi128ELi256ELb0ELi5EEvPKT_PKT0_S7_ifPKiS9_S9_iPKfiiiPfSC_PS2_PT2_iSB_SB_.num_agpr, max(0, .L__assert_fail.num_agpr)
	.set _Z39paged_attention_ll4mi_QKV_mfma16_kernelIDF16_DF16_LN4vllm18Fp8KVCacheDataTypeE0EDF16_Li16ELi128ELi256ELb0ELi5EEvPKT_PKT0_S7_ifPKiS9_S9_iPKfiiiPfSC_PS2_PT2_iSB_SB_.numbered_sgpr, max(33, .L__assert_fail.numbered_sgpr)
	.set _Z39paged_attention_ll4mi_QKV_mfma16_kernelIDF16_DF16_LN4vllm18Fp8KVCacheDataTypeE0EDF16_Li16ELi128ELi256ELb0ELi5EEvPKT_PKT0_S7_ifPKiS9_S9_iPKfiiiPfSC_PS2_PT2_iSB_SB_.num_named_barrier, max(0, .L__assert_fail.num_named_barrier)
	.set _Z39paged_attention_ll4mi_QKV_mfma16_kernelIDF16_DF16_LN4vllm18Fp8KVCacheDataTypeE0EDF16_Li16ELi128ELi256ELb0ELi5EEvPKT_PKT0_S7_ifPKiS9_S9_iPKfiiiPfSC_PS2_PT2_iSB_SB_.private_seg_size, 0+max(.L__assert_fail.private_seg_size)
	.set _Z39paged_attention_ll4mi_QKV_mfma16_kernelIDF16_DF16_LN4vllm18Fp8KVCacheDataTypeE0EDF16_Li16ELi128ELi256ELb0ELi5EEvPKT_PKT0_S7_ifPKiS9_S9_iPKfiiiPfSC_PS2_PT2_iSB_SB_.uses_vcc, or(1, .L__assert_fail.uses_vcc)
	.set _Z39paged_attention_ll4mi_QKV_mfma16_kernelIDF16_DF16_LN4vllm18Fp8KVCacheDataTypeE0EDF16_Li16ELi128ELi256ELb0ELi5EEvPKT_PKT0_S7_ifPKiS9_S9_iPKfiiiPfSC_PS2_PT2_iSB_SB_.uses_flat_scratch, or(0, .L__assert_fail.uses_flat_scratch)
	.set _Z39paged_attention_ll4mi_QKV_mfma16_kernelIDF16_DF16_LN4vllm18Fp8KVCacheDataTypeE0EDF16_Li16ELi128ELi256ELb0ELi5EEvPKT_PKT0_S7_ifPKiS9_S9_iPKfiiiPfSC_PS2_PT2_iSB_SB_.has_dyn_sized_stack, or(0, .L__assert_fail.has_dyn_sized_stack)
	.set _Z39paged_attention_ll4mi_QKV_mfma16_kernelIDF16_DF16_LN4vllm18Fp8KVCacheDataTypeE0EDF16_Li16ELi128ELi256ELb0ELi5EEvPKT_PKT0_S7_ifPKiS9_S9_iPKfiiiPfSC_PS2_PT2_iSB_SB_.has_recursion, or(0, .L__assert_fail.has_recursion)
	.set _Z39paged_attention_ll4mi_QKV_mfma16_kernelIDF16_DF16_LN4vllm18Fp8KVCacheDataTypeE0EDF16_Li16ELi128ELi256ELb0ELi5EEvPKT_PKT0_S7_ifPKiS9_S9_iPKfiiiPfSC_PS2_PT2_iSB_SB_.has_indirect_call, or(0, .L__assert_fail.has_indirect_call)
	.section	.AMDGPU.csdata,"",@progbits
; Kernel info:
; codeLenInByte = 68
; TotalNumSgprs: 36
; NumVgprs: 51
; ScratchSize: 64
; MemoryBound: 0
; FloatMode: 240
; IeeeMode: 1
; LDSByteSize: 0 bytes/workgroup (compile time only)
; SGPRBlocks: 0
; VGPRBlocks: 3
; NumSGPRsForWavesPerEU: 36
; NumVGPRsForWavesPerEU: 51
; NamedBarCnt: 0
; Occupancy: 16
; WaveLimiterHint : 1
; COMPUTE_PGM_RSRC2:SCRATCH_EN: 1
; COMPUTE_PGM_RSRC2:USER_SGPR: 2
; COMPUTE_PGM_RSRC2:TRAP_HANDLER: 0
; COMPUTE_PGM_RSRC2:TGID_X_EN: 1
; COMPUTE_PGM_RSRC2:TGID_Y_EN: 0
; COMPUTE_PGM_RSRC2:TGID_Z_EN: 0
; COMPUTE_PGM_RSRC2:TIDIG_COMP_CNT: 0
	.section	.text._Z39paged_attention_ll4mi_QKV_mfma16_kernelIDF16_DF16_LN4vllm18Fp8KVCacheDataTypeE0EDF16_Li16ELi128ELi256ELb0ELi6EEvPKT_PKT0_S7_ifPKiS9_S9_iPKfiiiPfSC_PS2_PT2_iSB_SB_,"axG",@progbits,_Z39paged_attention_ll4mi_QKV_mfma16_kernelIDF16_DF16_LN4vllm18Fp8KVCacheDataTypeE0EDF16_Li16ELi128ELi256ELb0ELi6EEvPKT_PKT0_S7_ifPKiS9_S9_iPKfiiiPfSC_PS2_PT2_iSB_SB_,comdat
	.protected	_Z39paged_attention_ll4mi_QKV_mfma16_kernelIDF16_DF16_LN4vllm18Fp8KVCacheDataTypeE0EDF16_Li16ELi128ELi256ELb0ELi6EEvPKT_PKT0_S7_ifPKiS9_S9_iPKfiiiPfSC_PS2_PT2_iSB_SB_ ; -- Begin function _Z39paged_attention_ll4mi_QKV_mfma16_kernelIDF16_DF16_LN4vllm18Fp8KVCacheDataTypeE0EDF16_Li16ELi128ELi256ELb0ELi6EEvPKT_PKT0_S7_ifPKiS9_S9_iPKfiiiPfSC_PS2_PT2_iSB_SB_
	.globl	_Z39paged_attention_ll4mi_QKV_mfma16_kernelIDF16_DF16_LN4vllm18Fp8KVCacheDataTypeE0EDF16_Li16ELi128ELi256ELb0ELi6EEvPKT_PKT0_S7_ifPKiS9_S9_iPKfiiiPfSC_PS2_PT2_iSB_SB_
	.p2align	8
	.type	_Z39paged_attention_ll4mi_QKV_mfma16_kernelIDF16_DF16_LN4vllm18Fp8KVCacheDataTypeE0EDF16_Li16ELi128ELi256ELb0ELi6EEvPKT_PKT0_S7_ifPKiS9_S9_iPKfiiiPfSC_PS2_PT2_iSB_SB_,@function
_Z39paged_attention_ll4mi_QKV_mfma16_kernelIDF16_DF16_LN4vllm18Fp8KVCacheDataTypeE0EDF16_Li16ELi128ELi256ELb0ELi6EEvPKT_PKT0_S7_ifPKiS9_S9_iPKfiiiPfSC_PS2_PT2_iSB_SB_: ; @_Z39paged_attention_ll4mi_QKV_mfma16_kernelIDF16_DF16_LN4vllm18Fp8KVCacheDataTypeE0EDF16_Li16ELi128ELi256ELb0ELi6EEvPKT_PKT0_S7_ifPKiS9_S9_iPKfiiiPfSC_PS2_PT2_iSB_SB_
; %bb.0:
	s_get_pc_i64 s[2:3]
	s_add_nc_u64 s[2:3], s[2:3], __PRETTY_FUNCTION__._Z39paged_attention_ll4mi_QKV_mfma16_kernelIDF16_DF16_LN4vllm18Fp8KVCacheDataTypeE0EDF16_Li16ELi128ELi256ELb0ELi6EEvPKT_PKT0_S7_ifPKiS9_S9_iPKfiiiPfSC_PS2_PT2_iSB_SB_@rel64+4
	s_delay_alu instid0(SALU_CYCLE_1)
	v_dual_mov_b32 v0, 0xbb3 :: v_dual_mov_b32 v1, s2
	v_mov_b32_e32 v2, s3
	s_add_nc_u64 s[8:9], s[0:1], 0x90
	s_get_pc_i64 s[0:1]
	s_add_nc_u64 s[0:1], s[0:1], __assert_fail@rel64+4
	s_mov_b32 s32, 0
	s_swap_pc_i64 s[30:31], s[0:1]
	.section	.rodata,"a",@progbits
	.p2align	6, 0x0
	.amdhsa_kernel _Z39paged_attention_ll4mi_QKV_mfma16_kernelIDF16_DF16_LN4vllm18Fp8KVCacheDataTypeE0EDF16_Li16ELi128ELi256ELb0ELi6EEvPKT_PKT0_S7_ifPKiS9_S9_iPKfiiiPfSC_PS2_PT2_iSB_SB_
		.amdhsa_group_segment_fixed_size 0
		.amdhsa_private_segment_fixed_size 64
		.amdhsa_kernarg_size 400
		.amdhsa_user_sgpr_count 2
		.amdhsa_user_sgpr_dispatch_ptr 0
		.amdhsa_user_sgpr_queue_ptr 0
		.amdhsa_user_sgpr_kernarg_segment_ptr 1
		.amdhsa_user_sgpr_dispatch_id 0
		.amdhsa_user_sgpr_kernarg_preload_length 0
		.amdhsa_user_sgpr_kernarg_preload_offset 0
		.amdhsa_user_sgpr_private_segment_size 0
		.amdhsa_wavefront_size32 1
		.amdhsa_uses_dynamic_stack 0
		.amdhsa_enable_private_segment 1
		.amdhsa_system_sgpr_workgroup_id_x 1
		.amdhsa_system_sgpr_workgroup_id_y 0
		.amdhsa_system_sgpr_workgroup_id_z 0
		.amdhsa_system_sgpr_workgroup_info 0
		.amdhsa_system_vgpr_workitem_id 0
		.amdhsa_next_free_vgpr 51
		.amdhsa_next_free_sgpr 34
		.amdhsa_named_barrier_count 0
		.amdhsa_reserve_vcc 1
		.amdhsa_float_round_mode_32 0
		.amdhsa_float_round_mode_16_64 0
		.amdhsa_float_denorm_mode_32 3
		.amdhsa_float_denorm_mode_16_64 3
		.amdhsa_fp16_overflow 0
		.amdhsa_memory_ordered 1
		.amdhsa_forward_progress 1
		.amdhsa_inst_pref_size 1
		.amdhsa_round_robin_scheduling 0
		.amdhsa_exception_fp_ieee_invalid_op 0
		.amdhsa_exception_fp_denorm_src 0
		.amdhsa_exception_fp_ieee_div_zero 0
		.amdhsa_exception_fp_ieee_overflow 0
		.amdhsa_exception_fp_ieee_underflow 0
		.amdhsa_exception_fp_ieee_inexact 0
		.amdhsa_exception_int_div_zero 0
	.end_amdhsa_kernel
	.section	.text._Z39paged_attention_ll4mi_QKV_mfma16_kernelIDF16_DF16_LN4vllm18Fp8KVCacheDataTypeE0EDF16_Li16ELi128ELi256ELb0ELi6EEvPKT_PKT0_S7_ifPKiS9_S9_iPKfiiiPfSC_PS2_PT2_iSB_SB_,"axG",@progbits,_Z39paged_attention_ll4mi_QKV_mfma16_kernelIDF16_DF16_LN4vllm18Fp8KVCacheDataTypeE0EDF16_Li16ELi128ELi256ELb0ELi6EEvPKT_PKT0_S7_ifPKiS9_S9_iPKfiiiPfSC_PS2_PT2_iSB_SB_,comdat
.Lfunc_end291:
	.size	_Z39paged_attention_ll4mi_QKV_mfma16_kernelIDF16_DF16_LN4vllm18Fp8KVCacheDataTypeE0EDF16_Li16ELi128ELi256ELb0ELi6EEvPKT_PKT0_S7_ifPKiS9_S9_iPKfiiiPfSC_PS2_PT2_iSB_SB_, .Lfunc_end291-_Z39paged_attention_ll4mi_QKV_mfma16_kernelIDF16_DF16_LN4vllm18Fp8KVCacheDataTypeE0EDF16_Li16ELi128ELi256ELb0ELi6EEvPKT_PKT0_S7_ifPKiS9_S9_iPKfiiiPfSC_PS2_PT2_iSB_SB_
                                        ; -- End function
	.set _Z39paged_attention_ll4mi_QKV_mfma16_kernelIDF16_DF16_LN4vllm18Fp8KVCacheDataTypeE0EDF16_Li16ELi128ELi256ELb0ELi6EEvPKT_PKT0_S7_ifPKiS9_S9_iPKfiiiPfSC_PS2_PT2_iSB_SB_.num_vgpr, max(3, .L__assert_fail.num_vgpr)
	.set _Z39paged_attention_ll4mi_QKV_mfma16_kernelIDF16_DF16_LN4vllm18Fp8KVCacheDataTypeE0EDF16_Li16ELi128ELi256ELb0ELi6EEvPKT_PKT0_S7_ifPKiS9_S9_iPKfiiiPfSC_PS2_PT2_iSB_SB_.num_agpr, max(0, .L__assert_fail.num_agpr)
	.set _Z39paged_attention_ll4mi_QKV_mfma16_kernelIDF16_DF16_LN4vllm18Fp8KVCacheDataTypeE0EDF16_Li16ELi128ELi256ELb0ELi6EEvPKT_PKT0_S7_ifPKiS9_S9_iPKfiiiPfSC_PS2_PT2_iSB_SB_.numbered_sgpr, max(33, .L__assert_fail.numbered_sgpr)
	.set _Z39paged_attention_ll4mi_QKV_mfma16_kernelIDF16_DF16_LN4vllm18Fp8KVCacheDataTypeE0EDF16_Li16ELi128ELi256ELb0ELi6EEvPKT_PKT0_S7_ifPKiS9_S9_iPKfiiiPfSC_PS2_PT2_iSB_SB_.num_named_barrier, max(0, .L__assert_fail.num_named_barrier)
	.set _Z39paged_attention_ll4mi_QKV_mfma16_kernelIDF16_DF16_LN4vllm18Fp8KVCacheDataTypeE0EDF16_Li16ELi128ELi256ELb0ELi6EEvPKT_PKT0_S7_ifPKiS9_S9_iPKfiiiPfSC_PS2_PT2_iSB_SB_.private_seg_size, 0+max(.L__assert_fail.private_seg_size)
	.set _Z39paged_attention_ll4mi_QKV_mfma16_kernelIDF16_DF16_LN4vllm18Fp8KVCacheDataTypeE0EDF16_Li16ELi128ELi256ELb0ELi6EEvPKT_PKT0_S7_ifPKiS9_S9_iPKfiiiPfSC_PS2_PT2_iSB_SB_.uses_vcc, or(1, .L__assert_fail.uses_vcc)
	.set _Z39paged_attention_ll4mi_QKV_mfma16_kernelIDF16_DF16_LN4vllm18Fp8KVCacheDataTypeE0EDF16_Li16ELi128ELi256ELb0ELi6EEvPKT_PKT0_S7_ifPKiS9_S9_iPKfiiiPfSC_PS2_PT2_iSB_SB_.uses_flat_scratch, or(0, .L__assert_fail.uses_flat_scratch)
	.set _Z39paged_attention_ll4mi_QKV_mfma16_kernelIDF16_DF16_LN4vllm18Fp8KVCacheDataTypeE0EDF16_Li16ELi128ELi256ELb0ELi6EEvPKT_PKT0_S7_ifPKiS9_S9_iPKfiiiPfSC_PS2_PT2_iSB_SB_.has_dyn_sized_stack, or(0, .L__assert_fail.has_dyn_sized_stack)
	.set _Z39paged_attention_ll4mi_QKV_mfma16_kernelIDF16_DF16_LN4vllm18Fp8KVCacheDataTypeE0EDF16_Li16ELi128ELi256ELb0ELi6EEvPKT_PKT0_S7_ifPKiS9_S9_iPKfiiiPfSC_PS2_PT2_iSB_SB_.has_recursion, or(0, .L__assert_fail.has_recursion)
	.set _Z39paged_attention_ll4mi_QKV_mfma16_kernelIDF16_DF16_LN4vllm18Fp8KVCacheDataTypeE0EDF16_Li16ELi128ELi256ELb0ELi6EEvPKT_PKT0_S7_ifPKiS9_S9_iPKfiiiPfSC_PS2_PT2_iSB_SB_.has_indirect_call, or(0, .L__assert_fail.has_indirect_call)
	.section	.AMDGPU.csdata,"",@progbits
; Kernel info:
; codeLenInByte = 68
; TotalNumSgprs: 36
; NumVgprs: 51
; ScratchSize: 64
; MemoryBound: 0
; FloatMode: 240
; IeeeMode: 1
; LDSByteSize: 0 bytes/workgroup (compile time only)
; SGPRBlocks: 0
; VGPRBlocks: 3
; NumSGPRsForWavesPerEU: 36
; NumVGPRsForWavesPerEU: 51
; NamedBarCnt: 0
; Occupancy: 16
; WaveLimiterHint : 1
; COMPUTE_PGM_RSRC2:SCRATCH_EN: 1
; COMPUTE_PGM_RSRC2:USER_SGPR: 2
; COMPUTE_PGM_RSRC2:TRAP_HANDLER: 0
; COMPUTE_PGM_RSRC2:TGID_X_EN: 1
; COMPUTE_PGM_RSRC2:TGID_Y_EN: 0
; COMPUTE_PGM_RSRC2:TGID_Z_EN: 0
; COMPUTE_PGM_RSRC2:TIDIG_COMP_CNT: 0
	.section	.text._Z39paged_attention_ll4mi_QKV_mfma16_kernelIDF16_DF16_LN4vllm18Fp8KVCacheDataTypeE0EDF16_Li16ELi128ELi256ELb0ELi7EEvPKT_PKT0_S7_ifPKiS9_S9_iPKfiiiPfSC_PS2_PT2_iSB_SB_,"axG",@progbits,_Z39paged_attention_ll4mi_QKV_mfma16_kernelIDF16_DF16_LN4vllm18Fp8KVCacheDataTypeE0EDF16_Li16ELi128ELi256ELb0ELi7EEvPKT_PKT0_S7_ifPKiS9_S9_iPKfiiiPfSC_PS2_PT2_iSB_SB_,comdat
	.protected	_Z39paged_attention_ll4mi_QKV_mfma16_kernelIDF16_DF16_LN4vllm18Fp8KVCacheDataTypeE0EDF16_Li16ELi128ELi256ELb0ELi7EEvPKT_PKT0_S7_ifPKiS9_S9_iPKfiiiPfSC_PS2_PT2_iSB_SB_ ; -- Begin function _Z39paged_attention_ll4mi_QKV_mfma16_kernelIDF16_DF16_LN4vllm18Fp8KVCacheDataTypeE0EDF16_Li16ELi128ELi256ELb0ELi7EEvPKT_PKT0_S7_ifPKiS9_S9_iPKfiiiPfSC_PS2_PT2_iSB_SB_
	.globl	_Z39paged_attention_ll4mi_QKV_mfma16_kernelIDF16_DF16_LN4vllm18Fp8KVCacheDataTypeE0EDF16_Li16ELi128ELi256ELb0ELi7EEvPKT_PKT0_S7_ifPKiS9_S9_iPKfiiiPfSC_PS2_PT2_iSB_SB_
	.p2align	8
	.type	_Z39paged_attention_ll4mi_QKV_mfma16_kernelIDF16_DF16_LN4vllm18Fp8KVCacheDataTypeE0EDF16_Li16ELi128ELi256ELb0ELi7EEvPKT_PKT0_S7_ifPKiS9_S9_iPKfiiiPfSC_PS2_PT2_iSB_SB_,@function
_Z39paged_attention_ll4mi_QKV_mfma16_kernelIDF16_DF16_LN4vllm18Fp8KVCacheDataTypeE0EDF16_Li16ELi128ELi256ELb0ELi7EEvPKT_PKT0_S7_ifPKiS9_S9_iPKfiiiPfSC_PS2_PT2_iSB_SB_: ; @_Z39paged_attention_ll4mi_QKV_mfma16_kernelIDF16_DF16_LN4vllm18Fp8KVCacheDataTypeE0EDF16_Li16ELi128ELi256ELb0ELi7EEvPKT_PKT0_S7_ifPKiS9_S9_iPKfiiiPfSC_PS2_PT2_iSB_SB_
; %bb.0:
	s_get_pc_i64 s[2:3]
	s_add_nc_u64 s[2:3], s[2:3], __PRETTY_FUNCTION__._Z39paged_attention_ll4mi_QKV_mfma16_kernelIDF16_DF16_LN4vllm18Fp8KVCacheDataTypeE0EDF16_Li16ELi128ELi256ELb0ELi7EEvPKT_PKT0_S7_ifPKiS9_S9_iPKfiiiPfSC_PS2_PT2_iSB_SB_@rel64+4
	s_delay_alu instid0(SALU_CYCLE_1)
	v_dual_mov_b32 v0, 0xbb3 :: v_dual_mov_b32 v1, s2
	v_mov_b32_e32 v2, s3
	s_add_nc_u64 s[8:9], s[0:1], 0x90
	s_get_pc_i64 s[0:1]
	s_add_nc_u64 s[0:1], s[0:1], __assert_fail@rel64+4
	s_mov_b32 s32, 0
	s_swap_pc_i64 s[30:31], s[0:1]
	.section	.rodata,"a",@progbits
	.p2align	6, 0x0
	.amdhsa_kernel _Z39paged_attention_ll4mi_QKV_mfma16_kernelIDF16_DF16_LN4vllm18Fp8KVCacheDataTypeE0EDF16_Li16ELi128ELi256ELb0ELi7EEvPKT_PKT0_S7_ifPKiS9_S9_iPKfiiiPfSC_PS2_PT2_iSB_SB_
		.amdhsa_group_segment_fixed_size 0
		.amdhsa_private_segment_fixed_size 64
		.amdhsa_kernarg_size 400
		.amdhsa_user_sgpr_count 2
		.amdhsa_user_sgpr_dispatch_ptr 0
		.amdhsa_user_sgpr_queue_ptr 0
		.amdhsa_user_sgpr_kernarg_segment_ptr 1
		.amdhsa_user_sgpr_dispatch_id 0
		.amdhsa_user_sgpr_kernarg_preload_length 0
		.amdhsa_user_sgpr_kernarg_preload_offset 0
		.amdhsa_user_sgpr_private_segment_size 0
		.amdhsa_wavefront_size32 1
		.amdhsa_uses_dynamic_stack 0
		.amdhsa_enable_private_segment 1
		.amdhsa_system_sgpr_workgroup_id_x 1
		.amdhsa_system_sgpr_workgroup_id_y 0
		.amdhsa_system_sgpr_workgroup_id_z 0
		.amdhsa_system_sgpr_workgroup_info 0
		.amdhsa_system_vgpr_workitem_id 0
		.amdhsa_next_free_vgpr 51
		.amdhsa_next_free_sgpr 34
		.amdhsa_named_barrier_count 0
		.amdhsa_reserve_vcc 1
		.amdhsa_float_round_mode_32 0
		.amdhsa_float_round_mode_16_64 0
		.amdhsa_float_denorm_mode_32 3
		.amdhsa_float_denorm_mode_16_64 3
		.amdhsa_fp16_overflow 0
		.amdhsa_memory_ordered 1
		.amdhsa_forward_progress 1
		.amdhsa_inst_pref_size 1
		.amdhsa_round_robin_scheduling 0
		.amdhsa_exception_fp_ieee_invalid_op 0
		.amdhsa_exception_fp_denorm_src 0
		.amdhsa_exception_fp_ieee_div_zero 0
		.amdhsa_exception_fp_ieee_overflow 0
		.amdhsa_exception_fp_ieee_underflow 0
		.amdhsa_exception_fp_ieee_inexact 0
		.amdhsa_exception_int_div_zero 0
	.end_amdhsa_kernel
	.section	.text._Z39paged_attention_ll4mi_QKV_mfma16_kernelIDF16_DF16_LN4vllm18Fp8KVCacheDataTypeE0EDF16_Li16ELi128ELi256ELb0ELi7EEvPKT_PKT0_S7_ifPKiS9_S9_iPKfiiiPfSC_PS2_PT2_iSB_SB_,"axG",@progbits,_Z39paged_attention_ll4mi_QKV_mfma16_kernelIDF16_DF16_LN4vllm18Fp8KVCacheDataTypeE0EDF16_Li16ELi128ELi256ELb0ELi7EEvPKT_PKT0_S7_ifPKiS9_S9_iPKfiiiPfSC_PS2_PT2_iSB_SB_,comdat
.Lfunc_end292:
	.size	_Z39paged_attention_ll4mi_QKV_mfma16_kernelIDF16_DF16_LN4vllm18Fp8KVCacheDataTypeE0EDF16_Li16ELi128ELi256ELb0ELi7EEvPKT_PKT0_S7_ifPKiS9_S9_iPKfiiiPfSC_PS2_PT2_iSB_SB_, .Lfunc_end292-_Z39paged_attention_ll4mi_QKV_mfma16_kernelIDF16_DF16_LN4vllm18Fp8KVCacheDataTypeE0EDF16_Li16ELi128ELi256ELb0ELi7EEvPKT_PKT0_S7_ifPKiS9_S9_iPKfiiiPfSC_PS2_PT2_iSB_SB_
                                        ; -- End function
	.set _Z39paged_attention_ll4mi_QKV_mfma16_kernelIDF16_DF16_LN4vllm18Fp8KVCacheDataTypeE0EDF16_Li16ELi128ELi256ELb0ELi7EEvPKT_PKT0_S7_ifPKiS9_S9_iPKfiiiPfSC_PS2_PT2_iSB_SB_.num_vgpr, max(3, .L__assert_fail.num_vgpr)
	.set _Z39paged_attention_ll4mi_QKV_mfma16_kernelIDF16_DF16_LN4vllm18Fp8KVCacheDataTypeE0EDF16_Li16ELi128ELi256ELb0ELi7EEvPKT_PKT0_S7_ifPKiS9_S9_iPKfiiiPfSC_PS2_PT2_iSB_SB_.num_agpr, max(0, .L__assert_fail.num_agpr)
	.set _Z39paged_attention_ll4mi_QKV_mfma16_kernelIDF16_DF16_LN4vllm18Fp8KVCacheDataTypeE0EDF16_Li16ELi128ELi256ELb0ELi7EEvPKT_PKT0_S7_ifPKiS9_S9_iPKfiiiPfSC_PS2_PT2_iSB_SB_.numbered_sgpr, max(33, .L__assert_fail.numbered_sgpr)
	.set _Z39paged_attention_ll4mi_QKV_mfma16_kernelIDF16_DF16_LN4vllm18Fp8KVCacheDataTypeE0EDF16_Li16ELi128ELi256ELb0ELi7EEvPKT_PKT0_S7_ifPKiS9_S9_iPKfiiiPfSC_PS2_PT2_iSB_SB_.num_named_barrier, max(0, .L__assert_fail.num_named_barrier)
	.set _Z39paged_attention_ll4mi_QKV_mfma16_kernelIDF16_DF16_LN4vllm18Fp8KVCacheDataTypeE0EDF16_Li16ELi128ELi256ELb0ELi7EEvPKT_PKT0_S7_ifPKiS9_S9_iPKfiiiPfSC_PS2_PT2_iSB_SB_.private_seg_size, 0+max(.L__assert_fail.private_seg_size)
	.set _Z39paged_attention_ll4mi_QKV_mfma16_kernelIDF16_DF16_LN4vllm18Fp8KVCacheDataTypeE0EDF16_Li16ELi128ELi256ELb0ELi7EEvPKT_PKT0_S7_ifPKiS9_S9_iPKfiiiPfSC_PS2_PT2_iSB_SB_.uses_vcc, or(1, .L__assert_fail.uses_vcc)
	.set _Z39paged_attention_ll4mi_QKV_mfma16_kernelIDF16_DF16_LN4vllm18Fp8KVCacheDataTypeE0EDF16_Li16ELi128ELi256ELb0ELi7EEvPKT_PKT0_S7_ifPKiS9_S9_iPKfiiiPfSC_PS2_PT2_iSB_SB_.uses_flat_scratch, or(0, .L__assert_fail.uses_flat_scratch)
	.set _Z39paged_attention_ll4mi_QKV_mfma16_kernelIDF16_DF16_LN4vllm18Fp8KVCacheDataTypeE0EDF16_Li16ELi128ELi256ELb0ELi7EEvPKT_PKT0_S7_ifPKiS9_S9_iPKfiiiPfSC_PS2_PT2_iSB_SB_.has_dyn_sized_stack, or(0, .L__assert_fail.has_dyn_sized_stack)
	.set _Z39paged_attention_ll4mi_QKV_mfma16_kernelIDF16_DF16_LN4vllm18Fp8KVCacheDataTypeE0EDF16_Li16ELi128ELi256ELb0ELi7EEvPKT_PKT0_S7_ifPKiS9_S9_iPKfiiiPfSC_PS2_PT2_iSB_SB_.has_recursion, or(0, .L__assert_fail.has_recursion)
	.set _Z39paged_attention_ll4mi_QKV_mfma16_kernelIDF16_DF16_LN4vllm18Fp8KVCacheDataTypeE0EDF16_Li16ELi128ELi256ELb0ELi7EEvPKT_PKT0_S7_ifPKiS9_S9_iPKfiiiPfSC_PS2_PT2_iSB_SB_.has_indirect_call, or(0, .L__assert_fail.has_indirect_call)
	.section	.AMDGPU.csdata,"",@progbits
; Kernel info:
; codeLenInByte = 68
; TotalNumSgprs: 36
; NumVgprs: 51
; ScratchSize: 64
; MemoryBound: 0
; FloatMode: 240
; IeeeMode: 1
; LDSByteSize: 0 bytes/workgroup (compile time only)
; SGPRBlocks: 0
; VGPRBlocks: 3
; NumSGPRsForWavesPerEU: 36
; NumVGPRsForWavesPerEU: 51
; NamedBarCnt: 0
; Occupancy: 16
; WaveLimiterHint : 1
; COMPUTE_PGM_RSRC2:SCRATCH_EN: 1
; COMPUTE_PGM_RSRC2:USER_SGPR: 2
; COMPUTE_PGM_RSRC2:TRAP_HANDLER: 0
; COMPUTE_PGM_RSRC2:TGID_X_EN: 1
; COMPUTE_PGM_RSRC2:TGID_Y_EN: 0
; COMPUTE_PGM_RSRC2:TGID_Z_EN: 0
; COMPUTE_PGM_RSRC2:TIDIG_COMP_CNT: 0
	.section	.text._Z39paged_attention_ll4mi_QKV_mfma16_kernelIDF16_DF16_LN4vllm18Fp8KVCacheDataTypeE0EDF16_Li16ELi128ELi256ELb0ELi8EEvPKT_PKT0_S7_ifPKiS9_S9_iPKfiiiPfSC_PS2_PT2_iSB_SB_,"axG",@progbits,_Z39paged_attention_ll4mi_QKV_mfma16_kernelIDF16_DF16_LN4vllm18Fp8KVCacheDataTypeE0EDF16_Li16ELi128ELi256ELb0ELi8EEvPKT_PKT0_S7_ifPKiS9_S9_iPKfiiiPfSC_PS2_PT2_iSB_SB_,comdat
	.protected	_Z39paged_attention_ll4mi_QKV_mfma16_kernelIDF16_DF16_LN4vllm18Fp8KVCacheDataTypeE0EDF16_Li16ELi128ELi256ELb0ELi8EEvPKT_PKT0_S7_ifPKiS9_S9_iPKfiiiPfSC_PS2_PT2_iSB_SB_ ; -- Begin function _Z39paged_attention_ll4mi_QKV_mfma16_kernelIDF16_DF16_LN4vllm18Fp8KVCacheDataTypeE0EDF16_Li16ELi128ELi256ELb0ELi8EEvPKT_PKT0_S7_ifPKiS9_S9_iPKfiiiPfSC_PS2_PT2_iSB_SB_
	.globl	_Z39paged_attention_ll4mi_QKV_mfma16_kernelIDF16_DF16_LN4vllm18Fp8KVCacheDataTypeE0EDF16_Li16ELi128ELi256ELb0ELi8EEvPKT_PKT0_S7_ifPKiS9_S9_iPKfiiiPfSC_PS2_PT2_iSB_SB_
	.p2align	8
	.type	_Z39paged_attention_ll4mi_QKV_mfma16_kernelIDF16_DF16_LN4vllm18Fp8KVCacheDataTypeE0EDF16_Li16ELi128ELi256ELb0ELi8EEvPKT_PKT0_S7_ifPKiS9_S9_iPKfiiiPfSC_PS2_PT2_iSB_SB_,@function
_Z39paged_attention_ll4mi_QKV_mfma16_kernelIDF16_DF16_LN4vllm18Fp8KVCacheDataTypeE0EDF16_Li16ELi128ELi256ELb0ELi8EEvPKT_PKT0_S7_ifPKiS9_S9_iPKfiiiPfSC_PS2_PT2_iSB_SB_: ; @_Z39paged_attention_ll4mi_QKV_mfma16_kernelIDF16_DF16_LN4vllm18Fp8KVCacheDataTypeE0EDF16_Li16ELi128ELi256ELb0ELi8EEvPKT_PKT0_S7_ifPKiS9_S9_iPKfiiiPfSC_PS2_PT2_iSB_SB_
; %bb.0:
	s_get_pc_i64 s[2:3]
	s_add_nc_u64 s[2:3], s[2:3], __PRETTY_FUNCTION__._Z39paged_attention_ll4mi_QKV_mfma16_kernelIDF16_DF16_LN4vllm18Fp8KVCacheDataTypeE0EDF16_Li16ELi128ELi256ELb0ELi8EEvPKT_PKT0_S7_ifPKiS9_S9_iPKfiiiPfSC_PS2_PT2_iSB_SB_@rel64+4
	s_delay_alu instid0(SALU_CYCLE_1)
	v_dual_mov_b32 v0, 0xbb3 :: v_dual_mov_b32 v1, s2
	v_mov_b32_e32 v2, s3
	s_add_nc_u64 s[8:9], s[0:1], 0x90
	s_get_pc_i64 s[0:1]
	s_add_nc_u64 s[0:1], s[0:1], __assert_fail@rel64+4
	s_mov_b32 s32, 0
	s_swap_pc_i64 s[30:31], s[0:1]
	.section	.rodata,"a",@progbits
	.p2align	6, 0x0
	.amdhsa_kernel _Z39paged_attention_ll4mi_QKV_mfma16_kernelIDF16_DF16_LN4vllm18Fp8KVCacheDataTypeE0EDF16_Li16ELi128ELi256ELb0ELi8EEvPKT_PKT0_S7_ifPKiS9_S9_iPKfiiiPfSC_PS2_PT2_iSB_SB_
		.amdhsa_group_segment_fixed_size 0
		.amdhsa_private_segment_fixed_size 64
		.amdhsa_kernarg_size 400
		.amdhsa_user_sgpr_count 2
		.amdhsa_user_sgpr_dispatch_ptr 0
		.amdhsa_user_sgpr_queue_ptr 0
		.amdhsa_user_sgpr_kernarg_segment_ptr 1
		.amdhsa_user_sgpr_dispatch_id 0
		.amdhsa_user_sgpr_kernarg_preload_length 0
		.amdhsa_user_sgpr_kernarg_preload_offset 0
		.amdhsa_user_sgpr_private_segment_size 0
		.amdhsa_wavefront_size32 1
		.amdhsa_uses_dynamic_stack 0
		.amdhsa_enable_private_segment 1
		.amdhsa_system_sgpr_workgroup_id_x 1
		.amdhsa_system_sgpr_workgroup_id_y 0
		.amdhsa_system_sgpr_workgroup_id_z 0
		.amdhsa_system_sgpr_workgroup_info 0
		.amdhsa_system_vgpr_workitem_id 0
		.amdhsa_next_free_vgpr 51
		.amdhsa_next_free_sgpr 34
		.amdhsa_named_barrier_count 0
		.amdhsa_reserve_vcc 1
		.amdhsa_float_round_mode_32 0
		.amdhsa_float_round_mode_16_64 0
		.amdhsa_float_denorm_mode_32 3
		.amdhsa_float_denorm_mode_16_64 3
		.amdhsa_fp16_overflow 0
		.amdhsa_memory_ordered 1
		.amdhsa_forward_progress 1
		.amdhsa_inst_pref_size 1
		.amdhsa_round_robin_scheduling 0
		.amdhsa_exception_fp_ieee_invalid_op 0
		.amdhsa_exception_fp_denorm_src 0
		.amdhsa_exception_fp_ieee_div_zero 0
		.amdhsa_exception_fp_ieee_overflow 0
		.amdhsa_exception_fp_ieee_underflow 0
		.amdhsa_exception_fp_ieee_inexact 0
		.amdhsa_exception_int_div_zero 0
	.end_amdhsa_kernel
	.section	.text._Z39paged_attention_ll4mi_QKV_mfma16_kernelIDF16_DF16_LN4vllm18Fp8KVCacheDataTypeE0EDF16_Li16ELi128ELi256ELb0ELi8EEvPKT_PKT0_S7_ifPKiS9_S9_iPKfiiiPfSC_PS2_PT2_iSB_SB_,"axG",@progbits,_Z39paged_attention_ll4mi_QKV_mfma16_kernelIDF16_DF16_LN4vllm18Fp8KVCacheDataTypeE0EDF16_Li16ELi128ELi256ELb0ELi8EEvPKT_PKT0_S7_ifPKiS9_S9_iPKfiiiPfSC_PS2_PT2_iSB_SB_,comdat
.Lfunc_end293:
	.size	_Z39paged_attention_ll4mi_QKV_mfma16_kernelIDF16_DF16_LN4vllm18Fp8KVCacheDataTypeE0EDF16_Li16ELi128ELi256ELb0ELi8EEvPKT_PKT0_S7_ifPKiS9_S9_iPKfiiiPfSC_PS2_PT2_iSB_SB_, .Lfunc_end293-_Z39paged_attention_ll4mi_QKV_mfma16_kernelIDF16_DF16_LN4vllm18Fp8KVCacheDataTypeE0EDF16_Li16ELi128ELi256ELb0ELi8EEvPKT_PKT0_S7_ifPKiS9_S9_iPKfiiiPfSC_PS2_PT2_iSB_SB_
                                        ; -- End function
	.set _Z39paged_attention_ll4mi_QKV_mfma16_kernelIDF16_DF16_LN4vllm18Fp8KVCacheDataTypeE0EDF16_Li16ELi128ELi256ELb0ELi8EEvPKT_PKT0_S7_ifPKiS9_S9_iPKfiiiPfSC_PS2_PT2_iSB_SB_.num_vgpr, max(3, .L__assert_fail.num_vgpr)
	.set _Z39paged_attention_ll4mi_QKV_mfma16_kernelIDF16_DF16_LN4vllm18Fp8KVCacheDataTypeE0EDF16_Li16ELi128ELi256ELb0ELi8EEvPKT_PKT0_S7_ifPKiS9_S9_iPKfiiiPfSC_PS2_PT2_iSB_SB_.num_agpr, max(0, .L__assert_fail.num_agpr)
	.set _Z39paged_attention_ll4mi_QKV_mfma16_kernelIDF16_DF16_LN4vllm18Fp8KVCacheDataTypeE0EDF16_Li16ELi128ELi256ELb0ELi8EEvPKT_PKT0_S7_ifPKiS9_S9_iPKfiiiPfSC_PS2_PT2_iSB_SB_.numbered_sgpr, max(33, .L__assert_fail.numbered_sgpr)
	.set _Z39paged_attention_ll4mi_QKV_mfma16_kernelIDF16_DF16_LN4vllm18Fp8KVCacheDataTypeE0EDF16_Li16ELi128ELi256ELb0ELi8EEvPKT_PKT0_S7_ifPKiS9_S9_iPKfiiiPfSC_PS2_PT2_iSB_SB_.num_named_barrier, max(0, .L__assert_fail.num_named_barrier)
	.set _Z39paged_attention_ll4mi_QKV_mfma16_kernelIDF16_DF16_LN4vllm18Fp8KVCacheDataTypeE0EDF16_Li16ELi128ELi256ELb0ELi8EEvPKT_PKT0_S7_ifPKiS9_S9_iPKfiiiPfSC_PS2_PT2_iSB_SB_.private_seg_size, 0+max(.L__assert_fail.private_seg_size)
	.set _Z39paged_attention_ll4mi_QKV_mfma16_kernelIDF16_DF16_LN4vllm18Fp8KVCacheDataTypeE0EDF16_Li16ELi128ELi256ELb0ELi8EEvPKT_PKT0_S7_ifPKiS9_S9_iPKfiiiPfSC_PS2_PT2_iSB_SB_.uses_vcc, or(1, .L__assert_fail.uses_vcc)
	.set _Z39paged_attention_ll4mi_QKV_mfma16_kernelIDF16_DF16_LN4vllm18Fp8KVCacheDataTypeE0EDF16_Li16ELi128ELi256ELb0ELi8EEvPKT_PKT0_S7_ifPKiS9_S9_iPKfiiiPfSC_PS2_PT2_iSB_SB_.uses_flat_scratch, or(0, .L__assert_fail.uses_flat_scratch)
	.set _Z39paged_attention_ll4mi_QKV_mfma16_kernelIDF16_DF16_LN4vllm18Fp8KVCacheDataTypeE0EDF16_Li16ELi128ELi256ELb0ELi8EEvPKT_PKT0_S7_ifPKiS9_S9_iPKfiiiPfSC_PS2_PT2_iSB_SB_.has_dyn_sized_stack, or(0, .L__assert_fail.has_dyn_sized_stack)
	.set _Z39paged_attention_ll4mi_QKV_mfma16_kernelIDF16_DF16_LN4vllm18Fp8KVCacheDataTypeE0EDF16_Li16ELi128ELi256ELb0ELi8EEvPKT_PKT0_S7_ifPKiS9_S9_iPKfiiiPfSC_PS2_PT2_iSB_SB_.has_recursion, or(0, .L__assert_fail.has_recursion)
	.set _Z39paged_attention_ll4mi_QKV_mfma16_kernelIDF16_DF16_LN4vllm18Fp8KVCacheDataTypeE0EDF16_Li16ELi128ELi256ELb0ELi8EEvPKT_PKT0_S7_ifPKiS9_S9_iPKfiiiPfSC_PS2_PT2_iSB_SB_.has_indirect_call, or(0, .L__assert_fail.has_indirect_call)
	.section	.AMDGPU.csdata,"",@progbits
; Kernel info:
; codeLenInByte = 68
; TotalNumSgprs: 36
; NumVgprs: 51
; ScratchSize: 64
; MemoryBound: 0
; FloatMode: 240
; IeeeMode: 1
; LDSByteSize: 0 bytes/workgroup (compile time only)
; SGPRBlocks: 0
; VGPRBlocks: 3
; NumSGPRsForWavesPerEU: 36
; NumVGPRsForWavesPerEU: 51
; NamedBarCnt: 0
; Occupancy: 16
; WaveLimiterHint : 1
; COMPUTE_PGM_RSRC2:SCRATCH_EN: 1
; COMPUTE_PGM_RSRC2:USER_SGPR: 2
; COMPUTE_PGM_RSRC2:TRAP_HANDLER: 0
; COMPUTE_PGM_RSRC2:TGID_X_EN: 1
; COMPUTE_PGM_RSRC2:TGID_Y_EN: 0
; COMPUTE_PGM_RSRC2:TGID_Z_EN: 0
; COMPUTE_PGM_RSRC2:TIDIG_COMP_CNT: 0
	.section	.text._Z39paged_attention_ll4mi_QKV_mfma16_kernelIDF16_DF16_LN4vllm18Fp8KVCacheDataTypeE0EDF16_Li16ELi128ELi256ELb0ELi9EEvPKT_PKT0_S7_ifPKiS9_S9_iPKfiiiPfSC_PS2_PT2_iSB_SB_,"axG",@progbits,_Z39paged_attention_ll4mi_QKV_mfma16_kernelIDF16_DF16_LN4vllm18Fp8KVCacheDataTypeE0EDF16_Li16ELi128ELi256ELb0ELi9EEvPKT_PKT0_S7_ifPKiS9_S9_iPKfiiiPfSC_PS2_PT2_iSB_SB_,comdat
	.protected	_Z39paged_attention_ll4mi_QKV_mfma16_kernelIDF16_DF16_LN4vllm18Fp8KVCacheDataTypeE0EDF16_Li16ELi128ELi256ELb0ELi9EEvPKT_PKT0_S7_ifPKiS9_S9_iPKfiiiPfSC_PS2_PT2_iSB_SB_ ; -- Begin function _Z39paged_attention_ll4mi_QKV_mfma16_kernelIDF16_DF16_LN4vllm18Fp8KVCacheDataTypeE0EDF16_Li16ELi128ELi256ELb0ELi9EEvPKT_PKT0_S7_ifPKiS9_S9_iPKfiiiPfSC_PS2_PT2_iSB_SB_
	.globl	_Z39paged_attention_ll4mi_QKV_mfma16_kernelIDF16_DF16_LN4vllm18Fp8KVCacheDataTypeE0EDF16_Li16ELi128ELi256ELb0ELi9EEvPKT_PKT0_S7_ifPKiS9_S9_iPKfiiiPfSC_PS2_PT2_iSB_SB_
	.p2align	8
	.type	_Z39paged_attention_ll4mi_QKV_mfma16_kernelIDF16_DF16_LN4vllm18Fp8KVCacheDataTypeE0EDF16_Li16ELi128ELi256ELb0ELi9EEvPKT_PKT0_S7_ifPKiS9_S9_iPKfiiiPfSC_PS2_PT2_iSB_SB_,@function
_Z39paged_attention_ll4mi_QKV_mfma16_kernelIDF16_DF16_LN4vllm18Fp8KVCacheDataTypeE0EDF16_Li16ELi128ELi256ELb0ELi9EEvPKT_PKT0_S7_ifPKiS9_S9_iPKfiiiPfSC_PS2_PT2_iSB_SB_: ; @_Z39paged_attention_ll4mi_QKV_mfma16_kernelIDF16_DF16_LN4vllm18Fp8KVCacheDataTypeE0EDF16_Li16ELi128ELi256ELb0ELi9EEvPKT_PKT0_S7_ifPKiS9_S9_iPKfiiiPfSC_PS2_PT2_iSB_SB_
; %bb.0:
	s_get_pc_i64 s[2:3]
	s_add_nc_u64 s[2:3], s[2:3], __PRETTY_FUNCTION__._Z39paged_attention_ll4mi_QKV_mfma16_kernelIDF16_DF16_LN4vllm18Fp8KVCacheDataTypeE0EDF16_Li16ELi128ELi256ELb0ELi9EEvPKT_PKT0_S7_ifPKiS9_S9_iPKfiiiPfSC_PS2_PT2_iSB_SB_@rel64+4
	s_delay_alu instid0(SALU_CYCLE_1)
	v_dual_mov_b32 v0, 0xbb3 :: v_dual_mov_b32 v1, s2
	v_mov_b32_e32 v2, s3
	s_add_nc_u64 s[8:9], s[0:1], 0x90
	s_get_pc_i64 s[0:1]
	s_add_nc_u64 s[0:1], s[0:1], __assert_fail@rel64+4
	s_mov_b32 s32, 0
	s_swap_pc_i64 s[30:31], s[0:1]
	.section	.rodata,"a",@progbits
	.p2align	6, 0x0
	.amdhsa_kernel _Z39paged_attention_ll4mi_QKV_mfma16_kernelIDF16_DF16_LN4vllm18Fp8KVCacheDataTypeE0EDF16_Li16ELi128ELi256ELb0ELi9EEvPKT_PKT0_S7_ifPKiS9_S9_iPKfiiiPfSC_PS2_PT2_iSB_SB_
		.amdhsa_group_segment_fixed_size 0
		.amdhsa_private_segment_fixed_size 64
		.amdhsa_kernarg_size 400
		.amdhsa_user_sgpr_count 2
		.amdhsa_user_sgpr_dispatch_ptr 0
		.amdhsa_user_sgpr_queue_ptr 0
		.amdhsa_user_sgpr_kernarg_segment_ptr 1
		.amdhsa_user_sgpr_dispatch_id 0
		.amdhsa_user_sgpr_kernarg_preload_length 0
		.amdhsa_user_sgpr_kernarg_preload_offset 0
		.amdhsa_user_sgpr_private_segment_size 0
		.amdhsa_wavefront_size32 1
		.amdhsa_uses_dynamic_stack 0
		.amdhsa_enable_private_segment 1
		.amdhsa_system_sgpr_workgroup_id_x 1
		.amdhsa_system_sgpr_workgroup_id_y 0
		.amdhsa_system_sgpr_workgroup_id_z 0
		.amdhsa_system_sgpr_workgroup_info 0
		.amdhsa_system_vgpr_workitem_id 0
		.amdhsa_next_free_vgpr 51
		.amdhsa_next_free_sgpr 34
		.amdhsa_named_barrier_count 0
		.amdhsa_reserve_vcc 1
		.amdhsa_float_round_mode_32 0
		.amdhsa_float_round_mode_16_64 0
		.amdhsa_float_denorm_mode_32 3
		.amdhsa_float_denorm_mode_16_64 3
		.amdhsa_fp16_overflow 0
		.amdhsa_memory_ordered 1
		.amdhsa_forward_progress 1
		.amdhsa_inst_pref_size 1
		.amdhsa_round_robin_scheduling 0
		.amdhsa_exception_fp_ieee_invalid_op 0
		.amdhsa_exception_fp_denorm_src 0
		.amdhsa_exception_fp_ieee_div_zero 0
		.amdhsa_exception_fp_ieee_overflow 0
		.amdhsa_exception_fp_ieee_underflow 0
		.amdhsa_exception_fp_ieee_inexact 0
		.amdhsa_exception_int_div_zero 0
	.end_amdhsa_kernel
	.section	.text._Z39paged_attention_ll4mi_QKV_mfma16_kernelIDF16_DF16_LN4vllm18Fp8KVCacheDataTypeE0EDF16_Li16ELi128ELi256ELb0ELi9EEvPKT_PKT0_S7_ifPKiS9_S9_iPKfiiiPfSC_PS2_PT2_iSB_SB_,"axG",@progbits,_Z39paged_attention_ll4mi_QKV_mfma16_kernelIDF16_DF16_LN4vllm18Fp8KVCacheDataTypeE0EDF16_Li16ELi128ELi256ELb0ELi9EEvPKT_PKT0_S7_ifPKiS9_S9_iPKfiiiPfSC_PS2_PT2_iSB_SB_,comdat
.Lfunc_end294:
	.size	_Z39paged_attention_ll4mi_QKV_mfma16_kernelIDF16_DF16_LN4vllm18Fp8KVCacheDataTypeE0EDF16_Li16ELi128ELi256ELb0ELi9EEvPKT_PKT0_S7_ifPKiS9_S9_iPKfiiiPfSC_PS2_PT2_iSB_SB_, .Lfunc_end294-_Z39paged_attention_ll4mi_QKV_mfma16_kernelIDF16_DF16_LN4vllm18Fp8KVCacheDataTypeE0EDF16_Li16ELi128ELi256ELb0ELi9EEvPKT_PKT0_S7_ifPKiS9_S9_iPKfiiiPfSC_PS2_PT2_iSB_SB_
                                        ; -- End function
	.set _Z39paged_attention_ll4mi_QKV_mfma16_kernelIDF16_DF16_LN4vllm18Fp8KVCacheDataTypeE0EDF16_Li16ELi128ELi256ELb0ELi9EEvPKT_PKT0_S7_ifPKiS9_S9_iPKfiiiPfSC_PS2_PT2_iSB_SB_.num_vgpr, max(3, .L__assert_fail.num_vgpr)
	.set _Z39paged_attention_ll4mi_QKV_mfma16_kernelIDF16_DF16_LN4vllm18Fp8KVCacheDataTypeE0EDF16_Li16ELi128ELi256ELb0ELi9EEvPKT_PKT0_S7_ifPKiS9_S9_iPKfiiiPfSC_PS2_PT2_iSB_SB_.num_agpr, max(0, .L__assert_fail.num_agpr)
	.set _Z39paged_attention_ll4mi_QKV_mfma16_kernelIDF16_DF16_LN4vllm18Fp8KVCacheDataTypeE0EDF16_Li16ELi128ELi256ELb0ELi9EEvPKT_PKT0_S7_ifPKiS9_S9_iPKfiiiPfSC_PS2_PT2_iSB_SB_.numbered_sgpr, max(33, .L__assert_fail.numbered_sgpr)
	.set _Z39paged_attention_ll4mi_QKV_mfma16_kernelIDF16_DF16_LN4vllm18Fp8KVCacheDataTypeE0EDF16_Li16ELi128ELi256ELb0ELi9EEvPKT_PKT0_S7_ifPKiS9_S9_iPKfiiiPfSC_PS2_PT2_iSB_SB_.num_named_barrier, max(0, .L__assert_fail.num_named_barrier)
	.set _Z39paged_attention_ll4mi_QKV_mfma16_kernelIDF16_DF16_LN4vllm18Fp8KVCacheDataTypeE0EDF16_Li16ELi128ELi256ELb0ELi9EEvPKT_PKT0_S7_ifPKiS9_S9_iPKfiiiPfSC_PS2_PT2_iSB_SB_.private_seg_size, 0+max(.L__assert_fail.private_seg_size)
	.set _Z39paged_attention_ll4mi_QKV_mfma16_kernelIDF16_DF16_LN4vllm18Fp8KVCacheDataTypeE0EDF16_Li16ELi128ELi256ELb0ELi9EEvPKT_PKT0_S7_ifPKiS9_S9_iPKfiiiPfSC_PS2_PT2_iSB_SB_.uses_vcc, or(1, .L__assert_fail.uses_vcc)
	.set _Z39paged_attention_ll4mi_QKV_mfma16_kernelIDF16_DF16_LN4vllm18Fp8KVCacheDataTypeE0EDF16_Li16ELi128ELi256ELb0ELi9EEvPKT_PKT0_S7_ifPKiS9_S9_iPKfiiiPfSC_PS2_PT2_iSB_SB_.uses_flat_scratch, or(0, .L__assert_fail.uses_flat_scratch)
	.set _Z39paged_attention_ll4mi_QKV_mfma16_kernelIDF16_DF16_LN4vllm18Fp8KVCacheDataTypeE0EDF16_Li16ELi128ELi256ELb0ELi9EEvPKT_PKT0_S7_ifPKiS9_S9_iPKfiiiPfSC_PS2_PT2_iSB_SB_.has_dyn_sized_stack, or(0, .L__assert_fail.has_dyn_sized_stack)
	.set _Z39paged_attention_ll4mi_QKV_mfma16_kernelIDF16_DF16_LN4vllm18Fp8KVCacheDataTypeE0EDF16_Li16ELi128ELi256ELb0ELi9EEvPKT_PKT0_S7_ifPKiS9_S9_iPKfiiiPfSC_PS2_PT2_iSB_SB_.has_recursion, or(0, .L__assert_fail.has_recursion)
	.set _Z39paged_attention_ll4mi_QKV_mfma16_kernelIDF16_DF16_LN4vllm18Fp8KVCacheDataTypeE0EDF16_Li16ELi128ELi256ELb0ELi9EEvPKT_PKT0_S7_ifPKiS9_S9_iPKfiiiPfSC_PS2_PT2_iSB_SB_.has_indirect_call, or(0, .L__assert_fail.has_indirect_call)
	.section	.AMDGPU.csdata,"",@progbits
; Kernel info:
; codeLenInByte = 68
; TotalNumSgprs: 36
; NumVgprs: 51
; ScratchSize: 64
; MemoryBound: 0
; FloatMode: 240
; IeeeMode: 1
; LDSByteSize: 0 bytes/workgroup (compile time only)
; SGPRBlocks: 0
; VGPRBlocks: 3
; NumSGPRsForWavesPerEU: 36
; NumVGPRsForWavesPerEU: 51
; NamedBarCnt: 0
; Occupancy: 16
; WaveLimiterHint : 1
; COMPUTE_PGM_RSRC2:SCRATCH_EN: 1
; COMPUTE_PGM_RSRC2:USER_SGPR: 2
; COMPUTE_PGM_RSRC2:TRAP_HANDLER: 0
; COMPUTE_PGM_RSRC2:TGID_X_EN: 1
; COMPUTE_PGM_RSRC2:TGID_Y_EN: 0
; COMPUTE_PGM_RSRC2:TGID_Z_EN: 0
; COMPUTE_PGM_RSRC2:TIDIG_COMP_CNT: 0
	.section	.text._Z39paged_attention_ll4mi_QKV_mfma16_kernelIDF16_DF16_LN4vllm18Fp8KVCacheDataTypeE0EDF16_Li16ELi128ELi256ELb0ELi10EEvPKT_PKT0_S7_ifPKiS9_S9_iPKfiiiPfSC_PS2_PT2_iSB_SB_,"axG",@progbits,_Z39paged_attention_ll4mi_QKV_mfma16_kernelIDF16_DF16_LN4vllm18Fp8KVCacheDataTypeE0EDF16_Li16ELi128ELi256ELb0ELi10EEvPKT_PKT0_S7_ifPKiS9_S9_iPKfiiiPfSC_PS2_PT2_iSB_SB_,comdat
	.protected	_Z39paged_attention_ll4mi_QKV_mfma16_kernelIDF16_DF16_LN4vllm18Fp8KVCacheDataTypeE0EDF16_Li16ELi128ELi256ELb0ELi10EEvPKT_PKT0_S7_ifPKiS9_S9_iPKfiiiPfSC_PS2_PT2_iSB_SB_ ; -- Begin function _Z39paged_attention_ll4mi_QKV_mfma16_kernelIDF16_DF16_LN4vllm18Fp8KVCacheDataTypeE0EDF16_Li16ELi128ELi256ELb0ELi10EEvPKT_PKT0_S7_ifPKiS9_S9_iPKfiiiPfSC_PS2_PT2_iSB_SB_
	.globl	_Z39paged_attention_ll4mi_QKV_mfma16_kernelIDF16_DF16_LN4vllm18Fp8KVCacheDataTypeE0EDF16_Li16ELi128ELi256ELb0ELi10EEvPKT_PKT0_S7_ifPKiS9_S9_iPKfiiiPfSC_PS2_PT2_iSB_SB_
	.p2align	8
	.type	_Z39paged_attention_ll4mi_QKV_mfma16_kernelIDF16_DF16_LN4vllm18Fp8KVCacheDataTypeE0EDF16_Li16ELi128ELi256ELb0ELi10EEvPKT_PKT0_S7_ifPKiS9_S9_iPKfiiiPfSC_PS2_PT2_iSB_SB_,@function
_Z39paged_attention_ll4mi_QKV_mfma16_kernelIDF16_DF16_LN4vllm18Fp8KVCacheDataTypeE0EDF16_Li16ELi128ELi256ELb0ELi10EEvPKT_PKT0_S7_ifPKiS9_S9_iPKfiiiPfSC_PS2_PT2_iSB_SB_: ; @_Z39paged_attention_ll4mi_QKV_mfma16_kernelIDF16_DF16_LN4vllm18Fp8KVCacheDataTypeE0EDF16_Li16ELi128ELi256ELb0ELi10EEvPKT_PKT0_S7_ifPKiS9_S9_iPKfiiiPfSC_PS2_PT2_iSB_SB_
; %bb.0:
	s_get_pc_i64 s[2:3]
	s_add_nc_u64 s[2:3], s[2:3], __PRETTY_FUNCTION__._Z39paged_attention_ll4mi_QKV_mfma16_kernelIDF16_DF16_LN4vllm18Fp8KVCacheDataTypeE0EDF16_Li16ELi128ELi256ELb0ELi10EEvPKT_PKT0_S7_ifPKiS9_S9_iPKfiiiPfSC_PS2_PT2_iSB_SB_@rel64+4
	s_delay_alu instid0(SALU_CYCLE_1)
	v_dual_mov_b32 v0, 0xbb3 :: v_dual_mov_b32 v1, s2
	v_mov_b32_e32 v2, s3
	s_add_nc_u64 s[8:9], s[0:1], 0x90
	s_get_pc_i64 s[0:1]
	s_add_nc_u64 s[0:1], s[0:1], __assert_fail@rel64+4
	s_mov_b32 s32, 0
	s_swap_pc_i64 s[30:31], s[0:1]
	.section	.rodata,"a",@progbits
	.p2align	6, 0x0
	.amdhsa_kernel _Z39paged_attention_ll4mi_QKV_mfma16_kernelIDF16_DF16_LN4vllm18Fp8KVCacheDataTypeE0EDF16_Li16ELi128ELi256ELb0ELi10EEvPKT_PKT0_S7_ifPKiS9_S9_iPKfiiiPfSC_PS2_PT2_iSB_SB_
		.amdhsa_group_segment_fixed_size 0
		.amdhsa_private_segment_fixed_size 64
		.amdhsa_kernarg_size 400
		.amdhsa_user_sgpr_count 2
		.amdhsa_user_sgpr_dispatch_ptr 0
		.amdhsa_user_sgpr_queue_ptr 0
		.amdhsa_user_sgpr_kernarg_segment_ptr 1
		.amdhsa_user_sgpr_dispatch_id 0
		.amdhsa_user_sgpr_kernarg_preload_length 0
		.amdhsa_user_sgpr_kernarg_preload_offset 0
		.amdhsa_user_sgpr_private_segment_size 0
		.amdhsa_wavefront_size32 1
		.amdhsa_uses_dynamic_stack 0
		.amdhsa_enable_private_segment 1
		.amdhsa_system_sgpr_workgroup_id_x 1
		.amdhsa_system_sgpr_workgroup_id_y 0
		.amdhsa_system_sgpr_workgroup_id_z 0
		.amdhsa_system_sgpr_workgroup_info 0
		.amdhsa_system_vgpr_workitem_id 0
		.amdhsa_next_free_vgpr 51
		.amdhsa_next_free_sgpr 34
		.amdhsa_named_barrier_count 0
		.amdhsa_reserve_vcc 1
		.amdhsa_float_round_mode_32 0
		.amdhsa_float_round_mode_16_64 0
		.amdhsa_float_denorm_mode_32 3
		.amdhsa_float_denorm_mode_16_64 3
		.amdhsa_fp16_overflow 0
		.amdhsa_memory_ordered 1
		.amdhsa_forward_progress 1
		.amdhsa_inst_pref_size 1
		.amdhsa_round_robin_scheduling 0
		.amdhsa_exception_fp_ieee_invalid_op 0
		.amdhsa_exception_fp_denorm_src 0
		.amdhsa_exception_fp_ieee_div_zero 0
		.amdhsa_exception_fp_ieee_overflow 0
		.amdhsa_exception_fp_ieee_underflow 0
		.amdhsa_exception_fp_ieee_inexact 0
		.amdhsa_exception_int_div_zero 0
	.end_amdhsa_kernel
	.section	.text._Z39paged_attention_ll4mi_QKV_mfma16_kernelIDF16_DF16_LN4vllm18Fp8KVCacheDataTypeE0EDF16_Li16ELi128ELi256ELb0ELi10EEvPKT_PKT0_S7_ifPKiS9_S9_iPKfiiiPfSC_PS2_PT2_iSB_SB_,"axG",@progbits,_Z39paged_attention_ll4mi_QKV_mfma16_kernelIDF16_DF16_LN4vllm18Fp8KVCacheDataTypeE0EDF16_Li16ELi128ELi256ELb0ELi10EEvPKT_PKT0_S7_ifPKiS9_S9_iPKfiiiPfSC_PS2_PT2_iSB_SB_,comdat
.Lfunc_end295:
	.size	_Z39paged_attention_ll4mi_QKV_mfma16_kernelIDF16_DF16_LN4vllm18Fp8KVCacheDataTypeE0EDF16_Li16ELi128ELi256ELb0ELi10EEvPKT_PKT0_S7_ifPKiS9_S9_iPKfiiiPfSC_PS2_PT2_iSB_SB_, .Lfunc_end295-_Z39paged_attention_ll4mi_QKV_mfma16_kernelIDF16_DF16_LN4vllm18Fp8KVCacheDataTypeE0EDF16_Li16ELi128ELi256ELb0ELi10EEvPKT_PKT0_S7_ifPKiS9_S9_iPKfiiiPfSC_PS2_PT2_iSB_SB_
                                        ; -- End function
	.set _Z39paged_attention_ll4mi_QKV_mfma16_kernelIDF16_DF16_LN4vllm18Fp8KVCacheDataTypeE0EDF16_Li16ELi128ELi256ELb0ELi10EEvPKT_PKT0_S7_ifPKiS9_S9_iPKfiiiPfSC_PS2_PT2_iSB_SB_.num_vgpr, max(3, .L__assert_fail.num_vgpr)
	.set _Z39paged_attention_ll4mi_QKV_mfma16_kernelIDF16_DF16_LN4vllm18Fp8KVCacheDataTypeE0EDF16_Li16ELi128ELi256ELb0ELi10EEvPKT_PKT0_S7_ifPKiS9_S9_iPKfiiiPfSC_PS2_PT2_iSB_SB_.num_agpr, max(0, .L__assert_fail.num_agpr)
	.set _Z39paged_attention_ll4mi_QKV_mfma16_kernelIDF16_DF16_LN4vllm18Fp8KVCacheDataTypeE0EDF16_Li16ELi128ELi256ELb0ELi10EEvPKT_PKT0_S7_ifPKiS9_S9_iPKfiiiPfSC_PS2_PT2_iSB_SB_.numbered_sgpr, max(33, .L__assert_fail.numbered_sgpr)
	.set _Z39paged_attention_ll4mi_QKV_mfma16_kernelIDF16_DF16_LN4vllm18Fp8KVCacheDataTypeE0EDF16_Li16ELi128ELi256ELb0ELi10EEvPKT_PKT0_S7_ifPKiS9_S9_iPKfiiiPfSC_PS2_PT2_iSB_SB_.num_named_barrier, max(0, .L__assert_fail.num_named_barrier)
	.set _Z39paged_attention_ll4mi_QKV_mfma16_kernelIDF16_DF16_LN4vllm18Fp8KVCacheDataTypeE0EDF16_Li16ELi128ELi256ELb0ELi10EEvPKT_PKT0_S7_ifPKiS9_S9_iPKfiiiPfSC_PS2_PT2_iSB_SB_.private_seg_size, 0+max(.L__assert_fail.private_seg_size)
	.set _Z39paged_attention_ll4mi_QKV_mfma16_kernelIDF16_DF16_LN4vllm18Fp8KVCacheDataTypeE0EDF16_Li16ELi128ELi256ELb0ELi10EEvPKT_PKT0_S7_ifPKiS9_S9_iPKfiiiPfSC_PS2_PT2_iSB_SB_.uses_vcc, or(1, .L__assert_fail.uses_vcc)
	.set _Z39paged_attention_ll4mi_QKV_mfma16_kernelIDF16_DF16_LN4vllm18Fp8KVCacheDataTypeE0EDF16_Li16ELi128ELi256ELb0ELi10EEvPKT_PKT0_S7_ifPKiS9_S9_iPKfiiiPfSC_PS2_PT2_iSB_SB_.uses_flat_scratch, or(0, .L__assert_fail.uses_flat_scratch)
	.set _Z39paged_attention_ll4mi_QKV_mfma16_kernelIDF16_DF16_LN4vllm18Fp8KVCacheDataTypeE0EDF16_Li16ELi128ELi256ELb0ELi10EEvPKT_PKT0_S7_ifPKiS9_S9_iPKfiiiPfSC_PS2_PT2_iSB_SB_.has_dyn_sized_stack, or(0, .L__assert_fail.has_dyn_sized_stack)
	.set _Z39paged_attention_ll4mi_QKV_mfma16_kernelIDF16_DF16_LN4vllm18Fp8KVCacheDataTypeE0EDF16_Li16ELi128ELi256ELb0ELi10EEvPKT_PKT0_S7_ifPKiS9_S9_iPKfiiiPfSC_PS2_PT2_iSB_SB_.has_recursion, or(0, .L__assert_fail.has_recursion)
	.set _Z39paged_attention_ll4mi_QKV_mfma16_kernelIDF16_DF16_LN4vllm18Fp8KVCacheDataTypeE0EDF16_Li16ELi128ELi256ELb0ELi10EEvPKT_PKT0_S7_ifPKiS9_S9_iPKfiiiPfSC_PS2_PT2_iSB_SB_.has_indirect_call, or(0, .L__assert_fail.has_indirect_call)
	.section	.AMDGPU.csdata,"",@progbits
; Kernel info:
; codeLenInByte = 68
; TotalNumSgprs: 36
; NumVgprs: 51
; ScratchSize: 64
; MemoryBound: 0
; FloatMode: 240
; IeeeMode: 1
; LDSByteSize: 0 bytes/workgroup (compile time only)
; SGPRBlocks: 0
; VGPRBlocks: 3
; NumSGPRsForWavesPerEU: 36
; NumVGPRsForWavesPerEU: 51
; NamedBarCnt: 0
; Occupancy: 16
; WaveLimiterHint : 1
; COMPUTE_PGM_RSRC2:SCRATCH_EN: 1
; COMPUTE_PGM_RSRC2:USER_SGPR: 2
; COMPUTE_PGM_RSRC2:TRAP_HANDLER: 0
; COMPUTE_PGM_RSRC2:TGID_X_EN: 1
; COMPUTE_PGM_RSRC2:TGID_Y_EN: 0
; COMPUTE_PGM_RSRC2:TGID_Z_EN: 0
; COMPUTE_PGM_RSRC2:TIDIG_COMP_CNT: 0
	.section	.text._Z39paged_attention_ll4mi_QKV_mfma16_kernelIDF16_DF16_LN4vllm18Fp8KVCacheDataTypeE0EDF16_Li16ELi128ELi256ELb0ELi11EEvPKT_PKT0_S7_ifPKiS9_S9_iPKfiiiPfSC_PS2_PT2_iSB_SB_,"axG",@progbits,_Z39paged_attention_ll4mi_QKV_mfma16_kernelIDF16_DF16_LN4vllm18Fp8KVCacheDataTypeE0EDF16_Li16ELi128ELi256ELb0ELi11EEvPKT_PKT0_S7_ifPKiS9_S9_iPKfiiiPfSC_PS2_PT2_iSB_SB_,comdat
	.protected	_Z39paged_attention_ll4mi_QKV_mfma16_kernelIDF16_DF16_LN4vllm18Fp8KVCacheDataTypeE0EDF16_Li16ELi128ELi256ELb0ELi11EEvPKT_PKT0_S7_ifPKiS9_S9_iPKfiiiPfSC_PS2_PT2_iSB_SB_ ; -- Begin function _Z39paged_attention_ll4mi_QKV_mfma16_kernelIDF16_DF16_LN4vllm18Fp8KVCacheDataTypeE0EDF16_Li16ELi128ELi256ELb0ELi11EEvPKT_PKT0_S7_ifPKiS9_S9_iPKfiiiPfSC_PS2_PT2_iSB_SB_
	.globl	_Z39paged_attention_ll4mi_QKV_mfma16_kernelIDF16_DF16_LN4vllm18Fp8KVCacheDataTypeE0EDF16_Li16ELi128ELi256ELb0ELi11EEvPKT_PKT0_S7_ifPKiS9_S9_iPKfiiiPfSC_PS2_PT2_iSB_SB_
	.p2align	8
	.type	_Z39paged_attention_ll4mi_QKV_mfma16_kernelIDF16_DF16_LN4vllm18Fp8KVCacheDataTypeE0EDF16_Li16ELi128ELi256ELb0ELi11EEvPKT_PKT0_S7_ifPKiS9_S9_iPKfiiiPfSC_PS2_PT2_iSB_SB_,@function
_Z39paged_attention_ll4mi_QKV_mfma16_kernelIDF16_DF16_LN4vllm18Fp8KVCacheDataTypeE0EDF16_Li16ELi128ELi256ELb0ELi11EEvPKT_PKT0_S7_ifPKiS9_S9_iPKfiiiPfSC_PS2_PT2_iSB_SB_: ; @_Z39paged_attention_ll4mi_QKV_mfma16_kernelIDF16_DF16_LN4vllm18Fp8KVCacheDataTypeE0EDF16_Li16ELi128ELi256ELb0ELi11EEvPKT_PKT0_S7_ifPKiS9_S9_iPKfiiiPfSC_PS2_PT2_iSB_SB_
; %bb.0:
	s_get_pc_i64 s[2:3]
	s_add_nc_u64 s[2:3], s[2:3], __PRETTY_FUNCTION__._Z39paged_attention_ll4mi_QKV_mfma16_kernelIDF16_DF16_LN4vllm18Fp8KVCacheDataTypeE0EDF16_Li16ELi128ELi256ELb0ELi11EEvPKT_PKT0_S7_ifPKiS9_S9_iPKfiiiPfSC_PS2_PT2_iSB_SB_@rel64+4
	s_delay_alu instid0(SALU_CYCLE_1)
	v_dual_mov_b32 v0, 0xbb3 :: v_dual_mov_b32 v1, s2
	v_mov_b32_e32 v2, s3
	s_add_nc_u64 s[8:9], s[0:1], 0x90
	s_get_pc_i64 s[0:1]
	s_add_nc_u64 s[0:1], s[0:1], __assert_fail@rel64+4
	s_mov_b32 s32, 0
	s_swap_pc_i64 s[30:31], s[0:1]
	.section	.rodata,"a",@progbits
	.p2align	6, 0x0
	.amdhsa_kernel _Z39paged_attention_ll4mi_QKV_mfma16_kernelIDF16_DF16_LN4vllm18Fp8KVCacheDataTypeE0EDF16_Li16ELi128ELi256ELb0ELi11EEvPKT_PKT0_S7_ifPKiS9_S9_iPKfiiiPfSC_PS2_PT2_iSB_SB_
		.amdhsa_group_segment_fixed_size 0
		.amdhsa_private_segment_fixed_size 64
		.amdhsa_kernarg_size 400
		.amdhsa_user_sgpr_count 2
		.amdhsa_user_sgpr_dispatch_ptr 0
		.amdhsa_user_sgpr_queue_ptr 0
		.amdhsa_user_sgpr_kernarg_segment_ptr 1
		.amdhsa_user_sgpr_dispatch_id 0
		.amdhsa_user_sgpr_kernarg_preload_length 0
		.amdhsa_user_sgpr_kernarg_preload_offset 0
		.amdhsa_user_sgpr_private_segment_size 0
		.amdhsa_wavefront_size32 1
		.amdhsa_uses_dynamic_stack 0
		.amdhsa_enable_private_segment 1
		.amdhsa_system_sgpr_workgroup_id_x 1
		.amdhsa_system_sgpr_workgroup_id_y 0
		.amdhsa_system_sgpr_workgroup_id_z 0
		.amdhsa_system_sgpr_workgroup_info 0
		.amdhsa_system_vgpr_workitem_id 0
		.amdhsa_next_free_vgpr 51
		.amdhsa_next_free_sgpr 34
		.amdhsa_named_barrier_count 0
		.amdhsa_reserve_vcc 1
		.amdhsa_float_round_mode_32 0
		.amdhsa_float_round_mode_16_64 0
		.amdhsa_float_denorm_mode_32 3
		.amdhsa_float_denorm_mode_16_64 3
		.amdhsa_fp16_overflow 0
		.amdhsa_memory_ordered 1
		.amdhsa_forward_progress 1
		.amdhsa_inst_pref_size 1
		.amdhsa_round_robin_scheduling 0
		.amdhsa_exception_fp_ieee_invalid_op 0
		.amdhsa_exception_fp_denorm_src 0
		.amdhsa_exception_fp_ieee_div_zero 0
		.amdhsa_exception_fp_ieee_overflow 0
		.amdhsa_exception_fp_ieee_underflow 0
		.amdhsa_exception_fp_ieee_inexact 0
		.amdhsa_exception_int_div_zero 0
	.end_amdhsa_kernel
	.section	.text._Z39paged_attention_ll4mi_QKV_mfma16_kernelIDF16_DF16_LN4vllm18Fp8KVCacheDataTypeE0EDF16_Li16ELi128ELi256ELb0ELi11EEvPKT_PKT0_S7_ifPKiS9_S9_iPKfiiiPfSC_PS2_PT2_iSB_SB_,"axG",@progbits,_Z39paged_attention_ll4mi_QKV_mfma16_kernelIDF16_DF16_LN4vllm18Fp8KVCacheDataTypeE0EDF16_Li16ELi128ELi256ELb0ELi11EEvPKT_PKT0_S7_ifPKiS9_S9_iPKfiiiPfSC_PS2_PT2_iSB_SB_,comdat
.Lfunc_end296:
	.size	_Z39paged_attention_ll4mi_QKV_mfma16_kernelIDF16_DF16_LN4vllm18Fp8KVCacheDataTypeE0EDF16_Li16ELi128ELi256ELb0ELi11EEvPKT_PKT0_S7_ifPKiS9_S9_iPKfiiiPfSC_PS2_PT2_iSB_SB_, .Lfunc_end296-_Z39paged_attention_ll4mi_QKV_mfma16_kernelIDF16_DF16_LN4vllm18Fp8KVCacheDataTypeE0EDF16_Li16ELi128ELi256ELb0ELi11EEvPKT_PKT0_S7_ifPKiS9_S9_iPKfiiiPfSC_PS2_PT2_iSB_SB_
                                        ; -- End function
	.set _Z39paged_attention_ll4mi_QKV_mfma16_kernelIDF16_DF16_LN4vllm18Fp8KVCacheDataTypeE0EDF16_Li16ELi128ELi256ELb0ELi11EEvPKT_PKT0_S7_ifPKiS9_S9_iPKfiiiPfSC_PS2_PT2_iSB_SB_.num_vgpr, max(3, .L__assert_fail.num_vgpr)
	.set _Z39paged_attention_ll4mi_QKV_mfma16_kernelIDF16_DF16_LN4vllm18Fp8KVCacheDataTypeE0EDF16_Li16ELi128ELi256ELb0ELi11EEvPKT_PKT0_S7_ifPKiS9_S9_iPKfiiiPfSC_PS2_PT2_iSB_SB_.num_agpr, max(0, .L__assert_fail.num_agpr)
	.set _Z39paged_attention_ll4mi_QKV_mfma16_kernelIDF16_DF16_LN4vllm18Fp8KVCacheDataTypeE0EDF16_Li16ELi128ELi256ELb0ELi11EEvPKT_PKT0_S7_ifPKiS9_S9_iPKfiiiPfSC_PS2_PT2_iSB_SB_.numbered_sgpr, max(33, .L__assert_fail.numbered_sgpr)
	.set _Z39paged_attention_ll4mi_QKV_mfma16_kernelIDF16_DF16_LN4vllm18Fp8KVCacheDataTypeE0EDF16_Li16ELi128ELi256ELb0ELi11EEvPKT_PKT0_S7_ifPKiS9_S9_iPKfiiiPfSC_PS2_PT2_iSB_SB_.num_named_barrier, max(0, .L__assert_fail.num_named_barrier)
	.set _Z39paged_attention_ll4mi_QKV_mfma16_kernelIDF16_DF16_LN4vllm18Fp8KVCacheDataTypeE0EDF16_Li16ELi128ELi256ELb0ELi11EEvPKT_PKT0_S7_ifPKiS9_S9_iPKfiiiPfSC_PS2_PT2_iSB_SB_.private_seg_size, 0+max(.L__assert_fail.private_seg_size)
	.set _Z39paged_attention_ll4mi_QKV_mfma16_kernelIDF16_DF16_LN4vllm18Fp8KVCacheDataTypeE0EDF16_Li16ELi128ELi256ELb0ELi11EEvPKT_PKT0_S7_ifPKiS9_S9_iPKfiiiPfSC_PS2_PT2_iSB_SB_.uses_vcc, or(1, .L__assert_fail.uses_vcc)
	.set _Z39paged_attention_ll4mi_QKV_mfma16_kernelIDF16_DF16_LN4vllm18Fp8KVCacheDataTypeE0EDF16_Li16ELi128ELi256ELb0ELi11EEvPKT_PKT0_S7_ifPKiS9_S9_iPKfiiiPfSC_PS2_PT2_iSB_SB_.uses_flat_scratch, or(0, .L__assert_fail.uses_flat_scratch)
	.set _Z39paged_attention_ll4mi_QKV_mfma16_kernelIDF16_DF16_LN4vllm18Fp8KVCacheDataTypeE0EDF16_Li16ELi128ELi256ELb0ELi11EEvPKT_PKT0_S7_ifPKiS9_S9_iPKfiiiPfSC_PS2_PT2_iSB_SB_.has_dyn_sized_stack, or(0, .L__assert_fail.has_dyn_sized_stack)
	.set _Z39paged_attention_ll4mi_QKV_mfma16_kernelIDF16_DF16_LN4vllm18Fp8KVCacheDataTypeE0EDF16_Li16ELi128ELi256ELb0ELi11EEvPKT_PKT0_S7_ifPKiS9_S9_iPKfiiiPfSC_PS2_PT2_iSB_SB_.has_recursion, or(0, .L__assert_fail.has_recursion)
	.set _Z39paged_attention_ll4mi_QKV_mfma16_kernelIDF16_DF16_LN4vllm18Fp8KVCacheDataTypeE0EDF16_Li16ELi128ELi256ELb0ELi11EEvPKT_PKT0_S7_ifPKiS9_S9_iPKfiiiPfSC_PS2_PT2_iSB_SB_.has_indirect_call, or(0, .L__assert_fail.has_indirect_call)
	.section	.AMDGPU.csdata,"",@progbits
; Kernel info:
; codeLenInByte = 68
; TotalNumSgprs: 36
; NumVgprs: 51
; ScratchSize: 64
; MemoryBound: 0
; FloatMode: 240
; IeeeMode: 1
; LDSByteSize: 0 bytes/workgroup (compile time only)
; SGPRBlocks: 0
; VGPRBlocks: 3
; NumSGPRsForWavesPerEU: 36
; NumVGPRsForWavesPerEU: 51
; NamedBarCnt: 0
; Occupancy: 16
; WaveLimiterHint : 1
; COMPUTE_PGM_RSRC2:SCRATCH_EN: 1
; COMPUTE_PGM_RSRC2:USER_SGPR: 2
; COMPUTE_PGM_RSRC2:TRAP_HANDLER: 0
; COMPUTE_PGM_RSRC2:TGID_X_EN: 1
; COMPUTE_PGM_RSRC2:TGID_Y_EN: 0
; COMPUTE_PGM_RSRC2:TGID_Z_EN: 0
; COMPUTE_PGM_RSRC2:TIDIG_COMP_CNT: 0
	.section	.text._Z39paged_attention_ll4mi_QKV_mfma16_kernelIDF16_DF16_LN4vllm18Fp8KVCacheDataTypeE0EDF16_Li16ELi128ELi256ELb0ELi12EEvPKT_PKT0_S7_ifPKiS9_S9_iPKfiiiPfSC_PS2_PT2_iSB_SB_,"axG",@progbits,_Z39paged_attention_ll4mi_QKV_mfma16_kernelIDF16_DF16_LN4vllm18Fp8KVCacheDataTypeE0EDF16_Li16ELi128ELi256ELb0ELi12EEvPKT_PKT0_S7_ifPKiS9_S9_iPKfiiiPfSC_PS2_PT2_iSB_SB_,comdat
	.protected	_Z39paged_attention_ll4mi_QKV_mfma16_kernelIDF16_DF16_LN4vllm18Fp8KVCacheDataTypeE0EDF16_Li16ELi128ELi256ELb0ELi12EEvPKT_PKT0_S7_ifPKiS9_S9_iPKfiiiPfSC_PS2_PT2_iSB_SB_ ; -- Begin function _Z39paged_attention_ll4mi_QKV_mfma16_kernelIDF16_DF16_LN4vllm18Fp8KVCacheDataTypeE0EDF16_Li16ELi128ELi256ELb0ELi12EEvPKT_PKT0_S7_ifPKiS9_S9_iPKfiiiPfSC_PS2_PT2_iSB_SB_
	.globl	_Z39paged_attention_ll4mi_QKV_mfma16_kernelIDF16_DF16_LN4vllm18Fp8KVCacheDataTypeE0EDF16_Li16ELi128ELi256ELb0ELi12EEvPKT_PKT0_S7_ifPKiS9_S9_iPKfiiiPfSC_PS2_PT2_iSB_SB_
	.p2align	8
	.type	_Z39paged_attention_ll4mi_QKV_mfma16_kernelIDF16_DF16_LN4vllm18Fp8KVCacheDataTypeE0EDF16_Li16ELi128ELi256ELb0ELi12EEvPKT_PKT0_S7_ifPKiS9_S9_iPKfiiiPfSC_PS2_PT2_iSB_SB_,@function
_Z39paged_attention_ll4mi_QKV_mfma16_kernelIDF16_DF16_LN4vllm18Fp8KVCacheDataTypeE0EDF16_Li16ELi128ELi256ELb0ELi12EEvPKT_PKT0_S7_ifPKiS9_S9_iPKfiiiPfSC_PS2_PT2_iSB_SB_: ; @_Z39paged_attention_ll4mi_QKV_mfma16_kernelIDF16_DF16_LN4vllm18Fp8KVCacheDataTypeE0EDF16_Li16ELi128ELi256ELb0ELi12EEvPKT_PKT0_S7_ifPKiS9_S9_iPKfiiiPfSC_PS2_PT2_iSB_SB_
; %bb.0:
	s_get_pc_i64 s[2:3]
	s_add_nc_u64 s[2:3], s[2:3], __PRETTY_FUNCTION__._Z39paged_attention_ll4mi_QKV_mfma16_kernelIDF16_DF16_LN4vllm18Fp8KVCacheDataTypeE0EDF16_Li16ELi128ELi256ELb0ELi12EEvPKT_PKT0_S7_ifPKiS9_S9_iPKfiiiPfSC_PS2_PT2_iSB_SB_@rel64+4
	s_delay_alu instid0(SALU_CYCLE_1)
	v_dual_mov_b32 v0, 0xbb3 :: v_dual_mov_b32 v1, s2
	v_mov_b32_e32 v2, s3
	s_add_nc_u64 s[8:9], s[0:1], 0x90
	s_get_pc_i64 s[0:1]
	s_add_nc_u64 s[0:1], s[0:1], __assert_fail@rel64+4
	s_mov_b32 s32, 0
	s_swap_pc_i64 s[30:31], s[0:1]
	.section	.rodata,"a",@progbits
	.p2align	6, 0x0
	.amdhsa_kernel _Z39paged_attention_ll4mi_QKV_mfma16_kernelIDF16_DF16_LN4vllm18Fp8KVCacheDataTypeE0EDF16_Li16ELi128ELi256ELb0ELi12EEvPKT_PKT0_S7_ifPKiS9_S9_iPKfiiiPfSC_PS2_PT2_iSB_SB_
		.amdhsa_group_segment_fixed_size 0
		.amdhsa_private_segment_fixed_size 64
		.amdhsa_kernarg_size 400
		.amdhsa_user_sgpr_count 2
		.amdhsa_user_sgpr_dispatch_ptr 0
		.amdhsa_user_sgpr_queue_ptr 0
		.amdhsa_user_sgpr_kernarg_segment_ptr 1
		.amdhsa_user_sgpr_dispatch_id 0
		.amdhsa_user_sgpr_kernarg_preload_length 0
		.amdhsa_user_sgpr_kernarg_preload_offset 0
		.amdhsa_user_sgpr_private_segment_size 0
		.amdhsa_wavefront_size32 1
		.amdhsa_uses_dynamic_stack 0
		.amdhsa_enable_private_segment 1
		.amdhsa_system_sgpr_workgroup_id_x 1
		.amdhsa_system_sgpr_workgroup_id_y 0
		.amdhsa_system_sgpr_workgroup_id_z 0
		.amdhsa_system_sgpr_workgroup_info 0
		.amdhsa_system_vgpr_workitem_id 0
		.amdhsa_next_free_vgpr 51
		.amdhsa_next_free_sgpr 34
		.amdhsa_named_barrier_count 0
		.amdhsa_reserve_vcc 1
		.amdhsa_float_round_mode_32 0
		.amdhsa_float_round_mode_16_64 0
		.amdhsa_float_denorm_mode_32 3
		.amdhsa_float_denorm_mode_16_64 3
		.amdhsa_fp16_overflow 0
		.amdhsa_memory_ordered 1
		.amdhsa_forward_progress 1
		.amdhsa_inst_pref_size 1
		.amdhsa_round_robin_scheduling 0
		.amdhsa_exception_fp_ieee_invalid_op 0
		.amdhsa_exception_fp_denorm_src 0
		.amdhsa_exception_fp_ieee_div_zero 0
		.amdhsa_exception_fp_ieee_overflow 0
		.amdhsa_exception_fp_ieee_underflow 0
		.amdhsa_exception_fp_ieee_inexact 0
		.amdhsa_exception_int_div_zero 0
	.end_amdhsa_kernel
	.section	.text._Z39paged_attention_ll4mi_QKV_mfma16_kernelIDF16_DF16_LN4vllm18Fp8KVCacheDataTypeE0EDF16_Li16ELi128ELi256ELb0ELi12EEvPKT_PKT0_S7_ifPKiS9_S9_iPKfiiiPfSC_PS2_PT2_iSB_SB_,"axG",@progbits,_Z39paged_attention_ll4mi_QKV_mfma16_kernelIDF16_DF16_LN4vllm18Fp8KVCacheDataTypeE0EDF16_Li16ELi128ELi256ELb0ELi12EEvPKT_PKT0_S7_ifPKiS9_S9_iPKfiiiPfSC_PS2_PT2_iSB_SB_,comdat
.Lfunc_end297:
	.size	_Z39paged_attention_ll4mi_QKV_mfma16_kernelIDF16_DF16_LN4vllm18Fp8KVCacheDataTypeE0EDF16_Li16ELi128ELi256ELb0ELi12EEvPKT_PKT0_S7_ifPKiS9_S9_iPKfiiiPfSC_PS2_PT2_iSB_SB_, .Lfunc_end297-_Z39paged_attention_ll4mi_QKV_mfma16_kernelIDF16_DF16_LN4vllm18Fp8KVCacheDataTypeE0EDF16_Li16ELi128ELi256ELb0ELi12EEvPKT_PKT0_S7_ifPKiS9_S9_iPKfiiiPfSC_PS2_PT2_iSB_SB_
                                        ; -- End function
	.set _Z39paged_attention_ll4mi_QKV_mfma16_kernelIDF16_DF16_LN4vllm18Fp8KVCacheDataTypeE0EDF16_Li16ELi128ELi256ELb0ELi12EEvPKT_PKT0_S7_ifPKiS9_S9_iPKfiiiPfSC_PS2_PT2_iSB_SB_.num_vgpr, max(3, .L__assert_fail.num_vgpr)
	.set _Z39paged_attention_ll4mi_QKV_mfma16_kernelIDF16_DF16_LN4vllm18Fp8KVCacheDataTypeE0EDF16_Li16ELi128ELi256ELb0ELi12EEvPKT_PKT0_S7_ifPKiS9_S9_iPKfiiiPfSC_PS2_PT2_iSB_SB_.num_agpr, max(0, .L__assert_fail.num_agpr)
	.set _Z39paged_attention_ll4mi_QKV_mfma16_kernelIDF16_DF16_LN4vllm18Fp8KVCacheDataTypeE0EDF16_Li16ELi128ELi256ELb0ELi12EEvPKT_PKT0_S7_ifPKiS9_S9_iPKfiiiPfSC_PS2_PT2_iSB_SB_.numbered_sgpr, max(33, .L__assert_fail.numbered_sgpr)
	.set _Z39paged_attention_ll4mi_QKV_mfma16_kernelIDF16_DF16_LN4vllm18Fp8KVCacheDataTypeE0EDF16_Li16ELi128ELi256ELb0ELi12EEvPKT_PKT0_S7_ifPKiS9_S9_iPKfiiiPfSC_PS2_PT2_iSB_SB_.num_named_barrier, max(0, .L__assert_fail.num_named_barrier)
	.set _Z39paged_attention_ll4mi_QKV_mfma16_kernelIDF16_DF16_LN4vllm18Fp8KVCacheDataTypeE0EDF16_Li16ELi128ELi256ELb0ELi12EEvPKT_PKT0_S7_ifPKiS9_S9_iPKfiiiPfSC_PS2_PT2_iSB_SB_.private_seg_size, 0+max(.L__assert_fail.private_seg_size)
	.set _Z39paged_attention_ll4mi_QKV_mfma16_kernelIDF16_DF16_LN4vllm18Fp8KVCacheDataTypeE0EDF16_Li16ELi128ELi256ELb0ELi12EEvPKT_PKT0_S7_ifPKiS9_S9_iPKfiiiPfSC_PS2_PT2_iSB_SB_.uses_vcc, or(1, .L__assert_fail.uses_vcc)
	.set _Z39paged_attention_ll4mi_QKV_mfma16_kernelIDF16_DF16_LN4vllm18Fp8KVCacheDataTypeE0EDF16_Li16ELi128ELi256ELb0ELi12EEvPKT_PKT0_S7_ifPKiS9_S9_iPKfiiiPfSC_PS2_PT2_iSB_SB_.uses_flat_scratch, or(0, .L__assert_fail.uses_flat_scratch)
	.set _Z39paged_attention_ll4mi_QKV_mfma16_kernelIDF16_DF16_LN4vllm18Fp8KVCacheDataTypeE0EDF16_Li16ELi128ELi256ELb0ELi12EEvPKT_PKT0_S7_ifPKiS9_S9_iPKfiiiPfSC_PS2_PT2_iSB_SB_.has_dyn_sized_stack, or(0, .L__assert_fail.has_dyn_sized_stack)
	.set _Z39paged_attention_ll4mi_QKV_mfma16_kernelIDF16_DF16_LN4vllm18Fp8KVCacheDataTypeE0EDF16_Li16ELi128ELi256ELb0ELi12EEvPKT_PKT0_S7_ifPKiS9_S9_iPKfiiiPfSC_PS2_PT2_iSB_SB_.has_recursion, or(0, .L__assert_fail.has_recursion)
	.set _Z39paged_attention_ll4mi_QKV_mfma16_kernelIDF16_DF16_LN4vllm18Fp8KVCacheDataTypeE0EDF16_Li16ELi128ELi256ELb0ELi12EEvPKT_PKT0_S7_ifPKiS9_S9_iPKfiiiPfSC_PS2_PT2_iSB_SB_.has_indirect_call, or(0, .L__assert_fail.has_indirect_call)
	.section	.AMDGPU.csdata,"",@progbits
; Kernel info:
; codeLenInByte = 68
; TotalNumSgprs: 36
; NumVgprs: 51
; ScratchSize: 64
; MemoryBound: 0
; FloatMode: 240
; IeeeMode: 1
; LDSByteSize: 0 bytes/workgroup (compile time only)
; SGPRBlocks: 0
; VGPRBlocks: 3
; NumSGPRsForWavesPerEU: 36
; NumVGPRsForWavesPerEU: 51
; NamedBarCnt: 0
; Occupancy: 16
; WaveLimiterHint : 1
; COMPUTE_PGM_RSRC2:SCRATCH_EN: 1
; COMPUTE_PGM_RSRC2:USER_SGPR: 2
; COMPUTE_PGM_RSRC2:TRAP_HANDLER: 0
; COMPUTE_PGM_RSRC2:TGID_X_EN: 1
; COMPUTE_PGM_RSRC2:TGID_Y_EN: 0
; COMPUTE_PGM_RSRC2:TGID_Z_EN: 0
; COMPUTE_PGM_RSRC2:TIDIG_COMP_CNT: 0
	.section	.text._Z39paged_attention_ll4mi_QKV_mfma16_kernelIDF16_DF16_LN4vllm18Fp8KVCacheDataTypeE0EDF16_Li16ELi128ELi256ELb0ELi13EEvPKT_PKT0_S7_ifPKiS9_S9_iPKfiiiPfSC_PS2_PT2_iSB_SB_,"axG",@progbits,_Z39paged_attention_ll4mi_QKV_mfma16_kernelIDF16_DF16_LN4vllm18Fp8KVCacheDataTypeE0EDF16_Li16ELi128ELi256ELb0ELi13EEvPKT_PKT0_S7_ifPKiS9_S9_iPKfiiiPfSC_PS2_PT2_iSB_SB_,comdat
	.protected	_Z39paged_attention_ll4mi_QKV_mfma16_kernelIDF16_DF16_LN4vllm18Fp8KVCacheDataTypeE0EDF16_Li16ELi128ELi256ELb0ELi13EEvPKT_PKT0_S7_ifPKiS9_S9_iPKfiiiPfSC_PS2_PT2_iSB_SB_ ; -- Begin function _Z39paged_attention_ll4mi_QKV_mfma16_kernelIDF16_DF16_LN4vllm18Fp8KVCacheDataTypeE0EDF16_Li16ELi128ELi256ELb0ELi13EEvPKT_PKT0_S7_ifPKiS9_S9_iPKfiiiPfSC_PS2_PT2_iSB_SB_
	.globl	_Z39paged_attention_ll4mi_QKV_mfma16_kernelIDF16_DF16_LN4vllm18Fp8KVCacheDataTypeE0EDF16_Li16ELi128ELi256ELb0ELi13EEvPKT_PKT0_S7_ifPKiS9_S9_iPKfiiiPfSC_PS2_PT2_iSB_SB_
	.p2align	8
	.type	_Z39paged_attention_ll4mi_QKV_mfma16_kernelIDF16_DF16_LN4vllm18Fp8KVCacheDataTypeE0EDF16_Li16ELi128ELi256ELb0ELi13EEvPKT_PKT0_S7_ifPKiS9_S9_iPKfiiiPfSC_PS2_PT2_iSB_SB_,@function
_Z39paged_attention_ll4mi_QKV_mfma16_kernelIDF16_DF16_LN4vllm18Fp8KVCacheDataTypeE0EDF16_Li16ELi128ELi256ELb0ELi13EEvPKT_PKT0_S7_ifPKiS9_S9_iPKfiiiPfSC_PS2_PT2_iSB_SB_: ; @_Z39paged_attention_ll4mi_QKV_mfma16_kernelIDF16_DF16_LN4vllm18Fp8KVCacheDataTypeE0EDF16_Li16ELi128ELi256ELb0ELi13EEvPKT_PKT0_S7_ifPKiS9_S9_iPKfiiiPfSC_PS2_PT2_iSB_SB_
; %bb.0:
	s_get_pc_i64 s[2:3]
	s_add_nc_u64 s[2:3], s[2:3], __PRETTY_FUNCTION__._Z39paged_attention_ll4mi_QKV_mfma16_kernelIDF16_DF16_LN4vllm18Fp8KVCacheDataTypeE0EDF16_Li16ELi128ELi256ELb0ELi13EEvPKT_PKT0_S7_ifPKiS9_S9_iPKfiiiPfSC_PS2_PT2_iSB_SB_@rel64+4
	s_delay_alu instid0(SALU_CYCLE_1)
	v_dual_mov_b32 v0, 0xbb3 :: v_dual_mov_b32 v1, s2
	v_mov_b32_e32 v2, s3
	s_add_nc_u64 s[8:9], s[0:1], 0x90
	s_get_pc_i64 s[0:1]
	s_add_nc_u64 s[0:1], s[0:1], __assert_fail@rel64+4
	s_mov_b32 s32, 0
	s_swap_pc_i64 s[30:31], s[0:1]
	.section	.rodata,"a",@progbits
	.p2align	6, 0x0
	.amdhsa_kernel _Z39paged_attention_ll4mi_QKV_mfma16_kernelIDF16_DF16_LN4vllm18Fp8KVCacheDataTypeE0EDF16_Li16ELi128ELi256ELb0ELi13EEvPKT_PKT0_S7_ifPKiS9_S9_iPKfiiiPfSC_PS2_PT2_iSB_SB_
		.amdhsa_group_segment_fixed_size 0
		.amdhsa_private_segment_fixed_size 64
		.amdhsa_kernarg_size 400
		.amdhsa_user_sgpr_count 2
		.amdhsa_user_sgpr_dispatch_ptr 0
		.amdhsa_user_sgpr_queue_ptr 0
		.amdhsa_user_sgpr_kernarg_segment_ptr 1
		.amdhsa_user_sgpr_dispatch_id 0
		.amdhsa_user_sgpr_kernarg_preload_length 0
		.amdhsa_user_sgpr_kernarg_preload_offset 0
		.amdhsa_user_sgpr_private_segment_size 0
		.amdhsa_wavefront_size32 1
		.amdhsa_uses_dynamic_stack 0
		.amdhsa_enable_private_segment 1
		.amdhsa_system_sgpr_workgroup_id_x 1
		.amdhsa_system_sgpr_workgroup_id_y 0
		.amdhsa_system_sgpr_workgroup_id_z 0
		.amdhsa_system_sgpr_workgroup_info 0
		.amdhsa_system_vgpr_workitem_id 0
		.amdhsa_next_free_vgpr 51
		.amdhsa_next_free_sgpr 34
		.amdhsa_named_barrier_count 0
		.amdhsa_reserve_vcc 1
		.amdhsa_float_round_mode_32 0
		.amdhsa_float_round_mode_16_64 0
		.amdhsa_float_denorm_mode_32 3
		.amdhsa_float_denorm_mode_16_64 3
		.amdhsa_fp16_overflow 0
		.amdhsa_memory_ordered 1
		.amdhsa_forward_progress 1
		.amdhsa_inst_pref_size 1
		.amdhsa_round_robin_scheduling 0
		.amdhsa_exception_fp_ieee_invalid_op 0
		.amdhsa_exception_fp_denorm_src 0
		.amdhsa_exception_fp_ieee_div_zero 0
		.amdhsa_exception_fp_ieee_overflow 0
		.amdhsa_exception_fp_ieee_underflow 0
		.amdhsa_exception_fp_ieee_inexact 0
		.amdhsa_exception_int_div_zero 0
	.end_amdhsa_kernel
	.section	.text._Z39paged_attention_ll4mi_QKV_mfma16_kernelIDF16_DF16_LN4vllm18Fp8KVCacheDataTypeE0EDF16_Li16ELi128ELi256ELb0ELi13EEvPKT_PKT0_S7_ifPKiS9_S9_iPKfiiiPfSC_PS2_PT2_iSB_SB_,"axG",@progbits,_Z39paged_attention_ll4mi_QKV_mfma16_kernelIDF16_DF16_LN4vllm18Fp8KVCacheDataTypeE0EDF16_Li16ELi128ELi256ELb0ELi13EEvPKT_PKT0_S7_ifPKiS9_S9_iPKfiiiPfSC_PS2_PT2_iSB_SB_,comdat
.Lfunc_end298:
	.size	_Z39paged_attention_ll4mi_QKV_mfma16_kernelIDF16_DF16_LN4vllm18Fp8KVCacheDataTypeE0EDF16_Li16ELi128ELi256ELb0ELi13EEvPKT_PKT0_S7_ifPKiS9_S9_iPKfiiiPfSC_PS2_PT2_iSB_SB_, .Lfunc_end298-_Z39paged_attention_ll4mi_QKV_mfma16_kernelIDF16_DF16_LN4vllm18Fp8KVCacheDataTypeE0EDF16_Li16ELi128ELi256ELb0ELi13EEvPKT_PKT0_S7_ifPKiS9_S9_iPKfiiiPfSC_PS2_PT2_iSB_SB_
                                        ; -- End function
	.set _Z39paged_attention_ll4mi_QKV_mfma16_kernelIDF16_DF16_LN4vllm18Fp8KVCacheDataTypeE0EDF16_Li16ELi128ELi256ELb0ELi13EEvPKT_PKT0_S7_ifPKiS9_S9_iPKfiiiPfSC_PS2_PT2_iSB_SB_.num_vgpr, max(3, .L__assert_fail.num_vgpr)
	.set _Z39paged_attention_ll4mi_QKV_mfma16_kernelIDF16_DF16_LN4vllm18Fp8KVCacheDataTypeE0EDF16_Li16ELi128ELi256ELb0ELi13EEvPKT_PKT0_S7_ifPKiS9_S9_iPKfiiiPfSC_PS2_PT2_iSB_SB_.num_agpr, max(0, .L__assert_fail.num_agpr)
	.set _Z39paged_attention_ll4mi_QKV_mfma16_kernelIDF16_DF16_LN4vllm18Fp8KVCacheDataTypeE0EDF16_Li16ELi128ELi256ELb0ELi13EEvPKT_PKT0_S7_ifPKiS9_S9_iPKfiiiPfSC_PS2_PT2_iSB_SB_.numbered_sgpr, max(33, .L__assert_fail.numbered_sgpr)
	.set _Z39paged_attention_ll4mi_QKV_mfma16_kernelIDF16_DF16_LN4vllm18Fp8KVCacheDataTypeE0EDF16_Li16ELi128ELi256ELb0ELi13EEvPKT_PKT0_S7_ifPKiS9_S9_iPKfiiiPfSC_PS2_PT2_iSB_SB_.num_named_barrier, max(0, .L__assert_fail.num_named_barrier)
	.set _Z39paged_attention_ll4mi_QKV_mfma16_kernelIDF16_DF16_LN4vllm18Fp8KVCacheDataTypeE0EDF16_Li16ELi128ELi256ELb0ELi13EEvPKT_PKT0_S7_ifPKiS9_S9_iPKfiiiPfSC_PS2_PT2_iSB_SB_.private_seg_size, 0+max(.L__assert_fail.private_seg_size)
	.set _Z39paged_attention_ll4mi_QKV_mfma16_kernelIDF16_DF16_LN4vllm18Fp8KVCacheDataTypeE0EDF16_Li16ELi128ELi256ELb0ELi13EEvPKT_PKT0_S7_ifPKiS9_S9_iPKfiiiPfSC_PS2_PT2_iSB_SB_.uses_vcc, or(1, .L__assert_fail.uses_vcc)
	.set _Z39paged_attention_ll4mi_QKV_mfma16_kernelIDF16_DF16_LN4vllm18Fp8KVCacheDataTypeE0EDF16_Li16ELi128ELi256ELb0ELi13EEvPKT_PKT0_S7_ifPKiS9_S9_iPKfiiiPfSC_PS2_PT2_iSB_SB_.uses_flat_scratch, or(0, .L__assert_fail.uses_flat_scratch)
	.set _Z39paged_attention_ll4mi_QKV_mfma16_kernelIDF16_DF16_LN4vllm18Fp8KVCacheDataTypeE0EDF16_Li16ELi128ELi256ELb0ELi13EEvPKT_PKT0_S7_ifPKiS9_S9_iPKfiiiPfSC_PS2_PT2_iSB_SB_.has_dyn_sized_stack, or(0, .L__assert_fail.has_dyn_sized_stack)
	.set _Z39paged_attention_ll4mi_QKV_mfma16_kernelIDF16_DF16_LN4vllm18Fp8KVCacheDataTypeE0EDF16_Li16ELi128ELi256ELb0ELi13EEvPKT_PKT0_S7_ifPKiS9_S9_iPKfiiiPfSC_PS2_PT2_iSB_SB_.has_recursion, or(0, .L__assert_fail.has_recursion)
	.set _Z39paged_attention_ll4mi_QKV_mfma16_kernelIDF16_DF16_LN4vllm18Fp8KVCacheDataTypeE0EDF16_Li16ELi128ELi256ELb0ELi13EEvPKT_PKT0_S7_ifPKiS9_S9_iPKfiiiPfSC_PS2_PT2_iSB_SB_.has_indirect_call, or(0, .L__assert_fail.has_indirect_call)
	.section	.AMDGPU.csdata,"",@progbits
; Kernel info:
; codeLenInByte = 68
; TotalNumSgprs: 36
; NumVgprs: 51
; ScratchSize: 64
; MemoryBound: 0
; FloatMode: 240
; IeeeMode: 1
; LDSByteSize: 0 bytes/workgroup (compile time only)
; SGPRBlocks: 0
; VGPRBlocks: 3
; NumSGPRsForWavesPerEU: 36
; NumVGPRsForWavesPerEU: 51
; NamedBarCnt: 0
; Occupancy: 16
; WaveLimiterHint : 1
; COMPUTE_PGM_RSRC2:SCRATCH_EN: 1
; COMPUTE_PGM_RSRC2:USER_SGPR: 2
; COMPUTE_PGM_RSRC2:TRAP_HANDLER: 0
; COMPUTE_PGM_RSRC2:TGID_X_EN: 1
; COMPUTE_PGM_RSRC2:TGID_Y_EN: 0
; COMPUTE_PGM_RSRC2:TGID_Z_EN: 0
; COMPUTE_PGM_RSRC2:TIDIG_COMP_CNT: 0
	.section	.text._Z39paged_attention_ll4mi_QKV_mfma16_kernelIDF16_DF16_LN4vllm18Fp8KVCacheDataTypeE0EDF16_Li16ELi128ELi256ELb0ELi14EEvPKT_PKT0_S7_ifPKiS9_S9_iPKfiiiPfSC_PS2_PT2_iSB_SB_,"axG",@progbits,_Z39paged_attention_ll4mi_QKV_mfma16_kernelIDF16_DF16_LN4vllm18Fp8KVCacheDataTypeE0EDF16_Li16ELi128ELi256ELb0ELi14EEvPKT_PKT0_S7_ifPKiS9_S9_iPKfiiiPfSC_PS2_PT2_iSB_SB_,comdat
	.protected	_Z39paged_attention_ll4mi_QKV_mfma16_kernelIDF16_DF16_LN4vllm18Fp8KVCacheDataTypeE0EDF16_Li16ELi128ELi256ELb0ELi14EEvPKT_PKT0_S7_ifPKiS9_S9_iPKfiiiPfSC_PS2_PT2_iSB_SB_ ; -- Begin function _Z39paged_attention_ll4mi_QKV_mfma16_kernelIDF16_DF16_LN4vllm18Fp8KVCacheDataTypeE0EDF16_Li16ELi128ELi256ELb0ELi14EEvPKT_PKT0_S7_ifPKiS9_S9_iPKfiiiPfSC_PS2_PT2_iSB_SB_
	.globl	_Z39paged_attention_ll4mi_QKV_mfma16_kernelIDF16_DF16_LN4vllm18Fp8KVCacheDataTypeE0EDF16_Li16ELi128ELi256ELb0ELi14EEvPKT_PKT0_S7_ifPKiS9_S9_iPKfiiiPfSC_PS2_PT2_iSB_SB_
	.p2align	8
	.type	_Z39paged_attention_ll4mi_QKV_mfma16_kernelIDF16_DF16_LN4vllm18Fp8KVCacheDataTypeE0EDF16_Li16ELi128ELi256ELb0ELi14EEvPKT_PKT0_S7_ifPKiS9_S9_iPKfiiiPfSC_PS2_PT2_iSB_SB_,@function
_Z39paged_attention_ll4mi_QKV_mfma16_kernelIDF16_DF16_LN4vllm18Fp8KVCacheDataTypeE0EDF16_Li16ELi128ELi256ELb0ELi14EEvPKT_PKT0_S7_ifPKiS9_S9_iPKfiiiPfSC_PS2_PT2_iSB_SB_: ; @_Z39paged_attention_ll4mi_QKV_mfma16_kernelIDF16_DF16_LN4vllm18Fp8KVCacheDataTypeE0EDF16_Li16ELi128ELi256ELb0ELi14EEvPKT_PKT0_S7_ifPKiS9_S9_iPKfiiiPfSC_PS2_PT2_iSB_SB_
; %bb.0:
	s_get_pc_i64 s[2:3]
	s_add_nc_u64 s[2:3], s[2:3], __PRETTY_FUNCTION__._Z39paged_attention_ll4mi_QKV_mfma16_kernelIDF16_DF16_LN4vllm18Fp8KVCacheDataTypeE0EDF16_Li16ELi128ELi256ELb0ELi14EEvPKT_PKT0_S7_ifPKiS9_S9_iPKfiiiPfSC_PS2_PT2_iSB_SB_@rel64+4
	s_delay_alu instid0(SALU_CYCLE_1)
	v_dual_mov_b32 v0, 0xbb3 :: v_dual_mov_b32 v1, s2
	v_mov_b32_e32 v2, s3
	s_add_nc_u64 s[8:9], s[0:1], 0x90
	s_get_pc_i64 s[0:1]
	s_add_nc_u64 s[0:1], s[0:1], __assert_fail@rel64+4
	s_mov_b32 s32, 0
	s_swap_pc_i64 s[30:31], s[0:1]
	.section	.rodata,"a",@progbits
	.p2align	6, 0x0
	.amdhsa_kernel _Z39paged_attention_ll4mi_QKV_mfma16_kernelIDF16_DF16_LN4vllm18Fp8KVCacheDataTypeE0EDF16_Li16ELi128ELi256ELb0ELi14EEvPKT_PKT0_S7_ifPKiS9_S9_iPKfiiiPfSC_PS2_PT2_iSB_SB_
		.amdhsa_group_segment_fixed_size 0
		.amdhsa_private_segment_fixed_size 64
		.amdhsa_kernarg_size 400
		.amdhsa_user_sgpr_count 2
		.amdhsa_user_sgpr_dispatch_ptr 0
		.amdhsa_user_sgpr_queue_ptr 0
		.amdhsa_user_sgpr_kernarg_segment_ptr 1
		.amdhsa_user_sgpr_dispatch_id 0
		.amdhsa_user_sgpr_kernarg_preload_length 0
		.amdhsa_user_sgpr_kernarg_preload_offset 0
		.amdhsa_user_sgpr_private_segment_size 0
		.amdhsa_wavefront_size32 1
		.amdhsa_uses_dynamic_stack 0
		.amdhsa_enable_private_segment 1
		.amdhsa_system_sgpr_workgroup_id_x 1
		.amdhsa_system_sgpr_workgroup_id_y 0
		.amdhsa_system_sgpr_workgroup_id_z 0
		.amdhsa_system_sgpr_workgroup_info 0
		.amdhsa_system_vgpr_workitem_id 0
		.amdhsa_next_free_vgpr 51
		.amdhsa_next_free_sgpr 34
		.amdhsa_named_barrier_count 0
		.amdhsa_reserve_vcc 1
		.amdhsa_float_round_mode_32 0
		.amdhsa_float_round_mode_16_64 0
		.amdhsa_float_denorm_mode_32 3
		.amdhsa_float_denorm_mode_16_64 3
		.amdhsa_fp16_overflow 0
		.amdhsa_memory_ordered 1
		.amdhsa_forward_progress 1
		.amdhsa_inst_pref_size 1
		.amdhsa_round_robin_scheduling 0
		.amdhsa_exception_fp_ieee_invalid_op 0
		.amdhsa_exception_fp_denorm_src 0
		.amdhsa_exception_fp_ieee_div_zero 0
		.amdhsa_exception_fp_ieee_overflow 0
		.amdhsa_exception_fp_ieee_underflow 0
		.amdhsa_exception_fp_ieee_inexact 0
		.amdhsa_exception_int_div_zero 0
	.end_amdhsa_kernel
	.section	.text._Z39paged_attention_ll4mi_QKV_mfma16_kernelIDF16_DF16_LN4vllm18Fp8KVCacheDataTypeE0EDF16_Li16ELi128ELi256ELb0ELi14EEvPKT_PKT0_S7_ifPKiS9_S9_iPKfiiiPfSC_PS2_PT2_iSB_SB_,"axG",@progbits,_Z39paged_attention_ll4mi_QKV_mfma16_kernelIDF16_DF16_LN4vllm18Fp8KVCacheDataTypeE0EDF16_Li16ELi128ELi256ELb0ELi14EEvPKT_PKT0_S7_ifPKiS9_S9_iPKfiiiPfSC_PS2_PT2_iSB_SB_,comdat
.Lfunc_end299:
	.size	_Z39paged_attention_ll4mi_QKV_mfma16_kernelIDF16_DF16_LN4vllm18Fp8KVCacheDataTypeE0EDF16_Li16ELi128ELi256ELb0ELi14EEvPKT_PKT0_S7_ifPKiS9_S9_iPKfiiiPfSC_PS2_PT2_iSB_SB_, .Lfunc_end299-_Z39paged_attention_ll4mi_QKV_mfma16_kernelIDF16_DF16_LN4vllm18Fp8KVCacheDataTypeE0EDF16_Li16ELi128ELi256ELb0ELi14EEvPKT_PKT0_S7_ifPKiS9_S9_iPKfiiiPfSC_PS2_PT2_iSB_SB_
                                        ; -- End function
	.set _Z39paged_attention_ll4mi_QKV_mfma16_kernelIDF16_DF16_LN4vllm18Fp8KVCacheDataTypeE0EDF16_Li16ELi128ELi256ELb0ELi14EEvPKT_PKT0_S7_ifPKiS9_S9_iPKfiiiPfSC_PS2_PT2_iSB_SB_.num_vgpr, max(3, .L__assert_fail.num_vgpr)
	.set _Z39paged_attention_ll4mi_QKV_mfma16_kernelIDF16_DF16_LN4vllm18Fp8KVCacheDataTypeE0EDF16_Li16ELi128ELi256ELb0ELi14EEvPKT_PKT0_S7_ifPKiS9_S9_iPKfiiiPfSC_PS2_PT2_iSB_SB_.num_agpr, max(0, .L__assert_fail.num_agpr)
	.set _Z39paged_attention_ll4mi_QKV_mfma16_kernelIDF16_DF16_LN4vllm18Fp8KVCacheDataTypeE0EDF16_Li16ELi128ELi256ELb0ELi14EEvPKT_PKT0_S7_ifPKiS9_S9_iPKfiiiPfSC_PS2_PT2_iSB_SB_.numbered_sgpr, max(33, .L__assert_fail.numbered_sgpr)
	.set _Z39paged_attention_ll4mi_QKV_mfma16_kernelIDF16_DF16_LN4vllm18Fp8KVCacheDataTypeE0EDF16_Li16ELi128ELi256ELb0ELi14EEvPKT_PKT0_S7_ifPKiS9_S9_iPKfiiiPfSC_PS2_PT2_iSB_SB_.num_named_barrier, max(0, .L__assert_fail.num_named_barrier)
	.set _Z39paged_attention_ll4mi_QKV_mfma16_kernelIDF16_DF16_LN4vllm18Fp8KVCacheDataTypeE0EDF16_Li16ELi128ELi256ELb0ELi14EEvPKT_PKT0_S7_ifPKiS9_S9_iPKfiiiPfSC_PS2_PT2_iSB_SB_.private_seg_size, 0+max(.L__assert_fail.private_seg_size)
	.set _Z39paged_attention_ll4mi_QKV_mfma16_kernelIDF16_DF16_LN4vllm18Fp8KVCacheDataTypeE0EDF16_Li16ELi128ELi256ELb0ELi14EEvPKT_PKT0_S7_ifPKiS9_S9_iPKfiiiPfSC_PS2_PT2_iSB_SB_.uses_vcc, or(1, .L__assert_fail.uses_vcc)
	.set _Z39paged_attention_ll4mi_QKV_mfma16_kernelIDF16_DF16_LN4vllm18Fp8KVCacheDataTypeE0EDF16_Li16ELi128ELi256ELb0ELi14EEvPKT_PKT0_S7_ifPKiS9_S9_iPKfiiiPfSC_PS2_PT2_iSB_SB_.uses_flat_scratch, or(0, .L__assert_fail.uses_flat_scratch)
	.set _Z39paged_attention_ll4mi_QKV_mfma16_kernelIDF16_DF16_LN4vllm18Fp8KVCacheDataTypeE0EDF16_Li16ELi128ELi256ELb0ELi14EEvPKT_PKT0_S7_ifPKiS9_S9_iPKfiiiPfSC_PS2_PT2_iSB_SB_.has_dyn_sized_stack, or(0, .L__assert_fail.has_dyn_sized_stack)
	.set _Z39paged_attention_ll4mi_QKV_mfma16_kernelIDF16_DF16_LN4vllm18Fp8KVCacheDataTypeE0EDF16_Li16ELi128ELi256ELb0ELi14EEvPKT_PKT0_S7_ifPKiS9_S9_iPKfiiiPfSC_PS2_PT2_iSB_SB_.has_recursion, or(0, .L__assert_fail.has_recursion)
	.set _Z39paged_attention_ll4mi_QKV_mfma16_kernelIDF16_DF16_LN4vllm18Fp8KVCacheDataTypeE0EDF16_Li16ELi128ELi256ELb0ELi14EEvPKT_PKT0_S7_ifPKiS9_S9_iPKfiiiPfSC_PS2_PT2_iSB_SB_.has_indirect_call, or(0, .L__assert_fail.has_indirect_call)
	.section	.AMDGPU.csdata,"",@progbits
; Kernel info:
; codeLenInByte = 68
; TotalNumSgprs: 36
; NumVgprs: 51
; ScratchSize: 64
; MemoryBound: 0
; FloatMode: 240
; IeeeMode: 1
; LDSByteSize: 0 bytes/workgroup (compile time only)
; SGPRBlocks: 0
; VGPRBlocks: 3
; NumSGPRsForWavesPerEU: 36
; NumVGPRsForWavesPerEU: 51
; NamedBarCnt: 0
; Occupancy: 16
; WaveLimiterHint : 1
; COMPUTE_PGM_RSRC2:SCRATCH_EN: 1
; COMPUTE_PGM_RSRC2:USER_SGPR: 2
; COMPUTE_PGM_RSRC2:TRAP_HANDLER: 0
; COMPUTE_PGM_RSRC2:TGID_X_EN: 1
; COMPUTE_PGM_RSRC2:TGID_Y_EN: 0
; COMPUTE_PGM_RSRC2:TGID_Z_EN: 0
; COMPUTE_PGM_RSRC2:TIDIG_COMP_CNT: 0
	.section	.text._Z39paged_attention_ll4mi_QKV_mfma16_kernelIDF16_DF16_LN4vllm18Fp8KVCacheDataTypeE0EDF16_Li16ELi128ELi256ELb0ELi15EEvPKT_PKT0_S7_ifPKiS9_S9_iPKfiiiPfSC_PS2_PT2_iSB_SB_,"axG",@progbits,_Z39paged_attention_ll4mi_QKV_mfma16_kernelIDF16_DF16_LN4vllm18Fp8KVCacheDataTypeE0EDF16_Li16ELi128ELi256ELb0ELi15EEvPKT_PKT0_S7_ifPKiS9_S9_iPKfiiiPfSC_PS2_PT2_iSB_SB_,comdat
	.protected	_Z39paged_attention_ll4mi_QKV_mfma16_kernelIDF16_DF16_LN4vllm18Fp8KVCacheDataTypeE0EDF16_Li16ELi128ELi256ELb0ELi15EEvPKT_PKT0_S7_ifPKiS9_S9_iPKfiiiPfSC_PS2_PT2_iSB_SB_ ; -- Begin function _Z39paged_attention_ll4mi_QKV_mfma16_kernelIDF16_DF16_LN4vllm18Fp8KVCacheDataTypeE0EDF16_Li16ELi128ELi256ELb0ELi15EEvPKT_PKT0_S7_ifPKiS9_S9_iPKfiiiPfSC_PS2_PT2_iSB_SB_
	.globl	_Z39paged_attention_ll4mi_QKV_mfma16_kernelIDF16_DF16_LN4vllm18Fp8KVCacheDataTypeE0EDF16_Li16ELi128ELi256ELb0ELi15EEvPKT_PKT0_S7_ifPKiS9_S9_iPKfiiiPfSC_PS2_PT2_iSB_SB_
	.p2align	8
	.type	_Z39paged_attention_ll4mi_QKV_mfma16_kernelIDF16_DF16_LN4vllm18Fp8KVCacheDataTypeE0EDF16_Li16ELi128ELi256ELb0ELi15EEvPKT_PKT0_S7_ifPKiS9_S9_iPKfiiiPfSC_PS2_PT2_iSB_SB_,@function
_Z39paged_attention_ll4mi_QKV_mfma16_kernelIDF16_DF16_LN4vllm18Fp8KVCacheDataTypeE0EDF16_Li16ELi128ELi256ELb0ELi15EEvPKT_PKT0_S7_ifPKiS9_S9_iPKfiiiPfSC_PS2_PT2_iSB_SB_: ; @_Z39paged_attention_ll4mi_QKV_mfma16_kernelIDF16_DF16_LN4vllm18Fp8KVCacheDataTypeE0EDF16_Li16ELi128ELi256ELb0ELi15EEvPKT_PKT0_S7_ifPKiS9_S9_iPKfiiiPfSC_PS2_PT2_iSB_SB_
; %bb.0:
	s_get_pc_i64 s[2:3]
	s_add_nc_u64 s[2:3], s[2:3], __PRETTY_FUNCTION__._Z39paged_attention_ll4mi_QKV_mfma16_kernelIDF16_DF16_LN4vllm18Fp8KVCacheDataTypeE0EDF16_Li16ELi128ELi256ELb0ELi15EEvPKT_PKT0_S7_ifPKiS9_S9_iPKfiiiPfSC_PS2_PT2_iSB_SB_@rel64+4
	s_delay_alu instid0(SALU_CYCLE_1)
	v_dual_mov_b32 v0, 0xbb3 :: v_dual_mov_b32 v1, s2
	v_mov_b32_e32 v2, s3
	s_add_nc_u64 s[8:9], s[0:1], 0x90
	s_get_pc_i64 s[0:1]
	s_add_nc_u64 s[0:1], s[0:1], __assert_fail@rel64+4
	s_mov_b32 s32, 0
	s_swap_pc_i64 s[30:31], s[0:1]
	.section	.rodata,"a",@progbits
	.p2align	6, 0x0
	.amdhsa_kernel _Z39paged_attention_ll4mi_QKV_mfma16_kernelIDF16_DF16_LN4vllm18Fp8KVCacheDataTypeE0EDF16_Li16ELi128ELi256ELb0ELi15EEvPKT_PKT0_S7_ifPKiS9_S9_iPKfiiiPfSC_PS2_PT2_iSB_SB_
		.amdhsa_group_segment_fixed_size 0
		.amdhsa_private_segment_fixed_size 64
		.amdhsa_kernarg_size 400
		.amdhsa_user_sgpr_count 2
		.amdhsa_user_sgpr_dispatch_ptr 0
		.amdhsa_user_sgpr_queue_ptr 0
		.amdhsa_user_sgpr_kernarg_segment_ptr 1
		.amdhsa_user_sgpr_dispatch_id 0
		.amdhsa_user_sgpr_kernarg_preload_length 0
		.amdhsa_user_sgpr_kernarg_preload_offset 0
		.amdhsa_user_sgpr_private_segment_size 0
		.amdhsa_wavefront_size32 1
		.amdhsa_uses_dynamic_stack 0
		.amdhsa_enable_private_segment 1
		.amdhsa_system_sgpr_workgroup_id_x 1
		.amdhsa_system_sgpr_workgroup_id_y 0
		.amdhsa_system_sgpr_workgroup_id_z 0
		.amdhsa_system_sgpr_workgroup_info 0
		.amdhsa_system_vgpr_workitem_id 0
		.amdhsa_next_free_vgpr 51
		.amdhsa_next_free_sgpr 34
		.amdhsa_named_barrier_count 0
		.amdhsa_reserve_vcc 1
		.amdhsa_float_round_mode_32 0
		.amdhsa_float_round_mode_16_64 0
		.amdhsa_float_denorm_mode_32 3
		.amdhsa_float_denorm_mode_16_64 3
		.amdhsa_fp16_overflow 0
		.amdhsa_memory_ordered 1
		.amdhsa_forward_progress 1
		.amdhsa_inst_pref_size 1
		.amdhsa_round_robin_scheduling 0
		.amdhsa_exception_fp_ieee_invalid_op 0
		.amdhsa_exception_fp_denorm_src 0
		.amdhsa_exception_fp_ieee_div_zero 0
		.amdhsa_exception_fp_ieee_overflow 0
		.amdhsa_exception_fp_ieee_underflow 0
		.amdhsa_exception_fp_ieee_inexact 0
		.amdhsa_exception_int_div_zero 0
	.end_amdhsa_kernel
	.section	.text._Z39paged_attention_ll4mi_QKV_mfma16_kernelIDF16_DF16_LN4vllm18Fp8KVCacheDataTypeE0EDF16_Li16ELi128ELi256ELb0ELi15EEvPKT_PKT0_S7_ifPKiS9_S9_iPKfiiiPfSC_PS2_PT2_iSB_SB_,"axG",@progbits,_Z39paged_attention_ll4mi_QKV_mfma16_kernelIDF16_DF16_LN4vllm18Fp8KVCacheDataTypeE0EDF16_Li16ELi128ELi256ELb0ELi15EEvPKT_PKT0_S7_ifPKiS9_S9_iPKfiiiPfSC_PS2_PT2_iSB_SB_,comdat
.Lfunc_end300:
	.size	_Z39paged_attention_ll4mi_QKV_mfma16_kernelIDF16_DF16_LN4vllm18Fp8KVCacheDataTypeE0EDF16_Li16ELi128ELi256ELb0ELi15EEvPKT_PKT0_S7_ifPKiS9_S9_iPKfiiiPfSC_PS2_PT2_iSB_SB_, .Lfunc_end300-_Z39paged_attention_ll4mi_QKV_mfma16_kernelIDF16_DF16_LN4vllm18Fp8KVCacheDataTypeE0EDF16_Li16ELi128ELi256ELb0ELi15EEvPKT_PKT0_S7_ifPKiS9_S9_iPKfiiiPfSC_PS2_PT2_iSB_SB_
                                        ; -- End function
	.set _Z39paged_attention_ll4mi_QKV_mfma16_kernelIDF16_DF16_LN4vllm18Fp8KVCacheDataTypeE0EDF16_Li16ELi128ELi256ELb0ELi15EEvPKT_PKT0_S7_ifPKiS9_S9_iPKfiiiPfSC_PS2_PT2_iSB_SB_.num_vgpr, max(3, .L__assert_fail.num_vgpr)
	.set _Z39paged_attention_ll4mi_QKV_mfma16_kernelIDF16_DF16_LN4vllm18Fp8KVCacheDataTypeE0EDF16_Li16ELi128ELi256ELb0ELi15EEvPKT_PKT0_S7_ifPKiS9_S9_iPKfiiiPfSC_PS2_PT2_iSB_SB_.num_agpr, max(0, .L__assert_fail.num_agpr)
	.set _Z39paged_attention_ll4mi_QKV_mfma16_kernelIDF16_DF16_LN4vllm18Fp8KVCacheDataTypeE0EDF16_Li16ELi128ELi256ELb0ELi15EEvPKT_PKT0_S7_ifPKiS9_S9_iPKfiiiPfSC_PS2_PT2_iSB_SB_.numbered_sgpr, max(33, .L__assert_fail.numbered_sgpr)
	.set _Z39paged_attention_ll4mi_QKV_mfma16_kernelIDF16_DF16_LN4vllm18Fp8KVCacheDataTypeE0EDF16_Li16ELi128ELi256ELb0ELi15EEvPKT_PKT0_S7_ifPKiS9_S9_iPKfiiiPfSC_PS2_PT2_iSB_SB_.num_named_barrier, max(0, .L__assert_fail.num_named_barrier)
	.set _Z39paged_attention_ll4mi_QKV_mfma16_kernelIDF16_DF16_LN4vllm18Fp8KVCacheDataTypeE0EDF16_Li16ELi128ELi256ELb0ELi15EEvPKT_PKT0_S7_ifPKiS9_S9_iPKfiiiPfSC_PS2_PT2_iSB_SB_.private_seg_size, 0+max(.L__assert_fail.private_seg_size)
	.set _Z39paged_attention_ll4mi_QKV_mfma16_kernelIDF16_DF16_LN4vllm18Fp8KVCacheDataTypeE0EDF16_Li16ELi128ELi256ELb0ELi15EEvPKT_PKT0_S7_ifPKiS9_S9_iPKfiiiPfSC_PS2_PT2_iSB_SB_.uses_vcc, or(1, .L__assert_fail.uses_vcc)
	.set _Z39paged_attention_ll4mi_QKV_mfma16_kernelIDF16_DF16_LN4vllm18Fp8KVCacheDataTypeE0EDF16_Li16ELi128ELi256ELb0ELi15EEvPKT_PKT0_S7_ifPKiS9_S9_iPKfiiiPfSC_PS2_PT2_iSB_SB_.uses_flat_scratch, or(0, .L__assert_fail.uses_flat_scratch)
	.set _Z39paged_attention_ll4mi_QKV_mfma16_kernelIDF16_DF16_LN4vllm18Fp8KVCacheDataTypeE0EDF16_Li16ELi128ELi256ELb0ELi15EEvPKT_PKT0_S7_ifPKiS9_S9_iPKfiiiPfSC_PS2_PT2_iSB_SB_.has_dyn_sized_stack, or(0, .L__assert_fail.has_dyn_sized_stack)
	.set _Z39paged_attention_ll4mi_QKV_mfma16_kernelIDF16_DF16_LN4vllm18Fp8KVCacheDataTypeE0EDF16_Li16ELi128ELi256ELb0ELi15EEvPKT_PKT0_S7_ifPKiS9_S9_iPKfiiiPfSC_PS2_PT2_iSB_SB_.has_recursion, or(0, .L__assert_fail.has_recursion)
	.set _Z39paged_attention_ll4mi_QKV_mfma16_kernelIDF16_DF16_LN4vllm18Fp8KVCacheDataTypeE0EDF16_Li16ELi128ELi256ELb0ELi15EEvPKT_PKT0_S7_ifPKiS9_S9_iPKfiiiPfSC_PS2_PT2_iSB_SB_.has_indirect_call, or(0, .L__assert_fail.has_indirect_call)
	.section	.AMDGPU.csdata,"",@progbits
; Kernel info:
; codeLenInByte = 68
; TotalNumSgprs: 36
; NumVgprs: 51
; ScratchSize: 64
; MemoryBound: 0
; FloatMode: 240
; IeeeMode: 1
; LDSByteSize: 0 bytes/workgroup (compile time only)
; SGPRBlocks: 0
; VGPRBlocks: 3
; NumSGPRsForWavesPerEU: 36
; NumVGPRsForWavesPerEU: 51
; NamedBarCnt: 0
; Occupancy: 16
; WaveLimiterHint : 1
; COMPUTE_PGM_RSRC2:SCRATCH_EN: 1
; COMPUTE_PGM_RSRC2:USER_SGPR: 2
; COMPUTE_PGM_RSRC2:TRAP_HANDLER: 0
; COMPUTE_PGM_RSRC2:TGID_X_EN: 1
; COMPUTE_PGM_RSRC2:TGID_Y_EN: 0
; COMPUTE_PGM_RSRC2:TGID_Z_EN: 0
; COMPUTE_PGM_RSRC2:TIDIG_COMP_CNT: 0
	.section	.text._Z39paged_attention_ll4mi_QKV_mfma16_kernelIDF16_DF16_LN4vllm18Fp8KVCacheDataTypeE0EDF16_Li16ELi128ELi256ELb0ELi16EEvPKT_PKT0_S7_ifPKiS9_S9_iPKfiiiPfSC_PS2_PT2_iSB_SB_,"axG",@progbits,_Z39paged_attention_ll4mi_QKV_mfma16_kernelIDF16_DF16_LN4vllm18Fp8KVCacheDataTypeE0EDF16_Li16ELi128ELi256ELb0ELi16EEvPKT_PKT0_S7_ifPKiS9_S9_iPKfiiiPfSC_PS2_PT2_iSB_SB_,comdat
	.protected	_Z39paged_attention_ll4mi_QKV_mfma16_kernelIDF16_DF16_LN4vllm18Fp8KVCacheDataTypeE0EDF16_Li16ELi128ELi256ELb0ELi16EEvPKT_PKT0_S7_ifPKiS9_S9_iPKfiiiPfSC_PS2_PT2_iSB_SB_ ; -- Begin function _Z39paged_attention_ll4mi_QKV_mfma16_kernelIDF16_DF16_LN4vllm18Fp8KVCacheDataTypeE0EDF16_Li16ELi128ELi256ELb0ELi16EEvPKT_PKT0_S7_ifPKiS9_S9_iPKfiiiPfSC_PS2_PT2_iSB_SB_
	.globl	_Z39paged_attention_ll4mi_QKV_mfma16_kernelIDF16_DF16_LN4vllm18Fp8KVCacheDataTypeE0EDF16_Li16ELi128ELi256ELb0ELi16EEvPKT_PKT0_S7_ifPKiS9_S9_iPKfiiiPfSC_PS2_PT2_iSB_SB_
	.p2align	8
	.type	_Z39paged_attention_ll4mi_QKV_mfma16_kernelIDF16_DF16_LN4vllm18Fp8KVCacheDataTypeE0EDF16_Li16ELi128ELi256ELb0ELi16EEvPKT_PKT0_S7_ifPKiS9_S9_iPKfiiiPfSC_PS2_PT2_iSB_SB_,@function
_Z39paged_attention_ll4mi_QKV_mfma16_kernelIDF16_DF16_LN4vllm18Fp8KVCacheDataTypeE0EDF16_Li16ELi128ELi256ELb0ELi16EEvPKT_PKT0_S7_ifPKiS9_S9_iPKfiiiPfSC_PS2_PT2_iSB_SB_: ; @_Z39paged_attention_ll4mi_QKV_mfma16_kernelIDF16_DF16_LN4vllm18Fp8KVCacheDataTypeE0EDF16_Li16ELi128ELi256ELb0ELi16EEvPKT_PKT0_S7_ifPKiS9_S9_iPKfiiiPfSC_PS2_PT2_iSB_SB_
; %bb.0:
	s_get_pc_i64 s[2:3]
	s_add_nc_u64 s[2:3], s[2:3], __PRETTY_FUNCTION__._Z39paged_attention_ll4mi_QKV_mfma16_kernelIDF16_DF16_LN4vllm18Fp8KVCacheDataTypeE0EDF16_Li16ELi128ELi256ELb0ELi16EEvPKT_PKT0_S7_ifPKiS9_S9_iPKfiiiPfSC_PS2_PT2_iSB_SB_@rel64+4
	s_delay_alu instid0(SALU_CYCLE_1)
	v_dual_mov_b32 v0, 0xbb3 :: v_dual_mov_b32 v1, s2
	v_mov_b32_e32 v2, s3
	s_add_nc_u64 s[8:9], s[0:1], 0x90
	s_get_pc_i64 s[0:1]
	s_add_nc_u64 s[0:1], s[0:1], __assert_fail@rel64+4
	s_mov_b32 s32, 0
	s_swap_pc_i64 s[30:31], s[0:1]
	.section	.rodata,"a",@progbits
	.p2align	6, 0x0
	.amdhsa_kernel _Z39paged_attention_ll4mi_QKV_mfma16_kernelIDF16_DF16_LN4vllm18Fp8KVCacheDataTypeE0EDF16_Li16ELi128ELi256ELb0ELi16EEvPKT_PKT0_S7_ifPKiS9_S9_iPKfiiiPfSC_PS2_PT2_iSB_SB_
		.amdhsa_group_segment_fixed_size 0
		.amdhsa_private_segment_fixed_size 64
		.amdhsa_kernarg_size 400
		.amdhsa_user_sgpr_count 2
		.amdhsa_user_sgpr_dispatch_ptr 0
		.amdhsa_user_sgpr_queue_ptr 0
		.amdhsa_user_sgpr_kernarg_segment_ptr 1
		.amdhsa_user_sgpr_dispatch_id 0
		.amdhsa_user_sgpr_kernarg_preload_length 0
		.amdhsa_user_sgpr_kernarg_preload_offset 0
		.amdhsa_user_sgpr_private_segment_size 0
		.amdhsa_wavefront_size32 1
		.amdhsa_uses_dynamic_stack 0
		.amdhsa_enable_private_segment 1
		.amdhsa_system_sgpr_workgroup_id_x 1
		.amdhsa_system_sgpr_workgroup_id_y 0
		.amdhsa_system_sgpr_workgroup_id_z 0
		.amdhsa_system_sgpr_workgroup_info 0
		.amdhsa_system_vgpr_workitem_id 0
		.amdhsa_next_free_vgpr 51
		.amdhsa_next_free_sgpr 34
		.amdhsa_named_barrier_count 0
		.amdhsa_reserve_vcc 1
		.amdhsa_float_round_mode_32 0
		.amdhsa_float_round_mode_16_64 0
		.amdhsa_float_denorm_mode_32 3
		.amdhsa_float_denorm_mode_16_64 3
		.amdhsa_fp16_overflow 0
		.amdhsa_memory_ordered 1
		.amdhsa_forward_progress 1
		.amdhsa_inst_pref_size 1
		.amdhsa_round_robin_scheduling 0
		.amdhsa_exception_fp_ieee_invalid_op 0
		.amdhsa_exception_fp_denorm_src 0
		.amdhsa_exception_fp_ieee_div_zero 0
		.amdhsa_exception_fp_ieee_overflow 0
		.amdhsa_exception_fp_ieee_underflow 0
		.amdhsa_exception_fp_ieee_inexact 0
		.amdhsa_exception_int_div_zero 0
	.end_amdhsa_kernel
	.section	.text._Z39paged_attention_ll4mi_QKV_mfma16_kernelIDF16_DF16_LN4vllm18Fp8KVCacheDataTypeE0EDF16_Li16ELi128ELi256ELb0ELi16EEvPKT_PKT0_S7_ifPKiS9_S9_iPKfiiiPfSC_PS2_PT2_iSB_SB_,"axG",@progbits,_Z39paged_attention_ll4mi_QKV_mfma16_kernelIDF16_DF16_LN4vllm18Fp8KVCacheDataTypeE0EDF16_Li16ELi128ELi256ELb0ELi16EEvPKT_PKT0_S7_ifPKiS9_S9_iPKfiiiPfSC_PS2_PT2_iSB_SB_,comdat
.Lfunc_end301:
	.size	_Z39paged_attention_ll4mi_QKV_mfma16_kernelIDF16_DF16_LN4vllm18Fp8KVCacheDataTypeE0EDF16_Li16ELi128ELi256ELb0ELi16EEvPKT_PKT0_S7_ifPKiS9_S9_iPKfiiiPfSC_PS2_PT2_iSB_SB_, .Lfunc_end301-_Z39paged_attention_ll4mi_QKV_mfma16_kernelIDF16_DF16_LN4vllm18Fp8KVCacheDataTypeE0EDF16_Li16ELi128ELi256ELb0ELi16EEvPKT_PKT0_S7_ifPKiS9_S9_iPKfiiiPfSC_PS2_PT2_iSB_SB_
                                        ; -- End function
	.set _Z39paged_attention_ll4mi_QKV_mfma16_kernelIDF16_DF16_LN4vllm18Fp8KVCacheDataTypeE0EDF16_Li16ELi128ELi256ELb0ELi16EEvPKT_PKT0_S7_ifPKiS9_S9_iPKfiiiPfSC_PS2_PT2_iSB_SB_.num_vgpr, max(3, .L__assert_fail.num_vgpr)
	.set _Z39paged_attention_ll4mi_QKV_mfma16_kernelIDF16_DF16_LN4vllm18Fp8KVCacheDataTypeE0EDF16_Li16ELi128ELi256ELb0ELi16EEvPKT_PKT0_S7_ifPKiS9_S9_iPKfiiiPfSC_PS2_PT2_iSB_SB_.num_agpr, max(0, .L__assert_fail.num_agpr)
	.set _Z39paged_attention_ll4mi_QKV_mfma16_kernelIDF16_DF16_LN4vllm18Fp8KVCacheDataTypeE0EDF16_Li16ELi128ELi256ELb0ELi16EEvPKT_PKT0_S7_ifPKiS9_S9_iPKfiiiPfSC_PS2_PT2_iSB_SB_.numbered_sgpr, max(33, .L__assert_fail.numbered_sgpr)
	.set _Z39paged_attention_ll4mi_QKV_mfma16_kernelIDF16_DF16_LN4vllm18Fp8KVCacheDataTypeE0EDF16_Li16ELi128ELi256ELb0ELi16EEvPKT_PKT0_S7_ifPKiS9_S9_iPKfiiiPfSC_PS2_PT2_iSB_SB_.num_named_barrier, max(0, .L__assert_fail.num_named_barrier)
	.set _Z39paged_attention_ll4mi_QKV_mfma16_kernelIDF16_DF16_LN4vllm18Fp8KVCacheDataTypeE0EDF16_Li16ELi128ELi256ELb0ELi16EEvPKT_PKT0_S7_ifPKiS9_S9_iPKfiiiPfSC_PS2_PT2_iSB_SB_.private_seg_size, 0+max(.L__assert_fail.private_seg_size)
	.set _Z39paged_attention_ll4mi_QKV_mfma16_kernelIDF16_DF16_LN4vllm18Fp8KVCacheDataTypeE0EDF16_Li16ELi128ELi256ELb0ELi16EEvPKT_PKT0_S7_ifPKiS9_S9_iPKfiiiPfSC_PS2_PT2_iSB_SB_.uses_vcc, or(1, .L__assert_fail.uses_vcc)
	.set _Z39paged_attention_ll4mi_QKV_mfma16_kernelIDF16_DF16_LN4vllm18Fp8KVCacheDataTypeE0EDF16_Li16ELi128ELi256ELb0ELi16EEvPKT_PKT0_S7_ifPKiS9_S9_iPKfiiiPfSC_PS2_PT2_iSB_SB_.uses_flat_scratch, or(0, .L__assert_fail.uses_flat_scratch)
	.set _Z39paged_attention_ll4mi_QKV_mfma16_kernelIDF16_DF16_LN4vllm18Fp8KVCacheDataTypeE0EDF16_Li16ELi128ELi256ELb0ELi16EEvPKT_PKT0_S7_ifPKiS9_S9_iPKfiiiPfSC_PS2_PT2_iSB_SB_.has_dyn_sized_stack, or(0, .L__assert_fail.has_dyn_sized_stack)
	.set _Z39paged_attention_ll4mi_QKV_mfma16_kernelIDF16_DF16_LN4vllm18Fp8KVCacheDataTypeE0EDF16_Li16ELi128ELi256ELb0ELi16EEvPKT_PKT0_S7_ifPKiS9_S9_iPKfiiiPfSC_PS2_PT2_iSB_SB_.has_recursion, or(0, .L__assert_fail.has_recursion)
	.set _Z39paged_attention_ll4mi_QKV_mfma16_kernelIDF16_DF16_LN4vllm18Fp8KVCacheDataTypeE0EDF16_Li16ELi128ELi256ELb0ELi16EEvPKT_PKT0_S7_ifPKiS9_S9_iPKfiiiPfSC_PS2_PT2_iSB_SB_.has_indirect_call, or(0, .L__assert_fail.has_indirect_call)
	.section	.AMDGPU.csdata,"",@progbits
; Kernel info:
; codeLenInByte = 68
; TotalNumSgprs: 36
; NumVgprs: 51
; ScratchSize: 64
; MemoryBound: 0
; FloatMode: 240
; IeeeMode: 1
; LDSByteSize: 0 bytes/workgroup (compile time only)
; SGPRBlocks: 0
; VGPRBlocks: 3
; NumSGPRsForWavesPerEU: 36
; NumVGPRsForWavesPerEU: 51
; NamedBarCnt: 0
; Occupancy: 16
; WaveLimiterHint : 1
; COMPUTE_PGM_RSRC2:SCRATCH_EN: 1
; COMPUTE_PGM_RSRC2:USER_SGPR: 2
; COMPUTE_PGM_RSRC2:TRAP_HANDLER: 0
; COMPUTE_PGM_RSRC2:TGID_X_EN: 1
; COMPUTE_PGM_RSRC2:TGID_Y_EN: 0
; COMPUTE_PGM_RSRC2:TGID_Z_EN: 0
; COMPUTE_PGM_RSRC2:TIDIG_COMP_CNT: 0
	.section	.text._Z39paged_attention_ll4mi_QKV_mfma16_kernelIDF16_DF16_LN4vllm18Fp8KVCacheDataTypeE0EDF16_Li16ELi128ELi256ELb0ELi1EEvPKT_PKT0_S7_ifPKiS9_S9_iPKfiiiPfSC_PS2_PT2_iSB_SB_,"axG",@progbits,_Z39paged_attention_ll4mi_QKV_mfma16_kernelIDF16_DF16_LN4vllm18Fp8KVCacheDataTypeE0EDF16_Li16ELi128ELi256ELb0ELi1EEvPKT_PKT0_S7_ifPKiS9_S9_iPKfiiiPfSC_PS2_PT2_iSB_SB_,comdat
	.protected	_Z39paged_attention_ll4mi_QKV_mfma16_kernelIDF16_DF16_LN4vllm18Fp8KVCacheDataTypeE0EDF16_Li16ELi128ELi256ELb0ELi1EEvPKT_PKT0_S7_ifPKiS9_S9_iPKfiiiPfSC_PS2_PT2_iSB_SB_ ; -- Begin function _Z39paged_attention_ll4mi_QKV_mfma16_kernelIDF16_DF16_LN4vllm18Fp8KVCacheDataTypeE0EDF16_Li16ELi128ELi256ELb0ELi1EEvPKT_PKT0_S7_ifPKiS9_S9_iPKfiiiPfSC_PS2_PT2_iSB_SB_
	.globl	_Z39paged_attention_ll4mi_QKV_mfma16_kernelIDF16_DF16_LN4vllm18Fp8KVCacheDataTypeE0EDF16_Li16ELi128ELi256ELb0ELi1EEvPKT_PKT0_S7_ifPKiS9_S9_iPKfiiiPfSC_PS2_PT2_iSB_SB_
	.p2align	8
	.type	_Z39paged_attention_ll4mi_QKV_mfma16_kernelIDF16_DF16_LN4vllm18Fp8KVCacheDataTypeE0EDF16_Li16ELi128ELi256ELb0ELi1EEvPKT_PKT0_S7_ifPKiS9_S9_iPKfiiiPfSC_PS2_PT2_iSB_SB_,@function
_Z39paged_attention_ll4mi_QKV_mfma16_kernelIDF16_DF16_LN4vllm18Fp8KVCacheDataTypeE0EDF16_Li16ELi128ELi256ELb0ELi1EEvPKT_PKT0_S7_ifPKiS9_S9_iPKfiiiPfSC_PS2_PT2_iSB_SB_: ; @_Z39paged_attention_ll4mi_QKV_mfma16_kernelIDF16_DF16_LN4vllm18Fp8KVCacheDataTypeE0EDF16_Li16ELi128ELi256ELb0ELi1EEvPKT_PKT0_S7_ifPKiS9_S9_iPKfiiiPfSC_PS2_PT2_iSB_SB_
; %bb.0:
	s_get_pc_i64 s[2:3]
	s_add_nc_u64 s[2:3], s[2:3], __PRETTY_FUNCTION__._Z39paged_attention_ll4mi_QKV_mfma16_kernelIDF16_DF16_LN4vllm18Fp8KVCacheDataTypeE0EDF16_Li16ELi128ELi256ELb0ELi1EEvPKT_PKT0_S7_ifPKiS9_S9_iPKfiiiPfSC_PS2_PT2_iSB_SB_@rel64+4
	s_delay_alu instid0(SALU_CYCLE_1)
	v_dual_mov_b32 v0, 0xbb3 :: v_dual_mov_b32 v1, s2
	v_mov_b32_e32 v2, s3
	s_add_nc_u64 s[8:9], s[0:1], 0x90
	s_get_pc_i64 s[0:1]
	s_add_nc_u64 s[0:1], s[0:1], __assert_fail@rel64+4
	s_mov_b32 s32, 0
	s_swap_pc_i64 s[30:31], s[0:1]
	.section	.rodata,"a",@progbits
	.p2align	6, 0x0
	.amdhsa_kernel _Z39paged_attention_ll4mi_QKV_mfma16_kernelIDF16_DF16_LN4vllm18Fp8KVCacheDataTypeE0EDF16_Li16ELi128ELi256ELb0ELi1EEvPKT_PKT0_S7_ifPKiS9_S9_iPKfiiiPfSC_PS2_PT2_iSB_SB_
		.amdhsa_group_segment_fixed_size 0
		.amdhsa_private_segment_fixed_size 64
		.amdhsa_kernarg_size 400
		.amdhsa_user_sgpr_count 2
		.amdhsa_user_sgpr_dispatch_ptr 0
		.amdhsa_user_sgpr_queue_ptr 0
		.amdhsa_user_sgpr_kernarg_segment_ptr 1
		.amdhsa_user_sgpr_dispatch_id 0
		.amdhsa_user_sgpr_kernarg_preload_length 0
		.amdhsa_user_sgpr_kernarg_preload_offset 0
		.amdhsa_user_sgpr_private_segment_size 0
		.amdhsa_wavefront_size32 1
		.amdhsa_uses_dynamic_stack 0
		.amdhsa_enable_private_segment 1
		.amdhsa_system_sgpr_workgroup_id_x 1
		.amdhsa_system_sgpr_workgroup_id_y 0
		.amdhsa_system_sgpr_workgroup_id_z 0
		.amdhsa_system_sgpr_workgroup_info 0
		.amdhsa_system_vgpr_workitem_id 0
		.amdhsa_next_free_vgpr 51
		.amdhsa_next_free_sgpr 34
		.amdhsa_named_barrier_count 0
		.amdhsa_reserve_vcc 1
		.amdhsa_float_round_mode_32 0
		.amdhsa_float_round_mode_16_64 0
		.amdhsa_float_denorm_mode_32 3
		.amdhsa_float_denorm_mode_16_64 3
		.amdhsa_fp16_overflow 0
		.amdhsa_memory_ordered 1
		.amdhsa_forward_progress 1
		.amdhsa_inst_pref_size 1
		.amdhsa_round_robin_scheduling 0
		.amdhsa_exception_fp_ieee_invalid_op 0
		.amdhsa_exception_fp_denorm_src 0
		.amdhsa_exception_fp_ieee_div_zero 0
		.amdhsa_exception_fp_ieee_overflow 0
		.amdhsa_exception_fp_ieee_underflow 0
		.amdhsa_exception_fp_ieee_inexact 0
		.amdhsa_exception_int_div_zero 0
	.end_amdhsa_kernel
	.section	.text._Z39paged_attention_ll4mi_QKV_mfma16_kernelIDF16_DF16_LN4vllm18Fp8KVCacheDataTypeE0EDF16_Li16ELi128ELi256ELb0ELi1EEvPKT_PKT0_S7_ifPKiS9_S9_iPKfiiiPfSC_PS2_PT2_iSB_SB_,"axG",@progbits,_Z39paged_attention_ll4mi_QKV_mfma16_kernelIDF16_DF16_LN4vllm18Fp8KVCacheDataTypeE0EDF16_Li16ELi128ELi256ELb0ELi1EEvPKT_PKT0_S7_ifPKiS9_S9_iPKfiiiPfSC_PS2_PT2_iSB_SB_,comdat
.Lfunc_end302:
	.size	_Z39paged_attention_ll4mi_QKV_mfma16_kernelIDF16_DF16_LN4vllm18Fp8KVCacheDataTypeE0EDF16_Li16ELi128ELi256ELb0ELi1EEvPKT_PKT0_S7_ifPKiS9_S9_iPKfiiiPfSC_PS2_PT2_iSB_SB_, .Lfunc_end302-_Z39paged_attention_ll4mi_QKV_mfma16_kernelIDF16_DF16_LN4vllm18Fp8KVCacheDataTypeE0EDF16_Li16ELi128ELi256ELb0ELi1EEvPKT_PKT0_S7_ifPKiS9_S9_iPKfiiiPfSC_PS2_PT2_iSB_SB_
                                        ; -- End function
	.set _Z39paged_attention_ll4mi_QKV_mfma16_kernelIDF16_DF16_LN4vllm18Fp8KVCacheDataTypeE0EDF16_Li16ELi128ELi256ELb0ELi1EEvPKT_PKT0_S7_ifPKiS9_S9_iPKfiiiPfSC_PS2_PT2_iSB_SB_.num_vgpr, max(3, .L__assert_fail.num_vgpr)
	.set _Z39paged_attention_ll4mi_QKV_mfma16_kernelIDF16_DF16_LN4vllm18Fp8KVCacheDataTypeE0EDF16_Li16ELi128ELi256ELb0ELi1EEvPKT_PKT0_S7_ifPKiS9_S9_iPKfiiiPfSC_PS2_PT2_iSB_SB_.num_agpr, max(0, .L__assert_fail.num_agpr)
	.set _Z39paged_attention_ll4mi_QKV_mfma16_kernelIDF16_DF16_LN4vllm18Fp8KVCacheDataTypeE0EDF16_Li16ELi128ELi256ELb0ELi1EEvPKT_PKT0_S7_ifPKiS9_S9_iPKfiiiPfSC_PS2_PT2_iSB_SB_.numbered_sgpr, max(33, .L__assert_fail.numbered_sgpr)
	.set _Z39paged_attention_ll4mi_QKV_mfma16_kernelIDF16_DF16_LN4vllm18Fp8KVCacheDataTypeE0EDF16_Li16ELi128ELi256ELb0ELi1EEvPKT_PKT0_S7_ifPKiS9_S9_iPKfiiiPfSC_PS2_PT2_iSB_SB_.num_named_barrier, max(0, .L__assert_fail.num_named_barrier)
	.set _Z39paged_attention_ll4mi_QKV_mfma16_kernelIDF16_DF16_LN4vllm18Fp8KVCacheDataTypeE0EDF16_Li16ELi128ELi256ELb0ELi1EEvPKT_PKT0_S7_ifPKiS9_S9_iPKfiiiPfSC_PS2_PT2_iSB_SB_.private_seg_size, 0+max(.L__assert_fail.private_seg_size)
	.set _Z39paged_attention_ll4mi_QKV_mfma16_kernelIDF16_DF16_LN4vllm18Fp8KVCacheDataTypeE0EDF16_Li16ELi128ELi256ELb0ELi1EEvPKT_PKT0_S7_ifPKiS9_S9_iPKfiiiPfSC_PS2_PT2_iSB_SB_.uses_vcc, or(1, .L__assert_fail.uses_vcc)
	.set _Z39paged_attention_ll4mi_QKV_mfma16_kernelIDF16_DF16_LN4vllm18Fp8KVCacheDataTypeE0EDF16_Li16ELi128ELi256ELb0ELi1EEvPKT_PKT0_S7_ifPKiS9_S9_iPKfiiiPfSC_PS2_PT2_iSB_SB_.uses_flat_scratch, or(0, .L__assert_fail.uses_flat_scratch)
	.set _Z39paged_attention_ll4mi_QKV_mfma16_kernelIDF16_DF16_LN4vllm18Fp8KVCacheDataTypeE0EDF16_Li16ELi128ELi256ELb0ELi1EEvPKT_PKT0_S7_ifPKiS9_S9_iPKfiiiPfSC_PS2_PT2_iSB_SB_.has_dyn_sized_stack, or(0, .L__assert_fail.has_dyn_sized_stack)
	.set _Z39paged_attention_ll4mi_QKV_mfma16_kernelIDF16_DF16_LN4vllm18Fp8KVCacheDataTypeE0EDF16_Li16ELi128ELi256ELb0ELi1EEvPKT_PKT0_S7_ifPKiS9_S9_iPKfiiiPfSC_PS2_PT2_iSB_SB_.has_recursion, or(0, .L__assert_fail.has_recursion)
	.set _Z39paged_attention_ll4mi_QKV_mfma16_kernelIDF16_DF16_LN4vllm18Fp8KVCacheDataTypeE0EDF16_Li16ELi128ELi256ELb0ELi1EEvPKT_PKT0_S7_ifPKiS9_S9_iPKfiiiPfSC_PS2_PT2_iSB_SB_.has_indirect_call, or(0, .L__assert_fail.has_indirect_call)
	.section	.AMDGPU.csdata,"",@progbits
; Kernel info:
; codeLenInByte = 68
; TotalNumSgprs: 36
; NumVgprs: 51
; ScratchSize: 64
; MemoryBound: 0
; FloatMode: 240
; IeeeMode: 1
; LDSByteSize: 0 bytes/workgroup (compile time only)
; SGPRBlocks: 0
; VGPRBlocks: 3
; NumSGPRsForWavesPerEU: 36
; NumVGPRsForWavesPerEU: 51
; NamedBarCnt: 0
; Occupancy: 16
; WaveLimiterHint : 1
; COMPUTE_PGM_RSRC2:SCRATCH_EN: 1
; COMPUTE_PGM_RSRC2:USER_SGPR: 2
; COMPUTE_PGM_RSRC2:TRAP_HANDLER: 0
; COMPUTE_PGM_RSRC2:TGID_X_EN: 1
; COMPUTE_PGM_RSRC2:TGID_Y_EN: 0
; COMPUTE_PGM_RSRC2:TGID_Z_EN: 0
; COMPUTE_PGM_RSRC2:TIDIG_COMP_CNT: 0
	.section	.text._Z39paged_attention_ll4mi_QKV_mfma16_kernelIDF16_DF16_LN4vllm18Fp8KVCacheDataTypeE0EDF16_Li16ELi128ELi256ELb0ELi2EEvPKT_PKT0_S7_ifPKiS9_S9_iPKfiiiPfSC_PS2_PT2_iSB_SB_,"axG",@progbits,_Z39paged_attention_ll4mi_QKV_mfma16_kernelIDF16_DF16_LN4vllm18Fp8KVCacheDataTypeE0EDF16_Li16ELi128ELi256ELb0ELi2EEvPKT_PKT0_S7_ifPKiS9_S9_iPKfiiiPfSC_PS2_PT2_iSB_SB_,comdat
	.protected	_Z39paged_attention_ll4mi_QKV_mfma16_kernelIDF16_DF16_LN4vllm18Fp8KVCacheDataTypeE0EDF16_Li16ELi128ELi256ELb0ELi2EEvPKT_PKT0_S7_ifPKiS9_S9_iPKfiiiPfSC_PS2_PT2_iSB_SB_ ; -- Begin function _Z39paged_attention_ll4mi_QKV_mfma16_kernelIDF16_DF16_LN4vllm18Fp8KVCacheDataTypeE0EDF16_Li16ELi128ELi256ELb0ELi2EEvPKT_PKT0_S7_ifPKiS9_S9_iPKfiiiPfSC_PS2_PT2_iSB_SB_
	.globl	_Z39paged_attention_ll4mi_QKV_mfma16_kernelIDF16_DF16_LN4vllm18Fp8KVCacheDataTypeE0EDF16_Li16ELi128ELi256ELb0ELi2EEvPKT_PKT0_S7_ifPKiS9_S9_iPKfiiiPfSC_PS2_PT2_iSB_SB_
	.p2align	8
	.type	_Z39paged_attention_ll4mi_QKV_mfma16_kernelIDF16_DF16_LN4vllm18Fp8KVCacheDataTypeE0EDF16_Li16ELi128ELi256ELb0ELi2EEvPKT_PKT0_S7_ifPKiS9_S9_iPKfiiiPfSC_PS2_PT2_iSB_SB_,@function
_Z39paged_attention_ll4mi_QKV_mfma16_kernelIDF16_DF16_LN4vllm18Fp8KVCacheDataTypeE0EDF16_Li16ELi128ELi256ELb0ELi2EEvPKT_PKT0_S7_ifPKiS9_S9_iPKfiiiPfSC_PS2_PT2_iSB_SB_: ; @_Z39paged_attention_ll4mi_QKV_mfma16_kernelIDF16_DF16_LN4vllm18Fp8KVCacheDataTypeE0EDF16_Li16ELi128ELi256ELb0ELi2EEvPKT_PKT0_S7_ifPKiS9_S9_iPKfiiiPfSC_PS2_PT2_iSB_SB_
; %bb.0:
	s_get_pc_i64 s[2:3]
	s_add_nc_u64 s[2:3], s[2:3], __PRETTY_FUNCTION__._Z39paged_attention_ll4mi_QKV_mfma16_kernelIDF16_DF16_LN4vllm18Fp8KVCacheDataTypeE0EDF16_Li16ELi128ELi256ELb0ELi2EEvPKT_PKT0_S7_ifPKiS9_S9_iPKfiiiPfSC_PS2_PT2_iSB_SB_@rel64+4
	s_delay_alu instid0(SALU_CYCLE_1)
	v_dual_mov_b32 v0, 0xbb3 :: v_dual_mov_b32 v1, s2
	v_mov_b32_e32 v2, s3
	s_add_nc_u64 s[8:9], s[0:1], 0x90
	s_get_pc_i64 s[0:1]
	s_add_nc_u64 s[0:1], s[0:1], __assert_fail@rel64+4
	s_mov_b32 s32, 0
	s_swap_pc_i64 s[30:31], s[0:1]
	.section	.rodata,"a",@progbits
	.p2align	6, 0x0
	.amdhsa_kernel _Z39paged_attention_ll4mi_QKV_mfma16_kernelIDF16_DF16_LN4vllm18Fp8KVCacheDataTypeE0EDF16_Li16ELi128ELi256ELb0ELi2EEvPKT_PKT0_S7_ifPKiS9_S9_iPKfiiiPfSC_PS2_PT2_iSB_SB_
		.amdhsa_group_segment_fixed_size 0
		.amdhsa_private_segment_fixed_size 64
		.amdhsa_kernarg_size 400
		.amdhsa_user_sgpr_count 2
		.amdhsa_user_sgpr_dispatch_ptr 0
		.amdhsa_user_sgpr_queue_ptr 0
		.amdhsa_user_sgpr_kernarg_segment_ptr 1
		.amdhsa_user_sgpr_dispatch_id 0
		.amdhsa_user_sgpr_kernarg_preload_length 0
		.amdhsa_user_sgpr_kernarg_preload_offset 0
		.amdhsa_user_sgpr_private_segment_size 0
		.amdhsa_wavefront_size32 1
		.amdhsa_uses_dynamic_stack 0
		.amdhsa_enable_private_segment 1
		.amdhsa_system_sgpr_workgroup_id_x 1
		.amdhsa_system_sgpr_workgroup_id_y 0
		.amdhsa_system_sgpr_workgroup_id_z 0
		.amdhsa_system_sgpr_workgroup_info 0
		.amdhsa_system_vgpr_workitem_id 0
		.amdhsa_next_free_vgpr 51
		.amdhsa_next_free_sgpr 34
		.amdhsa_named_barrier_count 0
		.amdhsa_reserve_vcc 1
		.amdhsa_float_round_mode_32 0
		.amdhsa_float_round_mode_16_64 0
		.amdhsa_float_denorm_mode_32 3
		.amdhsa_float_denorm_mode_16_64 3
		.amdhsa_fp16_overflow 0
		.amdhsa_memory_ordered 1
		.amdhsa_forward_progress 1
		.amdhsa_inst_pref_size 1
		.amdhsa_round_robin_scheduling 0
		.amdhsa_exception_fp_ieee_invalid_op 0
		.amdhsa_exception_fp_denorm_src 0
		.amdhsa_exception_fp_ieee_div_zero 0
		.amdhsa_exception_fp_ieee_overflow 0
		.amdhsa_exception_fp_ieee_underflow 0
		.amdhsa_exception_fp_ieee_inexact 0
		.amdhsa_exception_int_div_zero 0
	.end_amdhsa_kernel
	.section	.text._Z39paged_attention_ll4mi_QKV_mfma16_kernelIDF16_DF16_LN4vllm18Fp8KVCacheDataTypeE0EDF16_Li16ELi128ELi256ELb0ELi2EEvPKT_PKT0_S7_ifPKiS9_S9_iPKfiiiPfSC_PS2_PT2_iSB_SB_,"axG",@progbits,_Z39paged_attention_ll4mi_QKV_mfma16_kernelIDF16_DF16_LN4vllm18Fp8KVCacheDataTypeE0EDF16_Li16ELi128ELi256ELb0ELi2EEvPKT_PKT0_S7_ifPKiS9_S9_iPKfiiiPfSC_PS2_PT2_iSB_SB_,comdat
.Lfunc_end303:
	.size	_Z39paged_attention_ll4mi_QKV_mfma16_kernelIDF16_DF16_LN4vllm18Fp8KVCacheDataTypeE0EDF16_Li16ELi128ELi256ELb0ELi2EEvPKT_PKT0_S7_ifPKiS9_S9_iPKfiiiPfSC_PS2_PT2_iSB_SB_, .Lfunc_end303-_Z39paged_attention_ll4mi_QKV_mfma16_kernelIDF16_DF16_LN4vllm18Fp8KVCacheDataTypeE0EDF16_Li16ELi128ELi256ELb0ELi2EEvPKT_PKT0_S7_ifPKiS9_S9_iPKfiiiPfSC_PS2_PT2_iSB_SB_
                                        ; -- End function
	.set _Z39paged_attention_ll4mi_QKV_mfma16_kernelIDF16_DF16_LN4vllm18Fp8KVCacheDataTypeE0EDF16_Li16ELi128ELi256ELb0ELi2EEvPKT_PKT0_S7_ifPKiS9_S9_iPKfiiiPfSC_PS2_PT2_iSB_SB_.num_vgpr, max(3, .L__assert_fail.num_vgpr)
	.set _Z39paged_attention_ll4mi_QKV_mfma16_kernelIDF16_DF16_LN4vllm18Fp8KVCacheDataTypeE0EDF16_Li16ELi128ELi256ELb0ELi2EEvPKT_PKT0_S7_ifPKiS9_S9_iPKfiiiPfSC_PS2_PT2_iSB_SB_.num_agpr, max(0, .L__assert_fail.num_agpr)
	.set _Z39paged_attention_ll4mi_QKV_mfma16_kernelIDF16_DF16_LN4vllm18Fp8KVCacheDataTypeE0EDF16_Li16ELi128ELi256ELb0ELi2EEvPKT_PKT0_S7_ifPKiS9_S9_iPKfiiiPfSC_PS2_PT2_iSB_SB_.numbered_sgpr, max(33, .L__assert_fail.numbered_sgpr)
	.set _Z39paged_attention_ll4mi_QKV_mfma16_kernelIDF16_DF16_LN4vllm18Fp8KVCacheDataTypeE0EDF16_Li16ELi128ELi256ELb0ELi2EEvPKT_PKT0_S7_ifPKiS9_S9_iPKfiiiPfSC_PS2_PT2_iSB_SB_.num_named_barrier, max(0, .L__assert_fail.num_named_barrier)
	.set _Z39paged_attention_ll4mi_QKV_mfma16_kernelIDF16_DF16_LN4vllm18Fp8KVCacheDataTypeE0EDF16_Li16ELi128ELi256ELb0ELi2EEvPKT_PKT0_S7_ifPKiS9_S9_iPKfiiiPfSC_PS2_PT2_iSB_SB_.private_seg_size, 0+max(.L__assert_fail.private_seg_size)
	.set _Z39paged_attention_ll4mi_QKV_mfma16_kernelIDF16_DF16_LN4vllm18Fp8KVCacheDataTypeE0EDF16_Li16ELi128ELi256ELb0ELi2EEvPKT_PKT0_S7_ifPKiS9_S9_iPKfiiiPfSC_PS2_PT2_iSB_SB_.uses_vcc, or(1, .L__assert_fail.uses_vcc)
	.set _Z39paged_attention_ll4mi_QKV_mfma16_kernelIDF16_DF16_LN4vllm18Fp8KVCacheDataTypeE0EDF16_Li16ELi128ELi256ELb0ELi2EEvPKT_PKT0_S7_ifPKiS9_S9_iPKfiiiPfSC_PS2_PT2_iSB_SB_.uses_flat_scratch, or(0, .L__assert_fail.uses_flat_scratch)
	.set _Z39paged_attention_ll4mi_QKV_mfma16_kernelIDF16_DF16_LN4vllm18Fp8KVCacheDataTypeE0EDF16_Li16ELi128ELi256ELb0ELi2EEvPKT_PKT0_S7_ifPKiS9_S9_iPKfiiiPfSC_PS2_PT2_iSB_SB_.has_dyn_sized_stack, or(0, .L__assert_fail.has_dyn_sized_stack)
	.set _Z39paged_attention_ll4mi_QKV_mfma16_kernelIDF16_DF16_LN4vllm18Fp8KVCacheDataTypeE0EDF16_Li16ELi128ELi256ELb0ELi2EEvPKT_PKT0_S7_ifPKiS9_S9_iPKfiiiPfSC_PS2_PT2_iSB_SB_.has_recursion, or(0, .L__assert_fail.has_recursion)
	.set _Z39paged_attention_ll4mi_QKV_mfma16_kernelIDF16_DF16_LN4vllm18Fp8KVCacheDataTypeE0EDF16_Li16ELi128ELi256ELb0ELi2EEvPKT_PKT0_S7_ifPKiS9_S9_iPKfiiiPfSC_PS2_PT2_iSB_SB_.has_indirect_call, or(0, .L__assert_fail.has_indirect_call)
	.section	.AMDGPU.csdata,"",@progbits
; Kernel info:
; codeLenInByte = 68
; TotalNumSgprs: 36
; NumVgprs: 51
; ScratchSize: 64
; MemoryBound: 0
; FloatMode: 240
; IeeeMode: 1
; LDSByteSize: 0 bytes/workgroup (compile time only)
; SGPRBlocks: 0
; VGPRBlocks: 3
; NumSGPRsForWavesPerEU: 36
; NumVGPRsForWavesPerEU: 51
; NamedBarCnt: 0
; Occupancy: 16
; WaveLimiterHint : 1
; COMPUTE_PGM_RSRC2:SCRATCH_EN: 1
; COMPUTE_PGM_RSRC2:USER_SGPR: 2
; COMPUTE_PGM_RSRC2:TRAP_HANDLER: 0
; COMPUTE_PGM_RSRC2:TGID_X_EN: 1
; COMPUTE_PGM_RSRC2:TGID_Y_EN: 0
; COMPUTE_PGM_RSRC2:TGID_Z_EN: 0
; COMPUTE_PGM_RSRC2:TIDIG_COMP_CNT: 0
	.section	.text._Z39paged_attention_ll4mi_QKV_mfma16_kernelIDF16_DF16_LN4vllm18Fp8KVCacheDataTypeE0EDF16_Li16ELi128ELi256ELb0ELi3EEvPKT_PKT0_S7_ifPKiS9_S9_iPKfiiiPfSC_PS2_PT2_iSB_SB_,"axG",@progbits,_Z39paged_attention_ll4mi_QKV_mfma16_kernelIDF16_DF16_LN4vllm18Fp8KVCacheDataTypeE0EDF16_Li16ELi128ELi256ELb0ELi3EEvPKT_PKT0_S7_ifPKiS9_S9_iPKfiiiPfSC_PS2_PT2_iSB_SB_,comdat
	.protected	_Z39paged_attention_ll4mi_QKV_mfma16_kernelIDF16_DF16_LN4vllm18Fp8KVCacheDataTypeE0EDF16_Li16ELi128ELi256ELb0ELi3EEvPKT_PKT0_S7_ifPKiS9_S9_iPKfiiiPfSC_PS2_PT2_iSB_SB_ ; -- Begin function _Z39paged_attention_ll4mi_QKV_mfma16_kernelIDF16_DF16_LN4vllm18Fp8KVCacheDataTypeE0EDF16_Li16ELi128ELi256ELb0ELi3EEvPKT_PKT0_S7_ifPKiS9_S9_iPKfiiiPfSC_PS2_PT2_iSB_SB_
	.globl	_Z39paged_attention_ll4mi_QKV_mfma16_kernelIDF16_DF16_LN4vllm18Fp8KVCacheDataTypeE0EDF16_Li16ELi128ELi256ELb0ELi3EEvPKT_PKT0_S7_ifPKiS9_S9_iPKfiiiPfSC_PS2_PT2_iSB_SB_
	.p2align	8
	.type	_Z39paged_attention_ll4mi_QKV_mfma16_kernelIDF16_DF16_LN4vllm18Fp8KVCacheDataTypeE0EDF16_Li16ELi128ELi256ELb0ELi3EEvPKT_PKT0_S7_ifPKiS9_S9_iPKfiiiPfSC_PS2_PT2_iSB_SB_,@function
_Z39paged_attention_ll4mi_QKV_mfma16_kernelIDF16_DF16_LN4vllm18Fp8KVCacheDataTypeE0EDF16_Li16ELi128ELi256ELb0ELi3EEvPKT_PKT0_S7_ifPKiS9_S9_iPKfiiiPfSC_PS2_PT2_iSB_SB_: ; @_Z39paged_attention_ll4mi_QKV_mfma16_kernelIDF16_DF16_LN4vllm18Fp8KVCacheDataTypeE0EDF16_Li16ELi128ELi256ELb0ELi3EEvPKT_PKT0_S7_ifPKiS9_S9_iPKfiiiPfSC_PS2_PT2_iSB_SB_
; %bb.0:
	s_get_pc_i64 s[2:3]
	s_add_nc_u64 s[2:3], s[2:3], __PRETTY_FUNCTION__._Z39paged_attention_ll4mi_QKV_mfma16_kernelIDF16_DF16_LN4vllm18Fp8KVCacheDataTypeE0EDF16_Li16ELi128ELi256ELb0ELi3EEvPKT_PKT0_S7_ifPKiS9_S9_iPKfiiiPfSC_PS2_PT2_iSB_SB_@rel64+4
	s_delay_alu instid0(SALU_CYCLE_1)
	v_dual_mov_b32 v0, 0xbb3 :: v_dual_mov_b32 v1, s2
	v_mov_b32_e32 v2, s3
	s_add_nc_u64 s[8:9], s[0:1], 0x90
	s_get_pc_i64 s[0:1]
	s_add_nc_u64 s[0:1], s[0:1], __assert_fail@rel64+4
	s_mov_b32 s32, 0
	s_swap_pc_i64 s[30:31], s[0:1]
	.section	.rodata,"a",@progbits
	.p2align	6, 0x0
	.amdhsa_kernel _Z39paged_attention_ll4mi_QKV_mfma16_kernelIDF16_DF16_LN4vllm18Fp8KVCacheDataTypeE0EDF16_Li16ELi128ELi256ELb0ELi3EEvPKT_PKT0_S7_ifPKiS9_S9_iPKfiiiPfSC_PS2_PT2_iSB_SB_
		.amdhsa_group_segment_fixed_size 0
		.amdhsa_private_segment_fixed_size 64
		.amdhsa_kernarg_size 400
		.amdhsa_user_sgpr_count 2
		.amdhsa_user_sgpr_dispatch_ptr 0
		.amdhsa_user_sgpr_queue_ptr 0
		.amdhsa_user_sgpr_kernarg_segment_ptr 1
		.amdhsa_user_sgpr_dispatch_id 0
		.amdhsa_user_sgpr_kernarg_preload_length 0
		.amdhsa_user_sgpr_kernarg_preload_offset 0
		.amdhsa_user_sgpr_private_segment_size 0
		.amdhsa_wavefront_size32 1
		.amdhsa_uses_dynamic_stack 0
		.amdhsa_enable_private_segment 1
		.amdhsa_system_sgpr_workgroup_id_x 1
		.amdhsa_system_sgpr_workgroup_id_y 0
		.amdhsa_system_sgpr_workgroup_id_z 0
		.amdhsa_system_sgpr_workgroup_info 0
		.amdhsa_system_vgpr_workitem_id 0
		.amdhsa_next_free_vgpr 51
		.amdhsa_next_free_sgpr 34
		.amdhsa_named_barrier_count 0
		.amdhsa_reserve_vcc 1
		.amdhsa_float_round_mode_32 0
		.amdhsa_float_round_mode_16_64 0
		.amdhsa_float_denorm_mode_32 3
		.amdhsa_float_denorm_mode_16_64 3
		.amdhsa_fp16_overflow 0
		.amdhsa_memory_ordered 1
		.amdhsa_forward_progress 1
		.amdhsa_inst_pref_size 1
		.amdhsa_round_robin_scheduling 0
		.amdhsa_exception_fp_ieee_invalid_op 0
		.amdhsa_exception_fp_denorm_src 0
		.amdhsa_exception_fp_ieee_div_zero 0
		.amdhsa_exception_fp_ieee_overflow 0
		.amdhsa_exception_fp_ieee_underflow 0
		.amdhsa_exception_fp_ieee_inexact 0
		.amdhsa_exception_int_div_zero 0
	.end_amdhsa_kernel
	.section	.text._Z39paged_attention_ll4mi_QKV_mfma16_kernelIDF16_DF16_LN4vllm18Fp8KVCacheDataTypeE0EDF16_Li16ELi128ELi256ELb0ELi3EEvPKT_PKT0_S7_ifPKiS9_S9_iPKfiiiPfSC_PS2_PT2_iSB_SB_,"axG",@progbits,_Z39paged_attention_ll4mi_QKV_mfma16_kernelIDF16_DF16_LN4vllm18Fp8KVCacheDataTypeE0EDF16_Li16ELi128ELi256ELb0ELi3EEvPKT_PKT0_S7_ifPKiS9_S9_iPKfiiiPfSC_PS2_PT2_iSB_SB_,comdat
.Lfunc_end304:
	.size	_Z39paged_attention_ll4mi_QKV_mfma16_kernelIDF16_DF16_LN4vllm18Fp8KVCacheDataTypeE0EDF16_Li16ELi128ELi256ELb0ELi3EEvPKT_PKT0_S7_ifPKiS9_S9_iPKfiiiPfSC_PS2_PT2_iSB_SB_, .Lfunc_end304-_Z39paged_attention_ll4mi_QKV_mfma16_kernelIDF16_DF16_LN4vllm18Fp8KVCacheDataTypeE0EDF16_Li16ELi128ELi256ELb0ELi3EEvPKT_PKT0_S7_ifPKiS9_S9_iPKfiiiPfSC_PS2_PT2_iSB_SB_
                                        ; -- End function
	.set _Z39paged_attention_ll4mi_QKV_mfma16_kernelIDF16_DF16_LN4vllm18Fp8KVCacheDataTypeE0EDF16_Li16ELi128ELi256ELb0ELi3EEvPKT_PKT0_S7_ifPKiS9_S9_iPKfiiiPfSC_PS2_PT2_iSB_SB_.num_vgpr, max(3, .L__assert_fail.num_vgpr)
	.set _Z39paged_attention_ll4mi_QKV_mfma16_kernelIDF16_DF16_LN4vllm18Fp8KVCacheDataTypeE0EDF16_Li16ELi128ELi256ELb0ELi3EEvPKT_PKT0_S7_ifPKiS9_S9_iPKfiiiPfSC_PS2_PT2_iSB_SB_.num_agpr, max(0, .L__assert_fail.num_agpr)
	.set _Z39paged_attention_ll4mi_QKV_mfma16_kernelIDF16_DF16_LN4vllm18Fp8KVCacheDataTypeE0EDF16_Li16ELi128ELi256ELb0ELi3EEvPKT_PKT0_S7_ifPKiS9_S9_iPKfiiiPfSC_PS2_PT2_iSB_SB_.numbered_sgpr, max(33, .L__assert_fail.numbered_sgpr)
	.set _Z39paged_attention_ll4mi_QKV_mfma16_kernelIDF16_DF16_LN4vllm18Fp8KVCacheDataTypeE0EDF16_Li16ELi128ELi256ELb0ELi3EEvPKT_PKT0_S7_ifPKiS9_S9_iPKfiiiPfSC_PS2_PT2_iSB_SB_.num_named_barrier, max(0, .L__assert_fail.num_named_barrier)
	.set _Z39paged_attention_ll4mi_QKV_mfma16_kernelIDF16_DF16_LN4vllm18Fp8KVCacheDataTypeE0EDF16_Li16ELi128ELi256ELb0ELi3EEvPKT_PKT0_S7_ifPKiS9_S9_iPKfiiiPfSC_PS2_PT2_iSB_SB_.private_seg_size, 0+max(.L__assert_fail.private_seg_size)
	.set _Z39paged_attention_ll4mi_QKV_mfma16_kernelIDF16_DF16_LN4vllm18Fp8KVCacheDataTypeE0EDF16_Li16ELi128ELi256ELb0ELi3EEvPKT_PKT0_S7_ifPKiS9_S9_iPKfiiiPfSC_PS2_PT2_iSB_SB_.uses_vcc, or(1, .L__assert_fail.uses_vcc)
	.set _Z39paged_attention_ll4mi_QKV_mfma16_kernelIDF16_DF16_LN4vllm18Fp8KVCacheDataTypeE0EDF16_Li16ELi128ELi256ELb0ELi3EEvPKT_PKT0_S7_ifPKiS9_S9_iPKfiiiPfSC_PS2_PT2_iSB_SB_.uses_flat_scratch, or(0, .L__assert_fail.uses_flat_scratch)
	.set _Z39paged_attention_ll4mi_QKV_mfma16_kernelIDF16_DF16_LN4vllm18Fp8KVCacheDataTypeE0EDF16_Li16ELi128ELi256ELb0ELi3EEvPKT_PKT0_S7_ifPKiS9_S9_iPKfiiiPfSC_PS2_PT2_iSB_SB_.has_dyn_sized_stack, or(0, .L__assert_fail.has_dyn_sized_stack)
	.set _Z39paged_attention_ll4mi_QKV_mfma16_kernelIDF16_DF16_LN4vllm18Fp8KVCacheDataTypeE0EDF16_Li16ELi128ELi256ELb0ELi3EEvPKT_PKT0_S7_ifPKiS9_S9_iPKfiiiPfSC_PS2_PT2_iSB_SB_.has_recursion, or(0, .L__assert_fail.has_recursion)
	.set _Z39paged_attention_ll4mi_QKV_mfma16_kernelIDF16_DF16_LN4vllm18Fp8KVCacheDataTypeE0EDF16_Li16ELi128ELi256ELb0ELi3EEvPKT_PKT0_S7_ifPKiS9_S9_iPKfiiiPfSC_PS2_PT2_iSB_SB_.has_indirect_call, or(0, .L__assert_fail.has_indirect_call)
	.section	.AMDGPU.csdata,"",@progbits
; Kernel info:
; codeLenInByte = 68
; TotalNumSgprs: 36
; NumVgprs: 51
; ScratchSize: 64
; MemoryBound: 0
; FloatMode: 240
; IeeeMode: 1
; LDSByteSize: 0 bytes/workgroup (compile time only)
; SGPRBlocks: 0
; VGPRBlocks: 3
; NumSGPRsForWavesPerEU: 36
; NumVGPRsForWavesPerEU: 51
; NamedBarCnt: 0
; Occupancy: 16
; WaveLimiterHint : 1
; COMPUTE_PGM_RSRC2:SCRATCH_EN: 1
; COMPUTE_PGM_RSRC2:USER_SGPR: 2
; COMPUTE_PGM_RSRC2:TRAP_HANDLER: 0
; COMPUTE_PGM_RSRC2:TGID_X_EN: 1
; COMPUTE_PGM_RSRC2:TGID_Y_EN: 0
; COMPUTE_PGM_RSRC2:TGID_Z_EN: 0
; COMPUTE_PGM_RSRC2:TIDIG_COMP_CNT: 0
	.section	.text._Z39paged_attention_ll4mi_QKV_mfma16_kernelIDF16_DF16_LN4vllm18Fp8KVCacheDataTypeE0EDF16_Li16ELi128ELi256ELb0ELi4EEvPKT_PKT0_S7_ifPKiS9_S9_iPKfiiiPfSC_PS2_PT2_iSB_SB_,"axG",@progbits,_Z39paged_attention_ll4mi_QKV_mfma16_kernelIDF16_DF16_LN4vllm18Fp8KVCacheDataTypeE0EDF16_Li16ELi128ELi256ELb0ELi4EEvPKT_PKT0_S7_ifPKiS9_S9_iPKfiiiPfSC_PS2_PT2_iSB_SB_,comdat
	.protected	_Z39paged_attention_ll4mi_QKV_mfma16_kernelIDF16_DF16_LN4vllm18Fp8KVCacheDataTypeE0EDF16_Li16ELi128ELi256ELb0ELi4EEvPKT_PKT0_S7_ifPKiS9_S9_iPKfiiiPfSC_PS2_PT2_iSB_SB_ ; -- Begin function _Z39paged_attention_ll4mi_QKV_mfma16_kernelIDF16_DF16_LN4vllm18Fp8KVCacheDataTypeE0EDF16_Li16ELi128ELi256ELb0ELi4EEvPKT_PKT0_S7_ifPKiS9_S9_iPKfiiiPfSC_PS2_PT2_iSB_SB_
	.globl	_Z39paged_attention_ll4mi_QKV_mfma16_kernelIDF16_DF16_LN4vllm18Fp8KVCacheDataTypeE0EDF16_Li16ELi128ELi256ELb0ELi4EEvPKT_PKT0_S7_ifPKiS9_S9_iPKfiiiPfSC_PS2_PT2_iSB_SB_
	.p2align	8
	.type	_Z39paged_attention_ll4mi_QKV_mfma16_kernelIDF16_DF16_LN4vllm18Fp8KVCacheDataTypeE0EDF16_Li16ELi128ELi256ELb0ELi4EEvPKT_PKT0_S7_ifPKiS9_S9_iPKfiiiPfSC_PS2_PT2_iSB_SB_,@function
_Z39paged_attention_ll4mi_QKV_mfma16_kernelIDF16_DF16_LN4vllm18Fp8KVCacheDataTypeE0EDF16_Li16ELi128ELi256ELb0ELi4EEvPKT_PKT0_S7_ifPKiS9_S9_iPKfiiiPfSC_PS2_PT2_iSB_SB_: ; @_Z39paged_attention_ll4mi_QKV_mfma16_kernelIDF16_DF16_LN4vllm18Fp8KVCacheDataTypeE0EDF16_Li16ELi128ELi256ELb0ELi4EEvPKT_PKT0_S7_ifPKiS9_S9_iPKfiiiPfSC_PS2_PT2_iSB_SB_
; %bb.0:
	s_get_pc_i64 s[2:3]
	s_add_nc_u64 s[2:3], s[2:3], __PRETTY_FUNCTION__._Z39paged_attention_ll4mi_QKV_mfma16_kernelIDF16_DF16_LN4vllm18Fp8KVCacheDataTypeE0EDF16_Li16ELi128ELi256ELb0ELi4EEvPKT_PKT0_S7_ifPKiS9_S9_iPKfiiiPfSC_PS2_PT2_iSB_SB_@rel64+4
	s_delay_alu instid0(SALU_CYCLE_1)
	v_dual_mov_b32 v0, 0xbb3 :: v_dual_mov_b32 v1, s2
	v_mov_b32_e32 v2, s3
	s_add_nc_u64 s[8:9], s[0:1], 0x90
	s_get_pc_i64 s[0:1]
	s_add_nc_u64 s[0:1], s[0:1], __assert_fail@rel64+4
	s_mov_b32 s32, 0
	s_swap_pc_i64 s[30:31], s[0:1]
	.section	.rodata,"a",@progbits
	.p2align	6, 0x0
	.amdhsa_kernel _Z39paged_attention_ll4mi_QKV_mfma16_kernelIDF16_DF16_LN4vllm18Fp8KVCacheDataTypeE0EDF16_Li16ELi128ELi256ELb0ELi4EEvPKT_PKT0_S7_ifPKiS9_S9_iPKfiiiPfSC_PS2_PT2_iSB_SB_
		.amdhsa_group_segment_fixed_size 0
		.amdhsa_private_segment_fixed_size 64
		.amdhsa_kernarg_size 400
		.amdhsa_user_sgpr_count 2
		.amdhsa_user_sgpr_dispatch_ptr 0
		.amdhsa_user_sgpr_queue_ptr 0
		.amdhsa_user_sgpr_kernarg_segment_ptr 1
		.amdhsa_user_sgpr_dispatch_id 0
		.amdhsa_user_sgpr_kernarg_preload_length 0
		.amdhsa_user_sgpr_kernarg_preload_offset 0
		.amdhsa_user_sgpr_private_segment_size 0
		.amdhsa_wavefront_size32 1
		.amdhsa_uses_dynamic_stack 0
		.amdhsa_enable_private_segment 1
		.amdhsa_system_sgpr_workgroup_id_x 1
		.amdhsa_system_sgpr_workgroup_id_y 0
		.amdhsa_system_sgpr_workgroup_id_z 0
		.amdhsa_system_sgpr_workgroup_info 0
		.amdhsa_system_vgpr_workitem_id 0
		.amdhsa_next_free_vgpr 51
		.amdhsa_next_free_sgpr 34
		.amdhsa_named_barrier_count 0
		.amdhsa_reserve_vcc 1
		.amdhsa_float_round_mode_32 0
		.amdhsa_float_round_mode_16_64 0
		.amdhsa_float_denorm_mode_32 3
		.amdhsa_float_denorm_mode_16_64 3
		.amdhsa_fp16_overflow 0
		.amdhsa_memory_ordered 1
		.amdhsa_forward_progress 1
		.amdhsa_inst_pref_size 1
		.amdhsa_round_robin_scheduling 0
		.amdhsa_exception_fp_ieee_invalid_op 0
		.amdhsa_exception_fp_denorm_src 0
		.amdhsa_exception_fp_ieee_div_zero 0
		.amdhsa_exception_fp_ieee_overflow 0
		.amdhsa_exception_fp_ieee_underflow 0
		.amdhsa_exception_fp_ieee_inexact 0
		.amdhsa_exception_int_div_zero 0
	.end_amdhsa_kernel
	.section	.text._Z39paged_attention_ll4mi_QKV_mfma16_kernelIDF16_DF16_LN4vllm18Fp8KVCacheDataTypeE0EDF16_Li16ELi128ELi256ELb0ELi4EEvPKT_PKT0_S7_ifPKiS9_S9_iPKfiiiPfSC_PS2_PT2_iSB_SB_,"axG",@progbits,_Z39paged_attention_ll4mi_QKV_mfma16_kernelIDF16_DF16_LN4vllm18Fp8KVCacheDataTypeE0EDF16_Li16ELi128ELi256ELb0ELi4EEvPKT_PKT0_S7_ifPKiS9_S9_iPKfiiiPfSC_PS2_PT2_iSB_SB_,comdat
.Lfunc_end305:
	.size	_Z39paged_attention_ll4mi_QKV_mfma16_kernelIDF16_DF16_LN4vllm18Fp8KVCacheDataTypeE0EDF16_Li16ELi128ELi256ELb0ELi4EEvPKT_PKT0_S7_ifPKiS9_S9_iPKfiiiPfSC_PS2_PT2_iSB_SB_, .Lfunc_end305-_Z39paged_attention_ll4mi_QKV_mfma16_kernelIDF16_DF16_LN4vllm18Fp8KVCacheDataTypeE0EDF16_Li16ELi128ELi256ELb0ELi4EEvPKT_PKT0_S7_ifPKiS9_S9_iPKfiiiPfSC_PS2_PT2_iSB_SB_
                                        ; -- End function
	.set _Z39paged_attention_ll4mi_QKV_mfma16_kernelIDF16_DF16_LN4vllm18Fp8KVCacheDataTypeE0EDF16_Li16ELi128ELi256ELb0ELi4EEvPKT_PKT0_S7_ifPKiS9_S9_iPKfiiiPfSC_PS2_PT2_iSB_SB_.num_vgpr, max(3, .L__assert_fail.num_vgpr)
	.set _Z39paged_attention_ll4mi_QKV_mfma16_kernelIDF16_DF16_LN4vllm18Fp8KVCacheDataTypeE0EDF16_Li16ELi128ELi256ELb0ELi4EEvPKT_PKT0_S7_ifPKiS9_S9_iPKfiiiPfSC_PS2_PT2_iSB_SB_.num_agpr, max(0, .L__assert_fail.num_agpr)
	.set _Z39paged_attention_ll4mi_QKV_mfma16_kernelIDF16_DF16_LN4vllm18Fp8KVCacheDataTypeE0EDF16_Li16ELi128ELi256ELb0ELi4EEvPKT_PKT0_S7_ifPKiS9_S9_iPKfiiiPfSC_PS2_PT2_iSB_SB_.numbered_sgpr, max(33, .L__assert_fail.numbered_sgpr)
	.set _Z39paged_attention_ll4mi_QKV_mfma16_kernelIDF16_DF16_LN4vllm18Fp8KVCacheDataTypeE0EDF16_Li16ELi128ELi256ELb0ELi4EEvPKT_PKT0_S7_ifPKiS9_S9_iPKfiiiPfSC_PS2_PT2_iSB_SB_.num_named_barrier, max(0, .L__assert_fail.num_named_barrier)
	.set _Z39paged_attention_ll4mi_QKV_mfma16_kernelIDF16_DF16_LN4vllm18Fp8KVCacheDataTypeE0EDF16_Li16ELi128ELi256ELb0ELi4EEvPKT_PKT0_S7_ifPKiS9_S9_iPKfiiiPfSC_PS2_PT2_iSB_SB_.private_seg_size, 0+max(.L__assert_fail.private_seg_size)
	.set _Z39paged_attention_ll4mi_QKV_mfma16_kernelIDF16_DF16_LN4vllm18Fp8KVCacheDataTypeE0EDF16_Li16ELi128ELi256ELb0ELi4EEvPKT_PKT0_S7_ifPKiS9_S9_iPKfiiiPfSC_PS2_PT2_iSB_SB_.uses_vcc, or(1, .L__assert_fail.uses_vcc)
	.set _Z39paged_attention_ll4mi_QKV_mfma16_kernelIDF16_DF16_LN4vllm18Fp8KVCacheDataTypeE0EDF16_Li16ELi128ELi256ELb0ELi4EEvPKT_PKT0_S7_ifPKiS9_S9_iPKfiiiPfSC_PS2_PT2_iSB_SB_.uses_flat_scratch, or(0, .L__assert_fail.uses_flat_scratch)
	.set _Z39paged_attention_ll4mi_QKV_mfma16_kernelIDF16_DF16_LN4vllm18Fp8KVCacheDataTypeE0EDF16_Li16ELi128ELi256ELb0ELi4EEvPKT_PKT0_S7_ifPKiS9_S9_iPKfiiiPfSC_PS2_PT2_iSB_SB_.has_dyn_sized_stack, or(0, .L__assert_fail.has_dyn_sized_stack)
	.set _Z39paged_attention_ll4mi_QKV_mfma16_kernelIDF16_DF16_LN4vllm18Fp8KVCacheDataTypeE0EDF16_Li16ELi128ELi256ELb0ELi4EEvPKT_PKT0_S7_ifPKiS9_S9_iPKfiiiPfSC_PS2_PT2_iSB_SB_.has_recursion, or(0, .L__assert_fail.has_recursion)
	.set _Z39paged_attention_ll4mi_QKV_mfma16_kernelIDF16_DF16_LN4vllm18Fp8KVCacheDataTypeE0EDF16_Li16ELi128ELi256ELb0ELi4EEvPKT_PKT0_S7_ifPKiS9_S9_iPKfiiiPfSC_PS2_PT2_iSB_SB_.has_indirect_call, or(0, .L__assert_fail.has_indirect_call)
	.section	.AMDGPU.csdata,"",@progbits
; Kernel info:
; codeLenInByte = 68
; TotalNumSgprs: 36
; NumVgprs: 51
; ScratchSize: 64
; MemoryBound: 0
; FloatMode: 240
; IeeeMode: 1
; LDSByteSize: 0 bytes/workgroup (compile time only)
; SGPRBlocks: 0
; VGPRBlocks: 3
; NumSGPRsForWavesPerEU: 36
; NumVGPRsForWavesPerEU: 51
; NamedBarCnt: 0
; Occupancy: 16
; WaveLimiterHint : 1
; COMPUTE_PGM_RSRC2:SCRATCH_EN: 1
; COMPUTE_PGM_RSRC2:USER_SGPR: 2
; COMPUTE_PGM_RSRC2:TRAP_HANDLER: 0
; COMPUTE_PGM_RSRC2:TGID_X_EN: 1
; COMPUTE_PGM_RSRC2:TGID_Y_EN: 0
; COMPUTE_PGM_RSRC2:TGID_Z_EN: 0
; COMPUTE_PGM_RSRC2:TIDIG_COMP_CNT: 0
	.section	.text._Z38paged_attention_ll4mi_QKV_mfma4_kernelIDF16_DF16_LN4vllm18Fp8KVCacheDataTypeE0EhLi32ELi128ELi256ELb1ELi1EEvPKT_PKT0_S7_ifPKiS9_S9_iPKfiiiPfSC_PS2_PT2_iSB_SB_,"axG",@progbits,_Z38paged_attention_ll4mi_QKV_mfma4_kernelIDF16_DF16_LN4vllm18Fp8KVCacheDataTypeE0EhLi32ELi128ELi256ELb1ELi1EEvPKT_PKT0_S7_ifPKiS9_S9_iPKfiiiPfSC_PS2_PT2_iSB_SB_,comdat
	.protected	_Z38paged_attention_ll4mi_QKV_mfma4_kernelIDF16_DF16_LN4vllm18Fp8KVCacheDataTypeE0EhLi32ELi128ELi256ELb1ELi1EEvPKT_PKT0_S7_ifPKiS9_S9_iPKfiiiPfSC_PS2_PT2_iSB_SB_ ; -- Begin function _Z38paged_attention_ll4mi_QKV_mfma4_kernelIDF16_DF16_LN4vllm18Fp8KVCacheDataTypeE0EhLi32ELi128ELi256ELb1ELi1EEvPKT_PKT0_S7_ifPKiS9_S9_iPKfiiiPfSC_PS2_PT2_iSB_SB_
	.globl	_Z38paged_attention_ll4mi_QKV_mfma4_kernelIDF16_DF16_LN4vllm18Fp8KVCacheDataTypeE0EhLi32ELi128ELi256ELb1ELi1EEvPKT_PKT0_S7_ifPKiS9_S9_iPKfiiiPfSC_PS2_PT2_iSB_SB_
	.p2align	8
	.type	_Z38paged_attention_ll4mi_QKV_mfma4_kernelIDF16_DF16_LN4vllm18Fp8KVCacheDataTypeE0EhLi32ELi128ELi256ELb1ELi1EEvPKT_PKT0_S7_ifPKiS9_S9_iPKfiiiPfSC_PS2_PT2_iSB_SB_,@function
_Z38paged_attention_ll4mi_QKV_mfma4_kernelIDF16_DF16_LN4vllm18Fp8KVCacheDataTypeE0EhLi32ELi128ELi256ELb1ELi1EEvPKT_PKT0_S7_ifPKiS9_S9_iPKfiiiPfSC_PS2_PT2_iSB_SB_: ; @_Z38paged_attention_ll4mi_QKV_mfma4_kernelIDF16_DF16_LN4vllm18Fp8KVCacheDataTypeE0EhLi32ELi128ELi256ELb1ELi1EEvPKT_PKT0_S7_ifPKiS9_S9_iPKfiiiPfSC_PS2_PT2_iSB_SB_
; %bb.0:
	s_get_pc_i64 s[2:3]
	s_add_nc_u64 s[2:3], s[2:3], __PRETTY_FUNCTION__._Z38paged_attention_ll4mi_QKV_mfma4_kernelIDF16_DF16_LN4vllm18Fp8KVCacheDataTypeE0EhLi32ELi128ELi256ELb1ELi1EEvPKT_PKT0_S7_ifPKiS9_S9_iPKfiiiPfSC_PS2_PT2_iSB_SB_@rel64+4
	s_delay_alu instid0(SALU_CYCLE_1)
	v_dual_mov_b32 v0, 0xbce :: v_dual_mov_b32 v1, s2
	v_mov_b32_e32 v2, s3
	s_add_nc_u64 s[8:9], s[0:1], 0x90
	s_get_pc_i64 s[0:1]
	s_add_nc_u64 s[0:1], s[0:1], __assert_fail@rel64+4
	s_mov_b32 s32, 0
	s_swap_pc_i64 s[30:31], s[0:1]
	.section	.rodata,"a",@progbits
	.p2align	6, 0x0
	.amdhsa_kernel _Z38paged_attention_ll4mi_QKV_mfma4_kernelIDF16_DF16_LN4vllm18Fp8KVCacheDataTypeE0EhLi32ELi128ELi256ELb1ELi1EEvPKT_PKT0_S7_ifPKiS9_S9_iPKfiiiPfSC_PS2_PT2_iSB_SB_
		.amdhsa_group_segment_fixed_size 0
		.amdhsa_private_segment_fixed_size 64
		.amdhsa_kernarg_size 400
		.amdhsa_user_sgpr_count 2
		.amdhsa_user_sgpr_dispatch_ptr 0
		.amdhsa_user_sgpr_queue_ptr 0
		.amdhsa_user_sgpr_kernarg_segment_ptr 1
		.amdhsa_user_sgpr_dispatch_id 0
		.amdhsa_user_sgpr_kernarg_preload_length 0
		.amdhsa_user_sgpr_kernarg_preload_offset 0
		.amdhsa_user_sgpr_private_segment_size 0
		.amdhsa_wavefront_size32 1
		.amdhsa_uses_dynamic_stack 0
		.amdhsa_enable_private_segment 1
		.amdhsa_system_sgpr_workgroup_id_x 1
		.amdhsa_system_sgpr_workgroup_id_y 0
		.amdhsa_system_sgpr_workgroup_id_z 0
		.amdhsa_system_sgpr_workgroup_info 0
		.amdhsa_system_vgpr_workitem_id 0
		.amdhsa_next_free_vgpr 51
		.amdhsa_next_free_sgpr 34
		.amdhsa_named_barrier_count 0
		.amdhsa_reserve_vcc 1
		.amdhsa_float_round_mode_32 0
		.amdhsa_float_round_mode_16_64 0
		.amdhsa_float_denorm_mode_32 3
		.amdhsa_float_denorm_mode_16_64 3
		.amdhsa_fp16_overflow 0
		.amdhsa_memory_ordered 1
		.amdhsa_forward_progress 1
		.amdhsa_inst_pref_size 1
		.amdhsa_round_robin_scheduling 0
		.amdhsa_exception_fp_ieee_invalid_op 0
		.amdhsa_exception_fp_denorm_src 0
		.amdhsa_exception_fp_ieee_div_zero 0
		.amdhsa_exception_fp_ieee_overflow 0
		.amdhsa_exception_fp_ieee_underflow 0
		.amdhsa_exception_fp_ieee_inexact 0
		.amdhsa_exception_int_div_zero 0
	.end_amdhsa_kernel
	.section	.text._Z38paged_attention_ll4mi_QKV_mfma4_kernelIDF16_DF16_LN4vllm18Fp8KVCacheDataTypeE0EhLi32ELi128ELi256ELb1ELi1EEvPKT_PKT0_S7_ifPKiS9_S9_iPKfiiiPfSC_PS2_PT2_iSB_SB_,"axG",@progbits,_Z38paged_attention_ll4mi_QKV_mfma4_kernelIDF16_DF16_LN4vllm18Fp8KVCacheDataTypeE0EhLi32ELi128ELi256ELb1ELi1EEvPKT_PKT0_S7_ifPKiS9_S9_iPKfiiiPfSC_PS2_PT2_iSB_SB_,comdat
.Lfunc_end306:
	.size	_Z38paged_attention_ll4mi_QKV_mfma4_kernelIDF16_DF16_LN4vllm18Fp8KVCacheDataTypeE0EhLi32ELi128ELi256ELb1ELi1EEvPKT_PKT0_S7_ifPKiS9_S9_iPKfiiiPfSC_PS2_PT2_iSB_SB_, .Lfunc_end306-_Z38paged_attention_ll4mi_QKV_mfma4_kernelIDF16_DF16_LN4vllm18Fp8KVCacheDataTypeE0EhLi32ELi128ELi256ELb1ELi1EEvPKT_PKT0_S7_ifPKiS9_S9_iPKfiiiPfSC_PS2_PT2_iSB_SB_
                                        ; -- End function
	.set _Z38paged_attention_ll4mi_QKV_mfma4_kernelIDF16_DF16_LN4vllm18Fp8KVCacheDataTypeE0EhLi32ELi128ELi256ELb1ELi1EEvPKT_PKT0_S7_ifPKiS9_S9_iPKfiiiPfSC_PS2_PT2_iSB_SB_.num_vgpr, max(3, .L__assert_fail.num_vgpr)
	.set _Z38paged_attention_ll4mi_QKV_mfma4_kernelIDF16_DF16_LN4vllm18Fp8KVCacheDataTypeE0EhLi32ELi128ELi256ELb1ELi1EEvPKT_PKT0_S7_ifPKiS9_S9_iPKfiiiPfSC_PS2_PT2_iSB_SB_.num_agpr, max(0, .L__assert_fail.num_agpr)
	.set _Z38paged_attention_ll4mi_QKV_mfma4_kernelIDF16_DF16_LN4vllm18Fp8KVCacheDataTypeE0EhLi32ELi128ELi256ELb1ELi1EEvPKT_PKT0_S7_ifPKiS9_S9_iPKfiiiPfSC_PS2_PT2_iSB_SB_.numbered_sgpr, max(33, .L__assert_fail.numbered_sgpr)
	.set _Z38paged_attention_ll4mi_QKV_mfma4_kernelIDF16_DF16_LN4vllm18Fp8KVCacheDataTypeE0EhLi32ELi128ELi256ELb1ELi1EEvPKT_PKT0_S7_ifPKiS9_S9_iPKfiiiPfSC_PS2_PT2_iSB_SB_.num_named_barrier, max(0, .L__assert_fail.num_named_barrier)
	.set _Z38paged_attention_ll4mi_QKV_mfma4_kernelIDF16_DF16_LN4vllm18Fp8KVCacheDataTypeE0EhLi32ELi128ELi256ELb1ELi1EEvPKT_PKT0_S7_ifPKiS9_S9_iPKfiiiPfSC_PS2_PT2_iSB_SB_.private_seg_size, 0+max(.L__assert_fail.private_seg_size)
	.set _Z38paged_attention_ll4mi_QKV_mfma4_kernelIDF16_DF16_LN4vllm18Fp8KVCacheDataTypeE0EhLi32ELi128ELi256ELb1ELi1EEvPKT_PKT0_S7_ifPKiS9_S9_iPKfiiiPfSC_PS2_PT2_iSB_SB_.uses_vcc, or(1, .L__assert_fail.uses_vcc)
	.set _Z38paged_attention_ll4mi_QKV_mfma4_kernelIDF16_DF16_LN4vllm18Fp8KVCacheDataTypeE0EhLi32ELi128ELi256ELb1ELi1EEvPKT_PKT0_S7_ifPKiS9_S9_iPKfiiiPfSC_PS2_PT2_iSB_SB_.uses_flat_scratch, or(0, .L__assert_fail.uses_flat_scratch)
	.set _Z38paged_attention_ll4mi_QKV_mfma4_kernelIDF16_DF16_LN4vllm18Fp8KVCacheDataTypeE0EhLi32ELi128ELi256ELb1ELi1EEvPKT_PKT0_S7_ifPKiS9_S9_iPKfiiiPfSC_PS2_PT2_iSB_SB_.has_dyn_sized_stack, or(0, .L__assert_fail.has_dyn_sized_stack)
	.set _Z38paged_attention_ll4mi_QKV_mfma4_kernelIDF16_DF16_LN4vllm18Fp8KVCacheDataTypeE0EhLi32ELi128ELi256ELb1ELi1EEvPKT_PKT0_S7_ifPKiS9_S9_iPKfiiiPfSC_PS2_PT2_iSB_SB_.has_recursion, or(0, .L__assert_fail.has_recursion)
	.set _Z38paged_attention_ll4mi_QKV_mfma4_kernelIDF16_DF16_LN4vllm18Fp8KVCacheDataTypeE0EhLi32ELi128ELi256ELb1ELi1EEvPKT_PKT0_S7_ifPKiS9_S9_iPKfiiiPfSC_PS2_PT2_iSB_SB_.has_indirect_call, or(0, .L__assert_fail.has_indirect_call)
	.section	.AMDGPU.csdata,"",@progbits
; Kernel info:
; codeLenInByte = 68
; TotalNumSgprs: 36
; NumVgprs: 51
; ScratchSize: 64
; MemoryBound: 0
; FloatMode: 240
; IeeeMode: 1
; LDSByteSize: 0 bytes/workgroup (compile time only)
; SGPRBlocks: 0
; VGPRBlocks: 3
; NumSGPRsForWavesPerEU: 36
; NumVGPRsForWavesPerEU: 51
; NamedBarCnt: 0
; Occupancy: 16
; WaveLimiterHint : 1
; COMPUTE_PGM_RSRC2:SCRATCH_EN: 1
; COMPUTE_PGM_RSRC2:USER_SGPR: 2
; COMPUTE_PGM_RSRC2:TRAP_HANDLER: 0
; COMPUTE_PGM_RSRC2:TGID_X_EN: 1
; COMPUTE_PGM_RSRC2:TGID_Y_EN: 0
; COMPUTE_PGM_RSRC2:TGID_Z_EN: 0
; COMPUTE_PGM_RSRC2:TIDIG_COMP_CNT: 0
	.section	.text._Z38paged_attention_ll4mi_QKV_mfma4_kernelIDF16_DF16_LN4vllm18Fp8KVCacheDataTypeE0EhLi32ELi128ELi256ELb1ELi2EEvPKT_PKT0_S7_ifPKiS9_S9_iPKfiiiPfSC_PS2_PT2_iSB_SB_,"axG",@progbits,_Z38paged_attention_ll4mi_QKV_mfma4_kernelIDF16_DF16_LN4vllm18Fp8KVCacheDataTypeE0EhLi32ELi128ELi256ELb1ELi2EEvPKT_PKT0_S7_ifPKiS9_S9_iPKfiiiPfSC_PS2_PT2_iSB_SB_,comdat
	.protected	_Z38paged_attention_ll4mi_QKV_mfma4_kernelIDF16_DF16_LN4vllm18Fp8KVCacheDataTypeE0EhLi32ELi128ELi256ELb1ELi2EEvPKT_PKT0_S7_ifPKiS9_S9_iPKfiiiPfSC_PS2_PT2_iSB_SB_ ; -- Begin function _Z38paged_attention_ll4mi_QKV_mfma4_kernelIDF16_DF16_LN4vllm18Fp8KVCacheDataTypeE0EhLi32ELi128ELi256ELb1ELi2EEvPKT_PKT0_S7_ifPKiS9_S9_iPKfiiiPfSC_PS2_PT2_iSB_SB_
	.globl	_Z38paged_attention_ll4mi_QKV_mfma4_kernelIDF16_DF16_LN4vllm18Fp8KVCacheDataTypeE0EhLi32ELi128ELi256ELb1ELi2EEvPKT_PKT0_S7_ifPKiS9_S9_iPKfiiiPfSC_PS2_PT2_iSB_SB_
	.p2align	8
	.type	_Z38paged_attention_ll4mi_QKV_mfma4_kernelIDF16_DF16_LN4vllm18Fp8KVCacheDataTypeE0EhLi32ELi128ELi256ELb1ELi2EEvPKT_PKT0_S7_ifPKiS9_S9_iPKfiiiPfSC_PS2_PT2_iSB_SB_,@function
_Z38paged_attention_ll4mi_QKV_mfma4_kernelIDF16_DF16_LN4vllm18Fp8KVCacheDataTypeE0EhLi32ELi128ELi256ELb1ELi2EEvPKT_PKT0_S7_ifPKiS9_S9_iPKfiiiPfSC_PS2_PT2_iSB_SB_: ; @_Z38paged_attention_ll4mi_QKV_mfma4_kernelIDF16_DF16_LN4vllm18Fp8KVCacheDataTypeE0EhLi32ELi128ELi256ELb1ELi2EEvPKT_PKT0_S7_ifPKiS9_S9_iPKfiiiPfSC_PS2_PT2_iSB_SB_
; %bb.0:
	s_get_pc_i64 s[2:3]
	s_add_nc_u64 s[2:3], s[2:3], __PRETTY_FUNCTION__._Z38paged_attention_ll4mi_QKV_mfma4_kernelIDF16_DF16_LN4vllm18Fp8KVCacheDataTypeE0EhLi32ELi128ELi256ELb1ELi2EEvPKT_PKT0_S7_ifPKiS9_S9_iPKfiiiPfSC_PS2_PT2_iSB_SB_@rel64+4
	s_delay_alu instid0(SALU_CYCLE_1)
	v_dual_mov_b32 v0, 0xbce :: v_dual_mov_b32 v1, s2
	v_mov_b32_e32 v2, s3
	s_add_nc_u64 s[8:9], s[0:1], 0x90
	s_get_pc_i64 s[0:1]
	s_add_nc_u64 s[0:1], s[0:1], __assert_fail@rel64+4
	s_mov_b32 s32, 0
	s_swap_pc_i64 s[30:31], s[0:1]
	.section	.rodata,"a",@progbits
	.p2align	6, 0x0
	.amdhsa_kernel _Z38paged_attention_ll4mi_QKV_mfma4_kernelIDF16_DF16_LN4vllm18Fp8KVCacheDataTypeE0EhLi32ELi128ELi256ELb1ELi2EEvPKT_PKT0_S7_ifPKiS9_S9_iPKfiiiPfSC_PS2_PT2_iSB_SB_
		.amdhsa_group_segment_fixed_size 0
		.amdhsa_private_segment_fixed_size 64
		.amdhsa_kernarg_size 400
		.amdhsa_user_sgpr_count 2
		.amdhsa_user_sgpr_dispatch_ptr 0
		.amdhsa_user_sgpr_queue_ptr 0
		.amdhsa_user_sgpr_kernarg_segment_ptr 1
		.amdhsa_user_sgpr_dispatch_id 0
		.amdhsa_user_sgpr_kernarg_preload_length 0
		.amdhsa_user_sgpr_kernarg_preload_offset 0
		.amdhsa_user_sgpr_private_segment_size 0
		.amdhsa_wavefront_size32 1
		.amdhsa_uses_dynamic_stack 0
		.amdhsa_enable_private_segment 1
		.amdhsa_system_sgpr_workgroup_id_x 1
		.amdhsa_system_sgpr_workgroup_id_y 0
		.amdhsa_system_sgpr_workgroup_id_z 0
		.amdhsa_system_sgpr_workgroup_info 0
		.amdhsa_system_vgpr_workitem_id 0
		.amdhsa_next_free_vgpr 51
		.amdhsa_next_free_sgpr 34
		.amdhsa_named_barrier_count 0
		.amdhsa_reserve_vcc 1
		.amdhsa_float_round_mode_32 0
		.amdhsa_float_round_mode_16_64 0
		.amdhsa_float_denorm_mode_32 3
		.amdhsa_float_denorm_mode_16_64 3
		.amdhsa_fp16_overflow 0
		.amdhsa_memory_ordered 1
		.amdhsa_forward_progress 1
		.amdhsa_inst_pref_size 1
		.amdhsa_round_robin_scheduling 0
		.amdhsa_exception_fp_ieee_invalid_op 0
		.amdhsa_exception_fp_denorm_src 0
		.amdhsa_exception_fp_ieee_div_zero 0
		.amdhsa_exception_fp_ieee_overflow 0
		.amdhsa_exception_fp_ieee_underflow 0
		.amdhsa_exception_fp_ieee_inexact 0
		.amdhsa_exception_int_div_zero 0
	.end_amdhsa_kernel
	.section	.text._Z38paged_attention_ll4mi_QKV_mfma4_kernelIDF16_DF16_LN4vllm18Fp8KVCacheDataTypeE0EhLi32ELi128ELi256ELb1ELi2EEvPKT_PKT0_S7_ifPKiS9_S9_iPKfiiiPfSC_PS2_PT2_iSB_SB_,"axG",@progbits,_Z38paged_attention_ll4mi_QKV_mfma4_kernelIDF16_DF16_LN4vllm18Fp8KVCacheDataTypeE0EhLi32ELi128ELi256ELb1ELi2EEvPKT_PKT0_S7_ifPKiS9_S9_iPKfiiiPfSC_PS2_PT2_iSB_SB_,comdat
.Lfunc_end307:
	.size	_Z38paged_attention_ll4mi_QKV_mfma4_kernelIDF16_DF16_LN4vllm18Fp8KVCacheDataTypeE0EhLi32ELi128ELi256ELb1ELi2EEvPKT_PKT0_S7_ifPKiS9_S9_iPKfiiiPfSC_PS2_PT2_iSB_SB_, .Lfunc_end307-_Z38paged_attention_ll4mi_QKV_mfma4_kernelIDF16_DF16_LN4vllm18Fp8KVCacheDataTypeE0EhLi32ELi128ELi256ELb1ELi2EEvPKT_PKT0_S7_ifPKiS9_S9_iPKfiiiPfSC_PS2_PT2_iSB_SB_
                                        ; -- End function
	.set _Z38paged_attention_ll4mi_QKV_mfma4_kernelIDF16_DF16_LN4vllm18Fp8KVCacheDataTypeE0EhLi32ELi128ELi256ELb1ELi2EEvPKT_PKT0_S7_ifPKiS9_S9_iPKfiiiPfSC_PS2_PT2_iSB_SB_.num_vgpr, max(3, .L__assert_fail.num_vgpr)
	.set _Z38paged_attention_ll4mi_QKV_mfma4_kernelIDF16_DF16_LN4vllm18Fp8KVCacheDataTypeE0EhLi32ELi128ELi256ELb1ELi2EEvPKT_PKT0_S7_ifPKiS9_S9_iPKfiiiPfSC_PS2_PT2_iSB_SB_.num_agpr, max(0, .L__assert_fail.num_agpr)
	.set _Z38paged_attention_ll4mi_QKV_mfma4_kernelIDF16_DF16_LN4vllm18Fp8KVCacheDataTypeE0EhLi32ELi128ELi256ELb1ELi2EEvPKT_PKT0_S7_ifPKiS9_S9_iPKfiiiPfSC_PS2_PT2_iSB_SB_.numbered_sgpr, max(33, .L__assert_fail.numbered_sgpr)
	.set _Z38paged_attention_ll4mi_QKV_mfma4_kernelIDF16_DF16_LN4vllm18Fp8KVCacheDataTypeE0EhLi32ELi128ELi256ELb1ELi2EEvPKT_PKT0_S7_ifPKiS9_S9_iPKfiiiPfSC_PS2_PT2_iSB_SB_.num_named_barrier, max(0, .L__assert_fail.num_named_barrier)
	.set _Z38paged_attention_ll4mi_QKV_mfma4_kernelIDF16_DF16_LN4vllm18Fp8KVCacheDataTypeE0EhLi32ELi128ELi256ELb1ELi2EEvPKT_PKT0_S7_ifPKiS9_S9_iPKfiiiPfSC_PS2_PT2_iSB_SB_.private_seg_size, 0+max(.L__assert_fail.private_seg_size)
	.set _Z38paged_attention_ll4mi_QKV_mfma4_kernelIDF16_DF16_LN4vllm18Fp8KVCacheDataTypeE0EhLi32ELi128ELi256ELb1ELi2EEvPKT_PKT0_S7_ifPKiS9_S9_iPKfiiiPfSC_PS2_PT2_iSB_SB_.uses_vcc, or(1, .L__assert_fail.uses_vcc)
	.set _Z38paged_attention_ll4mi_QKV_mfma4_kernelIDF16_DF16_LN4vllm18Fp8KVCacheDataTypeE0EhLi32ELi128ELi256ELb1ELi2EEvPKT_PKT0_S7_ifPKiS9_S9_iPKfiiiPfSC_PS2_PT2_iSB_SB_.uses_flat_scratch, or(0, .L__assert_fail.uses_flat_scratch)
	.set _Z38paged_attention_ll4mi_QKV_mfma4_kernelIDF16_DF16_LN4vllm18Fp8KVCacheDataTypeE0EhLi32ELi128ELi256ELb1ELi2EEvPKT_PKT0_S7_ifPKiS9_S9_iPKfiiiPfSC_PS2_PT2_iSB_SB_.has_dyn_sized_stack, or(0, .L__assert_fail.has_dyn_sized_stack)
	.set _Z38paged_attention_ll4mi_QKV_mfma4_kernelIDF16_DF16_LN4vllm18Fp8KVCacheDataTypeE0EhLi32ELi128ELi256ELb1ELi2EEvPKT_PKT0_S7_ifPKiS9_S9_iPKfiiiPfSC_PS2_PT2_iSB_SB_.has_recursion, or(0, .L__assert_fail.has_recursion)
	.set _Z38paged_attention_ll4mi_QKV_mfma4_kernelIDF16_DF16_LN4vllm18Fp8KVCacheDataTypeE0EhLi32ELi128ELi256ELb1ELi2EEvPKT_PKT0_S7_ifPKiS9_S9_iPKfiiiPfSC_PS2_PT2_iSB_SB_.has_indirect_call, or(0, .L__assert_fail.has_indirect_call)
	.section	.AMDGPU.csdata,"",@progbits
; Kernel info:
; codeLenInByte = 68
; TotalNumSgprs: 36
; NumVgprs: 51
; ScratchSize: 64
; MemoryBound: 0
; FloatMode: 240
; IeeeMode: 1
; LDSByteSize: 0 bytes/workgroup (compile time only)
; SGPRBlocks: 0
; VGPRBlocks: 3
; NumSGPRsForWavesPerEU: 36
; NumVGPRsForWavesPerEU: 51
; NamedBarCnt: 0
; Occupancy: 16
; WaveLimiterHint : 1
; COMPUTE_PGM_RSRC2:SCRATCH_EN: 1
; COMPUTE_PGM_RSRC2:USER_SGPR: 2
; COMPUTE_PGM_RSRC2:TRAP_HANDLER: 0
; COMPUTE_PGM_RSRC2:TGID_X_EN: 1
; COMPUTE_PGM_RSRC2:TGID_Y_EN: 0
; COMPUTE_PGM_RSRC2:TGID_Z_EN: 0
; COMPUTE_PGM_RSRC2:TIDIG_COMP_CNT: 0
	.section	.text._Z38paged_attention_ll4mi_QKV_mfma4_kernelIDF16_DF16_LN4vllm18Fp8KVCacheDataTypeE0EhLi32ELi128ELi256ELb1ELi3EEvPKT_PKT0_S7_ifPKiS9_S9_iPKfiiiPfSC_PS2_PT2_iSB_SB_,"axG",@progbits,_Z38paged_attention_ll4mi_QKV_mfma4_kernelIDF16_DF16_LN4vllm18Fp8KVCacheDataTypeE0EhLi32ELi128ELi256ELb1ELi3EEvPKT_PKT0_S7_ifPKiS9_S9_iPKfiiiPfSC_PS2_PT2_iSB_SB_,comdat
	.protected	_Z38paged_attention_ll4mi_QKV_mfma4_kernelIDF16_DF16_LN4vllm18Fp8KVCacheDataTypeE0EhLi32ELi128ELi256ELb1ELi3EEvPKT_PKT0_S7_ifPKiS9_S9_iPKfiiiPfSC_PS2_PT2_iSB_SB_ ; -- Begin function _Z38paged_attention_ll4mi_QKV_mfma4_kernelIDF16_DF16_LN4vllm18Fp8KVCacheDataTypeE0EhLi32ELi128ELi256ELb1ELi3EEvPKT_PKT0_S7_ifPKiS9_S9_iPKfiiiPfSC_PS2_PT2_iSB_SB_
	.globl	_Z38paged_attention_ll4mi_QKV_mfma4_kernelIDF16_DF16_LN4vllm18Fp8KVCacheDataTypeE0EhLi32ELi128ELi256ELb1ELi3EEvPKT_PKT0_S7_ifPKiS9_S9_iPKfiiiPfSC_PS2_PT2_iSB_SB_
	.p2align	8
	.type	_Z38paged_attention_ll4mi_QKV_mfma4_kernelIDF16_DF16_LN4vllm18Fp8KVCacheDataTypeE0EhLi32ELi128ELi256ELb1ELi3EEvPKT_PKT0_S7_ifPKiS9_S9_iPKfiiiPfSC_PS2_PT2_iSB_SB_,@function
_Z38paged_attention_ll4mi_QKV_mfma4_kernelIDF16_DF16_LN4vllm18Fp8KVCacheDataTypeE0EhLi32ELi128ELi256ELb1ELi3EEvPKT_PKT0_S7_ifPKiS9_S9_iPKfiiiPfSC_PS2_PT2_iSB_SB_: ; @_Z38paged_attention_ll4mi_QKV_mfma4_kernelIDF16_DF16_LN4vllm18Fp8KVCacheDataTypeE0EhLi32ELi128ELi256ELb1ELi3EEvPKT_PKT0_S7_ifPKiS9_S9_iPKfiiiPfSC_PS2_PT2_iSB_SB_
; %bb.0:
	s_get_pc_i64 s[2:3]
	s_add_nc_u64 s[2:3], s[2:3], __PRETTY_FUNCTION__._Z38paged_attention_ll4mi_QKV_mfma4_kernelIDF16_DF16_LN4vllm18Fp8KVCacheDataTypeE0EhLi32ELi128ELi256ELb1ELi3EEvPKT_PKT0_S7_ifPKiS9_S9_iPKfiiiPfSC_PS2_PT2_iSB_SB_@rel64+4
	s_delay_alu instid0(SALU_CYCLE_1)
	v_dual_mov_b32 v0, 0xbce :: v_dual_mov_b32 v1, s2
	v_mov_b32_e32 v2, s3
	s_add_nc_u64 s[8:9], s[0:1], 0x90
	s_get_pc_i64 s[0:1]
	s_add_nc_u64 s[0:1], s[0:1], __assert_fail@rel64+4
	s_mov_b32 s32, 0
	s_swap_pc_i64 s[30:31], s[0:1]
	.section	.rodata,"a",@progbits
	.p2align	6, 0x0
	.amdhsa_kernel _Z38paged_attention_ll4mi_QKV_mfma4_kernelIDF16_DF16_LN4vllm18Fp8KVCacheDataTypeE0EhLi32ELi128ELi256ELb1ELi3EEvPKT_PKT0_S7_ifPKiS9_S9_iPKfiiiPfSC_PS2_PT2_iSB_SB_
		.amdhsa_group_segment_fixed_size 0
		.amdhsa_private_segment_fixed_size 64
		.amdhsa_kernarg_size 400
		.amdhsa_user_sgpr_count 2
		.amdhsa_user_sgpr_dispatch_ptr 0
		.amdhsa_user_sgpr_queue_ptr 0
		.amdhsa_user_sgpr_kernarg_segment_ptr 1
		.amdhsa_user_sgpr_dispatch_id 0
		.amdhsa_user_sgpr_kernarg_preload_length 0
		.amdhsa_user_sgpr_kernarg_preload_offset 0
		.amdhsa_user_sgpr_private_segment_size 0
		.amdhsa_wavefront_size32 1
		.amdhsa_uses_dynamic_stack 0
		.amdhsa_enable_private_segment 1
		.amdhsa_system_sgpr_workgroup_id_x 1
		.amdhsa_system_sgpr_workgroup_id_y 0
		.amdhsa_system_sgpr_workgroup_id_z 0
		.amdhsa_system_sgpr_workgroup_info 0
		.amdhsa_system_vgpr_workitem_id 0
		.amdhsa_next_free_vgpr 51
		.amdhsa_next_free_sgpr 34
		.amdhsa_named_barrier_count 0
		.amdhsa_reserve_vcc 1
		.amdhsa_float_round_mode_32 0
		.amdhsa_float_round_mode_16_64 0
		.amdhsa_float_denorm_mode_32 3
		.amdhsa_float_denorm_mode_16_64 3
		.amdhsa_fp16_overflow 0
		.amdhsa_memory_ordered 1
		.amdhsa_forward_progress 1
		.amdhsa_inst_pref_size 1
		.amdhsa_round_robin_scheduling 0
		.amdhsa_exception_fp_ieee_invalid_op 0
		.amdhsa_exception_fp_denorm_src 0
		.amdhsa_exception_fp_ieee_div_zero 0
		.amdhsa_exception_fp_ieee_overflow 0
		.amdhsa_exception_fp_ieee_underflow 0
		.amdhsa_exception_fp_ieee_inexact 0
		.amdhsa_exception_int_div_zero 0
	.end_amdhsa_kernel
	.section	.text._Z38paged_attention_ll4mi_QKV_mfma4_kernelIDF16_DF16_LN4vllm18Fp8KVCacheDataTypeE0EhLi32ELi128ELi256ELb1ELi3EEvPKT_PKT0_S7_ifPKiS9_S9_iPKfiiiPfSC_PS2_PT2_iSB_SB_,"axG",@progbits,_Z38paged_attention_ll4mi_QKV_mfma4_kernelIDF16_DF16_LN4vllm18Fp8KVCacheDataTypeE0EhLi32ELi128ELi256ELb1ELi3EEvPKT_PKT0_S7_ifPKiS9_S9_iPKfiiiPfSC_PS2_PT2_iSB_SB_,comdat
.Lfunc_end308:
	.size	_Z38paged_attention_ll4mi_QKV_mfma4_kernelIDF16_DF16_LN4vllm18Fp8KVCacheDataTypeE0EhLi32ELi128ELi256ELb1ELi3EEvPKT_PKT0_S7_ifPKiS9_S9_iPKfiiiPfSC_PS2_PT2_iSB_SB_, .Lfunc_end308-_Z38paged_attention_ll4mi_QKV_mfma4_kernelIDF16_DF16_LN4vllm18Fp8KVCacheDataTypeE0EhLi32ELi128ELi256ELb1ELi3EEvPKT_PKT0_S7_ifPKiS9_S9_iPKfiiiPfSC_PS2_PT2_iSB_SB_
                                        ; -- End function
	.set _Z38paged_attention_ll4mi_QKV_mfma4_kernelIDF16_DF16_LN4vllm18Fp8KVCacheDataTypeE0EhLi32ELi128ELi256ELb1ELi3EEvPKT_PKT0_S7_ifPKiS9_S9_iPKfiiiPfSC_PS2_PT2_iSB_SB_.num_vgpr, max(3, .L__assert_fail.num_vgpr)
	.set _Z38paged_attention_ll4mi_QKV_mfma4_kernelIDF16_DF16_LN4vllm18Fp8KVCacheDataTypeE0EhLi32ELi128ELi256ELb1ELi3EEvPKT_PKT0_S7_ifPKiS9_S9_iPKfiiiPfSC_PS2_PT2_iSB_SB_.num_agpr, max(0, .L__assert_fail.num_agpr)
	.set _Z38paged_attention_ll4mi_QKV_mfma4_kernelIDF16_DF16_LN4vllm18Fp8KVCacheDataTypeE0EhLi32ELi128ELi256ELb1ELi3EEvPKT_PKT0_S7_ifPKiS9_S9_iPKfiiiPfSC_PS2_PT2_iSB_SB_.numbered_sgpr, max(33, .L__assert_fail.numbered_sgpr)
	.set _Z38paged_attention_ll4mi_QKV_mfma4_kernelIDF16_DF16_LN4vllm18Fp8KVCacheDataTypeE0EhLi32ELi128ELi256ELb1ELi3EEvPKT_PKT0_S7_ifPKiS9_S9_iPKfiiiPfSC_PS2_PT2_iSB_SB_.num_named_barrier, max(0, .L__assert_fail.num_named_barrier)
	.set _Z38paged_attention_ll4mi_QKV_mfma4_kernelIDF16_DF16_LN4vllm18Fp8KVCacheDataTypeE0EhLi32ELi128ELi256ELb1ELi3EEvPKT_PKT0_S7_ifPKiS9_S9_iPKfiiiPfSC_PS2_PT2_iSB_SB_.private_seg_size, 0+max(.L__assert_fail.private_seg_size)
	.set _Z38paged_attention_ll4mi_QKV_mfma4_kernelIDF16_DF16_LN4vllm18Fp8KVCacheDataTypeE0EhLi32ELi128ELi256ELb1ELi3EEvPKT_PKT0_S7_ifPKiS9_S9_iPKfiiiPfSC_PS2_PT2_iSB_SB_.uses_vcc, or(1, .L__assert_fail.uses_vcc)
	.set _Z38paged_attention_ll4mi_QKV_mfma4_kernelIDF16_DF16_LN4vllm18Fp8KVCacheDataTypeE0EhLi32ELi128ELi256ELb1ELi3EEvPKT_PKT0_S7_ifPKiS9_S9_iPKfiiiPfSC_PS2_PT2_iSB_SB_.uses_flat_scratch, or(0, .L__assert_fail.uses_flat_scratch)
	.set _Z38paged_attention_ll4mi_QKV_mfma4_kernelIDF16_DF16_LN4vllm18Fp8KVCacheDataTypeE0EhLi32ELi128ELi256ELb1ELi3EEvPKT_PKT0_S7_ifPKiS9_S9_iPKfiiiPfSC_PS2_PT2_iSB_SB_.has_dyn_sized_stack, or(0, .L__assert_fail.has_dyn_sized_stack)
	.set _Z38paged_attention_ll4mi_QKV_mfma4_kernelIDF16_DF16_LN4vllm18Fp8KVCacheDataTypeE0EhLi32ELi128ELi256ELb1ELi3EEvPKT_PKT0_S7_ifPKiS9_S9_iPKfiiiPfSC_PS2_PT2_iSB_SB_.has_recursion, or(0, .L__assert_fail.has_recursion)
	.set _Z38paged_attention_ll4mi_QKV_mfma4_kernelIDF16_DF16_LN4vllm18Fp8KVCacheDataTypeE0EhLi32ELi128ELi256ELb1ELi3EEvPKT_PKT0_S7_ifPKiS9_S9_iPKfiiiPfSC_PS2_PT2_iSB_SB_.has_indirect_call, or(0, .L__assert_fail.has_indirect_call)
	.section	.AMDGPU.csdata,"",@progbits
; Kernel info:
; codeLenInByte = 68
; TotalNumSgprs: 36
; NumVgprs: 51
; ScratchSize: 64
; MemoryBound: 0
; FloatMode: 240
; IeeeMode: 1
; LDSByteSize: 0 bytes/workgroup (compile time only)
; SGPRBlocks: 0
; VGPRBlocks: 3
; NumSGPRsForWavesPerEU: 36
; NumVGPRsForWavesPerEU: 51
; NamedBarCnt: 0
; Occupancy: 16
; WaveLimiterHint : 1
; COMPUTE_PGM_RSRC2:SCRATCH_EN: 1
; COMPUTE_PGM_RSRC2:USER_SGPR: 2
; COMPUTE_PGM_RSRC2:TRAP_HANDLER: 0
; COMPUTE_PGM_RSRC2:TGID_X_EN: 1
; COMPUTE_PGM_RSRC2:TGID_Y_EN: 0
; COMPUTE_PGM_RSRC2:TGID_Z_EN: 0
; COMPUTE_PGM_RSRC2:TIDIG_COMP_CNT: 0
	.section	.text._Z38paged_attention_ll4mi_QKV_mfma4_kernelIDF16_DF16_LN4vllm18Fp8KVCacheDataTypeE0EhLi32ELi128ELi256ELb1ELi4EEvPKT_PKT0_S7_ifPKiS9_S9_iPKfiiiPfSC_PS2_PT2_iSB_SB_,"axG",@progbits,_Z38paged_attention_ll4mi_QKV_mfma4_kernelIDF16_DF16_LN4vllm18Fp8KVCacheDataTypeE0EhLi32ELi128ELi256ELb1ELi4EEvPKT_PKT0_S7_ifPKiS9_S9_iPKfiiiPfSC_PS2_PT2_iSB_SB_,comdat
	.protected	_Z38paged_attention_ll4mi_QKV_mfma4_kernelIDF16_DF16_LN4vllm18Fp8KVCacheDataTypeE0EhLi32ELi128ELi256ELb1ELi4EEvPKT_PKT0_S7_ifPKiS9_S9_iPKfiiiPfSC_PS2_PT2_iSB_SB_ ; -- Begin function _Z38paged_attention_ll4mi_QKV_mfma4_kernelIDF16_DF16_LN4vllm18Fp8KVCacheDataTypeE0EhLi32ELi128ELi256ELb1ELi4EEvPKT_PKT0_S7_ifPKiS9_S9_iPKfiiiPfSC_PS2_PT2_iSB_SB_
	.globl	_Z38paged_attention_ll4mi_QKV_mfma4_kernelIDF16_DF16_LN4vllm18Fp8KVCacheDataTypeE0EhLi32ELi128ELi256ELb1ELi4EEvPKT_PKT0_S7_ifPKiS9_S9_iPKfiiiPfSC_PS2_PT2_iSB_SB_
	.p2align	8
	.type	_Z38paged_attention_ll4mi_QKV_mfma4_kernelIDF16_DF16_LN4vllm18Fp8KVCacheDataTypeE0EhLi32ELi128ELi256ELb1ELi4EEvPKT_PKT0_S7_ifPKiS9_S9_iPKfiiiPfSC_PS2_PT2_iSB_SB_,@function
_Z38paged_attention_ll4mi_QKV_mfma4_kernelIDF16_DF16_LN4vllm18Fp8KVCacheDataTypeE0EhLi32ELi128ELi256ELb1ELi4EEvPKT_PKT0_S7_ifPKiS9_S9_iPKfiiiPfSC_PS2_PT2_iSB_SB_: ; @_Z38paged_attention_ll4mi_QKV_mfma4_kernelIDF16_DF16_LN4vllm18Fp8KVCacheDataTypeE0EhLi32ELi128ELi256ELb1ELi4EEvPKT_PKT0_S7_ifPKiS9_S9_iPKfiiiPfSC_PS2_PT2_iSB_SB_
; %bb.0:
	s_get_pc_i64 s[2:3]
	s_add_nc_u64 s[2:3], s[2:3], __PRETTY_FUNCTION__._Z38paged_attention_ll4mi_QKV_mfma4_kernelIDF16_DF16_LN4vllm18Fp8KVCacheDataTypeE0EhLi32ELi128ELi256ELb1ELi4EEvPKT_PKT0_S7_ifPKiS9_S9_iPKfiiiPfSC_PS2_PT2_iSB_SB_@rel64+4
	s_delay_alu instid0(SALU_CYCLE_1)
	v_dual_mov_b32 v0, 0xbce :: v_dual_mov_b32 v1, s2
	v_mov_b32_e32 v2, s3
	s_add_nc_u64 s[8:9], s[0:1], 0x90
	s_get_pc_i64 s[0:1]
	s_add_nc_u64 s[0:1], s[0:1], __assert_fail@rel64+4
	s_mov_b32 s32, 0
	s_swap_pc_i64 s[30:31], s[0:1]
	.section	.rodata,"a",@progbits
	.p2align	6, 0x0
	.amdhsa_kernel _Z38paged_attention_ll4mi_QKV_mfma4_kernelIDF16_DF16_LN4vllm18Fp8KVCacheDataTypeE0EhLi32ELi128ELi256ELb1ELi4EEvPKT_PKT0_S7_ifPKiS9_S9_iPKfiiiPfSC_PS2_PT2_iSB_SB_
		.amdhsa_group_segment_fixed_size 0
		.amdhsa_private_segment_fixed_size 64
		.amdhsa_kernarg_size 400
		.amdhsa_user_sgpr_count 2
		.amdhsa_user_sgpr_dispatch_ptr 0
		.amdhsa_user_sgpr_queue_ptr 0
		.amdhsa_user_sgpr_kernarg_segment_ptr 1
		.amdhsa_user_sgpr_dispatch_id 0
		.amdhsa_user_sgpr_kernarg_preload_length 0
		.amdhsa_user_sgpr_kernarg_preload_offset 0
		.amdhsa_user_sgpr_private_segment_size 0
		.amdhsa_wavefront_size32 1
		.amdhsa_uses_dynamic_stack 0
		.amdhsa_enable_private_segment 1
		.amdhsa_system_sgpr_workgroup_id_x 1
		.amdhsa_system_sgpr_workgroup_id_y 0
		.amdhsa_system_sgpr_workgroup_id_z 0
		.amdhsa_system_sgpr_workgroup_info 0
		.amdhsa_system_vgpr_workitem_id 0
		.amdhsa_next_free_vgpr 51
		.amdhsa_next_free_sgpr 34
		.amdhsa_named_barrier_count 0
		.amdhsa_reserve_vcc 1
		.amdhsa_float_round_mode_32 0
		.amdhsa_float_round_mode_16_64 0
		.amdhsa_float_denorm_mode_32 3
		.amdhsa_float_denorm_mode_16_64 3
		.amdhsa_fp16_overflow 0
		.amdhsa_memory_ordered 1
		.amdhsa_forward_progress 1
		.amdhsa_inst_pref_size 1
		.amdhsa_round_robin_scheduling 0
		.amdhsa_exception_fp_ieee_invalid_op 0
		.amdhsa_exception_fp_denorm_src 0
		.amdhsa_exception_fp_ieee_div_zero 0
		.amdhsa_exception_fp_ieee_overflow 0
		.amdhsa_exception_fp_ieee_underflow 0
		.amdhsa_exception_fp_ieee_inexact 0
		.amdhsa_exception_int_div_zero 0
	.end_amdhsa_kernel
	.section	.text._Z38paged_attention_ll4mi_QKV_mfma4_kernelIDF16_DF16_LN4vllm18Fp8KVCacheDataTypeE0EhLi32ELi128ELi256ELb1ELi4EEvPKT_PKT0_S7_ifPKiS9_S9_iPKfiiiPfSC_PS2_PT2_iSB_SB_,"axG",@progbits,_Z38paged_attention_ll4mi_QKV_mfma4_kernelIDF16_DF16_LN4vllm18Fp8KVCacheDataTypeE0EhLi32ELi128ELi256ELb1ELi4EEvPKT_PKT0_S7_ifPKiS9_S9_iPKfiiiPfSC_PS2_PT2_iSB_SB_,comdat
.Lfunc_end309:
	.size	_Z38paged_attention_ll4mi_QKV_mfma4_kernelIDF16_DF16_LN4vllm18Fp8KVCacheDataTypeE0EhLi32ELi128ELi256ELb1ELi4EEvPKT_PKT0_S7_ifPKiS9_S9_iPKfiiiPfSC_PS2_PT2_iSB_SB_, .Lfunc_end309-_Z38paged_attention_ll4mi_QKV_mfma4_kernelIDF16_DF16_LN4vllm18Fp8KVCacheDataTypeE0EhLi32ELi128ELi256ELb1ELi4EEvPKT_PKT0_S7_ifPKiS9_S9_iPKfiiiPfSC_PS2_PT2_iSB_SB_
                                        ; -- End function
	.set _Z38paged_attention_ll4mi_QKV_mfma4_kernelIDF16_DF16_LN4vllm18Fp8KVCacheDataTypeE0EhLi32ELi128ELi256ELb1ELi4EEvPKT_PKT0_S7_ifPKiS9_S9_iPKfiiiPfSC_PS2_PT2_iSB_SB_.num_vgpr, max(3, .L__assert_fail.num_vgpr)
	.set _Z38paged_attention_ll4mi_QKV_mfma4_kernelIDF16_DF16_LN4vllm18Fp8KVCacheDataTypeE0EhLi32ELi128ELi256ELb1ELi4EEvPKT_PKT0_S7_ifPKiS9_S9_iPKfiiiPfSC_PS2_PT2_iSB_SB_.num_agpr, max(0, .L__assert_fail.num_agpr)
	.set _Z38paged_attention_ll4mi_QKV_mfma4_kernelIDF16_DF16_LN4vllm18Fp8KVCacheDataTypeE0EhLi32ELi128ELi256ELb1ELi4EEvPKT_PKT0_S7_ifPKiS9_S9_iPKfiiiPfSC_PS2_PT2_iSB_SB_.numbered_sgpr, max(33, .L__assert_fail.numbered_sgpr)
	.set _Z38paged_attention_ll4mi_QKV_mfma4_kernelIDF16_DF16_LN4vllm18Fp8KVCacheDataTypeE0EhLi32ELi128ELi256ELb1ELi4EEvPKT_PKT0_S7_ifPKiS9_S9_iPKfiiiPfSC_PS2_PT2_iSB_SB_.num_named_barrier, max(0, .L__assert_fail.num_named_barrier)
	.set _Z38paged_attention_ll4mi_QKV_mfma4_kernelIDF16_DF16_LN4vllm18Fp8KVCacheDataTypeE0EhLi32ELi128ELi256ELb1ELi4EEvPKT_PKT0_S7_ifPKiS9_S9_iPKfiiiPfSC_PS2_PT2_iSB_SB_.private_seg_size, 0+max(.L__assert_fail.private_seg_size)
	.set _Z38paged_attention_ll4mi_QKV_mfma4_kernelIDF16_DF16_LN4vllm18Fp8KVCacheDataTypeE0EhLi32ELi128ELi256ELb1ELi4EEvPKT_PKT0_S7_ifPKiS9_S9_iPKfiiiPfSC_PS2_PT2_iSB_SB_.uses_vcc, or(1, .L__assert_fail.uses_vcc)
	.set _Z38paged_attention_ll4mi_QKV_mfma4_kernelIDF16_DF16_LN4vllm18Fp8KVCacheDataTypeE0EhLi32ELi128ELi256ELb1ELi4EEvPKT_PKT0_S7_ifPKiS9_S9_iPKfiiiPfSC_PS2_PT2_iSB_SB_.uses_flat_scratch, or(0, .L__assert_fail.uses_flat_scratch)
	.set _Z38paged_attention_ll4mi_QKV_mfma4_kernelIDF16_DF16_LN4vllm18Fp8KVCacheDataTypeE0EhLi32ELi128ELi256ELb1ELi4EEvPKT_PKT0_S7_ifPKiS9_S9_iPKfiiiPfSC_PS2_PT2_iSB_SB_.has_dyn_sized_stack, or(0, .L__assert_fail.has_dyn_sized_stack)
	.set _Z38paged_attention_ll4mi_QKV_mfma4_kernelIDF16_DF16_LN4vllm18Fp8KVCacheDataTypeE0EhLi32ELi128ELi256ELb1ELi4EEvPKT_PKT0_S7_ifPKiS9_S9_iPKfiiiPfSC_PS2_PT2_iSB_SB_.has_recursion, or(0, .L__assert_fail.has_recursion)
	.set _Z38paged_attention_ll4mi_QKV_mfma4_kernelIDF16_DF16_LN4vllm18Fp8KVCacheDataTypeE0EhLi32ELi128ELi256ELb1ELi4EEvPKT_PKT0_S7_ifPKiS9_S9_iPKfiiiPfSC_PS2_PT2_iSB_SB_.has_indirect_call, or(0, .L__assert_fail.has_indirect_call)
	.section	.AMDGPU.csdata,"",@progbits
; Kernel info:
; codeLenInByte = 68
; TotalNumSgprs: 36
; NumVgprs: 51
; ScratchSize: 64
; MemoryBound: 0
; FloatMode: 240
; IeeeMode: 1
; LDSByteSize: 0 bytes/workgroup (compile time only)
; SGPRBlocks: 0
; VGPRBlocks: 3
; NumSGPRsForWavesPerEU: 36
; NumVGPRsForWavesPerEU: 51
; NamedBarCnt: 0
; Occupancy: 16
; WaveLimiterHint : 1
; COMPUTE_PGM_RSRC2:SCRATCH_EN: 1
; COMPUTE_PGM_RSRC2:USER_SGPR: 2
; COMPUTE_PGM_RSRC2:TRAP_HANDLER: 0
; COMPUTE_PGM_RSRC2:TGID_X_EN: 1
; COMPUTE_PGM_RSRC2:TGID_Y_EN: 0
; COMPUTE_PGM_RSRC2:TGID_Z_EN: 0
; COMPUTE_PGM_RSRC2:TIDIG_COMP_CNT: 0
	.section	.text._Z39paged_attention_ll4mi_QKV_mfma16_kernelIDF16_DF16_LN4vllm18Fp8KVCacheDataTypeE0EhLi32ELi128ELi256ELb1ELi5EEvPKT_PKT0_S7_ifPKiS9_S9_iPKfiiiPfSC_PS2_PT2_iSB_SB_,"axG",@progbits,_Z39paged_attention_ll4mi_QKV_mfma16_kernelIDF16_DF16_LN4vllm18Fp8KVCacheDataTypeE0EhLi32ELi128ELi256ELb1ELi5EEvPKT_PKT0_S7_ifPKiS9_S9_iPKfiiiPfSC_PS2_PT2_iSB_SB_,comdat
	.protected	_Z39paged_attention_ll4mi_QKV_mfma16_kernelIDF16_DF16_LN4vllm18Fp8KVCacheDataTypeE0EhLi32ELi128ELi256ELb1ELi5EEvPKT_PKT0_S7_ifPKiS9_S9_iPKfiiiPfSC_PS2_PT2_iSB_SB_ ; -- Begin function _Z39paged_attention_ll4mi_QKV_mfma16_kernelIDF16_DF16_LN4vllm18Fp8KVCacheDataTypeE0EhLi32ELi128ELi256ELb1ELi5EEvPKT_PKT0_S7_ifPKiS9_S9_iPKfiiiPfSC_PS2_PT2_iSB_SB_
	.globl	_Z39paged_attention_ll4mi_QKV_mfma16_kernelIDF16_DF16_LN4vllm18Fp8KVCacheDataTypeE0EhLi32ELi128ELi256ELb1ELi5EEvPKT_PKT0_S7_ifPKiS9_S9_iPKfiiiPfSC_PS2_PT2_iSB_SB_
	.p2align	8
	.type	_Z39paged_attention_ll4mi_QKV_mfma16_kernelIDF16_DF16_LN4vllm18Fp8KVCacheDataTypeE0EhLi32ELi128ELi256ELb1ELi5EEvPKT_PKT0_S7_ifPKiS9_S9_iPKfiiiPfSC_PS2_PT2_iSB_SB_,@function
_Z39paged_attention_ll4mi_QKV_mfma16_kernelIDF16_DF16_LN4vllm18Fp8KVCacheDataTypeE0EhLi32ELi128ELi256ELb1ELi5EEvPKT_PKT0_S7_ifPKiS9_S9_iPKfiiiPfSC_PS2_PT2_iSB_SB_: ; @_Z39paged_attention_ll4mi_QKV_mfma16_kernelIDF16_DF16_LN4vllm18Fp8KVCacheDataTypeE0EhLi32ELi128ELi256ELb1ELi5EEvPKT_PKT0_S7_ifPKiS9_S9_iPKfiiiPfSC_PS2_PT2_iSB_SB_
; %bb.0:
	s_get_pc_i64 s[2:3]
	s_add_nc_u64 s[2:3], s[2:3], __PRETTY_FUNCTION__._Z39paged_attention_ll4mi_QKV_mfma16_kernelIDF16_DF16_LN4vllm18Fp8KVCacheDataTypeE0EhLi32ELi128ELi256ELb1ELi5EEvPKT_PKT0_S7_ifPKiS9_S9_iPKfiiiPfSC_PS2_PT2_iSB_SB_@rel64+4
	s_delay_alu instid0(SALU_CYCLE_1)
	v_dual_mov_b32 v0, 0xbb3 :: v_dual_mov_b32 v1, s2
	v_mov_b32_e32 v2, s3
	s_add_nc_u64 s[8:9], s[0:1], 0x90
	s_get_pc_i64 s[0:1]
	s_add_nc_u64 s[0:1], s[0:1], __assert_fail@rel64+4
	s_mov_b32 s32, 0
	s_swap_pc_i64 s[30:31], s[0:1]
	.section	.rodata,"a",@progbits
	.p2align	6, 0x0
	.amdhsa_kernel _Z39paged_attention_ll4mi_QKV_mfma16_kernelIDF16_DF16_LN4vllm18Fp8KVCacheDataTypeE0EhLi32ELi128ELi256ELb1ELi5EEvPKT_PKT0_S7_ifPKiS9_S9_iPKfiiiPfSC_PS2_PT2_iSB_SB_
		.amdhsa_group_segment_fixed_size 0
		.amdhsa_private_segment_fixed_size 64
		.amdhsa_kernarg_size 400
		.amdhsa_user_sgpr_count 2
		.amdhsa_user_sgpr_dispatch_ptr 0
		.amdhsa_user_sgpr_queue_ptr 0
		.amdhsa_user_sgpr_kernarg_segment_ptr 1
		.amdhsa_user_sgpr_dispatch_id 0
		.amdhsa_user_sgpr_kernarg_preload_length 0
		.amdhsa_user_sgpr_kernarg_preload_offset 0
		.amdhsa_user_sgpr_private_segment_size 0
		.amdhsa_wavefront_size32 1
		.amdhsa_uses_dynamic_stack 0
		.amdhsa_enable_private_segment 1
		.amdhsa_system_sgpr_workgroup_id_x 1
		.amdhsa_system_sgpr_workgroup_id_y 0
		.amdhsa_system_sgpr_workgroup_id_z 0
		.amdhsa_system_sgpr_workgroup_info 0
		.amdhsa_system_vgpr_workitem_id 0
		.amdhsa_next_free_vgpr 51
		.amdhsa_next_free_sgpr 34
		.amdhsa_named_barrier_count 0
		.amdhsa_reserve_vcc 1
		.amdhsa_float_round_mode_32 0
		.amdhsa_float_round_mode_16_64 0
		.amdhsa_float_denorm_mode_32 3
		.amdhsa_float_denorm_mode_16_64 3
		.amdhsa_fp16_overflow 0
		.amdhsa_memory_ordered 1
		.amdhsa_forward_progress 1
		.amdhsa_inst_pref_size 1
		.amdhsa_round_robin_scheduling 0
		.amdhsa_exception_fp_ieee_invalid_op 0
		.amdhsa_exception_fp_denorm_src 0
		.amdhsa_exception_fp_ieee_div_zero 0
		.amdhsa_exception_fp_ieee_overflow 0
		.amdhsa_exception_fp_ieee_underflow 0
		.amdhsa_exception_fp_ieee_inexact 0
		.amdhsa_exception_int_div_zero 0
	.end_amdhsa_kernel
	.section	.text._Z39paged_attention_ll4mi_QKV_mfma16_kernelIDF16_DF16_LN4vllm18Fp8KVCacheDataTypeE0EhLi32ELi128ELi256ELb1ELi5EEvPKT_PKT0_S7_ifPKiS9_S9_iPKfiiiPfSC_PS2_PT2_iSB_SB_,"axG",@progbits,_Z39paged_attention_ll4mi_QKV_mfma16_kernelIDF16_DF16_LN4vllm18Fp8KVCacheDataTypeE0EhLi32ELi128ELi256ELb1ELi5EEvPKT_PKT0_S7_ifPKiS9_S9_iPKfiiiPfSC_PS2_PT2_iSB_SB_,comdat
.Lfunc_end310:
	.size	_Z39paged_attention_ll4mi_QKV_mfma16_kernelIDF16_DF16_LN4vllm18Fp8KVCacheDataTypeE0EhLi32ELi128ELi256ELb1ELi5EEvPKT_PKT0_S7_ifPKiS9_S9_iPKfiiiPfSC_PS2_PT2_iSB_SB_, .Lfunc_end310-_Z39paged_attention_ll4mi_QKV_mfma16_kernelIDF16_DF16_LN4vllm18Fp8KVCacheDataTypeE0EhLi32ELi128ELi256ELb1ELi5EEvPKT_PKT0_S7_ifPKiS9_S9_iPKfiiiPfSC_PS2_PT2_iSB_SB_
                                        ; -- End function
	.set _Z39paged_attention_ll4mi_QKV_mfma16_kernelIDF16_DF16_LN4vllm18Fp8KVCacheDataTypeE0EhLi32ELi128ELi256ELb1ELi5EEvPKT_PKT0_S7_ifPKiS9_S9_iPKfiiiPfSC_PS2_PT2_iSB_SB_.num_vgpr, max(3, .L__assert_fail.num_vgpr)
	.set _Z39paged_attention_ll4mi_QKV_mfma16_kernelIDF16_DF16_LN4vllm18Fp8KVCacheDataTypeE0EhLi32ELi128ELi256ELb1ELi5EEvPKT_PKT0_S7_ifPKiS9_S9_iPKfiiiPfSC_PS2_PT2_iSB_SB_.num_agpr, max(0, .L__assert_fail.num_agpr)
	.set _Z39paged_attention_ll4mi_QKV_mfma16_kernelIDF16_DF16_LN4vllm18Fp8KVCacheDataTypeE0EhLi32ELi128ELi256ELb1ELi5EEvPKT_PKT0_S7_ifPKiS9_S9_iPKfiiiPfSC_PS2_PT2_iSB_SB_.numbered_sgpr, max(33, .L__assert_fail.numbered_sgpr)
	.set _Z39paged_attention_ll4mi_QKV_mfma16_kernelIDF16_DF16_LN4vllm18Fp8KVCacheDataTypeE0EhLi32ELi128ELi256ELb1ELi5EEvPKT_PKT0_S7_ifPKiS9_S9_iPKfiiiPfSC_PS2_PT2_iSB_SB_.num_named_barrier, max(0, .L__assert_fail.num_named_barrier)
	.set _Z39paged_attention_ll4mi_QKV_mfma16_kernelIDF16_DF16_LN4vllm18Fp8KVCacheDataTypeE0EhLi32ELi128ELi256ELb1ELi5EEvPKT_PKT0_S7_ifPKiS9_S9_iPKfiiiPfSC_PS2_PT2_iSB_SB_.private_seg_size, 0+max(.L__assert_fail.private_seg_size)
	.set _Z39paged_attention_ll4mi_QKV_mfma16_kernelIDF16_DF16_LN4vllm18Fp8KVCacheDataTypeE0EhLi32ELi128ELi256ELb1ELi5EEvPKT_PKT0_S7_ifPKiS9_S9_iPKfiiiPfSC_PS2_PT2_iSB_SB_.uses_vcc, or(1, .L__assert_fail.uses_vcc)
	.set _Z39paged_attention_ll4mi_QKV_mfma16_kernelIDF16_DF16_LN4vllm18Fp8KVCacheDataTypeE0EhLi32ELi128ELi256ELb1ELi5EEvPKT_PKT0_S7_ifPKiS9_S9_iPKfiiiPfSC_PS2_PT2_iSB_SB_.uses_flat_scratch, or(0, .L__assert_fail.uses_flat_scratch)
	.set _Z39paged_attention_ll4mi_QKV_mfma16_kernelIDF16_DF16_LN4vllm18Fp8KVCacheDataTypeE0EhLi32ELi128ELi256ELb1ELi5EEvPKT_PKT0_S7_ifPKiS9_S9_iPKfiiiPfSC_PS2_PT2_iSB_SB_.has_dyn_sized_stack, or(0, .L__assert_fail.has_dyn_sized_stack)
	.set _Z39paged_attention_ll4mi_QKV_mfma16_kernelIDF16_DF16_LN4vllm18Fp8KVCacheDataTypeE0EhLi32ELi128ELi256ELb1ELi5EEvPKT_PKT0_S7_ifPKiS9_S9_iPKfiiiPfSC_PS2_PT2_iSB_SB_.has_recursion, or(0, .L__assert_fail.has_recursion)
	.set _Z39paged_attention_ll4mi_QKV_mfma16_kernelIDF16_DF16_LN4vllm18Fp8KVCacheDataTypeE0EhLi32ELi128ELi256ELb1ELi5EEvPKT_PKT0_S7_ifPKiS9_S9_iPKfiiiPfSC_PS2_PT2_iSB_SB_.has_indirect_call, or(0, .L__assert_fail.has_indirect_call)
	.section	.AMDGPU.csdata,"",@progbits
; Kernel info:
; codeLenInByte = 68
; TotalNumSgprs: 36
; NumVgprs: 51
; ScratchSize: 64
; MemoryBound: 0
; FloatMode: 240
; IeeeMode: 1
; LDSByteSize: 0 bytes/workgroup (compile time only)
; SGPRBlocks: 0
; VGPRBlocks: 3
; NumSGPRsForWavesPerEU: 36
; NumVGPRsForWavesPerEU: 51
; NamedBarCnt: 0
; Occupancy: 16
; WaveLimiterHint : 1
; COMPUTE_PGM_RSRC2:SCRATCH_EN: 1
; COMPUTE_PGM_RSRC2:USER_SGPR: 2
; COMPUTE_PGM_RSRC2:TRAP_HANDLER: 0
; COMPUTE_PGM_RSRC2:TGID_X_EN: 1
; COMPUTE_PGM_RSRC2:TGID_Y_EN: 0
; COMPUTE_PGM_RSRC2:TGID_Z_EN: 0
; COMPUTE_PGM_RSRC2:TIDIG_COMP_CNT: 0
	.section	.text._Z39paged_attention_ll4mi_QKV_mfma16_kernelIDF16_DF16_LN4vllm18Fp8KVCacheDataTypeE0EhLi32ELi128ELi256ELb1ELi6EEvPKT_PKT0_S7_ifPKiS9_S9_iPKfiiiPfSC_PS2_PT2_iSB_SB_,"axG",@progbits,_Z39paged_attention_ll4mi_QKV_mfma16_kernelIDF16_DF16_LN4vllm18Fp8KVCacheDataTypeE0EhLi32ELi128ELi256ELb1ELi6EEvPKT_PKT0_S7_ifPKiS9_S9_iPKfiiiPfSC_PS2_PT2_iSB_SB_,comdat
	.protected	_Z39paged_attention_ll4mi_QKV_mfma16_kernelIDF16_DF16_LN4vllm18Fp8KVCacheDataTypeE0EhLi32ELi128ELi256ELb1ELi6EEvPKT_PKT0_S7_ifPKiS9_S9_iPKfiiiPfSC_PS2_PT2_iSB_SB_ ; -- Begin function _Z39paged_attention_ll4mi_QKV_mfma16_kernelIDF16_DF16_LN4vllm18Fp8KVCacheDataTypeE0EhLi32ELi128ELi256ELb1ELi6EEvPKT_PKT0_S7_ifPKiS9_S9_iPKfiiiPfSC_PS2_PT2_iSB_SB_
	.globl	_Z39paged_attention_ll4mi_QKV_mfma16_kernelIDF16_DF16_LN4vllm18Fp8KVCacheDataTypeE0EhLi32ELi128ELi256ELb1ELi6EEvPKT_PKT0_S7_ifPKiS9_S9_iPKfiiiPfSC_PS2_PT2_iSB_SB_
	.p2align	8
	.type	_Z39paged_attention_ll4mi_QKV_mfma16_kernelIDF16_DF16_LN4vllm18Fp8KVCacheDataTypeE0EhLi32ELi128ELi256ELb1ELi6EEvPKT_PKT0_S7_ifPKiS9_S9_iPKfiiiPfSC_PS2_PT2_iSB_SB_,@function
_Z39paged_attention_ll4mi_QKV_mfma16_kernelIDF16_DF16_LN4vllm18Fp8KVCacheDataTypeE0EhLi32ELi128ELi256ELb1ELi6EEvPKT_PKT0_S7_ifPKiS9_S9_iPKfiiiPfSC_PS2_PT2_iSB_SB_: ; @_Z39paged_attention_ll4mi_QKV_mfma16_kernelIDF16_DF16_LN4vllm18Fp8KVCacheDataTypeE0EhLi32ELi128ELi256ELb1ELi6EEvPKT_PKT0_S7_ifPKiS9_S9_iPKfiiiPfSC_PS2_PT2_iSB_SB_
; %bb.0:
	s_get_pc_i64 s[2:3]
	s_add_nc_u64 s[2:3], s[2:3], __PRETTY_FUNCTION__._Z39paged_attention_ll4mi_QKV_mfma16_kernelIDF16_DF16_LN4vllm18Fp8KVCacheDataTypeE0EhLi32ELi128ELi256ELb1ELi6EEvPKT_PKT0_S7_ifPKiS9_S9_iPKfiiiPfSC_PS2_PT2_iSB_SB_@rel64+4
	s_delay_alu instid0(SALU_CYCLE_1)
	v_dual_mov_b32 v0, 0xbb3 :: v_dual_mov_b32 v1, s2
	v_mov_b32_e32 v2, s3
	s_add_nc_u64 s[8:9], s[0:1], 0x90
	s_get_pc_i64 s[0:1]
	s_add_nc_u64 s[0:1], s[0:1], __assert_fail@rel64+4
	s_mov_b32 s32, 0
	s_swap_pc_i64 s[30:31], s[0:1]
	.section	.rodata,"a",@progbits
	.p2align	6, 0x0
	.amdhsa_kernel _Z39paged_attention_ll4mi_QKV_mfma16_kernelIDF16_DF16_LN4vllm18Fp8KVCacheDataTypeE0EhLi32ELi128ELi256ELb1ELi6EEvPKT_PKT0_S7_ifPKiS9_S9_iPKfiiiPfSC_PS2_PT2_iSB_SB_
		.amdhsa_group_segment_fixed_size 0
		.amdhsa_private_segment_fixed_size 64
		.amdhsa_kernarg_size 400
		.amdhsa_user_sgpr_count 2
		.amdhsa_user_sgpr_dispatch_ptr 0
		.amdhsa_user_sgpr_queue_ptr 0
		.amdhsa_user_sgpr_kernarg_segment_ptr 1
		.amdhsa_user_sgpr_dispatch_id 0
		.amdhsa_user_sgpr_kernarg_preload_length 0
		.amdhsa_user_sgpr_kernarg_preload_offset 0
		.amdhsa_user_sgpr_private_segment_size 0
		.amdhsa_wavefront_size32 1
		.amdhsa_uses_dynamic_stack 0
		.amdhsa_enable_private_segment 1
		.amdhsa_system_sgpr_workgroup_id_x 1
		.amdhsa_system_sgpr_workgroup_id_y 0
		.amdhsa_system_sgpr_workgroup_id_z 0
		.amdhsa_system_sgpr_workgroup_info 0
		.amdhsa_system_vgpr_workitem_id 0
		.amdhsa_next_free_vgpr 51
		.amdhsa_next_free_sgpr 34
		.amdhsa_named_barrier_count 0
		.amdhsa_reserve_vcc 1
		.amdhsa_float_round_mode_32 0
		.amdhsa_float_round_mode_16_64 0
		.amdhsa_float_denorm_mode_32 3
		.amdhsa_float_denorm_mode_16_64 3
		.amdhsa_fp16_overflow 0
		.amdhsa_memory_ordered 1
		.amdhsa_forward_progress 1
		.amdhsa_inst_pref_size 1
		.amdhsa_round_robin_scheduling 0
		.amdhsa_exception_fp_ieee_invalid_op 0
		.amdhsa_exception_fp_denorm_src 0
		.amdhsa_exception_fp_ieee_div_zero 0
		.amdhsa_exception_fp_ieee_overflow 0
		.amdhsa_exception_fp_ieee_underflow 0
		.amdhsa_exception_fp_ieee_inexact 0
		.amdhsa_exception_int_div_zero 0
	.end_amdhsa_kernel
	.section	.text._Z39paged_attention_ll4mi_QKV_mfma16_kernelIDF16_DF16_LN4vllm18Fp8KVCacheDataTypeE0EhLi32ELi128ELi256ELb1ELi6EEvPKT_PKT0_S7_ifPKiS9_S9_iPKfiiiPfSC_PS2_PT2_iSB_SB_,"axG",@progbits,_Z39paged_attention_ll4mi_QKV_mfma16_kernelIDF16_DF16_LN4vllm18Fp8KVCacheDataTypeE0EhLi32ELi128ELi256ELb1ELi6EEvPKT_PKT0_S7_ifPKiS9_S9_iPKfiiiPfSC_PS2_PT2_iSB_SB_,comdat
.Lfunc_end311:
	.size	_Z39paged_attention_ll4mi_QKV_mfma16_kernelIDF16_DF16_LN4vllm18Fp8KVCacheDataTypeE0EhLi32ELi128ELi256ELb1ELi6EEvPKT_PKT0_S7_ifPKiS9_S9_iPKfiiiPfSC_PS2_PT2_iSB_SB_, .Lfunc_end311-_Z39paged_attention_ll4mi_QKV_mfma16_kernelIDF16_DF16_LN4vllm18Fp8KVCacheDataTypeE0EhLi32ELi128ELi256ELb1ELi6EEvPKT_PKT0_S7_ifPKiS9_S9_iPKfiiiPfSC_PS2_PT2_iSB_SB_
                                        ; -- End function
	.set _Z39paged_attention_ll4mi_QKV_mfma16_kernelIDF16_DF16_LN4vllm18Fp8KVCacheDataTypeE0EhLi32ELi128ELi256ELb1ELi6EEvPKT_PKT0_S7_ifPKiS9_S9_iPKfiiiPfSC_PS2_PT2_iSB_SB_.num_vgpr, max(3, .L__assert_fail.num_vgpr)
	.set _Z39paged_attention_ll4mi_QKV_mfma16_kernelIDF16_DF16_LN4vllm18Fp8KVCacheDataTypeE0EhLi32ELi128ELi256ELb1ELi6EEvPKT_PKT0_S7_ifPKiS9_S9_iPKfiiiPfSC_PS2_PT2_iSB_SB_.num_agpr, max(0, .L__assert_fail.num_agpr)
	.set _Z39paged_attention_ll4mi_QKV_mfma16_kernelIDF16_DF16_LN4vllm18Fp8KVCacheDataTypeE0EhLi32ELi128ELi256ELb1ELi6EEvPKT_PKT0_S7_ifPKiS9_S9_iPKfiiiPfSC_PS2_PT2_iSB_SB_.numbered_sgpr, max(33, .L__assert_fail.numbered_sgpr)
	.set _Z39paged_attention_ll4mi_QKV_mfma16_kernelIDF16_DF16_LN4vllm18Fp8KVCacheDataTypeE0EhLi32ELi128ELi256ELb1ELi6EEvPKT_PKT0_S7_ifPKiS9_S9_iPKfiiiPfSC_PS2_PT2_iSB_SB_.num_named_barrier, max(0, .L__assert_fail.num_named_barrier)
	.set _Z39paged_attention_ll4mi_QKV_mfma16_kernelIDF16_DF16_LN4vllm18Fp8KVCacheDataTypeE0EhLi32ELi128ELi256ELb1ELi6EEvPKT_PKT0_S7_ifPKiS9_S9_iPKfiiiPfSC_PS2_PT2_iSB_SB_.private_seg_size, 0+max(.L__assert_fail.private_seg_size)
	.set _Z39paged_attention_ll4mi_QKV_mfma16_kernelIDF16_DF16_LN4vllm18Fp8KVCacheDataTypeE0EhLi32ELi128ELi256ELb1ELi6EEvPKT_PKT0_S7_ifPKiS9_S9_iPKfiiiPfSC_PS2_PT2_iSB_SB_.uses_vcc, or(1, .L__assert_fail.uses_vcc)
	.set _Z39paged_attention_ll4mi_QKV_mfma16_kernelIDF16_DF16_LN4vllm18Fp8KVCacheDataTypeE0EhLi32ELi128ELi256ELb1ELi6EEvPKT_PKT0_S7_ifPKiS9_S9_iPKfiiiPfSC_PS2_PT2_iSB_SB_.uses_flat_scratch, or(0, .L__assert_fail.uses_flat_scratch)
	.set _Z39paged_attention_ll4mi_QKV_mfma16_kernelIDF16_DF16_LN4vllm18Fp8KVCacheDataTypeE0EhLi32ELi128ELi256ELb1ELi6EEvPKT_PKT0_S7_ifPKiS9_S9_iPKfiiiPfSC_PS2_PT2_iSB_SB_.has_dyn_sized_stack, or(0, .L__assert_fail.has_dyn_sized_stack)
	.set _Z39paged_attention_ll4mi_QKV_mfma16_kernelIDF16_DF16_LN4vllm18Fp8KVCacheDataTypeE0EhLi32ELi128ELi256ELb1ELi6EEvPKT_PKT0_S7_ifPKiS9_S9_iPKfiiiPfSC_PS2_PT2_iSB_SB_.has_recursion, or(0, .L__assert_fail.has_recursion)
	.set _Z39paged_attention_ll4mi_QKV_mfma16_kernelIDF16_DF16_LN4vllm18Fp8KVCacheDataTypeE0EhLi32ELi128ELi256ELb1ELi6EEvPKT_PKT0_S7_ifPKiS9_S9_iPKfiiiPfSC_PS2_PT2_iSB_SB_.has_indirect_call, or(0, .L__assert_fail.has_indirect_call)
	.section	.AMDGPU.csdata,"",@progbits
; Kernel info:
; codeLenInByte = 68
; TotalNumSgprs: 36
; NumVgprs: 51
; ScratchSize: 64
; MemoryBound: 0
; FloatMode: 240
; IeeeMode: 1
; LDSByteSize: 0 bytes/workgroup (compile time only)
; SGPRBlocks: 0
; VGPRBlocks: 3
; NumSGPRsForWavesPerEU: 36
; NumVGPRsForWavesPerEU: 51
; NamedBarCnt: 0
; Occupancy: 16
; WaveLimiterHint : 1
; COMPUTE_PGM_RSRC2:SCRATCH_EN: 1
; COMPUTE_PGM_RSRC2:USER_SGPR: 2
; COMPUTE_PGM_RSRC2:TRAP_HANDLER: 0
; COMPUTE_PGM_RSRC2:TGID_X_EN: 1
; COMPUTE_PGM_RSRC2:TGID_Y_EN: 0
; COMPUTE_PGM_RSRC2:TGID_Z_EN: 0
; COMPUTE_PGM_RSRC2:TIDIG_COMP_CNT: 0
	.section	.text._Z39paged_attention_ll4mi_QKV_mfma16_kernelIDF16_DF16_LN4vllm18Fp8KVCacheDataTypeE0EhLi32ELi128ELi256ELb1ELi7EEvPKT_PKT0_S7_ifPKiS9_S9_iPKfiiiPfSC_PS2_PT2_iSB_SB_,"axG",@progbits,_Z39paged_attention_ll4mi_QKV_mfma16_kernelIDF16_DF16_LN4vllm18Fp8KVCacheDataTypeE0EhLi32ELi128ELi256ELb1ELi7EEvPKT_PKT0_S7_ifPKiS9_S9_iPKfiiiPfSC_PS2_PT2_iSB_SB_,comdat
	.protected	_Z39paged_attention_ll4mi_QKV_mfma16_kernelIDF16_DF16_LN4vllm18Fp8KVCacheDataTypeE0EhLi32ELi128ELi256ELb1ELi7EEvPKT_PKT0_S7_ifPKiS9_S9_iPKfiiiPfSC_PS2_PT2_iSB_SB_ ; -- Begin function _Z39paged_attention_ll4mi_QKV_mfma16_kernelIDF16_DF16_LN4vllm18Fp8KVCacheDataTypeE0EhLi32ELi128ELi256ELb1ELi7EEvPKT_PKT0_S7_ifPKiS9_S9_iPKfiiiPfSC_PS2_PT2_iSB_SB_
	.globl	_Z39paged_attention_ll4mi_QKV_mfma16_kernelIDF16_DF16_LN4vllm18Fp8KVCacheDataTypeE0EhLi32ELi128ELi256ELb1ELi7EEvPKT_PKT0_S7_ifPKiS9_S9_iPKfiiiPfSC_PS2_PT2_iSB_SB_
	.p2align	8
	.type	_Z39paged_attention_ll4mi_QKV_mfma16_kernelIDF16_DF16_LN4vllm18Fp8KVCacheDataTypeE0EhLi32ELi128ELi256ELb1ELi7EEvPKT_PKT0_S7_ifPKiS9_S9_iPKfiiiPfSC_PS2_PT2_iSB_SB_,@function
_Z39paged_attention_ll4mi_QKV_mfma16_kernelIDF16_DF16_LN4vllm18Fp8KVCacheDataTypeE0EhLi32ELi128ELi256ELb1ELi7EEvPKT_PKT0_S7_ifPKiS9_S9_iPKfiiiPfSC_PS2_PT2_iSB_SB_: ; @_Z39paged_attention_ll4mi_QKV_mfma16_kernelIDF16_DF16_LN4vllm18Fp8KVCacheDataTypeE0EhLi32ELi128ELi256ELb1ELi7EEvPKT_PKT0_S7_ifPKiS9_S9_iPKfiiiPfSC_PS2_PT2_iSB_SB_
; %bb.0:
	s_get_pc_i64 s[2:3]
	s_add_nc_u64 s[2:3], s[2:3], __PRETTY_FUNCTION__._Z39paged_attention_ll4mi_QKV_mfma16_kernelIDF16_DF16_LN4vllm18Fp8KVCacheDataTypeE0EhLi32ELi128ELi256ELb1ELi7EEvPKT_PKT0_S7_ifPKiS9_S9_iPKfiiiPfSC_PS2_PT2_iSB_SB_@rel64+4
	s_delay_alu instid0(SALU_CYCLE_1)
	v_dual_mov_b32 v0, 0xbb3 :: v_dual_mov_b32 v1, s2
	v_mov_b32_e32 v2, s3
	s_add_nc_u64 s[8:9], s[0:1], 0x90
	s_get_pc_i64 s[0:1]
	s_add_nc_u64 s[0:1], s[0:1], __assert_fail@rel64+4
	s_mov_b32 s32, 0
	s_swap_pc_i64 s[30:31], s[0:1]
	.section	.rodata,"a",@progbits
	.p2align	6, 0x0
	.amdhsa_kernel _Z39paged_attention_ll4mi_QKV_mfma16_kernelIDF16_DF16_LN4vllm18Fp8KVCacheDataTypeE0EhLi32ELi128ELi256ELb1ELi7EEvPKT_PKT0_S7_ifPKiS9_S9_iPKfiiiPfSC_PS2_PT2_iSB_SB_
		.amdhsa_group_segment_fixed_size 0
		.amdhsa_private_segment_fixed_size 64
		.amdhsa_kernarg_size 400
		.amdhsa_user_sgpr_count 2
		.amdhsa_user_sgpr_dispatch_ptr 0
		.amdhsa_user_sgpr_queue_ptr 0
		.amdhsa_user_sgpr_kernarg_segment_ptr 1
		.amdhsa_user_sgpr_dispatch_id 0
		.amdhsa_user_sgpr_kernarg_preload_length 0
		.amdhsa_user_sgpr_kernarg_preload_offset 0
		.amdhsa_user_sgpr_private_segment_size 0
		.amdhsa_wavefront_size32 1
		.amdhsa_uses_dynamic_stack 0
		.amdhsa_enable_private_segment 1
		.amdhsa_system_sgpr_workgroup_id_x 1
		.amdhsa_system_sgpr_workgroup_id_y 0
		.amdhsa_system_sgpr_workgroup_id_z 0
		.amdhsa_system_sgpr_workgroup_info 0
		.amdhsa_system_vgpr_workitem_id 0
		.amdhsa_next_free_vgpr 51
		.amdhsa_next_free_sgpr 34
		.amdhsa_named_barrier_count 0
		.amdhsa_reserve_vcc 1
		.amdhsa_float_round_mode_32 0
		.amdhsa_float_round_mode_16_64 0
		.amdhsa_float_denorm_mode_32 3
		.amdhsa_float_denorm_mode_16_64 3
		.amdhsa_fp16_overflow 0
		.amdhsa_memory_ordered 1
		.amdhsa_forward_progress 1
		.amdhsa_inst_pref_size 1
		.amdhsa_round_robin_scheduling 0
		.amdhsa_exception_fp_ieee_invalid_op 0
		.amdhsa_exception_fp_denorm_src 0
		.amdhsa_exception_fp_ieee_div_zero 0
		.amdhsa_exception_fp_ieee_overflow 0
		.amdhsa_exception_fp_ieee_underflow 0
		.amdhsa_exception_fp_ieee_inexact 0
		.amdhsa_exception_int_div_zero 0
	.end_amdhsa_kernel
	.section	.text._Z39paged_attention_ll4mi_QKV_mfma16_kernelIDF16_DF16_LN4vllm18Fp8KVCacheDataTypeE0EhLi32ELi128ELi256ELb1ELi7EEvPKT_PKT0_S7_ifPKiS9_S9_iPKfiiiPfSC_PS2_PT2_iSB_SB_,"axG",@progbits,_Z39paged_attention_ll4mi_QKV_mfma16_kernelIDF16_DF16_LN4vllm18Fp8KVCacheDataTypeE0EhLi32ELi128ELi256ELb1ELi7EEvPKT_PKT0_S7_ifPKiS9_S9_iPKfiiiPfSC_PS2_PT2_iSB_SB_,comdat
.Lfunc_end312:
	.size	_Z39paged_attention_ll4mi_QKV_mfma16_kernelIDF16_DF16_LN4vllm18Fp8KVCacheDataTypeE0EhLi32ELi128ELi256ELb1ELi7EEvPKT_PKT0_S7_ifPKiS9_S9_iPKfiiiPfSC_PS2_PT2_iSB_SB_, .Lfunc_end312-_Z39paged_attention_ll4mi_QKV_mfma16_kernelIDF16_DF16_LN4vllm18Fp8KVCacheDataTypeE0EhLi32ELi128ELi256ELb1ELi7EEvPKT_PKT0_S7_ifPKiS9_S9_iPKfiiiPfSC_PS2_PT2_iSB_SB_
                                        ; -- End function
	.set _Z39paged_attention_ll4mi_QKV_mfma16_kernelIDF16_DF16_LN4vllm18Fp8KVCacheDataTypeE0EhLi32ELi128ELi256ELb1ELi7EEvPKT_PKT0_S7_ifPKiS9_S9_iPKfiiiPfSC_PS2_PT2_iSB_SB_.num_vgpr, max(3, .L__assert_fail.num_vgpr)
	.set _Z39paged_attention_ll4mi_QKV_mfma16_kernelIDF16_DF16_LN4vllm18Fp8KVCacheDataTypeE0EhLi32ELi128ELi256ELb1ELi7EEvPKT_PKT0_S7_ifPKiS9_S9_iPKfiiiPfSC_PS2_PT2_iSB_SB_.num_agpr, max(0, .L__assert_fail.num_agpr)
	.set _Z39paged_attention_ll4mi_QKV_mfma16_kernelIDF16_DF16_LN4vllm18Fp8KVCacheDataTypeE0EhLi32ELi128ELi256ELb1ELi7EEvPKT_PKT0_S7_ifPKiS9_S9_iPKfiiiPfSC_PS2_PT2_iSB_SB_.numbered_sgpr, max(33, .L__assert_fail.numbered_sgpr)
	.set _Z39paged_attention_ll4mi_QKV_mfma16_kernelIDF16_DF16_LN4vllm18Fp8KVCacheDataTypeE0EhLi32ELi128ELi256ELb1ELi7EEvPKT_PKT0_S7_ifPKiS9_S9_iPKfiiiPfSC_PS2_PT2_iSB_SB_.num_named_barrier, max(0, .L__assert_fail.num_named_barrier)
	.set _Z39paged_attention_ll4mi_QKV_mfma16_kernelIDF16_DF16_LN4vllm18Fp8KVCacheDataTypeE0EhLi32ELi128ELi256ELb1ELi7EEvPKT_PKT0_S7_ifPKiS9_S9_iPKfiiiPfSC_PS2_PT2_iSB_SB_.private_seg_size, 0+max(.L__assert_fail.private_seg_size)
	.set _Z39paged_attention_ll4mi_QKV_mfma16_kernelIDF16_DF16_LN4vllm18Fp8KVCacheDataTypeE0EhLi32ELi128ELi256ELb1ELi7EEvPKT_PKT0_S7_ifPKiS9_S9_iPKfiiiPfSC_PS2_PT2_iSB_SB_.uses_vcc, or(1, .L__assert_fail.uses_vcc)
	.set _Z39paged_attention_ll4mi_QKV_mfma16_kernelIDF16_DF16_LN4vllm18Fp8KVCacheDataTypeE0EhLi32ELi128ELi256ELb1ELi7EEvPKT_PKT0_S7_ifPKiS9_S9_iPKfiiiPfSC_PS2_PT2_iSB_SB_.uses_flat_scratch, or(0, .L__assert_fail.uses_flat_scratch)
	.set _Z39paged_attention_ll4mi_QKV_mfma16_kernelIDF16_DF16_LN4vllm18Fp8KVCacheDataTypeE0EhLi32ELi128ELi256ELb1ELi7EEvPKT_PKT0_S7_ifPKiS9_S9_iPKfiiiPfSC_PS2_PT2_iSB_SB_.has_dyn_sized_stack, or(0, .L__assert_fail.has_dyn_sized_stack)
	.set _Z39paged_attention_ll4mi_QKV_mfma16_kernelIDF16_DF16_LN4vllm18Fp8KVCacheDataTypeE0EhLi32ELi128ELi256ELb1ELi7EEvPKT_PKT0_S7_ifPKiS9_S9_iPKfiiiPfSC_PS2_PT2_iSB_SB_.has_recursion, or(0, .L__assert_fail.has_recursion)
	.set _Z39paged_attention_ll4mi_QKV_mfma16_kernelIDF16_DF16_LN4vllm18Fp8KVCacheDataTypeE0EhLi32ELi128ELi256ELb1ELi7EEvPKT_PKT0_S7_ifPKiS9_S9_iPKfiiiPfSC_PS2_PT2_iSB_SB_.has_indirect_call, or(0, .L__assert_fail.has_indirect_call)
	.section	.AMDGPU.csdata,"",@progbits
; Kernel info:
; codeLenInByte = 68
; TotalNumSgprs: 36
; NumVgprs: 51
; ScratchSize: 64
; MemoryBound: 0
; FloatMode: 240
; IeeeMode: 1
; LDSByteSize: 0 bytes/workgroup (compile time only)
; SGPRBlocks: 0
; VGPRBlocks: 3
; NumSGPRsForWavesPerEU: 36
; NumVGPRsForWavesPerEU: 51
; NamedBarCnt: 0
; Occupancy: 16
; WaveLimiterHint : 1
; COMPUTE_PGM_RSRC2:SCRATCH_EN: 1
; COMPUTE_PGM_RSRC2:USER_SGPR: 2
; COMPUTE_PGM_RSRC2:TRAP_HANDLER: 0
; COMPUTE_PGM_RSRC2:TGID_X_EN: 1
; COMPUTE_PGM_RSRC2:TGID_Y_EN: 0
; COMPUTE_PGM_RSRC2:TGID_Z_EN: 0
; COMPUTE_PGM_RSRC2:TIDIG_COMP_CNT: 0
	.section	.text._Z39paged_attention_ll4mi_QKV_mfma16_kernelIDF16_DF16_LN4vllm18Fp8KVCacheDataTypeE0EhLi32ELi128ELi256ELb1ELi8EEvPKT_PKT0_S7_ifPKiS9_S9_iPKfiiiPfSC_PS2_PT2_iSB_SB_,"axG",@progbits,_Z39paged_attention_ll4mi_QKV_mfma16_kernelIDF16_DF16_LN4vllm18Fp8KVCacheDataTypeE0EhLi32ELi128ELi256ELb1ELi8EEvPKT_PKT0_S7_ifPKiS9_S9_iPKfiiiPfSC_PS2_PT2_iSB_SB_,comdat
	.protected	_Z39paged_attention_ll4mi_QKV_mfma16_kernelIDF16_DF16_LN4vllm18Fp8KVCacheDataTypeE0EhLi32ELi128ELi256ELb1ELi8EEvPKT_PKT0_S7_ifPKiS9_S9_iPKfiiiPfSC_PS2_PT2_iSB_SB_ ; -- Begin function _Z39paged_attention_ll4mi_QKV_mfma16_kernelIDF16_DF16_LN4vllm18Fp8KVCacheDataTypeE0EhLi32ELi128ELi256ELb1ELi8EEvPKT_PKT0_S7_ifPKiS9_S9_iPKfiiiPfSC_PS2_PT2_iSB_SB_
	.globl	_Z39paged_attention_ll4mi_QKV_mfma16_kernelIDF16_DF16_LN4vllm18Fp8KVCacheDataTypeE0EhLi32ELi128ELi256ELb1ELi8EEvPKT_PKT0_S7_ifPKiS9_S9_iPKfiiiPfSC_PS2_PT2_iSB_SB_
	.p2align	8
	.type	_Z39paged_attention_ll4mi_QKV_mfma16_kernelIDF16_DF16_LN4vllm18Fp8KVCacheDataTypeE0EhLi32ELi128ELi256ELb1ELi8EEvPKT_PKT0_S7_ifPKiS9_S9_iPKfiiiPfSC_PS2_PT2_iSB_SB_,@function
_Z39paged_attention_ll4mi_QKV_mfma16_kernelIDF16_DF16_LN4vllm18Fp8KVCacheDataTypeE0EhLi32ELi128ELi256ELb1ELi8EEvPKT_PKT0_S7_ifPKiS9_S9_iPKfiiiPfSC_PS2_PT2_iSB_SB_: ; @_Z39paged_attention_ll4mi_QKV_mfma16_kernelIDF16_DF16_LN4vllm18Fp8KVCacheDataTypeE0EhLi32ELi128ELi256ELb1ELi8EEvPKT_PKT0_S7_ifPKiS9_S9_iPKfiiiPfSC_PS2_PT2_iSB_SB_
; %bb.0:
	s_get_pc_i64 s[2:3]
	s_add_nc_u64 s[2:3], s[2:3], __PRETTY_FUNCTION__._Z39paged_attention_ll4mi_QKV_mfma16_kernelIDF16_DF16_LN4vllm18Fp8KVCacheDataTypeE0EhLi32ELi128ELi256ELb1ELi8EEvPKT_PKT0_S7_ifPKiS9_S9_iPKfiiiPfSC_PS2_PT2_iSB_SB_@rel64+4
	s_delay_alu instid0(SALU_CYCLE_1)
	v_dual_mov_b32 v0, 0xbb3 :: v_dual_mov_b32 v1, s2
	v_mov_b32_e32 v2, s3
	s_add_nc_u64 s[8:9], s[0:1], 0x90
	s_get_pc_i64 s[0:1]
	s_add_nc_u64 s[0:1], s[0:1], __assert_fail@rel64+4
	s_mov_b32 s32, 0
	s_swap_pc_i64 s[30:31], s[0:1]
	.section	.rodata,"a",@progbits
	.p2align	6, 0x0
	.amdhsa_kernel _Z39paged_attention_ll4mi_QKV_mfma16_kernelIDF16_DF16_LN4vllm18Fp8KVCacheDataTypeE0EhLi32ELi128ELi256ELb1ELi8EEvPKT_PKT0_S7_ifPKiS9_S9_iPKfiiiPfSC_PS2_PT2_iSB_SB_
		.amdhsa_group_segment_fixed_size 0
		.amdhsa_private_segment_fixed_size 64
		.amdhsa_kernarg_size 400
		.amdhsa_user_sgpr_count 2
		.amdhsa_user_sgpr_dispatch_ptr 0
		.amdhsa_user_sgpr_queue_ptr 0
		.amdhsa_user_sgpr_kernarg_segment_ptr 1
		.amdhsa_user_sgpr_dispatch_id 0
		.amdhsa_user_sgpr_kernarg_preload_length 0
		.amdhsa_user_sgpr_kernarg_preload_offset 0
		.amdhsa_user_sgpr_private_segment_size 0
		.amdhsa_wavefront_size32 1
		.amdhsa_uses_dynamic_stack 0
		.amdhsa_enable_private_segment 1
		.amdhsa_system_sgpr_workgroup_id_x 1
		.amdhsa_system_sgpr_workgroup_id_y 0
		.amdhsa_system_sgpr_workgroup_id_z 0
		.amdhsa_system_sgpr_workgroup_info 0
		.amdhsa_system_vgpr_workitem_id 0
		.amdhsa_next_free_vgpr 51
		.amdhsa_next_free_sgpr 34
		.amdhsa_named_barrier_count 0
		.amdhsa_reserve_vcc 1
		.amdhsa_float_round_mode_32 0
		.amdhsa_float_round_mode_16_64 0
		.amdhsa_float_denorm_mode_32 3
		.amdhsa_float_denorm_mode_16_64 3
		.amdhsa_fp16_overflow 0
		.amdhsa_memory_ordered 1
		.amdhsa_forward_progress 1
		.amdhsa_inst_pref_size 1
		.amdhsa_round_robin_scheduling 0
		.amdhsa_exception_fp_ieee_invalid_op 0
		.amdhsa_exception_fp_denorm_src 0
		.amdhsa_exception_fp_ieee_div_zero 0
		.amdhsa_exception_fp_ieee_overflow 0
		.amdhsa_exception_fp_ieee_underflow 0
		.amdhsa_exception_fp_ieee_inexact 0
		.amdhsa_exception_int_div_zero 0
	.end_amdhsa_kernel
	.section	.text._Z39paged_attention_ll4mi_QKV_mfma16_kernelIDF16_DF16_LN4vllm18Fp8KVCacheDataTypeE0EhLi32ELi128ELi256ELb1ELi8EEvPKT_PKT0_S7_ifPKiS9_S9_iPKfiiiPfSC_PS2_PT2_iSB_SB_,"axG",@progbits,_Z39paged_attention_ll4mi_QKV_mfma16_kernelIDF16_DF16_LN4vllm18Fp8KVCacheDataTypeE0EhLi32ELi128ELi256ELb1ELi8EEvPKT_PKT0_S7_ifPKiS9_S9_iPKfiiiPfSC_PS2_PT2_iSB_SB_,comdat
.Lfunc_end313:
	.size	_Z39paged_attention_ll4mi_QKV_mfma16_kernelIDF16_DF16_LN4vllm18Fp8KVCacheDataTypeE0EhLi32ELi128ELi256ELb1ELi8EEvPKT_PKT0_S7_ifPKiS9_S9_iPKfiiiPfSC_PS2_PT2_iSB_SB_, .Lfunc_end313-_Z39paged_attention_ll4mi_QKV_mfma16_kernelIDF16_DF16_LN4vllm18Fp8KVCacheDataTypeE0EhLi32ELi128ELi256ELb1ELi8EEvPKT_PKT0_S7_ifPKiS9_S9_iPKfiiiPfSC_PS2_PT2_iSB_SB_
                                        ; -- End function
	.set _Z39paged_attention_ll4mi_QKV_mfma16_kernelIDF16_DF16_LN4vllm18Fp8KVCacheDataTypeE0EhLi32ELi128ELi256ELb1ELi8EEvPKT_PKT0_S7_ifPKiS9_S9_iPKfiiiPfSC_PS2_PT2_iSB_SB_.num_vgpr, max(3, .L__assert_fail.num_vgpr)
	.set _Z39paged_attention_ll4mi_QKV_mfma16_kernelIDF16_DF16_LN4vllm18Fp8KVCacheDataTypeE0EhLi32ELi128ELi256ELb1ELi8EEvPKT_PKT0_S7_ifPKiS9_S9_iPKfiiiPfSC_PS2_PT2_iSB_SB_.num_agpr, max(0, .L__assert_fail.num_agpr)
	.set _Z39paged_attention_ll4mi_QKV_mfma16_kernelIDF16_DF16_LN4vllm18Fp8KVCacheDataTypeE0EhLi32ELi128ELi256ELb1ELi8EEvPKT_PKT0_S7_ifPKiS9_S9_iPKfiiiPfSC_PS2_PT2_iSB_SB_.numbered_sgpr, max(33, .L__assert_fail.numbered_sgpr)
	.set _Z39paged_attention_ll4mi_QKV_mfma16_kernelIDF16_DF16_LN4vllm18Fp8KVCacheDataTypeE0EhLi32ELi128ELi256ELb1ELi8EEvPKT_PKT0_S7_ifPKiS9_S9_iPKfiiiPfSC_PS2_PT2_iSB_SB_.num_named_barrier, max(0, .L__assert_fail.num_named_barrier)
	.set _Z39paged_attention_ll4mi_QKV_mfma16_kernelIDF16_DF16_LN4vllm18Fp8KVCacheDataTypeE0EhLi32ELi128ELi256ELb1ELi8EEvPKT_PKT0_S7_ifPKiS9_S9_iPKfiiiPfSC_PS2_PT2_iSB_SB_.private_seg_size, 0+max(.L__assert_fail.private_seg_size)
	.set _Z39paged_attention_ll4mi_QKV_mfma16_kernelIDF16_DF16_LN4vllm18Fp8KVCacheDataTypeE0EhLi32ELi128ELi256ELb1ELi8EEvPKT_PKT0_S7_ifPKiS9_S9_iPKfiiiPfSC_PS2_PT2_iSB_SB_.uses_vcc, or(1, .L__assert_fail.uses_vcc)
	.set _Z39paged_attention_ll4mi_QKV_mfma16_kernelIDF16_DF16_LN4vllm18Fp8KVCacheDataTypeE0EhLi32ELi128ELi256ELb1ELi8EEvPKT_PKT0_S7_ifPKiS9_S9_iPKfiiiPfSC_PS2_PT2_iSB_SB_.uses_flat_scratch, or(0, .L__assert_fail.uses_flat_scratch)
	.set _Z39paged_attention_ll4mi_QKV_mfma16_kernelIDF16_DF16_LN4vllm18Fp8KVCacheDataTypeE0EhLi32ELi128ELi256ELb1ELi8EEvPKT_PKT0_S7_ifPKiS9_S9_iPKfiiiPfSC_PS2_PT2_iSB_SB_.has_dyn_sized_stack, or(0, .L__assert_fail.has_dyn_sized_stack)
	.set _Z39paged_attention_ll4mi_QKV_mfma16_kernelIDF16_DF16_LN4vllm18Fp8KVCacheDataTypeE0EhLi32ELi128ELi256ELb1ELi8EEvPKT_PKT0_S7_ifPKiS9_S9_iPKfiiiPfSC_PS2_PT2_iSB_SB_.has_recursion, or(0, .L__assert_fail.has_recursion)
	.set _Z39paged_attention_ll4mi_QKV_mfma16_kernelIDF16_DF16_LN4vllm18Fp8KVCacheDataTypeE0EhLi32ELi128ELi256ELb1ELi8EEvPKT_PKT0_S7_ifPKiS9_S9_iPKfiiiPfSC_PS2_PT2_iSB_SB_.has_indirect_call, or(0, .L__assert_fail.has_indirect_call)
	.section	.AMDGPU.csdata,"",@progbits
; Kernel info:
; codeLenInByte = 68
; TotalNumSgprs: 36
; NumVgprs: 51
; ScratchSize: 64
; MemoryBound: 0
; FloatMode: 240
; IeeeMode: 1
; LDSByteSize: 0 bytes/workgroup (compile time only)
; SGPRBlocks: 0
; VGPRBlocks: 3
; NumSGPRsForWavesPerEU: 36
; NumVGPRsForWavesPerEU: 51
; NamedBarCnt: 0
; Occupancy: 16
; WaveLimiterHint : 1
; COMPUTE_PGM_RSRC2:SCRATCH_EN: 1
; COMPUTE_PGM_RSRC2:USER_SGPR: 2
; COMPUTE_PGM_RSRC2:TRAP_HANDLER: 0
; COMPUTE_PGM_RSRC2:TGID_X_EN: 1
; COMPUTE_PGM_RSRC2:TGID_Y_EN: 0
; COMPUTE_PGM_RSRC2:TGID_Z_EN: 0
; COMPUTE_PGM_RSRC2:TIDIG_COMP_CNT: 0
	.section	.text._Z39paged_attention_ll4mi_QKV_mfma16_kernelIDF16_DF16_LN4vllm18Fp8KVCacheDataTypeE0EhLi32ELi128ELi256ELb1ELi9EEvPKT_PKT0_S7_ifPKiS9_S9_iPKfiiiPfSC_PS2_PT2_iSB_SB_,"axG",@progbits,_Z39paged_attention_ll4mi_QKV_mfma16_kernelIDF16_DF16_LN4vllm18Fp8KVCacheDataTypeE0EhLi32ELi128ELi256ELb1ELi9EEvPKT_PKT0_S7_ifPKiS9_S9_iPKfiiiPfSC_PS2_PT2_iSB_SB_,comdat
	.protected	_Z39paged_attention_ll4mi_QKV_mfma16_kernelIDF16_DF16_LN4vllm18Fp8KVCacheDataTypeE0EhLi32ELi128ELi256ELb1ELi9EEvPKT_PKT0_S7_ifPKiS9_S9_iPKfiiiPfSC_PS2_PT2_iSB_SB_ ; -- Begin function _Z39paged_attention_ll4mi_QKV_mfma16_kernelIDF16_DF16_LN4vllm18Fp8KVCacheDataTypeE0EhLi32ELi128ELi256ELb1ELi9EEvPKT_PKT0_S7_ifPKiS9_S9_iPKfiiiPfSC_PS2_PT2_iSB_SB_
	.globl	_Z39paged_attention_ll4mi_QKV_mfma16_kernelIDF16_DF16_LN4vllm18Fp8KVCacheDataTypeE0EhLi32ELi128ELi256ELb1ELi9EEvPKT_PKT0_S7_ifPKiS9_S9_iPKfiiiPfSC_PS2_PT2_iSB_SB_
	.p2align	8
	.type	_Z39paged_attention_ll4mi_QKV_mfma16_kernelIDF16_DF16_LN4vllm18Fp8KVCacheDataTypeE0EhLi32ELi128ELi256ELb1ELi9EEvPKT_PKT0_S7_ifPKiS9_S9_iPKfiiiPfSC_PS2_PT2_iSB_SB_,@function
_Z39paged_attention_ll4mi_QKV_mfma16_kernelIDF16_DF16_LN4vllm18Fp8KVCacheDataTypeE0EhLi32ELi128ELi256ELb1ELi9EEvPKT_PKT0_S7_ifPKiS9_S9_iPKfiiiPfSC_PS2_PT2_iSB_SB_: ; @_Z39paged_attention_ll4mi_QKV_mfma16_kernelIDF16_DF16_LN4vllm18Fp8KVCacheDataTypeE0EhLi32ELi128ELi256ELb1ELi9EEvPKT_PKT0_S7_ifPKiS9_S9_iPKfiiiPfSC_PS2_PT2_iSB_SB_
; %bb.0:
	s_get_pc_i64 s[2:3]
	s_add_nc_u64 s[2:3], s[2:3], __PRETTY_FUNCTION__._Z39paged_attention_ll4mi_QKV_mfma16_kernelIDF16_DF16_LN4vllm18Fp8KVCacheDataTypeE0EhLi32ELi128ELi256ELb1ELi9EEvPKT_PKT0_S7_ifPKiS9_S9_iPKfiiiPfSC_PS2_PT2_iSB_SB_@rel64+4
	s_delay_alu instid0(SALU_CYCLE_1)
	v_dual_mov_b32 v0, 0xbb3 :: v_dual_mov_b32 v1, s2
	v_mov_b32_e32 v2, s3
	s_add_nc_u64 s[8:9], s[0:1], 0x90
	s_get_pc_i64 s[0:1]
	s_add_nc_u64 s[0:1], s[0:1], __assert_fail@rel64+4
	s_mov_b32 s32, 0
	s_swap_pc_i64 s[30:31], s[0:1]
	.section	.rodata,"a",@progbits
	.p2align	6, 0x0
	.amdhsa_kernel _Z39paged_attention_ll4mi_QKV_mfma16_kernelIDF16_DF16_LN4vllm18Fp8KVCacheDataTypeE0EhLi32ELi128ELi256ELb1ELi9EEvPKT_PKT0_S7_ifPKiS9_S9_iPKfiiiPfSC_PS2_PT2_iSB_SB_
		.amdhsa_group_segment_fixed_size 0
		.amdhsa_private_segment_fixed_size 64
		.amdhsa_kernarg_size 400
		.amdhsa_user_sgpr_count 2
		.amdhsa_user_sgpr_dispatch_ptr 0
		.amdhsa_user_sgpr_queue_ptr 0
		.amdhsa_user_sgpr_kernarg_segment_ptr 1
		.amdhsa_user_sgpr_dispatch_id 0
		.amdhsa_user_sgpr_kernarg_preload_length 0
		.amdhsa_user_sgpr_kernarg_preload_offset 0
		.amdhsa_user_sgpr_private_segment_size 0
		.amdhsa_wavefront_size32 1
		.amdhsa_uses_dynamic_stack 0
		.amdhsa_enable_private_segment 1
		.amdhsa_system_sgpr_workgroup_id_x 1
		.amdhsa_system_sgpr_workgroup_id_y 0
		.amdhsa_system_sgpr_workgroup_id_z 0
		.amdhsa_system_sgpr_workgroup_info 0
		.amdhsa_system_vgpr_workitem_id 0
		.amdhsa_next_free_vgpr 51
		.amdhsa_next_free_sgpr 34
		.amdhsa_named_barrier_count 0
		.amdhsa_reserve_vcc 1
		.amdhsa_float_round_mode_32 0
		.amdhsa_float_round_mode_16_64 0
		.amdhsa_float_denorm_mode_32 3
		.amdhsa_float_denorm_mode_16_64 3
		.amdhsa_fp16_overflow 0
		.amdhsa_memory_ordered 1
		.amdhsa_forward_progress 1
		.amdhsa_inst_pref_size 1
		.amdhsa_round_robin_scheduling 0
		.amdhsa_exception_fp_ieee_invalid_op 0
		.amdhsa_exception_fp_denorm_src 0
		.amdhsa_exception_fp_ieee_div_zero 0
		.amdhsa_exception_fp_ieee_overflow 0
		.amdhsa_exception_fp_ieee_underflow 0
		.amdhsa_exception_fp_ieee_inexact 0
		.amdhsa_exception_int_div_zero 0
	.end_amdhsa_kernel
	.section	.text._Z39paged_attention_ll4mi_QKV_mfma16_kernelIDF16_DF16_LN4vllm18Fp8KVCacheDataTypeE0EhLi32ELi128ELi256ELb1ELi9EEvPKT_PKT0_S7_ifPKiS9_S9_iPKfiiiPfSC_PS2_PT2_iSB_SB_,"axG",@progbits,_Z39paged_attention_ll4mi_QKV_mfma16_kernelIDF16_DF16_LN4vllm18Fp8KVCacheDataTypeE0EhLi32ELi128ELi256ELb1ELi9EEvPKT_PKT0_S7_ifPKiS9_S9_iPKfiiiPfSC_PS2_PT2_iSB_SB_,comdat
.Lfunc_end314:
	.size	_Z39paged_attention_ll4mi_QKV_mfma16_kernelIDF16_DF16_LN4vllm18Fp8KVCacheDataTypeE0EhLi32ELi128ELi256ELb1ELi9EEvPKT_PKT0_S7_ifPKiS9_S9_iPKfiiiPfSC_PS2_PT2_iSB_SB_, .Lfunc_end314-_Z39paged_attention_ll4mi_QKV_mfma16_kernelIDF16_DF16_LN4vllm18Fp8KVCacheDataTypeE0EhLi32ELi128ELi256ELb1ELi9EEvPKT_PKT0_S7_ifPKiS9_S9_iPKfiiiPfSC_PS2_PT2_iSB_SB_
                                        ; -- End function
	.set _Z39paged_attention_ll4mi_QKV_mfma16_kernelIDF16_DF16_LN4vllm18Fp8KVCacheDataTypeE0EhLi32ELi128ELi256ELb1ELi9EEvPKT_PKT0_S7_ifPKiS9_S9_iPKfiiiPfSC_PS2_PT2_iSB_SB_.num_vgpr, max(3, .L__assert_fail.num_vgpr)
	.set _Z39paged_attention_ll4mi_QKV_mfma16_kernelIDF16_DF16_LN4vllm18Fp8KVCacheDataTypeE0EhLi32ELi128ELi256ELb1ELi9EEvPKT_PKT0_S7_ifPKiS9_S9_iPKfiiiPfSC_PS2_PT2_iSB_SB_.num_agpr, max(0, .L__assert_fail.num_agpr)
	.set _Z39paged_attention_ll4mi_QKV_mfma16_kernelIDF16_DF16_LN4vllm18Fp8KVCacheDataTypeE0EhLi32ELi128ELi256ELb1ELi9EEvPKT_PKT0_S7_ifPKiS9_S9_iPKfiiiPfSC_PS2_PT2_iSB_SB_.numbered_sgpr, max(33, .L__assert_fail.numbered_sgpr)
	.set _Z39paged_attention_ll4mi_QKV_mfma16_kernelIDF16_DF16_LN4vllm18Fp8KVCacheDataTypeE0EhLi32ELi128ELi256ELb1ELi9EEvPKT_PKT0_S7_ifPKiS9_S9_iPKfiiiPfSC_PS2_PT2_iSB_SB_.num_named_barrier, max(0, .L__assert_fail.num_named_barrier)
	.set _Z39paged_attention_ll4mi_QKV_mfma16_kernelIDF16_DF16_LN4vllm18Fp8KVCacheDataTypeE0EhLi32ELi128ELi256ELb1ELi9EEvPKT_PKT0_S7_ifPKiS9_S9_iPKfiiiPfSC_PS2_PT2_iSB_SB_.private_seg_size, 0+max(.L__assert_fail.private_seg_size)
	.set _Z39paged_attention_ll4mi_QKV_mfma16_kernelIDF16_DF16_LN4vllm18Fp8KVCacheDataTypeE0EhLi32ELi128ELi256ELb1ELi9EEvPKT_PKT0_S7_ifPKiS9_S9_iPKfiiiPfSC_PS2_PT2_iSB_SB_.uses_vcc, or(1, .L__assert_fail.uses_vcc)
	.set _Z39paged_attention_ll4mi_QKV_mfma16_kernelIDF16_DF16_LN4vllm18Fp8KVCacheDataTypeE0EhLi32ELi128ELi256ELb1ELi9EEvPKT_PKT0_S7_ifPKiS9_S9_iPKfiiiPfSC_PS2_PT2_iSB_SB_.uses_flat_scratch, or(0, .L__assert_fail.uses_flat_scratch)
	.set _Z39paged_attention_ll4mi_QKV_mfma16_kernelIDF16_DF16_LN4vllm18Fp8KVCacheDataTypeE0EhLi32ELi128ELi256ELb1ELi9EEvPKT_PKT0_S7_ifPKiS9_S9_iPKfiiiPfSC_PS2_PT2_iSB_SB_.has_dyn_sized_stack, or(0, .L__assert_fail.has_dyn_sized_stack)
	.set _Z39paged_attention_ll4mi_QKV_mfma16_kernelIDF16_DF16_LN4vllm18Fp8KVCacheDataTypeE0EhLi32ELi128ELi256ELb1ELi9EEvPKT_PKT0_S7_ifPKiS9_S9_iPKfiiiPfSC_PS2_PT2_iSB_SB_.has_recursion, or(0, .L__assert_fail.has_recursion)
	.set _Z39paged_attention_ll4mi_QKV_mfma16_kernelIDF16_DF16_LN4vllm18Fp8KVCacheDataTypeE0EhLi32ELi128ELi256ELb1ELi9EEvPKT_PKT0_S7_ifPKiS9_S9_iPKfiiiPfSC_PS2_PT2_iSB_SB_.has_indirect_call, or(0, .L__assert_fail.has_indirect_call)
	.section	.AMDGPU.csdata,"",@progbits
; Kernel info:
; codeLenInByte = 68
; TotalNumSgprs: 36
; NumVgprs: 51
; ScratchSize: 64
; MemoryBound: 0
; FloatMode: 240
; IeeeMode: 1
; LDSByteSize: 0 bytes/workgroup (compile time only)
; SGPRBlocks: 0
; VGPRBlocks: 3
; NumSGPRsForWavesPerEU: 36
; NumVGPRsForWavesPerEU: 51
; NamedBarCnt: 0
; Occupancy: 16
; WaveLimiterHint : 1
; COMPUTE_PGM_RSRC2:SCRATCH_EN: 1
; COMPUTE_PGM_RSRC2:USER_SGPR: 2
; COMPUTE_PGM_RSRC2:TRAP_HANDLER: 0
; COMPUTE_PGM_RSRC2:TGID_X_EN: 1
; COMPUTE_PGM_RSRC2:TGID_Y_EN: 0
; COMPUTE_PGM_RSRC2:TGID_Z_EN: 0
; COMPUTE_PGM_RSRC2:TIDIG_COMP_CNT: 0
	.section	.text._Z39paged_attention_ll4mi_QKV_mfma16_kernelIDF16_DF16_LN4vllm18Fp8KVCacheDataTypeE0EhLi32ELi128ELi256ELb1ELi10EEvPKT_PKT0_S7_ifPKiS9_S9_iPKfiiiPfSC_PS2_PT2_iSB_SB_,"axG",@progbits,_Z39paged_attention_ll4mi_QKV_mfma16_kernelIDF16_DF16_LN4vllm18Fp8KVCacheDataTypeE0EhLi32ELi128ELi256ELb1ELi10EEvPKT_PKT0_S7_ifPKiS9_S9_iPKfiiiPfSC_PS2_PT2_iSB_SB_,comdat
	.protected	_Z39paged_attention_ll4mi_QKV_mfma16_kernelIDF16_DF16_LN4vllm18Fp8KVCacheDataTypeE0EhLi32ELi128ELi256ELb1ELi10EEvPKT_PKT0_S7_ifPKiS9_S9_iPKfiiiPfSC_PS2_PT2_iSB_SB_ ; -- Begin function _Z39paged_attention_ll4mi_QKV_mfma16_kernelIDF16_DF16_LN4vllm18Fp8KVCacheDataTypeE0EhLi32ELi128ELi256ELb1ELi10EEvPKT_PKT0_S7_ifPKiS9_S9_iPKfiiiPfSC_PS2_PT2_iSB_SB_
	.globl	_Z39paged_attention_ll4mi_QKV_mfma16_kernelIDF16_DF16_LN4vllm18Fp8KVCacheDataTypeE0EhLi32ELi128ELi256ELb1ELi10EEvPKT_PKT0_S7_ifPKiS9_S9_iPKfiiiPfSC_PS2_PT2_iSB_SB_
	.p2align	8
	.type	_Z39paged_attention_ll4mi_QKV_mfma16_kernelIDF16_DF16_LN4vllm18Fp8KVCacheDataTypeE0EhLi32ELi128ELi256ELb1ELi10EEvPKT_PKT0_S7_ifPKiS9_S9_iPKfiiiPfSC_PS2_PT2_iSB_SB_,@function
_Z39paged_attention_ll4mi_QKV_mfma16_kernelIDF16_DF16_LN4vllm18Fp8KVCacheDataTypeE0EhLi32ELi128ELi256ELb1ELi10EEvPKT_PKT0_S7_ifPKiS9_S9_iPKfiiiPfSC_PS2_PT2_iSB_SB_: ; @_Z39paged_attention_ll4mi_QKV_mfma16_kernelIDF16_DF16_LN4vllm18Fp8KVCacheDataTypeE0EhLi32ELi128ELi256ELb1ELi10EEvPKT_PKT0_S7_ifPKiS9_S9_iPKfiiiPfSC_PS2_PT2_iSB_SB_
; %bb.0:
	s_get_pc_i64 s[2:3]
	s_add_nc_u64 s[2:3], s[2:3], __PRETTY_FUNCTION__._Z39paged_attention_ll4mi_QKV_mfma16_kernelIDF16_DF16_LN4vllm18Fp8KVCacheDataTypeE0EhLi32ELi128ELi256ELb1ELi10EEvPKT_PKT0_S7_ifPKiS9_S9_iPKfiiiPfSC_PS2_PT2_iSB_SB_@rel64+4
	s_delay_alu instid0(SALU_CYCLE_1)
	v_dual_mov_b32 v0, 0xbb3 :: v_dual_mov_b32 v1, s2
	v_mov_b32_e32 v2, s3
	s_add_nc_u64 s[8:9], s[0:1], 0x90
	s_get_pc_i64 s[0:1]
	s_add_nc_u64 s[0:1], s[0:1], __assert_fail@rel64+4
	s_mov_b32 s32, 0
	s_swap_pc_i64 s[30:31], s[0:1]
	.section	.rodata,"a",@progbits
	.p2align	6, 0x0
	.amdhsa_kernel _Z39paged_attention_ll4mi_QKV_mfma16_kernelIDF16_DF16_LN4vllm18Fp8KVCacheDataTypeE0EhLi32ELi128ELi256ELb1ELi10EEvPKT_PKT0_S7_ifPKiS9_S9_iPKfiiiPfSC_PS2_PT2_iSB_SB_
		.amdhsa_group_segment_fixed_size 0
		.amdhsa_private_segment_fixed_size 64
		.amdhsa_kernarg_size 400
		.amdhsa_user_sgpr_count 2
		.amdhsa_user_sgpr_dispatch_ptr 0
		.amdhsa_user_sgpr_queue_ptr 0
		.amdhsa_user_sgpr_kernarg_segment_ptr 1
		.amdhsa_user_sgpr_dispatch_id 0
		.amdhsa_user_sgpr_kernarg_preload_length 0
		.amdhsa_user_sgpr_kernarg_preload_offset 0
		.amdhsa_user_sgpr_private_segment_size 0
		.amdhsa_wavefront_size32 1
		.amdhsa_uses_dynamic_stack 0
		.amdhsa_enable_private_segment 1
		.amdhsa_system_sgpr_workgroup_id_x 1
		.amdhsa_system_sgpr_workgroup_id_y 0
		.amdhsa_system_sgpr_workgroup_id_z 0
		.amdhsa_system_sgpr_workgroup_info 0
		.amdhsa_system_vgpr_workitem_id 0
		.amdhsa_next_free_vgpr 51
		.amdhsa_next_free_sgpr 34
		.amdhsa_named_barrier_count 0
		.amdhsa_reserve_vcc 1
		.amdhsa_float_round_mode_32 0
		.amdhsa_float_round_mode_16_64 0
		.amdhsa_float_denorm_mode_32 3
		.amdhsa_float_denorm_mode_16_64 3
		.amdhsa_fp16_overflow 0
		.amdhsa_memory_ordered 1
		.amdhsa_forward_progress 1
		.amdhsa_inst_pref_size 1
		.amdhsa_round_robin_scheduling 0
		.amdhsa_exception_fp_ieee_invalid_op 0
		.amdhsa_exception_fp_denorm_src 0
		.amdhsa_exception_fp_ieee_div_zero 0
		.amdhsa_exception_fp_ieee_overflow 0
		.amdhsa_exception_fp_ieee_underflow 0
		.amdhsa_exception_fp_ieee_inexact 0
		.amdhsa_exception_int_div_zero 0
	.end_amdhsa_kernel
	.section	.text._Z39paged_attention_ll4mi_QKV_mfma16_kernelIDF16_DF16_LN4vllm18Fp8KVCacheDataTypeE0EhLi32ELi128ELi256ELb1ELi10EEvPKT_PKT0_S7_ifPKiS9_S9_iPKfiiiPfSC_PS2_PT2_iSB_SB_,"axG",@progbits,_Z39paged_attention_ll4mi_QKV_mfma16_kernelIDF16_DF16_LN4vllm18Fp8KVCacheDataTypeE0EhLi32ELi128ELi256ELb1ELi10EEvPKT_PKT0_S7_ifPKiS9_S9_iPKfiiiPfSC_PS2_PT2_iSB_SB_,comdat
.Lfunc_end315:
	.size	_Z39paged_attention_ll4mi_QKV_mfma16_kernelIDF16_DF16_LN4vllm18Fp8KVCacheDataTypeE0EhLi32ELi128ELi256ELb1ELi10EEvPKT_PKT0_S7_ifPKiS9_S9_iPKfiiiPfSC_PS2_PT2_iSB_SB_, .Lfunc_end315-_Z39paged_attention_ll4mi_QKV_mfma16_kernelIDF16_DF16_LN4vllm18Fp8KVCacheDataTypeE0EhLi32ELi128ELi256ELb1ELi10EEvPKT_PKT0_S7_ifPKiS9_S9_iPKfiiiPfSC_PS2_PT2_iSB_SB_
                                        ; -- End function
	.set _Z39paged_attention_ll4mi_QKV_mfma16_kernelIDF16_DF16_LN4vllm18Fp8KVCacheDataTypeE0EhLi32ELi128ELi256ELb1ELi10EEvPKT_PKT0_S7_ifPKiS9_S9_iPKfiiiPfSC_PS2_PT2_iSB_SB_.num_vgpr, max(3, .L__assert_fail.num_vgpr)
	.set _Z39paged_attention_ll4mi_QKV_mfma16_kernelIDF16_DF16_LN4vllm18Fp8KVCacheDataTypeE0EhLi32ELi128ELi256ELb1ELi10EEvPKT_PKT0_S7_ifPKiS9_S9_iPKfiiiPfSC_PS2_PT2_iSB_SB_.num_agpr, max(0, .L__assert_fail.num_agpr)
	.set _Z39paged_attention_ll4mi_QKV_mfma16_kernelIDF16_DF16_LN4vllm18Fp8KVCacheDataTypeE0EhLi32ELi128ELi256ELb1ELi10EEvPKT_PKT0_S7_ifPKiS9_S9_iPKfiiiPfSC_PS2_PT2_iSB_SB_.numbered_sgpr, max(33, .L__assert_fail.numbered_sgpr)
	.set _Z39paged_attention_ll4mi_QKV_mfma16_kernelIDF16_DF16_LN4vllm18Fp8KVCacheDataTypeE0EhLi32ELi128ELi256ELb1ELi10EEvPKT_PKT0_S7_ifPKiS9_S9_iPKfiiiPfSC_PS2_PT2_iSB_SB_.num_named_barrier, max(0, .L__assert_fail.num_named_barrier)
	.set _Z39paged_attention_ll4mi_QKV_mfma16_kernelIDF16_DF16_LN4vllm18Fp8KVCacheDataTypeE0EhLi32ELi128ELi256ELb1ELi10EEvPKT_PKT0_S7_ifPKiS9_S9_iPKfiiiPfSC_PS2_PT2_iSB_SB_.private_seg_size, 0+max(.L__assert_fail.private_seg_size)
	.set _Z39paged_attention_ll4mi_QKV_mfma16_kernelIDF16_DF16_LN4vllm18Fp8KVCacheDataTypeE0EhLi32ELi128ELi256ELb1ELi10EEvPKT_PKT0_S7_ifPKiS9_S9_iPKfiiiPfSC_PS2_PT2_iSB_SB_.uses_vcc, or(1, .L__assert_fail.uses_vcc)
	.set _Z39paged_attention_ll4mi_QKV_mfma16_kernelIDF16_DF16_LN4vllm18Fp8KVCacheDataTypeE0EhLi32ELi128ELi256ELb1ELi10EEvPKT_PKT0_S7_ifPKiS9_S9_iPKfiiiPfSC_PS2_PT2_iSB_SB_.uses_flat_scratch, or(0, .L__assert_fail.uses_flat_scratch)
	.set _Z39paged_attention_ll4mi_QKV_mfma16_kernelIDF16_DF16_LN4vllm18Fp8KVCacheDataTypeE0EhLi32ELi128ELi256ELb1ELi10EEvPKT_PKT0_S7_ifPKiS9_S9_iPKfiiiPfSC_PS2_PT2_iSB_SB_.has_dyn_sized_stack, or(0, .L__assert_fail.has_dyn_sized_stack)
	.set _Z39paged_attention_ll4mi_QKV_mfma16_kernelIDF16_DF16_LN4vllm18Fp8KVCacheDataTypeE0EhLi32ELi128ELi256ELb1ELi10EEvPKT_PKT0_S7_ifPKiS9_S9_iPKfiiiPfSC_PS2_PT2_iSB_SB_.has_recursion, or(0, .L__assert_fail.has_recursion)
	.set _Z39paged_attention_ll4mi_QKV_mfma16_kernelIDF16_DF16_LN4vllm18Fp8KVCacheDataTypeE0EhLi32ELi128ELi256ELb1ELi10EEvPKT_PKT0_S7_ifPKiS9_S9_iPKfiiiPfSC_PS2_PT2_iSB_SB_.has_indirect_call, or(0, .L__assert_fail.has_indirect_call)
	.section	.AMDGPU.csdata,"",@progbits
; Kernel info:
; codeLenInByte = 68
; TotalNumSgprs: 36
; NumVgprs: 51
; ScratchSize: 64
; MemoryBound: 0
; FloatMode: 240
; IeeeMode: 1
; LDSByteSize: 0 bytes/workgroup (compile time only)
; SGPRBlocks: 0
; VGPRBlocks: 3
; NumSGPRsForWavesPerEU: 36
; NumVGPRsForWavesPerEU: 51
; NamedBarCnt: 0
; Occupancy: 16
; WaveLimiterHint : 1
; COMPUTE_PGM_RSRC2:SCRATCH_EN: 1
; COMPUTE_PGM_RSRC2:USER_SGPR: 2
; COMPUTE_PGM_RSRC2:TRAP_HANDLER: 0
; COMPUTE_PGM_RSRC2:TGID_X_EN: 1
; COMPUTE_PGM_RSRC2:TGID_Y_EN: 0
; COMPUTE_PGM_RSRC2:TGID_Z_EN: 0
; COMPUTE_PGM_RSRC2:TIDIG_COMP_CNT: 0
	.section	.text._Z39paged_attention_ll4mi_QKV_mfma16_kernelIDF16_DF16_LN4vllm18Fp8KVCacheDataTypeE0EhLi32ELi128ELi256ELb1ELi11EEvPKT_PKT0_S7_ifPKiS9_S9_iPKfiiiPfSC_PS2_PT2_iSB_SB_,"axG",@progbits,_Z39paged_attention_ll4mi_QKV_mfma16_kernelIDF16_DF16_LN4vllm18Fp8KVCacheDataTypeE0EhLi32ELi128ELi256ELb1ELi11EEvPKT_PKT0_S7_ifPKiS9_S9_iPKfiiiPfSC_PS2_PT2_iSB_SB_,comdat
	.protected	_Z39paged_attention_ll4mi_QKV_mfma16_kernelIDF16_DF16_LN4vllm18Fp8KVCacheDataTypeE0EhLi32ELi128ELi256ELb1ELi11EEvPKT_PKT0_S7_ifPKiS9_S9_iPKfiiiPfSC_PS2_PT2_iSB_SB_ ; -- Begin function _Z39paged_attention_ll4mi_QKV_mfma16_kernelIDF16_DF16_LN4vllm18Fp8KVCacheDataTypeE0EhLi32ELi128ELi256ELb1ELi11EEvPKT_PKT0_S7_ifPKiS9_S9_iPKfiiiPfSC_PS2_PT2_iSB_SB_
	.globl	_Z39paged_attention_ll4mi_QKV_mfma16_kernelIDF16_DF16_LN4vllm18Fp8KVCacheDataTypeE0EhLi32ELi128ELi256ELb1ELi11EEvPKT_PKT0_S7_ifPKiS9_S9_iPKfiiiPfSC_PS2_PT2_iSB_SB_
	.p2align	8
	.type	_Z39paged_attention_ll4mi_QKV_mfma16_kernelIDF16_DF16_LN4vllm18Fp8KVCacheDataTypeE0EhLi32ELi128ELi256ELb1ELi11EEvPKT_PKT0_S7_ifPKiS9_S9_iPKfiiiPfSC_PS2_PT2_iSB_SB_,@function
_Z39paged_attention_ll4mi_QKV_mfma16_kernelIDF16_DF16_LN4vllm18Fp8KVCacheDataTypeE0EhLi32ELi128ELi256ELb1ELi11EEvPKT_PKT0_S7_ifPKiS9_S9_iPKfiiiPfSC_PS2_PT2_iSB_SB_: ; @_Z39paged_attention_ll4mi_QKV_mfma16_kernelIDF16_DF16_LN4vllm18Fp8KVCacheDataTypeE0EhLi32ELi128ELi256ELb1ELi11EEvPKT_PKT0_S7_ifPKiS9_S9_iPKfiiiPfSC_PS2_PT2_iSB_SB_
; %bb.0:
	s_get_pc_i64 s[2:3]
	s_add_nc_u64 s[2:3], s[2:3], __PRETTY_FUNCTION__._Z39paged_attention_ll4mi_QKV_mfma16_kernelIDF16_DF16_LN4vllm18Fp8KVCacheDataTypeE0EhLi32ELi128ELi256ELb1ELi11EEvPKT_PKT0_S7_ifPKiS9_S9_iPKfiiiPfSC_PS2_PT2_iSB_SB_@rel64+4
	s_delay_alu instid0(SALU_CYCLE_1)
	v_dual_mov_b32 v0, 0xbb3 :: v_dual_mov_b32 v1, s2
	v_mov_b32_e32 v2, s3
	s_add_nc_u64 s[8:9], s[0:1], 0x90
	s_get_pc_i64 s[0:1]
	s_add_nc_u64 s[0:1], s[0:1], __assert_fail@rel64+4
	s_mov_b32 s32, 0
	s_swap_pc_i64 s[30:31], s[0:1]
	.section	.rodata,"a",@progbits
	.p2align	6, 0x0
	.amdhsa_kernel _Z39paged_attention_ll4mi_QKV_mfma16_kernelIDF16_DF16_LN4vllm18Fp8KVCacheDataTypeE0EhLi32ELi128ELi256ELb1ELi11EEvPKT_PKT0_S7_ifPKiS9_S9_iPKfiiiPfSC_PS2_PT2_iSB_SB_
		.amdhsa_group_segment_fixed_size 0
		.amdhsa_private_segment_fixed_size 64
		.amdhsa_kernarg_size 400
		.amdhsa_user_sgpr_count 2
		.amdhsa_user_sgpr_dispatch_ptr 0
		.amdhsa_user_sgpr_queue_ptr 0
		.amdhsa_user_sgpr_kernarg_segment_ptr 1
		.amdhsa_user_sgpr_dispatch_id 0
		.amdhsa_user_sgpr_kernarg_preload_length 0
		.amdhsa_user_sgpr_kernarg_preload_offset 0
		.amdhsa_user_sgpr_private_segment_size 0
		.amdhsa_wavefront_size32 1
		.amdhsa_uses_dynamic_stack 0
		.amdhsa_enable_private_segment 1
		.amdhsa_system_sgpr_workgroup_id_x 1
		.amdhsa_system_sgpr_workgroup_id_y 0
		.amdhsa_system_sgpr_workgroup_id_z 0
		.amdhsa_system_sgpr_workgroup_info 0
		.amdhsa_system_vgpr_workitem_id 0
		.amdhsa_next_free_vgpr 51
		.amdhsa_next_free_sgpr 34
		.amdhsa_named_barrier_count 0
		.amdhsa_reserve_vcc 1
		.amdhsa_float_round_mode_32 0
		.amdhsa_float_round_mode_16_64 0
		.amdhsa_float_denorm_mode_32 3
		.amdhsa_float_denorm_mode_16_64 3
		.amdhsa_fp16_overflow 0
		.amdhsa_memory_ordered 1
		.amdhsa_forward_progress 1
		.amdhsa_inst_pref_size 1
		.amdhsa_round_robin_scheduling 0
		.amdhsa_exception_fp_ieee_invalid_op 0
		.amdhsa_exception_fp_denorm_src 0
		.amdhsa_exception_fp_ieee_div_zero 0
		.amdhsa_exception_fp_ieee_overflow 0
		.amdhsa_exception_fp_ieee_underflow 0
		.amdhsa_exception_fp_ieee_inexact 0
		.amdhsa_exception_int_div_zero 0
	.end_amdhsa_kernel
	.section	.text._Z39paged_attention_ll4mi_QKV_mfma16_kernelIDF16_DF16_LN4vllm18Fp8KVCacheDataTypeE0EhLi32ELi128ELi256ELb1ELi11EEvPKT_PKT0_S7_ifPKiS9_S9_iPKfiiiPfSC_PS2_PT2_iSB_SB_,"axG",@progbits,_Z39paged_attention_ll4mi_QKV_mfma16_kernelIDF16_DF16_LN4vllm18Fp8KVCacheDataTypeE0EhLi32ELi128ELi256ELb1ELi11EEvPKT_PKT0_S7_ifPKiS9_S9_iPKfiiiPfSC_PS2_PT2_iSB_SB_,comdat
.Lfunc_end316:
	.size	_Z39paged_attention_ll4mi_QKV_mfma16_kernelIDF16_DF16_LN4vllm18Fp8KVCacheDataTypeE0EhLi32ELi128ELi256ELb1ELi11EEvPKT_PKT0_S7_ifPKiS9_S9_iPKfiiiPfSC_PS2_PT2_iSB_SB_, .Lfunc_end316-_Z39paged_attention_ll4mi_QKV_mfma16_kernelIDF16_DF16_LN4vllm18Fp8KVCacheDataTypeE0EhLi32ELi128ELi256ELb1ELi11EEvPKT_PKT0_S7_ifPKiS9_S9_iPKfiiiPfSC_PS2_PT2_iSB_SB_
                                        ; -- End function
	.set _Z39paged_attention_ll4mi_QKV_mfma16_kernelIDF16_DF16_LN4vllm18Fp8KVCacheDataTypeE0EhLi32ELi128ELi256ELb1ELi11EEvPKT_PKT0_S7_ifPKiS9_S9_iPKfiiiPfSC_PS2_PT2_iSB_SB_.num_vgpr, max(3, .L__assert_fail.num_vgpr)
	.set _Z39paged_attention_ll4mi_QKV_mfma16_kernelIDF16_DF16_LN4vllm18Fp8KVCacheDataTypeE0EhLi32ELi128ELi256ELb1ELi11EEvPKT_PKT0_S7_ifPKiS9_S9_iPKfiiiPfSC_PS2_PT2_iSB_SB_.num_agpr, max(0, .L__assert_fail.num_agpr)
	.set _Z39paged_attention_ll4mi_QKV_mfma16_kernelIDF16_DF16_LN4vllm18Fp8KVCacheDataTypeE0EhLi32ELi128ELi256ELb1ELi11EEvPKT_PKT0_S7_ifPKiS9_S9_iPKfiiiPfSC_PS2_PT2_iSB_SB_.numbered_sgpr, max(33, .L__assert_fail.numbered_sgpr)
	.set _Z39paged_attention_ll4mi_QKV_mfma16_kernelIDF16_DF16_LN4vllm18Fp8KVCacheDataTypeE0EhLi32ELi128ELi256ELb1ELi11EEvPKT_PKT0_S7_ifPKiS9_S9_iPKfiiiPfSC_PS2_PT2_iSB_SB_.num_named_barrier, max(0, .L__assert_fail.num_named_barrier)
	.set _Z39paged_attention_ll4mi_QKV_mfma16_kernelIDF16_DF16_LN4vllm18Fp8KVCacheDataTypeE0EhLi32ELi128ELi256ELb1ELi11EEvPKT_PKT0_S7_ifPKiS9_S9_iPKfiiiPfSC_PS2_PT2_iSB_SB_.private_seg_size, 0+max(.L__assert_fail.private_seg_size)
	.set _Z39paged_attention_ll4mi_QKV_mfma16_kernelIDF16_DF16_LN4vllm18Fp8KVCacheDataTypeE0EhLi32ELi128ELi256ELb1ELi11EEvPKT_PKT0_S7_ifPKiS9_S9_iPKfiiiPfSC_PS2_PT2_iSB_SB_.uses_vcc, or(1, .L__assert_fail.uses_vcc)
	.set _Z39paged_attention_ll4mi_QKV_mfma16_kernelIDF16_DF16_LN4vllm18Fp8KVCacheDataTypeE0EhLi32ELi128ELi256ELb1ELi11EEvPKT_PKT0_S7_ifPKiS9_S9_iPKfiiiPfSC_PS2_PT2_iSB_SB_.uses_flat_scratch, or(0, .L__assert_fail.uses_flat_scratch)
	.set _Z39paged_attention_ll4mi_QKV_mfma16_kernelIDF16_DF16_LN4vllm18Fp8KVCacheDataTypeE0EhLi32ELi128ELi256ELb1ELi11EEvPKT_PKT0_S7_ifPKiS9_S9_iPKfiiiPfSC_PS2_PT2_iSB_SB_.has_dyn_sized_stack, or(0, .L__assert_fail.has_dyn_sized_stack)
	.set _Z39paged_attention_ll4mi_QKV_mfma16_kernelIDF16_DF16_LN4vllm18Fp8KVCacheDataTypeE0EhLi32ELi128ELi256ELb1ELi11EEvPKT_PKT0_S7_ifPKiS9_S9_iPKfiiiPfSC_PS2_PT2_iSB_SB_.has_recursion, or(0, .L__assert_fail.has_recursion)
	.set _Z39paged_attention_ll4mi_QKV_mfma16_kernelIDF16_DF16_LN4vllm18Fp8KVCacheDataTypeE0EhLi32ELi128ELi256ELb1ELi11EEvPKT_PKT0_S7_ifPKiS9_S9_iPKfiiiPfSC_PS2_PT2_iSB_SB_.has_indirect_call, or(0, .L__assert_fail.has_indirect_call)
	.section	.AMDGPU.csdata,"",@progbits
; Kernel info:
; codeLenInByte = 68
; TotalNumSgprs: 36
; NumVgprs: 51
; ScratchSize: 64
; MemoryBound: 0
; FloatMode: 240
; IeeeMode: 1
; LDSByteSize: 0 bytes/workgroup (compile time only)
; SGPRBlocks: 0
; VGPRBlocks: 3
; NumSGPRsForWavesPerEU: 36
; NumVGPRsForWavesPerEU: 51
; NamedBarCnt: 0
; Occupancy: 16
; WaveLimiterHint : 1
; COMPUTE_PGM_RSRC2:SCRATCH_EN: 1
; COMPUTE_PGM_RSRC2:USER_SGPR: 2
; COMPUTE_PGM_RSRC2:TRAP_HANDLER: 0
; COMPUTE_PGM_RSRC2:TGID_X_EN: 1
; COMPUTE_PGM_RSRC2:TGID_Y_EN: 0
; COMPUTE_PGM_RSRC2:TGID_Z_EN: 0
; COMPUTE_PGM_RSRC2:TIDIG_COMP_CNT: 0
	.section	.text._Z39paged_attention_ll4mi_QKV_mfma16_kernelIDF16_DF16_LN4vllm18Fp8KVCacheDataTypeE0EhLi32ELi128ELi256ELb1ELi12EEvPKT_PKT0_S7_ifPKiS9_S9_iPKfiiiPfSC_PS2_PT2_iSB_SB_,"axG",@progbits,_Z39paged_attention_ll4mi_QKV_mfma16_kernelIDF16_DF16_LN4vllm18Fp8KVCacheDataTypeE0EhLi32ELi128ELi256ELb1ELi12EEvPKT_PKT0_S7_ifPKiS9_S9_iPKfiiiPfSC_PS2_PT2_iSB_SB_,comdat
	.protected	_Z39paged_attention_ll4mi_QKV_mfma16_kernelIDF16_DF16_LN4vllm18Fp8KVCacheDataTypeE0EhLi32ELi128ELi256ELb1ELi12EEvPKT_PKT0_S7_ifPKiS9_S9_iPKfiiiPfSC_PS2_PT2_iSB_SB_ ; -- Begin function _Z39paged_attention_ll4mi_QKV_mfma16_kernelIDF16_DF16_LN4vllm18Fp8KVCacheDataTypeE0EhLi32ELi128ELi256ELb1ELi12EEvPKT_PKT0_S7_ifPKiS9_S9_iPKfiiiPfSC_PS2_PT2_iSB_SB_
	.globl	_Z39paged_attention_ll4mi_QKV_mfma16_kernelIDF16_DF16_LN4vllm18Fp8KVCacheDataTypeE0EhLi32ELi128ELi256ELb1ELi12EEvPKT_PKT0_S7_ifPKiS9_S9_iPKfiiiPfSC_PS2_PT2_iSB_SB_
	.p2align	8
	.type	_Z39paged_attention_ll4mi_QKV_mfma16_kernelIDF16_DF16_LN4vllm18Fp8KVCacheDataTypeE0EhLi32ELi128ELi256ELb1ELi12EEvPKT_PKT0_S7_ifPKiS9_S9_iPKfiiiPfSC_PS2_PT2_iSB_SB_,@function
_Z39paged_attention_ll4mi_QKV_mfma16_kernelIDF16_DF16_LN4vllm18Fp8KVCacheDataTypeE0EhLi32ELi128ELi256ELb1ELi12EEvPKT_PKT0_S7_ifPKiS9_S9_iPKfiiiPfSC_PS2_PT2_iSB_SB_: ; @_Z39paged_attention_ll4mi_QKV_mfma16_kernelIDF16_DF16_LN4vllm18Fp8KVCacheDataTypeE0EhLi32ELi128ELi256ELb1ELi12EEvPKT_PKT0_S7_ifPKiS9_S9_iPKfiiiPfSC_PS2_PT2_iSB_SB_
; %bb.0:
	s_get_pc_i64 s[2:3]
	s_add_nc_u64 s[2:3], s[2:3], __PRETTY_FUNCTION__._Z39paged_attention_ll4mi_QKV_mfma16_kernelIDF16_DF16_LN4vllm18Fp8KVCacheDataTypeE0EhLi32ELi128ELi256ELb1ELi12EEvPKT_PKT0_S7_ifPKiS9_S9_iPKfiiiPfSC_PS2_PT2_iSB_SB_@rel64+4
	s_delay_alu instid0(SALU_CYCLE_1)
	v_dual_mov_b32 v0, 0xbb3 :: v_dual_mov_b32 v1, s2
	v_mov_b32_e32 v2, s3
	s_add_nc_u64 s[8:9], s[0:1], 0x90
	s_get_pc_i64 s[0:1]
	s_add_nc_u64 s[0:1], s[0:1], __assert_fail@rel64+4
	s_mov_b32 s32, 0
	s_swap_pc_i64 s[30:31], s[0:1]
	.section	.rodata,"a",@progbits
	.p2align	6, 0x0
	.amdhsa_kernel _Z39paged_attention_ll4mi_QKV_mfma16_kernelIDF16_DF16_LN4vllm18Fp8KVCacheDataTypeE0EhLi32ELi128ELi256ELb1ELi12EEvPKT_PKT0_S7_ifPKiS9_S9_iPKfiiiPfSC_PS2_PT2_iSB_SB_
		.amdhsa_group_segment_fixed_size 0
		.amdhsa_private_segment_fixed_size 64
		.amdhsa_kernarg_size 400
		.amdhsa_user_sgpr_count 2
		.amdhsa_user_sgpr_dispatch_ptr 0
		.amdhsa_user_sgpr_queue_ptr 0
		.amdhsa_user_sgpr_kernarg_segment_ptr 1
		.amdhsa_user_sgpr_dispatch_id 0
		.amdhsa_user_sgpr_kernarg_preload_length 0
		.amdhsa_user_sgpr_kernarg_preload_offset 0
		.amdhsa_user_sgpr_private_segment_size 0
		.amdhsa_wavefront_size32 1
		.amdhsa_uses_dynamic_stack 0
		.amdhsa_enable_private_segment 1
		.amdhsa_system_sgpr_workgroup_id_x 1
		.amdhsa_system_sgpr_workgroup_id_y 0
		.amdhsa_system_sgpr_workgroup_id_z 0
		.amdhsa_system_sgpr_workgroup_info 0
		.amdhsa_system_vgpr_workitem_id 0
		.amdhsa_next_free_vgpr 51
		.amdhsa_next_free_sgpr 34
		.amdhsa_named_barrier_count 0
		.amdhsa_reserve_vcc 1
		.amdhsa_float_round_mode_32 0
		.amdhsa_float_round_mode_16_64 0
		.amdhsa_float_denorm_mode_32 3
		.amdhsa_float_denorm_mode_16_64 3
		.amdhsa_fp16_overflow 0
		.amdhsa_memory_ordered 1
		.amdhsa_forward_progress 1
		.amdhsa_inst_pref_size 1
		.amdhsa_round_robin_scheduling 0
		.amdhsa_exception_fp_ieee_invalid_op 0
		.amdhsa_exception_fp_denorm_src 0
		.amdhsa_exception_fp_ieee_div_zero 0
		.amdhsa_exception_fp_ieee_overflow 0
		.amdhsa_exception_fp_ieee_underflow 0
		.amdhsa_exception_fp_ieee_inexact 0
		.amdhsa_exception_int_div_zero 0
	.end_amdhsa_kernel
	.section	.text._Z39paged_attention_ll4mi_QKV_mfma16_kernelIDF16_DF16_LN4vllm18Fp8KVCacheDataTypeE0EhLi32ELi128ELi256ELb1ELi12EEvPKT_PKT0_S7_ifPKiS9_S9_iPKfiiiPfSC_PS2_PT2_iSB_SB_,"axG",@progbits,_Z39paged_attention_ll4mi_QKV_mfma16_kernelIDF16_DF16_LN4vllm18Fp8KVCacheDataTypeE0EhLi32ELi128ELi256ELb1ELi12EEvPKT_PKT0_S7_ifPKiS9_S9_iPKfiiiPfSC_PS2_PT2_iSB_SB_,comdat
.Lfunc_end317:
	.size	_Z39paged_attention_ll4mi_QKV_mfma16_kernelIDF16_DF16_LN4vllm18Fp8KVCacheDataTypeE0EhLi32ELi128ELi256ELb1ELi12EEvPKT_PKT0_S7_ifPKiS9_S9_iPKfiiiPfSC_PS2_PT2_iSB_SB_, .Lfunc_end317-_Z39paged_attention_ll4mi_QKV_mfma16_kernelIDF16_DF16_LN4vllm18Fp8KVCacheDataTypeE0EhLi32ELi128ELi256ELb1ELi12EEvPKT_PKT0_S7_ifPKiS9_S9_iPKfiiiPfSC_PS2_PT2_iSB_SB_
                                        ; -- End function
	.set _Z39paged_attention_ll4mi_QKV_mfma16_kernelIDF16_DF16_LN4vllm18Fp8KVCacheDataTypeE0EhLi32ELi128ELi256ELb1ELi12EEvPKT_PKT0_S7_ifPKiS9_S9_iPKfiiiPfSC_PS2_PT2_iSB_SB_.num_vgpr, max(3, .L__assert_fail.num_vgpr)
	.set _Z39paged_attention_ll4mi_QKV_mfma16_kernelIDF16_DF16_LN4vllm18Fp8KVCacheDataTypeE0EhLi32ELi128ELi256ELb1ELi12EEvPKT_PKT0_S7_ifPKiS9_S9_iPKfiiiPfSC_PS2_PT2_iSB_SB_.num_agpr, max(0, .L__assert_fail.num_agpr)
	.set _Z39paged_attention_ll4mi_QKV_mfma16_kernelIDF16_DF16_LN4vllm18Fp8KVCacheDataTypeE0EhLi32ELi128ELi256ELb1ELi12EEvPKT_PKT0_S7_ifPKiS9_S9_iPKfiiiPfSC_PS2_PT2_iSB_SB_.numbered_sgpr, max(33, .L__assert_fail.numbered_sgpr)
	.set _Z39paged_attention_ll4mi_QKV_mfma16_kernelIDF16_DF16_LN4vllm18Fp8KVCacheDataTypeE0EhLi32ELi128ELi256ELb1ELi12EEvPKT_PKT0_S7_ifPKiS9_S9_iPKfiiiPfSC_PS2_PT2_iSB_SB_.num_named_barrier, max(0, .L__assert_fail.num_named_barrier)
	.set _Z39paged_attention_ll4mi_QKV_mfma16_kernelIDF16_DF16_LN4vllm18Fp8KVCacheDataTypeE0EhLi32ELi128ELi256ELb1ELi12EEvPKT_PKT0_S7_ifPKiS9_S9_iPKfiiiPfSC_PS2_PT2_iSB_SB_.private_seg_size, 0+max(.L__assert_fail.private_seg_size)
	.set _Z39paged_attention_ll4mi_QKV_mfma16_kernelIDF16_DF16_LN4vllm18Fp8KVCacheDataTypeE0EhLi32ELi128ELi256ELb1ELi12EEvPKT_PKT0_S7_ifPKiS9_S9_iPKfiiiPfSC_PS2_PT2_iSB_SB_.uses_vcc, or(1, .L__assert_fail.uses_vcc)
	.set _Z39paged_attention_ll4mi_QKV_mfma16_kernelIDF16_DF16_LN4vllm18Fp8KVCacheDataTypeE0EhLi32ELi128ELi256ELb1ELi12EEvPKT_PKT0_S7_ifPKiS9_S9_iPKfiiiPfSC_PS2_PT2_iSB_SB_.uses_flat_scratch, or(0, .L__assert_fail.uses_flat_scratch)
	.set _Z39paged_attention_ll4mi_QKV_mfma16_kernelIDF16_DF16_LN4vllm18Fp8KVCacheDataTypeE0EhLi32ELi128ELi256ELb1ELi12EEvPKT_PKT0_S7_ifPKiS9_S9_iPKfiiiPfSC_PS2_PT2_iSB_SB_.has_dyn_sized_stack, or(0, .L__assert_fail.has_dyn_sized_stack)
	.set _Z39paged_attention_ll4mi_QKV_mfma16_kernelIDF16_DF16_LN4vllm18Fp8KVCacheDataTypeE0EhLi32ELi128ELi256ELb1ELi12EEvPKT_PKT0_S7_ifPKiS9_S9_iPKfiiiPfSC_PS2_PT2_iSB_SB_.has_recursion, or(0, .L__assert_fail.has_recursion)
	.set _Z39paged_attention_ll4mi_QKV_mfma16_kernelIDF16_DF16_LN4vllm18Fp8KVCacheDataTypeE0EhLi32ELi128ELi256ELb1ELi12EEvPKT_PKT0_S7_ifPKiS9_S9_iPKfiiiPfSC_PS2_PT2_iSB_SB_.has_indirect_call, or(0, .L__assert_fail.has_indirect_call)
	.section	.AMDGPU.csdata,"",@progbits
; Kernel info:
; codeLenInByte = 68
; TotalNumSgprs: 36
; NumVgprs: 51
; ScratchSize: 64
; MemoryBound: 0
; FloatMode: 240
; IeeeMode: 1
; LDSByteSize: 0 bytes/workgroup (compile time only)
; SGPRBlocks: 0
; VGPRBlocks: 3
; NumSGPRsForWavesPerEU: 36
; NumVGPRsForWavesPerEU: 51
; NamedBarCnt: 0
; Occupancy: 16
; WaveLimiterHint : 1
; COMPUTE_PGM_RSRC2:SCRATCH_EN: 1
; COMPUTE_PGM_RSRC2:USER_SGPR: 2
; COMPUTE_PGM_RSRC2:TRAP_HANDLER: 0
; COMPUTE_PGM_RSRC2:TGID_X_EN: 1
; COMPUTE_PGM_RSRC2:TGID_Y_EN: 0
; COMPUTE_PGM_RSRC2:TGID_Z_EN: 0
; COMPUTE_PGM_RSRC2:TIDIG_COMP_CNT: 0
	.section	.text._Z39paged_attention_ll4mi_QKV_mfma16_kernelIDF16_DF16_LN4vllm18Fp8KVCacheDataTypeE0EhLi32ELi128ELi256ELb1ELi13EEvPKT_PKT0_S7_ifPKiS9_S9_iPKfiiiPfSC_PS2_PT2_iSB_SB_,"axG",@progbits,_Z39paged_attention_ll4mi_QKV_mfma16_kernelIDF16_DF16_LN4vllm18Fp8KVCacheDataTypeE0EhLi32ELi128ELi256ELb1ELi13EEvPKT_PKT0_S7_ifPKiS9_S9_iPKfiiiPfSC_PS2_PT2_iSB_SB_,comdat
	.protected	_Z39paged_attention_ll4mi_QKV_mfma16_kernelIDF16_DF16_LN4vllm18Fp8KVCacheDataTypeE0EhLi32ELi128ELi256ELb1ELi13EEvPKT_PKT0_S7_ifPKiS9_S9_iPKfiiiPfSC_PS2_PT2_iSB_SB_ ; -- Begin function _Z39paged_attention_ll4mi_QKV_mfma16_kernelIDF16_DF16_LN4vllm18Fp8KVCacheDataTypeE0EhLi32ELi128ELi256ELb1ELi13EEvPKT_PKT0_S7_ifPKiS9_S9_iPKfiiiPfSC_PS2_PT2_iSB_SB_
	.globl	_Z39paged_attention_ll4mi_QKV_mfma16_kernelIDF16_DF16_LN4vllm18Fp8KVCacheDataTypeE0EhLi32ELi128ELi256ELb1ELi13EEvPKT_PKT0_S7_ifPKiS9_S9_iPKfiiiPfSC_PS2_PT2_iSB_SB_
	.p2align	8
	.type	_Z39paged_attention_ll4mi_QKV_mfma16_kernelIDF16_DF16_LN4vllm18Fp8KVCacheDataTypeE0EhLi32ELi128ELi256ELb1ELi13EEvPKT_PKT0_S7_ifPKiS9_S9_iPKfiiiPfSC_PS2_PT2_iSB_SB_,@function
_Z39paged_attention_ll4mi_QKV_mfma16_kernelIDF16_DF16_LN4vllm18Fp8KVCacheDataTypeE0EhLi32ELi128ELi256ELb1ELi13EEvPKT_PKT0_S7_ifPKiS9_S9_iPKfiiiPfSC_PS2_PT2_iSB_SB_: ; @_Z39paged_attention_ll4mi_QKV_mfma16_kernelIDF16_DF16_LN4vllm18Fp8KVCacheDataTypeE0EhLi32ELi128ELi256ELb1ELi13EEvPKT_PKT0_S7_ifPKiS9_S9_iPKfiiiPfSC_PS2_PT2_iSB_SB_
; %bb.0:
	s_get_pc_i64 s[2:3]
	s_add_nc_u64 s[2:3], s[2:3], __PRETTY_FUNCTION__._Z39paged_attention_ll4mi_QKV_mfma16_kernelIDF16_DF16_LN4vllm18Fp8KVCacheDataTypeE0EhLi32ELi128ELi256ELb1ELi13EEvPKT_PKT0_S7_ifPKiS9_S9_iPKfiiiPfSC_PS2_PT2_iSB_SB_@rel64+4
	s_delay_alu instid0(SALU_CYCLE_1)
	v_dual_mov_b32 v0, 0xbb3 :: v_dual_mov_b32 v1, s2
	v_mov_b32_e32 v2, s3
	s_add_nc_u64 s[8:9], s[0:1], 0x90
	s_get_pc_i64 s[0:1]
	s_add_nc_u64 s[0:1], s[0:1], __assert_fail@rel64+4
	s_mov_b32 s32, 0
	s_swap_pc_i64 s[30:31], s[0:1]
	.section	.rodata,"a",@progbits
	.p2align	6, 0x0
	.amdhsa_kernel _Z39paged_attention_ll4mi_QKV_mfma16_kernelIDF16_DF16_LN4vllm18Fp8KVCacheDataTypeE0EhLi32ELi128ELi256ELb1ELi13EEvPKT_PKT0_S7_ifPKiS9_S9_iPKfiiiPfSC_PS2_PT2_iSB_SB_
		.amdhsa_group_segment_fixed_size 0
		.amdhsa_private_segment_fixed_size 64
		.amdhsa_kernarg_size 400
		.amdhsa_user_sgpr_count 2
		.amdhsa_user_sgpr_dispatch_ptr 0
		.amdhsa_user_sgpr_queue_ptr 0
		.amdhsa_user_sgpr_kernarg_segment_ptr 1
		.amdhsa_user_sgpr_dispatch_id 0
		.amdhsa_user_sgpr_kernarg_preload_length 0
		.amdhsa_user_sgpr_kernarg_preload_offset 0
		.amdhsa_user_sgpr_private_segment_size 0
		.amdhsa_wavefront_size32 1
		.amdhsa_uses_dynamic_stack 0
		.amdhsa_enable_private_segment 1
		.amdhsa_system_sgpr_workgroup_id_x 1
		.amdhsa_system_sgpr_workgroup_id_y 0
		.amdhsa_system_sgpr_workgroup_id_z 0
		.amdhsa_system_sgpr_workgroup_info 0
		.amdhsa_system_vgpr_workitem_id 0
		.amdhsa_next_free_vgpr 51
		.amdhsa_next_free_sgpr 34
		.amdhsa_named_barrier_count 0
		.amdhsa_reserve_vcc 1
		.amdhsa_float_round_mode_32 0
		.amdhsa_float_round_mode_16_64 0
		.amdhsa_float_denorm_mode_32 3
		.amdhsa_float_denorm_mode_16_64 3
		.amdhsa_fp16_overflow 0
		.amdhsa_memory_ordered 1
		.amdhsa_forward_progress 1
		.amdhsa_inst_pref_size 1
		.amdhsa_round_robin_scheduling 0
		.amdhsa_exception_fp_ieee_invalid_op 0
		.amdhsa_exception_fp_denorm_src 0
		.amdhsa_exception_fp_ieee_div_zero 0
		.amdhsa_exception_fp_ieee_overflow 0
		.amdhsa_exception_fp_ieee_underflow 0
		.amdhsa_exception_fp_ieee_inexact 0
		.amdhsa_exception_int_div_zero 0
	.end_amdhsa_kernel
	.section	.text._Z39paged_attention_ll4mi_QKV_mfma16_kernelIDF16_DF16_LN4vllm18Fp8KVCacheDataTypeE0EhLi32ELi128ELi256ELb1ELi13EEvPKT_PKT0_S7_ifPKiS9_S9_iPKfiiiPfSC_PS2_PT2_iSB_SB_,"axG",@progbits,_Z39paged_attention_ll4mi_QKV_mfma16_kernelIDF16_DF16_LN4vllm18Fp8KVCacheDataTypeE0EhLi32ELi128ELi256ELb1ELi13EEvPKT_PKT0_S7_ifPKiS9_S9_iPKfiiiPfSC_PS2_PT2_iSB_SB_,comdat
.Lfunc_end318:
	.size	_Z39paged_attention_ll4mi_QKV_mfma16_kernelIDF16_DF16_LN4vllm18Fp8KVCacheDataTypeE0EhLi32ELi128ELi256ELb1ELi13EEvPKT_PKT0_S7_ifPKiS9_S9_iPKfiiiPfSC_PS2_PT2_iSB_SB_, .Lfunc_end318-_Z39paged_attention_ll4mi_QKV_mfma16_kernelIDF16_DF16_LN4vllm18Fp8KVCacheDataTypeE0EhLi32ELi128ELi256ELb1ELi13EEvPKT_PKT0_S7_ifPKiS9_S9_iPKfiiiPfSC_PS2_PT2_iSB_SB_
                                        ; -- End function
	.set _Z39paged_attention_ll4mi_QKV_mfma16_kernelIDF16_DF16_LN4vllm18Fp8KVCacheDataTypeE0EhLi32ELi128ELi256ELb1ELi13EEvPKT_PKT0_S7_ifPKiS9_S9_iPKfiiiPfSC_PS2_PT2_iSB_SB_.num_vgpr, max(3, .L__assert_fail.num_vgpr)
	.set _Z39paged_attention_ll4mi_QKV_mfma16_kernelIDF16_DF16_LN4vllm18Fp8KVCacheDataTypeE0EhLi32ELi128ELi256ELb1ELi13EEvPKT_PKT0_S7_ifPKiS9_S9_iPKfiiiPfSC_PS2_PT2_iSB_SB_.num_agpr, max(0, .L__assert_fail.num_agpr)
	.set _Z39paged_attention_ll4mi_QKV_mfma16_kernelIDF16_DF16_LN4vllm18Fp8KVCacheDataTypeE0EhLi32ELi128ELi256ELb1ELi13EEvPKT_PKT0_S7_ifPKiS9_S9_iPKfiiiPfSC_PS2_PT2_iSB_SB_.numbered_sgpr, max(33, .L__assert_fail.numbered_sgpr)
	.set _Z39paged_attention_ll4mi_QKV_mfma16_kernelIDF16_DF16_LN4vllm18Fp8KVCacheDataTypeE0EhLi32ELi128ELi256ELb1ELi13EEvPKT_PKT0_S7_ifPKiS9_S9_iPKfiiiPfSC_PS2_PT2_iSB_SB_.num_named_barrier, max(0, .L__assert_fail.num_named_barrier)
	.set _Z39paged_attention_ll4mi_QKV_mfma16_kernelIDF16_DF16_LN4vllm18Fp8KVCacheDataTypeE0EhLi32ELi128ELi256ELb1ELi13EEvPKT_PKT0_S7_ifPKiS9_S9_iPKfiiiPfSC_PS2_PT2_iSB_SB_.private_seg_size, 0+max(.L__assert_fail.private_seg_size)
	.set _Z39paged_attention_ll4mi_QKV_mfma16_kernelIDF16_DF16_LN4vllm18Fp8KVCacheDataTypeE0EhLi32ELi128ELi256ELb1ELi13EEvPKT_PKT0_S7_ifPKiS9_S9_iPKfiiiPfSC_PS2_PT2_iSB_SB_.uses_vcc, or(1, .L__assert_fail.uses_vcc)
	.set _Z39paged_attention_ll4mi_QKV_mfma16_kernelIDF16_DF16_LN4vllm18Fp8KVCacheDataTypeE0EhLi32ELi128ELi256ELb1ELi13EEvPKT_PKT0_S7_ifPKiS9_S9_iPKfiiiPfSC_PS2_PT2_iSB_SB_.uses_flat_scratch, or(0, .L__assert_fail.uses_flat_scratch)
	.set _Z39paged_attention_ll4mi_QKV_mfma16_kernelIDF16_DF16_LN4vllm18Fp8KVCacheDataTypeE0EhLi32ELi128ELi256ELb1ELi13EEvPKT_PKT0_S7_ifPKiS9_S9_iPKfiiiPfSC_PS2_PT2_iSB_SB_.has_dyn_sized_stack, or(0, .L__assert_fail.has_dyn_sized_stack)
	.set _Z39paged_attention_ll4mi_QKV_mfma16_kernelIDF16_DF16_LN4vllm18Fp8KVCacheDataTypeE0EhLi32ELi128ELi256ELb1ELi13EEvPKT_PKT0_S7_ifPKiS9_S9_iPKfiiiPfSC_PS2_PT2_iSB_SB_.has_recursion, or(0, .L__assert_fail.has_recursion)
	.set _Z39paged_attention_ll4mi_QKV_mfma16_kernelIDF16_DF16_LN4vllm18Fp8KVCacheDataTypeE0EhLi32ELi128ELi256ELb1ELi13EEvPKT_PKT0_S7_ifPKiS9_S9_iPKfiiiPfSC_PS2_PT2_iSB_SB_.has_indirect_call, or(0, .L__assert_fail.has_indirect_call)
	.section	.AMDGPU.csdata,"",@progbits
; Kernel info:
; codeLenInByte = 68
; TotalNumSgprs: 36
; NumVgprs: 51
; ScratchSize: 64
; MemoryBound: 0
; FloatMode: 240
; IeeeMode: 1
; LDSByteSize: 0 bytes/workgroup (compile time only)
; SGPRBlocks: 0
; VGPRBlocks: 3
; NumSGPRsForWavesPerEU: 36
; NumVGPRsForWavesPerEU: 51
; NamedBarCnt: 0
; Occupancy: 16
; WaveLimiterHint : 1
; COMPUTE_PGM_RSRC2:SCRATCH_EN: 1
; COMPUTE_PGM_RSRC2:USER_SGPR: 2
; COMPUTE_PGM_RSRC2:TRAP_HANDLER: 0
; COMPUTE_PGM_RSRC2:TGID_X_EN: 1
; COMPUTE_PGM_RSRC2:TGID_Y_EN: 0
; COMPUTE_PGM_RSRC2:TGID_Z_EN: 0
; COMPUTE_PGM_RSRC2:TIDIG_COMP_CNT: 0
	.section	.text._Z39paged_attention_ll4mi_QKV_mfma16_kernelIDF16_DF16_LN4vllm18Fp8KVCacheDataTypeE0EhLi32ELi128ELi256ELb1ELi14EEvPKT_PKT0_S7_ifPKiS9_S9_iPKfiiiPfSC_PS2_PT2_iSB_SB_,"axG",@progbits,_Z39paged_attention_ll4mi_QKV_mfma16_kernelIDF16_DF16_LN4vllm18Fp8KVCacheDataTypeE0EhLi32ELi128ELi256ELb1ELi14EEvPKT_PKT0_S7_ifPKiS9_S9_iPKfiiiPfSC_PS2_PT2_iSB_SB_,comdat
	.protected	_Z39paged_attention_ll4mi_QKV_mfma16_kernelIDF16_DF16_LN4vllm18Fp8KVCacheDataTypeE0EhLi32ELi128ELi256ELb1ELi14EEvPKT_PKT0_S7_ifPKiS9_S9_iPKfiiiPfSC_PS2_PT2_iSB_SB_ ; -- Begin function _Z39paged_attention_ll4mi_QKV_mfma16_kernelIDF16_DF16_LN4vllm18Fp8KVCacheDataTypeE0EhLi32ELi128ELi256ELb1ELi14EEvPKT_PKT0_S7_ifPKiS9_S9_iPKfiiiPfSC_PS2_PT2_iSB_SB_
	.globl	_Z39paged_attention_ll4mi_QKV_mfma16_kernelIDF16_DF16_LN4vllm18Fp8KVCacheDataTypeE0EhLi32ELi128ELi256ELb1ELi14EEvPKT_PKT0_S7_ifPKiS9_S9_iPKfiiiPfSC_PS2_PT2_iSB_SB_
	.p2align	8
	.type	_Z39paged_attention_ll4mi_QKV_mfma16_kernelIDF16_DF16_LN4vllm18Fp8KVCacheDataTypeE0EhLi32ELi128ELi256ELb1ELi14EEvPKT_PKT0_S7_ifPKiS9_S9_iPKfiiiPfSC_PS2_PT2_iSB_SB_,@function
_Z39paged_attention_ll4mi_QKV_mfma16_kernelIDF16_DF16_LN4vllm18Fp8KVCacheDataTypeE0EhLi32ELi128ELi256ELb1ELi14EEvPKT_PKT0_S7_ifPKiS9_S9_iPKfiiiPfSC_PS2_PT2_iSB_SB_: ; @_Z39paged_attention_ll4mi_QKV_mfma16_kernelIDF16_DF16_LN4vllm18Fp8KVCacheDataTypeE0EhLi32ELi128ELi256ELb1ELi14EEvPKT_PKT0_S7_ifPKiS9_S9_iPKfiiiPfSC_PS2_PT2_iSB_SB_
; %bb.0:
	s_get_pc_i64 s[2:3]
	s_add_nc_u64 s[2:3], s[2:3], __PRETTY_FUNCTION__._Z39paged_attention_ll4mi_QKV_mfma16_kernelIDF16_DF16_LN4vllm18Fp8KVCacheDataTypeE0EhLi32ELi128ELi256ELb1ELi14EEvPKT_PKT0_S7_ifPKiS9_S9_iPKfiiiPfSC_PS2_PT2_iSB_SB_@rel64+4
	s_delay_alu instid0(SALU_CYCLE_1)
	v_dual_mov_b32 v0, 0xbb3 :: v_dual_mov_b32 v1, s2
	v_mov_b32_e32 v2, s3
	s_add_nc_u64 s[8:9], s[0:1], 0x90
	s_get_pc_i64 s[0:1]
	s_add_nc_u64 s[0:1], s[0:1], __assert_fail@rel64+4
	s_mov_b32 s32, 0
	s_swap_pc_i64 s[30:31], s[0:1]
	.section	.rodata,"a",@progbits
	.p2align	6, 0x0
	.amdhsa_kernel _Z39paged_attention_ll4mi_QKV_mfma16_kernelIDF16_DF16_LN4vllm18Fp8KVCacheDataTypeE0EhLi32ELi128ELi256ELb1ELi14EEvPKT_PKT0_S7_ifPKiS9_S9_iPKfiiiPfSC_PS2_PT2_iSB_SB_
		.amdhsa_group_segment_fixed_size 0
		.amdhsa_private_segment_fixed_size 64
		.amdhsa_kernarg_size 400
		.amdhsa_user_sgpr_count 2
		.amdhsa_user_sgpr_dispatch_ptr 0
		.amdhsa_user_sgpr_queue_ptr 0
		.amdhsa_user_sgpr_kernarg_segment_ptr 1
		.amdhsa_user_sgpr_dispatch_id 0
		.amdhsa_user_sgpr_kernarg_preload_length 0
		.amdhsa_user_sgpr_kernarg_preload_offset 0
		.amdhsa_user_sgpr_private_segment_size 0
		.amdhsa_wavefront_size32 1
		.amdhsa_uses_dynamic_stack 0
		.amdhsa_enable_private_segment 1
		.amdhsa_system_sgpr_workgroup_id_x 1
		.amdhsa_system_sgpr_workgroup_id_y 0
		.amdhsa_system_sgpr_workgroup_id_z 0
		.amdhsa_system_sgpr_workgroup_info 0
		.amdhsa_system_vgpr_workitem_id 0
		.amdhsa_next_free_vgpr 51
		.amdhsa_next_free_sgpr 34
		.amdhsa_named_barrier_count 0
		.amdhsa_reserve_vcc 1
		.amdhsa_float_round_mode_32 0
		.amdhsa_float_round_mode_16_64 0
		.amdhsa_float_denorm_mode_32 3
		.amdhsa_float_denorm_mode_16_64 3
		.amdhsa_fp16_overflow 0
		.amdhsa_memory_ordered 1
		.amdhsa_forward_progress 1
		.amdhsa_inst_pref_size 1
		.amdhsa_round_robin_scheduling 0
		.amdhsa_exception_fp_ieee_invalid_op 0
		.amdhsa_exception_fp_denorm_src 0
		.amdhsa_exception_fp_ieee_div_zero 0
		.amdhsa_exception_fp_ieee_overflow 0
		.amdhsa_exception_fp_ieee_underflow 0
		.amdhsa_exception_fp_ieee_inexact 0
		.amdhsa_exception_int_div_zero 0
	.end_amdhsa_kernel
	.section	.text._Z39paged_attention_ll4mi_QKV_mfma16_kernelIDF16_DF16_LN4vllm18Fp8KVCacheDataTypeE0EhLi32ELi128ELi256ELb1ELi14EEvPKT_PKT0_S7_ifPKiS9_S9_iPKfiiiPfSC_PS2_PT2_iSB_SB_,"axG",@progbits,_Z39paged_attention_ll4mi_QKV_mfma16_kernelIDF16_DF16_LN4vllm18Fp8KVCacheDataTypeE0EhLi32ELi128ELi256ELb1ELi14EEvPKT_PKT0_S7_ifPKiS9_S9_iPKfiiiPfSC_PS2_PT2_iSB_SB_,comdat
.Lfunc_end319:
	.size	_Z39paged_attention_ll4mi_QKV_mfma16_kernelIDF16_DF16_LN4vllm18Fp8KVCacheDataTypeE0EhLi32ELi128ELi256ELb1ELi14EEvPKT_PKT0_S7_ifPKiS9_S9_iPKfiiiPfSC_PS2_PT2_iSB_SB_, .Lfunc_end319-_Z39paged_attention_ll4mi_QKV_mfma16_kernelIDF16_DF16_LN4vllm18Fp8KVCacheDataTypeE0EhLi32ELi128ELi256ELb1ELi14EEvPKT_PKT0_S7_ifPKiS9_S9_iPKfiiiPfSC_PS2_PT2_iSB_SB_
                                        ; -- End function
	.set _Z39paged_attention_ll4mi_QKV_mfma16_kernelIDF16_DF16_LN4vllm18Fp8KVCacheDataTypeE0EhLi32ELi128ELi256ELb1ELi14EEvPKT_PKT0_S7_ifPKiS9_S9_iPKfiiiPfSC_PS2_PT2_iSB_SB_.num_vgpr, max(3, .L__assert_fail.num_vgpr)
	.set _Z39paged_attention_ll4mi_QKV_mfma16_kernelIDF16_DF16_LN4vllm18Fp8KVCacheDataTypeE0EhLi32ELi128ELi256ELb1ELi14EEvPKT_PKT0_S7_ifPKiS9_S9_iPKfiiiPfSC_PS2_PT2_iSB_SB_.num_agpr, max(0, .L__assert_fail.num_agpr)
	.set _Z39paged_attention_ll4mi_QKV_mfma16_kernelIDF16_DF16_LN4vllm18Fp8KVCacheDataTypeE0EhLi32ELi128ELi256ELb1ELi14EEvPKT_PKT0_S7_ifPKiS9_S9_iPKfiiiPfSC_PS2_PT2_iSB_SB_.numbered_sgpr, max(33, .L__assert_fail.numbered_sgpr)
	.set _Z39paged_attention_ll4mi_QKV_mfma16_kernelIDF16_DF16_LN4vllm18Fp8KVCacheDataTypeE0EhLi32ELi128ELi256ELb1ELi14EEvPKT_PKT0_S7_ifPKiS9_S9_iPKfiiiPfSC_PS2_PT2_iSB_SB_.num_named_barrier, max(0, .L__assert_fail.num_named_barrier)
	.set _Z39paged_attention_ll4mi_QKV_mfma16_kernelIDF16_DF16_LN4vllm18Fp8KVCacheDataTypeE0EhLi32ELi128ELi256ELb1ELi14EEvPKT_PKT0_S7_ifPKiS9_S9_iPKfiiiPfSC_PS2_PT2_iSB_SB_.private_seg_size, 0+max(.L__assert_fail.private_seg_size)
	.set _Z39paged_attention_ll4mi_QKV_mfma16_kernelIDF16_DF16_LN4vllm18Fp8KVCacheDataTypeE0EhLi32ELi128ELi256ELb1ELi14EEvPKT_PKT0_S7_ifPKiS9_S9_iPKfiiiPfSC_PS2_PT2_iSB_SB_.uses_vcc, or(1, .L__assert_fail.uses_vcc)
	.set _Z39paged_attention_ll4mi_QKV_mfma16_kernelIDF16_DF16_LN4vllm18Fp8KVCacheDataTypeE0EhLi32ELi128ELi256ELb1ELi14EEvPKT_PKT0_S7_ifPKiS9_S9_iPKfiiiPfSC_PS2_PT2_iSB_SB_.uses_flat_scratch, or(0, .L__assert_fail.uses_flat_scratch)
	.set _Z39paged_attention_ll4mi_QKV_mfma16_kernelIDF16_DF16_LN4vllm18Fp8KVCacheDataTypeE0EhLi32ELi128ELi256ELb1ELi14EEvPKT_PKT0_S7_ifPKiS9_S9_iPKfiiiPfSC_PS2_PT2_iSB_SB_.has_dyn_sized_stack, or(0, .L__assert_fail.has_dyn_sized_stack)
	.set _Z39paged_attention_ll4mi_QKV_mfma16_kernelIDF16_DF16_LN4vllm18Fp8KVCacheDataTypeE0EhLi32ELi128ELi256ELb1ELi14EEvPKT_PKT0_S7_ifPKiS9_S9_iPKfiiiPfSC_PS2_PT2_iSB_SB_.has_recursion, or(0, .L__assert_fail.has_recursion)
	.set _Z39paged_attention_ll4mi_QKV_mfma16_kernelIDF16_DF16_LN4vllm18Fp8KVCacheDataTypeE0EhLi32ELi128ELi256ELb1ELi14EEvPKT_PKT0_S7_ifPKiS9_S9_iPKfiiiPfSC_PS2_PT2_iSB_SB_.has_indirect_call, or(0, .L__assert_fail.has_indirect_call)
	.section	.AMDGPU.csdata,"",@progbits
; Kernel info:
; codeLenInByte = 68
; TotalNumSgprs: 36
; NumVgprs: 51
; ScratchSize: 64
; MemoryBound: 0
; FloatMode: 240
; IeeeMode: 1
; LDSByteSize: 0 bytes/workgroup (compile time only)
; SGPRBlocks: 0
; VGPRBlocks: 3
; NumSGPRsForWavesPerEU: 36
; NumVGPRsForWavesPerEU: 51
; NamedBarCnt: 0
; Occupancy: 16
; WaveLimiterHint : 1
; COMPUTE_PGM_RSRC2:SCRATCH_EN: 1
; COMPUTE_PGM_RSRC2:USER_SGPR: 2
; COMPUTE_PGM_RSRC2:TRAP_HANDLER: 0
; COMPUTE_PGM_RSRC2:TGID_X_EN: 1
; COMPUTE_PGM_RSRC2:TGID_Y_EN: 0
; COMPUTE_PGM_RSRC2:TGID_Z_EN: 0
; COMPUTE_PGM_RSRC2:TIDIG_COMP_CNT: 0
	.section	.text._Z39paged_attention_ll4mi_QKV_mfma16_kernelIDF16_DF16_LN4vllm18Fp8KVCacheDataTypeE0EhLi32ELi128ELi256ELb1ELi15EEvPKT_PKT0_S7_ifPKiS9_S9_iPKfiiiPfSC_PS2_PT2_iSB_SB_,"axG",@progbits,_Z39paged_attention_ll4mi_QKV_mfma16_kernelIDF16_DF16_LN4vllm18Fp8KVCacheDataTypeE0EhLi32ELi128ELi256ELb1ELi15EEvPKT_PKT0_S7_ifPKiS9_S9_iPKfiiiPfSC_PS2_PT2_iSB_SB_,comdat
	.protected	_Z39paged_attention_ll4mi_QKV_mfma16_kernelIDF16_DF16_LN4vllm18Fp8KVCacheDataTypeE0EhLi32ELi128ELi256ELb1ELi15EEvPKT_PKT0_S7_ifPKiS9_S9_iPKfiiiPfSC_PS2_PT2_iSB_SB_ ; -- Begin function _Z39paged_attention_ll4mi_QKV_mfma16_kernelIDF16_DF16_LN4vllm18Fp8KVCacheDataTypeE0EhLi32ELi128ELi256ELb1ELi15EEvPKT_PKT0_S7_ifPKiS9_S9_iPKfiiiPfSC_PS2_PT2_iSB_SB_
	.globl	_Z39paged_attention_ll4mi_QKV_mfma16_kernelIDF16_DF16_LN4vllm18Fp8KVCacheDataTypeE0EhLi32ELi128ELi256ELb1ELi15EEvPKT_PKT0_S7_ifPKiS9_S9_iPKfiiiPfSC_PS2_PT2_iSB_SB_
	.p2align	8
	.type	_Z39paged_attention_ll4mi_QKV_mfma16_kernelIDF16_DF16_LN4vllm18Fp8KVCacheDataTypeE0EhLi32ELi128ELi256ELb1ELi15EEvPKT_PKT0_S7_ifPKiS9_S9_iPKfiiiPfSC_PS2_PT2_iSB_SB_,@function
_Z39paged_attention_ll4mi_QKV_mfma16_kernelIDF16_DF16_LN4vllm18Fp8KVCacheDataTypeE0EhLi32ELi128ELi256ELb1ELi15EEvPKT_PKT0_S7_ifPKiS9_S9_iPKfiiiPfSC_PS2_PT2_iSB_SB_: ; @_Z39paged_attention_ll4mi_QKV_mfma16_kernelIDF16_DF16_LN4vllm18Fp8KVCacheDataTypeE0EhLi32ELi128ELi256ELb1ELi15EEvPKT_PKT0_S7_ifPKiS9_S9_iPKfiiiPfSC_PS2_PT2_iSB_SB_
; %bb.0:
	s_get_pc_i64 s[2:3]
	s_add_nc_u64 s[2:3], s[2:3], __PRETTY_FUNCTION__._Z39paged_attention_ll4mi_QKV_mfma16_kernelIDF16_DF16_LN4vllm18Fp8KVCacheDataTypeE0EhLi32ELi128ELi256ELb1ELi15EEvPKT_PKT0_S7_ifPKiS9_S9_iPKfiiiPfSC_PS2_PT2_iSB_SB_@rel64+4
	s_delay_alu instid0(SALU_CYCLE_1)
	v_dual_mov_b32 v0, 0xbb3 :: v_dual_mov_b32 v1, s2
	v_mov_b32_e32 v2, s3
	s_add_nc_u64 s[8:9], s[0:1], 0x90
	s_get_pc_i64 s[0:1]
	s_add_nc_u64 s[0:1], s[0:1], __assert_fail@rel64+4
	s_mov_b32 s32, 0
	s_swap_pc_i64 s[30:31], s[0:1]
	.section	.rodata,"a",@progbits
	.p2align	6, 0x0
	.amdhsa_kernel _Z39paged_attention_ll4mi_QKV_mfma16_kernelIDF16_DF16_LN4vllm18Fp8KVCacheDataTypeE0EhLi32ELi128ELi256ELb1ELi15EEvPKT_PKT0_S7_ifPKiS9_S9_iPKfiiiPfSC_PS2_PT2_iSB_SB_
		.amdhsa_group_segment_fixed_size 0
		.amdhsa_private_segment_fixed_size 64
		.amdhsa_kernarg_size 400
		.amdhsa_user_sgpr_count 2
		.amdhsa_user_sgpr_dispatch_ptr 0
		.amdhsa_user_sgpr_queue_ptr 0
		.amdhsa_user_sgpr_kernarg_segment_ptr 1
		.amdhsa_user_sgpr_dispatch_id 0
		.amdhsa_user_sgpr_kernarg_preload_length 0
		.amdhsa_user_sgpr_kernarg_preload_offset 0
		.amdhsa_user_sgpr_private_segment_size 0
		.amdhsa_wavefront_size32 1
		.amdhsa_uses_dynamic_stack 0
		.amdhsa_enable_private_segment 1
		.amdhsa_system_sgpr_workgroup_id_x 1
		.amdhsa_system_sgpr_workgroup_id_y 0
		.amdhsa_system_sgpr_workgroup_id_z 0
		.amdhsa_system_sgpr_workgroup_info 0
		.amdhsa_system_vgpr_workitem_id 0
		.amdhsa_next_free_vgpr 51
		.amdhsa_next_free_sgpr 34
		.amdhsa_named_barrier_count 0
		.amdhsa_reserve_vcc 1
		.amdhsa_float_round_mode_32 0
		.amdhsa_float_round_mode_16_64 0
		.amdhsa_float_denorm_mode_32 3
		.amdhsa_float_denorm_mode_16_64 3
		.amdhsa_fp16_overflow 0
		.amdhsa_memory_ordered 1
		.amdhsa_forward_progress 1
		.amdhsa_inst_pref_size 1
		.amdhsa_round_robin_scheduling 0
		.amdhsa_exception_fp_ieee_invalid_op 0
		.amdhsa_exception_fp_denorm_src 0
		.amdhsa_exception_fp_ieee_div_zero 0
		.amdhsa_exception_fp_ieee_overflow 0
		.amdhsa_exception_fp_ieee_underflow 0
		.amdhsa_exception_fp_ieee_inexact 0
		.amdhsa_exception_int_div_zero 0
	.end_amdhsa_kernel
	.section	.text._Z39paged_attention_ll4mi_QKV_mfma16_kernelIDF16_DF16_LN4vllm18Fp8KVCacheDataTypeE0EhLi32ELi128ELi256ELb1ELi15EEvPKT_PKT0_S7_ifPKiS9_S9_iPKfiiiPfSC_PS2_PT2_iSB_SB_,"axG",@progbits,_Z39paged_attention_ll4mi_QKV_mfma16_kernelIDF16_DF16_LN4vllm18Fp8KVCacheDataTypeE0EhLi32ELi128ELi256ELb1ELi15EEvPKT_PKT0_S7_ifPKiS9_S9_iPKfiiiPfSC_PS2_PT2_iSB_SB_,comdat
.Lfunc_end320:
	.size	_Z39paged_attention_ll4mi_QKV_mfma16_kernelIDF16_DF16_LN4vllm18Fp8KVCacheDataTypeE0EhLi32ELi128ELi256ELb1ELi15EEvPKT_PKT0_S7_ifPKiS9_S9_iPKfiiiPfSC_PS2_PT2_iSB_SB_, .Lfunc_end320-_Z39paged_attention_ll4mi_QKV_mfma16_kernelIDF16_DF16_LN4vllm18Fp8KVCacheDataTypeE0EhLi32ELi128ELi256ELb1ELi15EEvPKT_PKT0_S7_ifPKiS9_S9_iPKfiiiPfSC_PS2_PT2_iSB_SB_
                                        ; -- End function
	.set _Z39paged_attention_ll4mi_QKV_mfma16_kernelIDF16_DF16_LN4vllm18Fp8KVCacheDataTypeE0EhLi32ELi128ELi256ELb1ELi15EEvPKT_PKT0_S7_ifPKiS9_S9_iPKfiiiPfSC_PS2_PT2_iSB_SB_.num_vgpr, max(3, .L__assert_fail.num_vgpr)
	.set _Z39paged_attention_ll4mi_QKV_mfma16_kernelIDF16_DF16_LN4vllm18Fp8KVCacheDataTypeE0EhLi32ELi128ELi256ELb1ELi15EEvPKT_PKT0_S7_ifPKiS9_S9_iPKfiiiPfSC_PS2_PT2_iSB_SB_.num_agpr, max(0, .L__assert_fail.num_agpr)
	.set _Z39paged_attention_ll4mi_QKV_mfma16_kernelIDF16_DF16_LN4vllm18Fp8KVCacheDataTypeE0EhLi32ELi128ELi256ELb1ELi15EEvPKT_PKT0_S7_ifPKiS9_S9_iPKfiiiPfSC_PS2_PT2_iSB_SB_.numbered_sgpr, max(33, .L__assert_fail.numbered_sgpr)
	.set _Z39paged_attention_ll4mi_QKV_mfma16_kernelIDF16_DF16_LN4vllm18Fp8KVCacheDataTypeE0EhLi32ELi128ELi256ELb1ELi15EEvPKT_PKT0_S7_ifPKiS9_S9_iPKfiiiPfSC_PS2_PT2_iSB_SB_.num_named_barrier, max(0, .L__assert_fail.num_named_barrier)
	.set _Z39paged_attention_ll4mi_QKV_mfma16_kernelIDF16_DF16_LN4vllm18Fp8KVCacheDataTypeE0EhLi32ELi128ELi256ELb1ELi15EEvPKT_PKT0_S7_ifPKiS9_S9_iPKfiiiPfSC_PS2_PT2_iSB_SB_.private_seg_size, 0+max(.L__assert_fail.private_seg_size)
	.set _Z39paged_attention_ll4mi_QKV_mfma16_kernelIDF16_DF16_LN4vllm18Fp8KVCacheDataTypeE0EhLi32ELi128ELi256ELb1ELi15EEvPKT_PKT0_S7_ifPKiS9_S9_iPKfiiiPfSC_PS2_PT2_iSB_SB_.uses_vcc, or(1, .L__assert_fail.uses_vcc)
	.set _Z39paged_attention_ll4mi_QKV_mfma16_kernelIDF16_DF16_LN4vllm18Fp8KVCacheDataTypeE0EhLi32ELi128ELi256ELb1ELi15EEvPKT_PKT0_S7_ifPKiS9_S9_iPKfiiiPfSC_PS2_PT2_iSB_SB_.uses_flat_scratch, or(0, .L__assert_fail.uses_flat_scratch)
	.set _Z39paged_attention_ll4mi_QKV_mfma16_kernelIDF16_DF16_LN4vllm18Fp8KVCacheDataTypeE0EhLi32ELi128ELi256ELb1ELi15EEvPKT_PKT0_S7_ifPKiS9_S9_iPKfiiiPfSC_PS2_PT2_iSB_SB_.has_dyn_sized_stack, or(0, .L__assert_fail.has_dyn_sized_stack)
	.set _Z39paged_attention_ll4mi_QKV_mfma16_kernelIDF16_DF16_LN4vllm18Fp8KVCacheDataTypeE0EhLi32ELi128ELi256ELb1ELi15EEvPKT_PKT0_S7_ifPKiS9_S9_iPKfiiiPfSC_PS2_PT2_iSB_SB_.has_recursion, or(0, .L__assert_fail.has_recursion)
	.set _Z39paged_attention_ll4mi_QKV_mfma16_kernelIDF16_DF16_LN4vllm18Fp8KVCacheDataTypeE0EhLi32ELi128ELi256ELb1ELi15EEvPKT_PKT0_S7_ifPKiS9_S9_iPKfiiiPfSC_PS2_PT2_iSB_SB_.has_indirect_call, or(0, .L__assert_fail.has_indirect_call)
	.section	.AMDGPU.csdata,"",@progbits
; Kernel info:
; codeLenInByte = 68
; TotalNumSgprs: 36
; NumVgprs: 51
; ScratchSize: 64
; MemoryBound: 0
; FloatMode: 240
; IeeeMode: 1
; LDSByteSize: 0 bytes/workgroup (compile time only)
; SGPRBlocks: 0
; VGPRBlocks: 3
; NumSGPRsForWavesPerEU: 36
; NumVGPRsForWavesPerEU: 51
; NamedBarCnt: 0
; Occupancy: 16
; WaveLimiterHint : 1
; COMPUTE_PGM_RSRC2:SCRATCH_EN: 1
; COMPUTE_PGM_RSRC2:USER_SGPR: 2
; COMPUTE_PGM_RSRC2:TRAP_HANDLER: 0
; COMPUTE_PGM_RSRC2:TGID_X_EN: 1
; COMPUTE_PGM_RSRC2:TGID_Y_EN: 0
; COMPUTE_PGM_RSRC2:TGID_Z_EN: 0
; COMPUTE_PGM_RSRC2:TIDIG_COMP_CNT: 0
	.section	.text._Z39paged_attention_ll4mi_QKV_mfma16_kernelIDF16_DF16_LN4vllm18Fp8KVCacheDataTypeE0EhLi32ELi128ELi256ELb1ELi16EEvPKT_PKT0_S7_ifPKiS9_S9_iPKfiiiPfSC_PS2_PT2_iSB_SB_,"axG",@progbits,_Z39paged_attention_ll4mi_QKV_mfma16_kernelIDF16_DF16_LN4vllm18Fp8KVCacheDataTypeE0EhLi32ELi128ELi256ELb1ELi16EEvPKT_PKT0_S7_ifPKiS9_S9_iPKfiiiPfSC_PS2_PT2_iSB_SB_,comdat
	.protected	_Z39paged_attention_ll4mi_QKV_mfma16_kernelIDF16_DF16_LN4vllm18Fp8KVCacheDataTypeE0EhLi32ELi128ELi256ELb1ELi16EEvPKT_PKT0_S7_ifPKiS9_S9_iPKfiiiPfSC_PS2_PT2_iSB_SB_ ; -- Begin function _Z39paged_attention_ll4mi_QKV_mfma16_kernelIDF16_DF16_LN4vllm18Fp8KVCacheDataTypeE0EhLi32ELi128ELi256ELb1ELi16EEvPKT_PKT0_S7_ifPKiS9_S9_iPKfiiiPfSC_PS2_PT2_iSB_SB_
	.globl	_Z39paged_attention_ll4mi_QKV_mfma16_kernelIDF16_DF16_LN4vllm18Fp8KVCacheDataTypeE0EhLi32ELi128ELi256ELb1ELi16EEvPKT_PKT0_S7_ifPKiS9_S9_iPKfiiiPfSC_PS2_PT2_iSB_SB_
	.p2align	8
	.type	_Z39paged_attention_ll4mi_QKV_mfma16_kernelIDF16_DF16_LN4vllm18Fp8KVCacheDataTypeE0EhLi32ELi128ELi256ELb1ELi16EEvPKT_PKT0_S7_ifPKiS9_S9_iPKfiiiPfSC_PS2_PT2_iSB_SB_,@function
_Z39paged_attention_ll4mi_QKV_mfma16_kernelIDF16_DF16_LN4vllm18Fp8KVCacheDataTypeE0EhLi32ELi128ELi256ELb1ELi16EEvPKT_PKT0_S7_ifPKiS9_S9_iPKfiiiPfSC_PS2_PT2_iSB_SB_: ; @_Z39paged_attention_ll4mi_QKV_mfma16_kernelIDF16_DF16_LN4vllm18Fp8KVCacheDataTypeE0EhLi32ELi128ELi256ELb1ELi16EEvPKT_PKT0_S7_ifPKiS9_S9_iPKfiiiPfSC_PS2_PT2_iSB_SB_
; %bb.0:
	s_get_pc_i64 s[2:3]
	s_add_nc_u64 s[2:3], s[2:3], __PRETTY_FUNCTION__._Z39paged_attention_ll4mi_QKV_mfma16_kernelIDF16_DF16_LN4vllm18Fp8KVCacheDataTypeE0EhLi32ELi128ELi256ELb1ELi16EEvPKT_PKT0_S7_ifPKiS9_S9_iPKfiiiPfSC_PS2_PT2_iSB_SB_@rel64+4
	s_delay_alu instid0(SALU_CYCLE_1)
	v_dual_mov_b32 v0, 0xbb3 :: v_dual_mov_b32 v1, s2
	v_mov_b32_e32 v2, s3
	s_add_nc_u64 s[8:9], s[0:1], 0x90
	s_get_pc_i64 s[0:1]
	s_add_nc_u64 s[0:1], s[0:1], __assert_fail@rel64+4
	s_mov_b32 s32, 0
	s_swap_pc_i64 s[30:31], s[0:1]
	.section	.rodata,"a",@progbits
	.p2align	6, 0x0
	.amdhsa_kernel _Z39paged_attention_ll4mi_QKV_mfma16_kernelIDF16_DF16_LN4vllm18Fp8KVCacheDataTypeE0EhLi32ELi128ELi256ELb1ELi16EEvPKT_PKT0_S7_ifPKiS9_S9_iPKfiiiPfSC_PS2_PT2_iSB_SB_
		.amdhsa_group_segment_fixed_size 0
		.amdhsa_private_segment_fixed_size 64
		.amdhsa_kernarg_size 400
		.amdhsa_user_sgpr_count 2
		.amdhsa_user_sgpr_dispatch_ptr 0
		.amdhsa_user_sgpr_queue_ptr 0
		.amdhsa_user_sgpr_kernarg_segment_ptr 1
		.amdhsa_user_sgpr_dispatch_id 0
		.amdhsa_user_sgpr_kernarg_preload_length 0
		.amdhsa_user_sgpr_kernarg_preload_offset 0
		.amdhsa_user_sgpr_private_segment_size 0
		.amdhsa_wavefront_size32 1
		.amdhsa_uses_dynamic_stack 0
		.amdhsa_enable_private_segment 1
		.amdhsa_system_sgpr_workgroup_id_x 1
		.amdhsa_system_sgpr_workgroup_id_y 0
		.amdhsa_system_sgpr_workgroup_id_z 0
		.amdhsa_system_sgpr_workgroup_info 0
		.amdhsa_system_vgpr_workitem_id 0
		.amdhsa_next_free_vgpr 51
		.amdhsa_next_free_sgpr 34
		.amdhsa_named_barrier_count 0
		.amdhsa_reserve_vcc 1
		.amdhsa_float_round_mode_32 0
		.amdhsa_float_round_mode_16_64 0
		.amdhsa_float_denorm_mode_32 3
		.amdhsa_float_denorm_mode_16_64 3
		.amdhsa_fp16_overflow 0
		.amdhsa_memory_ordered 1
		.amdhsa_forward_progress 1
		.amdhsa_inst_pref_size 1
		.amdhsa_round_robin_scheduling 0
		.amdhsa_exception_fp_ieee_invalid_op 0
		.amdhsa_exception_fp_denorm_src 0
		.amdhsa_exception_fp_ieee_div_zero 0
		.amdhsa_exception_fp_ieee_overflow 0
		.amdhsa_exception_fp_ieee_underflow 0
		.amdhsa_exception_fp_ieee_inexact 0
		.amdhsa_exception_int_div_zero 0
	.end_amdhsa_kernel
	.section	.text._Z39paged_attention_ll4mi_QKV_mfma16_kernelIDF16_DF16_LN4vllm18Fp8KVCacheDataTypeE0EhLi32ELi128ELi256ELb1ELi16EEvPKT_PKT0_S7_ifPKiS9_S9_iPKfiiiPfSC_PS2_PT2_iSB_SB_,"axG",@progbits,_Z39paged_attention_ll4mi_QKV_mfma16_kernelIDF16_DF16_LN4vllm18Fp8KVCacheDataTypeE0EhLi32ELi128ELi256ELb1ELi16EEvPKT_PKT0_S7_ifPKiS9_S9_iPKfiiiPfSC_PS2_PT2_iSB_SB_,comdat
.Lfunc_end321:
	.size	_Z39paged_attention_ll4mi_QKV_mfma16_kernelIDF16_DF16_LN4vllm18Fp8KVCacheDataTypeE0EhLi32ELi128ELi256ELb1ELi16EEvPKT_PKT0_S7_ifPKiS9_S9_iPKfiiiPfSC_PS2_PT2_iSB_SB_, .Lfunc_end321-_Z39paged_attention_ll4mi_QKV_mfma16_kernelIDF16_DF16_LN4vllm18Fp8KVCacheDataTypeE0EhLi32ELi128ELi256ELb1ELi16EEvPKT_PKT0_S7_ifPKiS9_S9_iPKfiiiPfSC_PS2_PT2_iSB_SB_
                                        ; -- End function
	.set _Z39paged_attention_ll4mi_QKV_mfma16_kernelIDF16_DF16_LN4vllm18Fp8KVCacheDataTypeE0EhLi32ELi128ELi256ELb1ELi16EEvPKT_PKT0_S7_ifPKiS9_S9_iPKfiiiPfSC_PS2_PT2_iSB_SB_.num_vgpr, max(3, .L__assert_fail.num_vgpr)
	.set _Z39paged_attention_ll4mi_QKV_mfma16_kernelIDF16_DF16_LN4vllm18Fp8KVCacheDataTypeE0EhLi32ELi128ELi256ELb1ELi16EEvPKT_PKT0_S7_ifPKiS9_S9_iPKfiiiPfSC_PS2_PT2_iSB_SB_.num_agpr, max(0, .L__assert_fail.num_agpr)
	.set _Z39paged_attention_ll4mi_QKV_mfma16_kernelIDF16_DF16_LN4vllm18Fp8KVCacheDataTypeE0EhLi32ELi128ELi256ELb1ELi16EEvPKT_PKT0_S7_ifPKiS9_S9_iPKfiiiPfSC_PS2_PT2_iSB_SB_.numbered_sgpr, max(33, .L__assert_fail.numbered_sgpr)
	.set _Z39paged_attention_ll4mi_QKV_mfma16_kernelIDF16_DF16_LN4vllm18Fp8KVCacheDataTypeE0EhLi32ELi128ELi256ELb1ELi16EEvPKT_PKT0_S7_ifPKiS9_S9_iPKfiiiPfSC_PS2_PT2_iSB_SB_.num_named_barrier, max(0, .L__assert_fail.num_named_barrier)
	.set _Z39paged_attention_ll4mi_QKV_mfma16_kernelIDF16_DF16_LN4vllm18Fp8KVCacheDataTypeE0EhLi32ELi128ELi256ELb1ELi16EEvPKT_PKT0_S7_ifPKiS9_S9_iPKfiiiPfSC_PS2_PT2_iSB_SB_.private_seg_size, 0+max(.L__assert_fail.private_seg_size)
	.set _Z39paged_attention_ll4mi_QKV_mfma16_kernelIDF16_DF16_LN4vllm18Fp8KVCacheDataTypeE0EhLi32ELi128ELi256ELb1ELi16EEvPKT_PKT0_S7_ifPKiS9_S9_iPKfiiiPfSC_PS2_PT2_iSB_SB_.uses_vcc, or(1, .L__assert_fail.uses_vcc)
	.set _Z39paged_attention_ll4mi_QKV_mfma16_kernelIDF16_DF16_LN4vllm18Fp8KVCacheDataTypeE0EhLi32ELi128ELi256ELb1ELi16EEvPKT_PKT0_S7_ifPKiS9_S9_iPKfiiiPfSC_PS2_PT2_iSB_SB_.uses_flat_scratch, or(0, .L__assert_fail.uses_flat_scratch)
	.set _Z39paged_attention_ll4mi_QKV_mfma16_kernelIDF16_DF16_LN4vllm18Fp8KVCacheDataTypeE0EhLi32ELi128ELi256ELb1ELi16EEvPKT_PKT0_S7_ifPKiS9_S9_iPKfiiiPfSC_PS2_PT2_iSB_SB_.has_dyn_sized_stack, or(0, .L__assert_fail.has_dyn_sized_stack)
	.set _Z39paged_attention_ll4mi_QKV_mfma16_kernelIDF16_DF16_LN4vllm18Fp8KVCacheDataTypeE0EhLi32ELi128ELi256ELb1ELi16EEvPKT_PKT0_S7_ifPKiS9_S9_iPKfiiiPfSC_PS2_PT2_iSB_SB_.has_recursion, or(0, .L__assert_fail.has_recursion)
	.set _Z39paged_attention_ll4mi_QKV_mfma16_kernelIDF16_DF16_LN4vllm18Fp8KVCacheDataTypeE0EhLi32ELi128ELi256ELb1ELi16EEvPKT_PKT0_S7_ifPKiS9_S9_iPKfiiiPfSC_PS2_PT2_iSB_SB_.has_indirect_call, or(0, .L__assert_fail.has_indirect_call)
	.section	.AMDGPU.csdata,"",@progbits
; Kernel info:
; codeLenInByte = 68
; TotalNumSgprs: 36
; NumVgprs: 51
; ScratchSize: 64
; MemoryBound: 0
; FloatMode: 240
; IeeeMode: 1
; LDSByteSize: 0 bytes/workgroup (compile time only)
; SGPRBlocks: 0
; VGPRBlocks: 3
; NumSGPRsForWavesPerEU: 36
; NumVGPRsForWavesPerEU: 51
; NamedBarCnt: 0
; Occupancy: 16
; WaveLimiterHint : 1
; COMPUTE_PGM_RSRC2:SCRATCH_EN: 1
; COMPUTE_PGM_RSRC2:USER_SGPR: 2
; COMPUTE_PGM_RSRC2:TRAP_HANDLER: 0
; COMPUTE_PGM_RSRC2:TGID_X_EN: 1
; COMPUTE_PGM_RSRC2:TGID_Y_EN: 0
; COMPUTE_PGM_RSRC2:TGID_Z_EN: 0
; COMPUTE_PGM_RSRC2:TIDIG_COMP_CNT: 0
	.section	.text._Z39paged_attention_ll4mi_QKV_mfma16_kernelIDF16_DF16_LN4vllm18Fp8KVCacheDataTypeE0EhLi32ELi128ELi256ELb1ELi1EEvPKT_PKT0_S7_ifPKiS9_S9_iPKfiiiPfSC_PS2_PT2_iSB_SB_,"axG",@progbits,_Z39paged_attention_ll4mi_QKV_mfma16_kernelIDF16_DF16_LN4vllm18Fp8KVCacheDataTypeE0EhLi32ELi128ELi256ELb1ELi1EEvPKT_PKT0_S7_ifPKiS9_S9_iPKfiiiPfSC_PS2_PT2_iSB_SB_,comdat
	.protected	_Z39paged_attention_ll4mi_QKV_mfma16_kernelIDF16_DF16_LN4vllm18Fp8KVCacheDataTypeE0EhLi32ELi128ELi256ELb1ELi1EEvPKT_PKT0_S7_ifPKiS9_S9_iPKfiiiPfSC_PS2_PT2_iSB_SB_ ; -- Begin function _Z39paged_attention_ll4mi_QKV_mfma16_kernelIDF16_DF16_LN4vllm18Fp8KVCacheDataTypeE0EhLi32ELi128ELi256ELb1ELi1EEvPKT_PKT0_S7_ifPKiS9_S9_iPKfiiiPfSC_PS2_PT2_iSB_SB_
	.globl	_Z39paged_attention_ll4mi_QKV_mfma16_kernelIDF16_DF16_LN4vllm18Fp8KVCacheDataTypeE0EhLi32ELi128ELi256ELb1ELi1EEvPKT_PKT0_S7_ifPKiS9_S9_iPKfiiiPfSC_PS2_PT2_iSB_SB_
	.p2align	8
	.type	_Z39paged_attention_ll4mi_QKV_mfma16_kernelIDF16_DF16_LN4vllm18Fp8KVCacheDataTypeE0EhLi32ELi128ELi256ELb1ELi1EEvPKT_PKT0_S7_ifPKiS9_S9_iPKfiiiPfSC_PS2_PT2_iSB_SB_,@function
_Z39paged_attention_ll4mi_QKV_mfma16_kernelIDF16_DF16_LN4vllm18Fp8KVCacheDataTypeE0EhLi32ELi128ELi256ELb1ELi1EEvPKT_PKT0_S7_ifPKiS9_S9_iPKfiiiPfSC_PS2_PT2_iSB_SB_: ; @_Z39paged_attention_ll4mi_QKV_mfma16_kernelIDF16_DF16_LN4vllm18Fp8KVCacheDataTypeE0EhLi32ELi128ELi256ELb1ELi1EEvPKT_PKT0_S7_ifPKiS9_S9_iPKfiiiPfSC_PS2_PT2_iSB_SB_
; %bb.0:
	s_get_pc_i64 s[2:3]
	s_add_nc_u64 s[2:3], s[2:3], __PRETTY_FUNCTION__._Z39paged_attention_ll4mi_QKV_mfma16_kernelIDF16_DF16_LN4vllm18Fp8KVCacheDataTypeE0EhLi32ELi128ELi256ELb1ELi1EEvPKT_PKT0_S7_ifPKiS9_S9_iPKfiiiPfSC_PS2_PT2_iSB_SB_@rel64+4
	s_delay_alu instid0(SALU_CYCLE_1)
	v_dual_mov_b32 v0, 0xbb3 :: v_dual_mov_b32 v1, s2
	v_mov_b32_e32 v2, s3
	s_add_nc_u64 s[8:9], s[0:1], 0x90
	s_get_pc_i64 s[0:1]
	s_add_nc_u64 s[0:1], s[0:1], __assert_fail@rel64+4
	s_mov_b32 s32, 0
	s_swap_pc_i64 s[30:31], s[0:1]
	.section	.rodata,"a",@progbits
	.p2align	6, 0x0
	.amdhsa_kernel _Z39paged_attention_ll4mi_QKV_mfma16_kernelIDF16_DF16_LN4vllm18Fp8KVCacheDataTypeE0EhLi32ELi128ELi256ELb1ELi1EEvPKT_PKT0_S7_ifPKiS9_S9_iPKfiiiPfSC_PS2_PT2_iSB_SB_
		.amdhsa_group_segment_fixed_size 0
		.amdhsa_private_segment_fixed_size 64
		.amdhsa_kernarg_size 400
		.amdhsa_user_sgpr_count 2
		.amdhsa_user_sgpr_dispatch_ptr 0
		.amdhsa_user_sgpr_queue_ptr 0
		.amdhsa_user_sgpr_kernarg_segment_ptr 1
		.amdhsa_user_sgpr_dispatch_id 0
		.amdhsa_user_sgpr_kernarg_preload_length 0
		.amdhsa_user_sgpr_kernarg_preload_offset 0
		.amdhsa_user_sgpr_private_segment_size 0
		.amdhsa_wavefront_size32 1
		.amdhsa_uses_dynamic_stack 0
		.amdhsa_enable_private_segment 1
		.amdhsa_system_sgpr_workgroup_id_x 1
		.amdhsa_system_sgpr_workgroup_id_y 0
		.amdhsa_system_sgpr_workgroup_id_z 0
		.amdhsa_system_sgpr_workgroup_info 0
		.amdhsa_system_vgpr_workitem_id 0
		.amdhsa_next_free_vgpr 51
		.amdhsa_next_free_sgpr 34
		.amdhsa_named_barrier_count 0
		.amdhsa_reserve_vcc 1
		.amdhsa_float_round_mode_32 0
		.amdhsa_float_round_mode_16_64 0
		.amdhsa_float_denorm_mode_32 3
		.amdhsa_float_denorm_mode_16_64 3
		.amdhsa_fp16_overflow 0
		.amdhsa_memory_ordered 1
		.amdhsa_forward_progress 1
		.amdhsa_inst_pref_size 1
		.amdhsa_round_robin_scheduling 0
		.amdhsa_exception_fp_ieee_invalid_op 0
		.amdhsa_exception_fp_denorm_src 0
		.amdhsa_exception_fp_ieee_div_zero 0
		.amdhsa_exception_fp_ieee_overflow 0
		.amdhsa_exception_fp_ieee_underflow 0
		.amdhsa_exception_fp_ieee_inexact 0
		.amdhsa_exception_int_div_zero 0
	.end_amdhsa_kernel
	.section	.text._Z39paged_attention_ll4mi_QKV_mfma16_kernelIDF16_DF16_LN4vllm18Fp8KVCacheDataTypeE0EhLi32ELi128ELi256ELb1ELi1EEvPKT_PKT0_S7_ifPKiS9_S9_iPKfiiiPfSC_PS2_PT2_iSB_SB_,"axG",@progbits,_Z39paged_attention_ll4mi_QKV_mfma16_kernelIDF16_DF16_LN4vllm18Fp8KVCacheDataTypeE0EhLi32ELi128ELi256ELb1ELi1EEvPKT_PKT0_S7_ifPKiS9_S9_iPKfiiiPfSC_PS2_PT2_iSB_SB_,comdat
.Lfunc_end322:
	.size	_Z39paged_attention_ll4mi_QKV_mfma16_kernelIDF16_DF16_LN4vllm18Fp8KVCacheDataTypeE0EhLi32ELi128ELi256ELb1ELi1EEvPKT_PKT0_S7_ifPKiS9_S9_iPKfiiiPfSC_PS2_PT2_iSB_SB_, .Lfunc_end322-_Z39paged_attention_ll4mi_QKV_mfma16_kernelIDF16_DF16_LN4vllm18Fp8KVCacheDataTypeE0EhLi32ELi128ELi256ELb1ELi1EEvPKT_PKT0_S7_ifPKiS9_S9_iPKfiiiPfSC_PS2_PT2_iSB_SB_
                                        ; -- End function
	.set _Z39paged_attention_ll4mi_QKV_mfma16_kernelIDF16_DF16_LN4vllm18Fp8KVCacheDataTypeE0EhLi32ELi128ELi256ELb1ELi1EEvPKT_PKT0_S7_ifPKiS9_S9_iPKfiiiPfSC_PS2_PT2_iSB_SB_.num_vgpr, max(3, .L__assert_fail.num_vgpr)
	.set _Z39paged_attention_ll4mi_QKV_mfma16_kernelIDF16_DF16_LN4vllm18Fp8KVCacheDataTypeE0EhLi32ELi128ELi256ELb1ELi1EEvPKT_PKT0_S7_ifPKiS9_S9_iPKfiiiPfSC_PS2_PT2_iSB_SB_.num_agpr, max(0, .L__assert_fail.num_agpr)
	.set _Z39paged_attention_ll4mi_QKV_mfma16_kernelIDF16_DF16_LN4vllm18Fp8KVCacheDataTypeE0EhLi32ELi128ELi256ELb1ELi1EEvPKT_PKT0_S7_ifPKiS9_S9_iPKfiiiPfSC_PS2_PT2_iSB_SB_.numbered_sgpr, max(33, .L__assert_fail.numbered_sgpr)
	.set _Z39paged_attention_ll4mi_QKV_mfma16_kernelIDF16_DF16_LN4vllm18Fp8KVCacheDataTypeE0EhLi32ELi128ELi256ELb1ELi1EEvPKT_PKT0_S7_ifPKiS9_S9_iPKfiiiPfSC_PS2_PT2_iSB_SB_.num_named_barrier, max(0, .L__assert_fail.num_named_barrier)
	.set _Z39paged_attention_ll4mi_QKV_mfma16_kernelIDF16_DF16_LN4vllm18Fp8KVCacheDataTypeE0EhLi32ELi128ELi256ELb1ELi1EEvPKT_PKT0_S7_ifPKiS9_S9_iPKfiiiPfSC_PS2_PT2_iSB_SB_.private_seg_size, 0+max(.L__assert_fail.private_seg_size)
	.set _Z39paged_attention_ll4mi_QKV_mfma16_kernelIDF16_DF16_LN4vllm18Fp8KVCacheDataTypeE0EhLi32ELi128ELi256ELb1ELi1EEvPKT_PKT0_S7_ifPKiS9_S9_iPKfiiiPfSC_PS2_PT2_iSB_SB_.uses_vcc, or(1, .L__assert_fail.uses_vcc)
	.set _Z39paged_attention_ll4mi_QKV_mfma16_kernelIDF16_DF16_LN4vllm18Fp8KVCacheDataTypeE0EhLi32ELi128ELi256ELb1ELi1EEvPKT_PKT0_S7_ifPKiS9_S9_iPKfiiiPfSC_PS2_PT2_iSB_SB_.uses_flat_scratch, or(0, .L__assert_fail.uses_flat_scratch)
	.set _Z39paged_attention_ll4mi_QKV_mfma16_kernelIDF16_DF16_LN4vllm18Fp8KVCacheDataTypeE0EhLi32ELi128ELi256ELb1ELi1EEvPKT_PKT0_S7_ifPKiS9_S9_iPKfiiiPfSC_PS2_PT2_iSB_SB_.has_dyn_sized_stack, or(0, .L__assert_fail.has_dyn_sized_stack)
	.set _Z39paged_attention_ll4mi_QKV_mfma16_kernelIDF16_DF16_LN4vllm18Fp8KVCacheDataTypeE0EhLi32ELi128ELi256ELb1ELi1EEvPKT_PKT0_S7_ifPKiS9_S9_iPKfiiiPfSC_PS2_PT2_iSB_SB_.has_recursion, or(0, .L__assert_fail.has_recursion)
	.set _Z39paged_attention_ll4mi_QKV_mfma16_kernelIDF16_DF16_LN4vllm18Fp8KVCacheDataTypeE0EhLi32ELi128ELi256ELb1ELi1EEvPKT_PKT0_S7_ifPKiS9_S9_iPKfiiiPfSC_PS2_PT2_iSB_SB_.has_indirect_call, or(0, .L__assert_fail.has_indirect_call)
	.section	.AMDGPU.csdata,"",@progbits
; Kernel info:
; codeLenInByte = 68
; TotalNumSgprs: 36
; NumVgprs: 51
; ScratchSize: 64
; MemoryBound: 0
; FloatMode: 240
; IeeeMode: 1
; LDSByteSize: 0 bytes/workgroup (compile time only)
; SGPRBlocks: 0
; VGPRBlocks: 3
; NumSGPRsForWavesPerEU: 36
; NumVGPRsForWavesPerEU: 51
; NamedBarCnt: 0
; Occupancy: 16
; WaveLimiterHint : 1
; COMPUTE_PGM_RSRC2:SCRATCH_EN: 1
; COMPUTE_PGM_RSRC2:USER_SGPR: 2
; COMPUTE_PGM_RSRC2:TRAP_HANDLER: 0
; COMPUTE_PGM_RSRC2:TGID_X_EN: 1
; COMPUTE_PGM_RSRC2:TGID_Y_EN: 0
; COMPUTE_PGM_RSRC2:TGID_Z_EN: 0
; COMPUTE_PGM_RSRC2:TIDIG_COMP_CNT: 0
	.section	.text._Z39paged_attention_ll4mi_QKV_mfma16_kernelIDF16_DF16_LN4vllm18Fp8KVCacheDataTypeE0EhLi32ELi128ELi256ELb1ELi2EEvPKT_PKT0_S7_ifPKiS9_S9_iPKfiiiPfSC_PS2_PT2_iSB_SB_,"axG",@progbits,_Z39paged_attention_ll4mi_QKV_mfma16_kernelIDF16_DF16_LN4vllm18Fp8KVCacheDataTypeE0EhLi32ELi128ELi256ELb1ELi2EEvPKT_PKT0_S7_ifPKiS9_S9_iPKfiiiPfSC_PS2_PT2_iSB_SB_,comdat
	.protected	_Z39paged_attention_ll4mi_QKV_mfma16_kernelIDF16_DF16_LN4vllm18Fp8KVCacheDataTypeE0EhLi32ELi128ELi256ELb1ELi2EEvPKT_PKT0_S7_ifPKiS9_S9_iPKfiiiPfSC_PS2_PT2_iSB_SB_ ; -- Begin function _Z39paged_attention_ll4mi_QKV_mfma16_kernelIDF16_DF16_LN4vllm18Fp8KVCacheDataTypeE0EhLi32ELi128ELi256ELb1ELi2EEvPKT_PKT0_S7_ifPKiS9_S9_iPKfiiiPfSC_PS2_PT2_iSB_SB_
	.globl	_Z39paged_attention_ll4mi_QKV_mfma16_kernelIDF16_DF16_LN4vllm18Fp8KVCacheDataTypeE0EhLi32ELi128ELi256ELb1ELi2EEvPKT_PKT0_S7_ifPKiS9_S9_iPKfiiiPfSC_PS2_PT2_iSB_SB_
	.p2align	8
	.type	_Z39paged_attention_ll4mi_QKV_mfma16_kernelIDF16_DF16_LN4vllm18Fp8KVCacheDataTypeE0EhLi32ELi128ELi256ELb1ELi2EEvPKT_PKT0_S7_ifPKiS9_S9_iPKfiiiPfSC_PS2_PT2_iSB_SB_,@function
_Z39paged_attention_ll4mi_QKV_mfma16_kernelIDF16_DF16_LN4vllm18Fp8KVCacheDataTypeE0EhLi32ELi128ELi256ELb1ELi2EEvPKT_PKT0_S7_ifPKiS9_S9_iPKfiiiPfSC_PS2_PT2_iSB_SB_: ; @_Z39paged_attention_ll4mi_QKV_mfma16_kernelIDF16_DF16_LN4vllm18Fp8KVCacheDataTypeE0EhLi32ELi128ELi256ELb1ELi2EEvPKT_PKT0_S7_ifPKiS9_S9_iPKfiiiPfSC_PS2_PT2_iSB_SB_
; %bb.0:
	s_get_pc_i64 s[2:3]
	s_add_nc_u64 s[2:3], s[2:3], __PRETTY_FUNCTION__._Z39paged_attention_ll4mi_QKV_mfma16_kernelIDF16_DF16_LN4vllm18Fp8KVCacheDataTypeE0EhLi32ELi128ELi256ELb1ELi2EEvPKT_PKT0_S7_ifPKiS9_S9_iPKfiiiPfSC_PS2_PT2_iSB_SB_@rel64+4
	s_delay_alu instid0(SALU_CYCLE_1)
	v_dual_mov_b32 v0, 0xbb3 :: v_dual_mov_b32 v1, s2
	v_mov_b32_e32 v2, s3
	s_add_nc_u64 s[8:9], s[0:1], 0x90
	s_get_pc_i64 s[0:1]
	s_add_nc_u64 s[0:1], s[0:1], __assert_fail@rel64+4
	s_mov_b32 s32, 0
	s_swap_pc_i64 s[30:31], s[0:1]
	.section	.rodata,"a",@progbits
	.p2align	6, 0x0
	.amdhsa_kernel _Z39paged_attention_ll4mi_QKV_mfma16_kernelIDF16_DF16_LN4vllm18Fp8KVCacheDataTypeE0EhLi32ELi128ELi256ELb1ELi2EEvPKT_PKT0_S7_ifPKiS9_S9_iPKfiiiPfSC_PS2_PT2_iSB_SB_
		.amdhsa_group_segment_fixed_size 0
		.amdhsa_private_segment_fixed_size 64
		.amdhsa_kernarg_size 400
		.amdhsa_user_sgpr_count 2
		.amdhsa_user_sgpr_dispatch_ptr 0
		.amdhsa_user_sgpr_queue_ptr 0
		.amdhsa_user_sgpr_kernarg_segment_ptr 1
		.amdhsa_user_sgpr_dispatch_id 0
		.amdhsa_user_sgpr_kernarg_preload_length 0
		.amdhsa_user_sgpr_kernarg_preload_offset 0
		.amdhsa_user_sgpr_private_segment_size 0
		.amdhsa_wavefront_size32 1
		.amdhsa_uses_dynamic_stack 0
		.amdhsa_enable_private_segment 1
		.amdhsa_system_sgpr_workgroup_id_x 1
		.amdhsa_system_sgpr_workgroup_id_y 0
		.amdhsa_system_sgpr_workgroup_id_z 0
		.amdhsa_system_sgpr_workgroup_info 0
		.amdhsa_system_vgpr_workitem_id 0
		.amdhsa_next_free_vgpr 51
		.amdhsa_next_free_sgpr 34
		.amdhsa_named_barrier_count 0
		.amdhsa_reserve_vcc 1
		.amdhsa_float_round_mode_32 0
		.amdhsa_float_round_mode_16_64 0
		.amdhsa_float_denorm_mode_32 3
		.amdhsa_float_denorm_mode_16_64 3
		.amdhsa_fp16_overflow 0
		.amdhsa_memory_ordered 1
		.amdhsa_forward_progress 1
		.amdhsa_inst_pref_size 1
		.amdhsa_round_robin_scheduling 0
		.amdhsa_exception_fp_ieee_invalid_op 0
		.amdhsa_exception_fp_denorm_src 0
		.amdhsa_exception_fp_ieee_div_zero 0
		.amdhsa_exception_fp_ieee_overflow 0
		.amdhsa_exception_fp_ieee_underflow 0
		.amdhsa_exception_fp_ieee_inexact 0
		.amdhsa_exception_int_div_zero 0
	.end_amdhsa_kernel
	.section	.text._Z39paged_attention_ll4mi_QKV_mfma16_kernelIDF16_DF16_LN4vllm18Fp8KVCacheDataTypeE0EhLi32ELi128ELi256ELb1ELi2EEvPKT_PKT0_S7_ifPKiS9_S9_iPKfiiiPfSC_PS2_PT2_iSB_SB_,"axG",@progbits,_Z39paged_attention_ll4mi_QKV_mfma16_kernelIDF16_DF16_LN4vllm18Fp8KVCacheDataTypeE0EhLi32ELi128ELi256ELb1ELi2EEvPKT_PKT0_S7_ifPKiS9_S9_iPKfiiiPfSC_PS2_PT2_iSB_SB_,comdat
.Lfunc_end323:
	.size	_Z39paged_attention_ll4mi_QKV_mfma16_kernelIDF16_DF16_LN4vllm18Fp8KVCacheDataTypeE0EhLi32ELi128ELi256ELb1ELi2EEvPKT_PKT0_S7_ifPKiS9_S9_iPKfiiiPfSC_PS2_PT2_iSB_SB_, .Lfunc_end323-_Z39paged_attention_ll4mi_QKV_mfma16_kernelIDF16_DF16_LN4vllm18Fp8KVCacheDataTypeE0EhLi32ELi128ELi256ELb1ELi2EEvPKT_PKT0_S7_ifPKiS9_S9_iPKfiiiPfSC_PS2_PT2_iSB_SB_
                                        ; -- End function
	.set _Z39paged_attention_ll4mi_QKV_mfma16_kernelIDF16_DF16_LN4vllm18Fp8KVCacheDataTypeE0EhLi32ELi128ELi256ELb1ELi2EEvPKT_PKT0_S7_ifPKiS9_S9_iPKfiiiPfSC_PS2_PT2_iSB_SB_.num_vgpr, max(3, .L__assert_fail.num_vgpr)
	.set _Z39paged_attention_ll4mi_QKV_mfma16_kernelIDF16_DF16_LN4vllm18Fp8KVCacheDataTypeE0EhLi32ELi128ELi256ELb1ELi2EEvPKT_PKT0_S7_ifPKiS9_S9_iPKfiiiPfSC_PS2_PT2_iSB_SB_.num_agpr, max(0, .L__assert_fail.num_agpr)
	.set _Z39paged_attention_ll4mi_QKV_mfma16_kernelIDF16_DF16_LN4vllm18Fp8KVCacheDataTypeE0EhLi32ELi128ELi256ELb1ELi2EEvPKT_PKT0_S7_ifPKiS9_S9_iPKfiiiPfSC_PS2_PT2_iSB_SB_.numbered_sgpr, max(33, .L__assert_fail.numbered_sgpr)
	.set _Z39paged_attention_ll4mi_QKV_mfma16_kernelIDF16_DF16_LN4vllm18Fp8KVCacheDataTypeE0EhLi32ELi128ELi256ELb1ELi2EEvPKT_PKT0_S7_ifPKiS9_S9_iPKfiiiPfSC_PS2_PT2_iSB_SB_.num_named_barrier, max(0, .L__assert_fail.num_named_barrier)
	.set _Z39paged_attention_ll4mi_QKV_mfma16_kernelIDF16_DF16_LN4vllm18Fp8KVCacheDataTypeE0EhLi32ELi128ELi256ELb1ELi2EEvPKT_PKT0_S7_ifPKiS9_S9_iPKfiiiPfSC_PS2_PT2_iSB_SB_.private_seg_size, 0+max(.L__assert_fail.private_seg_size)
	.set _Z39paged_attention_ll4mi_QKV_mfma16_kernelIDF16_DF16_LN4vllm18Fp8KVCacheDataTypeE0EhLi32ELi128ELi256ELb1ELi2EEvPKT_PKT0_S7_ifPKiS9_S9_iPKfiiiPfSC_PS2_PT2_iSB_SB_.uses_vcc, or(1, .L__assert_fail.uses_vcc)
	.set _Z39paged_attention_ll4mi_QKV_mfma16_kernelIDF16_DF16_LN4vllm18Fp8KVCacheDataTypeE0EhLi32ELi128ELi256ELb1ELi2EEvPKT_PKT0_S7_ifPKiS9_S9_iPKfiiiPfSC_PS2_PT2_iSB_SB_.uses_flat_scratch, or(0, .L__assert_fail.uses_flat_scratch)
	.set _Z39paged_attention_ll4mi_QKV_mfma16_kernelIDF16_DF16_LN4vllm18Fp8KVCacheDataTypeE0EhLi32ELi128ELi256ELb1ELi2EEvPKT_PKT0_S7_ifPKiS9_S9_iPKfiiiPfSC_PS2_PT2_iSB_SB_.has_dyn_sized_stack, or(0, .L__assert_fail.has_dyn_sized_stack)
	.set _Z39paged_attention_ll4mi_QKV_mfma16_kernelIDF16_DF16_LN4vllm18Fp8KVCacheDataTypeE0EhLi32ELi128ELi256ELb1ELi2EEvPKT_PKT0_S7_ifPKiS9_S9_iPKfiiiPfSC_PS2_PT2_iSB_SB_.has_recursion, or(0, .L__assert_fail.has_recursion)
	.set _Z39paged_attention_ll4mi_QKV_mfma16_kernelIDF16_DF16_LN4vllm18Fp8KVCacheDataTypeE0EhLi32ELi128ELi256ELb1ELi2EEvPKT_PKT0_S7_ifPKiS9_S9_iPKfiiiPfSC_PS2_PT2_iSB_SB_.has_indirect_call, or(0, .L__assert_fail.has_indirect_call)
	.section	.AMDGPU.csdata,"",@progbits
; Kernel info:
; codeLenInByte = 68
; TotalNumSgprs: 36
; NumVgprs: 51
; ScratchSize: 64
; MemoryBound: 0
; FloatMode: 240
; IeeeMode: 1
; LDSByteSize: 0 bytes/workgroup (compile time only)
; SGPRBlocks: 0
; VGPRBlocks: 3
; NumSGPRsForWavesPerEU: 36
; NumVGPRsForWavesPerEU: 51
; NamedBarCnt: 0
; Occupancy: 16
; WaveLimiterHint : 1
; COMPUTE_PGM_RSRC2:SCRATCH_EN: 1
; COMPUTE_PGM_RSRC2:USER_SGPR: 2
; COMPUTE_PGM_RSRC2:TRAP_HANDLER: 0
; COMPUTE_PGM_RSRC2:TGID_X_EN: 1
; COMPUTE_PGM_RSRC2:TGID_Y_EN: 0
; COMPUTE_PGM_RSRC2:TGID_Z_EN: 0
; COMPUTE_PGM_RSRC2:TIDIG_COMP_CNT: 0
	.section	.text._Z39paged_attention_ll4mi_QKV_mfma16_kernelIDF16_DF16_LN4vllm18Fp8KVCacheDataTypeE0EhLi32ELi128ELi256ELb1ELi3EEvPKT_PKT0_S7_ifPKiS9_S9_iPKfiiiPfSC_PS2_PT2_iSB_SB_,"axG",@progbits,_Z39paged_attention_ll4mi_QKV_mfma16_kernelIDF16_DF16_LN4vllm18Fp8KVCacheDataTypeE0EhLi32ELi128ELi256ELb1ELi3EEvPKT_PKT0_S7_ifPKiS9_S9_iPKfiiiPfSC_PS2_PT2_iSB_SB_,comdat
	.protected	_Z39paged_attention_ll4mi_QKV_mfma16_kernelIDF16_DF16_LN4vllm18Fp8KVCacheDataTypeE0EhLi32ELi128ELi256ELb1ELi3EEvPKT_PKT0_S7_ifPKiS9_S9_iPKfiiiPfSC_PS2_PT2_iSB_SB_ ; -- Begin function _Z39paged_attention_ll4mi_QKV_mfma16_kernelIDF16_DF16_LN4vllm18Fp8KVCacheDataTypeE0EhLi32ELi128ELi256ELb1ELi3EEvPKT_PKT0_S7_ifPKiS9_S9_iPKfiiiPfSC_PS2_PT2_iSB_SB_
	.globl	_Z39paged_attention_ll4mi_QKV_mfma16_kernelIDF16_DF16_LN4vllm18Fp8KVCacheDataTypeE0EhLi32ELi128ELi256ELb1ELi3EEvPKT_PKT0_S7_ifPKiS9_S9_iPKfiiiPfSC_PS2_PT2_iSB_SB_
	.p2align	8
	.type	_Z39paged_attention_ll4mi_QKV_mfma16_kernelIDF16_DF16_LN4vllm18Fp8KVCacheDataTypeE0EhLi32ELi128ELi256ELb1ELi3EEvPKT_PKT0_S7_ifPKiS9_S9_iPKfiiiPfSC_PS2_PT2_iSB_SB_,@function
_Z39paged_attention_ll4mi_QKV_mfma16_kernelIDF16_DF16_LN4vllm18Fp8KVCacheDataTypeE0EhLi32ELi128ELi256ELb1ELi3EEvPKT_PKT0_S7_ifPKiS9_S9_iPKfiiiPfSC_PS2_PT2_iSB_SB_: ; @_Z39paged_attention_ll4mi_QKV_mfma16_kernelIDF16_DF16_LN4vllm18Fp8KVCacheDataTypeE0EhLi32ELi128ELi256ELb1ELi3EEvPKT_PKT0_S7_ifPKiS9_S9_iPKfiiiPfSC_PS2_PT2_iSB_SB_
; %bb.0:
	s_get_pc_i64 s[2:3]
	s_add_nc_u64 s[2:3], s[2:3], __PRETTY_FUNCTION__._Z39paged_attention_ll4mi_QKV_mfma16_kernelIDF16_DF16_LN4vllm18Fp8KVCacheDataTypeE0EhLi32ELi128ELi256ELb1ELi3EEvPKT_PKT0_S7_ifPKiS9_S9_iPKfiiiPfSC_PS2_PT2_iSB_SB_@rel64+4
	s_delay_alu instid0(SALU_CYCLE_1)
	v_dual_mov_b32 v0, 0xbb3 :: v_dual_mov_b32 v1, s2
	v_mov_b32_e32 v2, s3
	s_add_nc_u64 s[8:9], s[0:1], 0x90
	s_get_pc_i64 s[0:1]
	s_add_nc_u64 s[0:1], s[0:1], __assert_fail@rel64+4
	s_mov_b32 s32, 0
	s_swap_pc_i64 s[30:31], s[0:1]
	.section	.rodata,"a",@progbits
	.p2align	6, 0x0
	.amdhsa_kernel _Z39paged_attention_ll4mi_QKV_mfma16_kernelIDF16_DF16_LN4vllm18Fp8KVCacheDataTypeE0EhLi32ELi128ELi256ELb1ELi3EEvPKT_PKT0_S7_ifPKiS9_S9_iPKfiiiPfSC_PS2_PT2_iSB_SB_
		.amdhsa_group_segment_fixed_size 0
		.amdhsa_private_segment_fixed_size 64
		.amdhsa_kernarg_size 400
		.amdhsa_user_sgpr_count 2
		.amdhsa_user_sgpr_dispatch_ptr 0
		.amdhsa_user_sgpr_queue_ptr 0
		.amdhsa_user_sgpr_kernarg_segment_ptr 1
		.amdhsa_user_sgpr_dispatch_id 0
		.amdhsa_user_sgpr_kernarg_preload_length 0
		.amdhsa_user_sgpr_kernarg_preload_offset 0
		.amdhsa_user_sgpr_private_segment_size 0
		.amdhsa_wavefront_size32 1
		.amdhsa_uses_dynamic_stack 0
		.amdhsa_enable_private_segment 1
		.amdhsa_system_sgpr_workgroup_id_x 1
		.amdhsa_system_sgpr_workgroup_id_y 0
		.amdhsa_system_sgpr_workgroup_id_z 0
		.amdhsa_system_sgpr_workgroup_info 0
		.amdhsa_system_vgpr_workitem_id 0
		.amdhsa_next_free_vgpr 51
		.amdhsa_next_free_sgpr 34
		.amdhsa_named_barrier_count 0
		.amdhsa_reserve_vcc 1
		.amdhsa_float_round_mode_32 0
		.amdhsa_float_round_mode_16_64 0
		.amdhsa_float_denorm_mode_32 3
		.amdhsa_float_denorm_mode_16_64 3
		.amdhsa_fp16_overflow 0
		.amdhsa_memory_ordered 1
		.amdhsa_forward_progress 1
		.amdhsa_inst_pref_size 1
		.amdhsa_round_robin_scheduling 0
		.amdhsa_exception_fp_ieee_invalid_op 0
		.amdhsa_exception_fp_denorm_src 0
		.amdhsa_exception_fp_ieee_div_zero 0
		.amdhsa_exception_fp_ieee_overflow 0
		.amdhsa_exception_fp_ieee_underflow 0
		.amdhsa_exception_fp_ieee_inexact 0
		.amdhsa_exception_int_div_zero 0
	.end_amdhsa_kernel
	.section	.text._Z39paged_attention_ll4mi_QKV_mfma16_kernelIDF16_DF16_LN4vllm18Fp8KVCacheDataTypeE0EhLi32ELi128ELi256ELb1ELi3EEvPKT_PKT0_S7_ifPKiS9_S9_iPKfiiiPfSC_PS2_PT2_iSB_SB_,"axG",@progbits,_Z39paged_attention_ll4mi_QKV_mfma16_kernelIDF16_DF16_LN4vllm18Fp8KVCacheDataTypeE0EhLi32ELi128ELi256ELb1ELi3EEvPKT_PKT0_S7_ifPKiS9_S9_iPKfiiiPfSC_PS2_PT2_iSB_SB_,comdat
.Lfunc_end324:
	.size	_Z39paged_attention_ll4mi_QKV_mfma16_kernelIDF16_DF16_LN4vllm18Fp8KVCacheDataTypeE0EhLi32ELi128ELi256ELb1ELi3EEvPKT_PKT0_S7_ifPKiS9_S9_iPKfiiiPfSC_PS2_PT2_iSB_SB_, .Lfunc_end324-_Z39paged_attention_ll4mi_QKV_mfma16_kernelIDF16_DF16_LN4vllm18Fp8KVCacheDataTypeE0EhLi32ELi128ELi256ELb1ELi3EEvPKT_PKT0_S7_ifPKiS9_S9_iPKfiiiPfSC_PS2_PT2_iSB_SB_
                                        ; -- End function
	.set _Z39paged_attention_ll4mi_QKV_mfma16_kernelIDF16_DF16_LN4vllm18Fp8KVCacheDataTypeE0EhLi32ELi128ELi256ELb1ELi3EEvPKT_PKT0_S7_ifPKiS9_S9_iPKfiiiPfSC_PS2_PT2_iSB_SB_.num_vgpr, max(3, .L__assert_fail.num_vgpr)
	.set _Z39paged_attention_ll4mi_QKV_mfma16_kernelIDF16_DF16_LN4vllm18Fp8KVCacheDataTypeE0EhLi32ELi128ELi256ELb1ELi3EEvPKT_PKT0_S7_ifPKiS9_S9_iPKfiiiPfSC_PS2_PT2_iSB_SB_.num_agpr, max(0, .L__assert_fail.num_agpr)
	.set _Z39paged_attention_ll4mi_QKV_mfma16_kernelIDF16_DF16_LN4vllm18Fp8KVCacheDataTypeE0EhLi32ELi128ELi256ELb1ELi3EEvPKT_PKT0_S7_ifPKiS9_S9_iPKfiiiPfSC_PS2_PT2_iSB_SB_.numbered_sgpr, max(33, .L__assert_fail.numbered_sgpr)
	.set _Z39paged_attention_ll4mi_QKV_mfma16_kernelIDF16_DF16_LN4vllm18Fp8KVCacheDataTypeE0EhLi32ELi128ELi256ELb1ELi3EEvPKT_PKT0_S7_ifPKiS9_S9_iPKfiiiPfSC_PS2_PT2_iSB_SB_.num_named_barrier, max(0, .L__assert_fail.num_named_barrier)
	.set _Z39paged_attention_ll4mi_QKV_mfma16_kernelIDF16_DF16_LN4vllm18Fp8KVCacheDataTypeE0EhLi32ELi128ELi256ELb1ELi3EEvPKT_PKT0_S7_ifPKiS9_S9_iPKfiiiPfSC_PS2_PT2_iSB_SB_.private_seg_size, 0+max(.L__assert_fail.private_seg_size)
	.set _Z39paged_attention_ll4mi_QKV_mfma16_kernelIDF16_DF16_LN4vllm18Fp8KVCacheDataTypeE0EhLi32ELi128ELi256ELb1ELi3EEvPKT_PKT0_S7_ifPKiS9_S9_iPKfiiiPfSC_PS2_PT2_iSB_SB_.uses_vcc, or(1, .L__assert_fail.uses_vcc)
	.set _Z39paged_attention_ll4mi_QKV_mfma16_kernelIDF16_DF16_LN4vllm18Fp8KVCacheDataTypeE0EhLi32ELi128ELi256ELb1ELi3EEvPKT_PKT0_S7_ifPKiS9_S9_iPKfiiiPfSC_PS2_PT2_iSB_SB_.uses_flat_scratch, or(0, .L__assert_fail.uses_flat_scratch)
	.set _Z39paged_attention_ll4mi_QKV_mfma16_kernelIDF16_DF16_LN4vllm18Fp8KVCacheDataTypeE0EhLi32ELi128ELi256ELb1ELi3EEvPKT_PKT0_S7_ifPKiS9_S9_iPKfiiiPfSC_PS2_PT2_iSB_SB_.has_dyn_sized_stack, or(0, .L__assert_fail.has_dyn_sized_stack)
	.set _Z39paged_attention_ll4mi_QKV_mfma16_kernelIDF16_DF16_LN4vllm18Fp8KVCacheDataTypeE0EhLi32ELi128ELi256ELb1ELi3EEvPKT_PKT0_S7_ifPKiS9_S9_iPKfiiiPfSC_PS2_PT2_iSB_SB_.has_recursion, or(0, .L__assert_fail.has_recursion)
	.set _Z39paged_attention_ll4mi_QKV_mfma16_kernelIDF16_DF16_LN4vllm18Fp8KVCacheDataTypeE0EhLi32ELi128ELi256ELb1ELi3EEvPKT_PKT0_S7_ifPKiS9_S9_iPKfiiiPfSC_PS2_PT2_iSB_SB_.has_indirect_call, or(0, .L__assert_fail.has_indirect_call)
	.section	.AMDGPU.csdata,"",@progbits
; Kernel info:
; codeLenInByte = 68
; TotalNumSgprs: 36
; NumVgprs: 51
; ScratchSize: 64
; MemoryBound: 0
; FloatMode: 240
; IeeeMode: 1
; LDSByteSize: 0 bytes/workgroup (compile time only)
; SGPRBlocks: 0
; VGPRBlocks: 3
; NumSGPRsForWavesPerEU: 36
; NumVGPRsForWavesPerEU: 51
; NamedBarCnt: 0
; Occupancy: 16
; WaveLimiterHint : 1
; COMPUTE_PGM_RSRC2:SCRATCH_EN: 1
; COMPUTE_PGM_RSRC2:USER_SGPR: 2
; COMPUTE_PGM_RSRC2:TRAP_HANDLER: 0
; COMPUTE_PGM_RSRC2:TGID_X_EN: 1
; COMPUTE_PGM_RSRC2:TGID_Y_EN: 0
; COMPUTE_PGM_RSRC2:TGID_Z_EN: 0
; COMPUTE_PGM_RSRC2:TIDIG_COMP_CNT: 0
	.section	.text._Z39paged_attention_ll4mi_QKV_mfma16_kernelIDF16_DF16_LN4vllm18Fp8KVCacheDataTypeE0EhLi32ELi128ELi256ELb1ELi4EEvPKT_PKT0_S7_ifPKiS9_S9_iPKfiiiPfSC_PS2_PT2_iSB_SB_,"axG",@progbits,_Z39paged_attention_ll4mi_QKV_mfma16_kernelIDF16_DF16_LN4vllm18Fp8KVCacheDataTypeE0EhLi32ELi128ELi256ELb1ELi4EEvPKT_PKT0_S7_ifPKiS9_S9_iPKfiiiPfSC_PS2_PT2_iSB_SB_,comdat
	.protected	_Z39paged_attention_ll4mi_QKV_mfma16_kernelIDF16_DF16_LN4vllm18Fp8KVCacheDataTypeE0EhLi32ELi128ELi256ELb1ELi4EEvPKT_PKT0_S7_ifPKiS9_S9_iPKfiiiPfSC_PS2_PT2_iSB_SB_ ; -- Begin function _Z39paged_attention_ll4mi_QKV_mfma16_kernelIDF16_DF16_LN4vllm18Fp8KVCacheDataTypeE0EhLi32ELi128ELi256ELb1ELi4EEvPKT_PKT0_S7_ifPKiS9_S9_iPKfiiiPfSC_PS2_PT2_iSB_SB_
	.globl	_Z39paged_attention_ll4mi_QKV_mfma16_kernelIDF16_DF16_LN4vllm18Fp8KVCacheDataTypeE0EhLi32ELi128ELi256ELb1ELi4EEvPKT_PKT0_S7_ifPKiS9_S9_iPKfiiiPfSC_PS2_PT2_iSB_SB_
	.p2align	8
	.type	_Z39paged_attention_ll4mi_QKV_mfma16_kernelIDF16_DF16_LN4vllm18Fp8KVCacheDataTypeE0EhLi32ELi128ELi256ELb1ELi4EEvPKT_PKT0_S7_ifPKiS9_S9_iPKfiiiPfSC_PS2_PT2_iSB_SB_,@function
_Z39paged_attention_ll4mi_QKV_mfma16_kernelIDF16_DF16_LN4vllm18Fp8KVCacheDataTypeE0EhLi32ELi128ELi256ELb1ELi4EEvPKT_PKT0_S7_ifPKiS9_S9_iPKfiiiPfSC_PS2_PT2_iSB_SB_: ; @_Z39paged_attention_ll4mi_QKV_mfma16_kernelIDF16_DF16_LN4vllm18Fp8KVCacheDataTypeE0EhLi32ELi128ELi256ELb1ELi4EEvPKT_PKT0_S7_ifPKiS9_S9_iPKfiiiPfSC_PS2_PT2_iSB_SB_
; %bb.0:
	s_get_pc_i64 s[2:3]
	s_add_nc_u64 s[2:3], s[2:3], __PRETTY_FUNCTION__._Z39paged_attention_ll4mi_QKV_mfma16_kernelIDF16_DF16_LN4vllm18Fp8KVCacheDataTypeE0EhLi32ELi128ELi256ELb1ELi4EEvPKT_PKT0_S7_ifPKiS9_S9_iPKfiiiPfSC_PS2_PT2_iSB_SB_@rel64+4
	s_delay_alu instid0(SALU_CYCLE_1)
	v_dual_mov_b32 v0, 0xbb3 :: v_dual_mov_b32 v1, s2
	v_mov_b32_e32 v2, s3
	s_add_nc_u64 s[8:9], s[0:1], 0x90
	s_get_pc_i64 s[0:1]
	s_add_nc_u64 s[0:1], s[0:1], __assert_fail@rel64+4
	s_mov_b32 s32, 0
	s_swap_pc_i64 s[30:31], s[0:1]
	.section	.rodata,"a",@progbits
	.p2align	6, 0x0
	.amdhsa_kernel _Z39paged_attention_ll4mi_QKV_mfma16_kernelIDF16_DF16_LN4vllm18Fp8KVCacheDataTypeE0EhLi32ELi128ELi256ELb1ELi4EEvPKT_PKT0_S7_ifPKiS9_S9_iPKfiiiPfSC_PS2_PT2_iSB_SB_
		.amdhsa_group_segment_fixed_size 0
		.amdhsa_private_segment_fixed_size 64
		.amdhsa_kernarg_size 400
		.amdhsa_user_sgpr_count 2
		.amdhsa_user_sgpr_dispatch_ptr 0
		.amdhsa_user_sgpr_queue_ptr 0
		.amdhsa_user_sgpr_kernarg_segment_ptr 1
		.amdhsa_user_sgpr_dispatch_id 0
		.amdhsa_user_sgpr_kernarg_preload_length 0
		.amdhsa_user_sgpr_kernarg_preload_offset 0
		.amdhsa_user_sgpr_private_segment_size 0
		.amdhsa_wavefront_size32 1
		.amdhsa_uses_dynamic_stack 0
		.amdhsa_enable_private_segment 1
		.amdhsa_system_sgpr_workgroup_id_x 1
		.amdhsa_system_sgpr_workgroup_id_y 0
		.amdhsa_system_sgpr_workgroup_id_z 0
		.amdhsa_system_sgpr_workgroup_info 0
		.amdhsa_system_vgpr_workitem_id 0
		.amdhsa_next_free_vgpr 51
		.amdhsa_next_free_sgpr 34
		.amdhsa_named_barrier_count 0
		.amdhsa_reserve_vcc 1
		.amdhsa_float_round_mode_32 0
		.amdhsa_float_round_mode_16_64 0
		.amdhsa_float_denorm_mode_32 3
		.amdhsa_float_denorm_mode_16_64 3
		.amdhsa_fp16_overflow 0
		.amdhsa_memory_ordered 1
		.amdhsa_forward_progress 1
		.amdhsa_inst_pref_size 1
		.amdhsa_round_robin_scheduling 0
		.amdhsa_exception_fp_ieee_invalid_op 0
		.amdhsa_exception_fp_denorm_src 0
		.amdhsa_exception_fp_ieee_div_zero 0
		.amdhsa_exception_fp_ieee_overflow 0
		.amdhsa_exception_fp_ieee_underflow 0
		.amdhsa_exception_fp_ieee_inexact 0
		.amdhsa_exception_int_div_zero 0
	.end_amdhsa_kernel
	.section	.text._Z39paged_attention_ll4mi_QKV_mfma16_kernelIDF16_DF16_LN4vllm18Fp8KVCacheDataTypeE0EhLi32ELi128ELi256ELb1ELi4EEvPKT_PKT0_S7_ifPKiS9_S9_iPKfiiiPfSC_PS2_PT2_iSB_SB_,"axG",@progbits,_Z39paged_attention_ll4mi_QKV_mfma16_kernelIDF16_DF16_LN4vllm18Fp8KVCacheDataTypeE0EhLi32ELi128ELi256ELb1ELi4EEvPKT_PKT0_S7_ifPKiS9_S9_iPKfiiiPfSC_PS2_PT2_iSB_SB_,comdat
.Lfunc_end325:
	.size	_Z39paged_attention_ll4mi_QKV_mfma16_kernelIDF16_DF16_LN4vllm18Fp8KVCacheDataTypeE0EhLi32ELi128ELi256ELb1ELi4EEvPKT_PKT0_S7_ifPKiS9_S9_iPKfiiiPfSC_PS2_PT2_iSB_SB_, .Lfunc_end325-_Z39paged_attention_ll4mi_QKV_mfma16_kernelIDF16_DF16_LN4vllm18Fp8KVCacheDataTypeE0EhLi32ELi128ELi256ELb1ELi4EEvPKT_PKT0_S7_ifPKiS9_S9_iPKfiiiPfSC_PS2_PT2_iSB_SB_
                                        ; -- End function
	.set _Z39paged_attention_ll4mi_QKV_mfma16_kernelIDF16_DF16_LN4vllm18Fp8KVCacheDataTypeE0EhLi32ELi128ELi256ELb1ELi4EEvPKT_PKT0_S7_ifPKiS9_S9_iPKfiiiPfSC_PS2_PT2_iSB_SB_.num_vgpr, max(3, .L__assert_fail.num_vgpr)
	.set _Z39paged_attention_ll4mi_QKV_mfma16_kernelIDF16_DF16_LN4vllm18Fp8KVCacheDataTypeE0EhLi32ELi128ELi256ELb1ELi4EEvPKT_PKT0_S7_ifPKiS9_S9_iPKfiiiPfSC_PS2_PT2_iSB_SB_.num_agpr, max(0, .L__assert_fail.num_agpr)
	.set _Z39paged_attention_ll4mi_QKV_mfma16_kernelIDF16_DF16_LN4vllm18Fp8KVCacheDataTypeE0EhLi32ELi128ELi256ELb1ELi4EEvPKT_PKT0_S7_ifPKiS9_S9_iPKfiiiPfSC_PS2_PT2_iSB_SB_.numbered_sgpr, max(33, .L__assert_fail.numbered_sgpr)
	.set _Z39paged_attention_ll4mi_QKV_mfma16_kernelIDF16_DF16_LN4vllm18Fp8KVCacheDataTypeE0EhLi32ELi128ELi256ELb1ELi4EEvPKT_PKT0_S7_ifPKiS9_S9_iPKfiiiPfSC_PS2_PT2_iSB_SB_.num_named_barrier, max(0, .L__assert_fail.num_named_barrier)
	.set _Z39paged_attention_ll4mi_QKV_mfma16_kernelIDF16_DF16_LN4vllm18Fp8KVCacheDataTypeE0EhLi32ELi128ELi256ELb1ELi4EEvPKT_PKT0_S7_ifPKiS9_S9_iPKfiiiPfSC_PS2_PT2_iSB_SB_.private_seg_size, 0+max(.L__assert_fail.private_seg_size)
	.set _Z39paged_attention_ll4mi_QKV_mfma16_kernelIDF16_DF16_LN4vllm18Fp8KVCacheDataTypeE0EhLi32ELi128ELi256ELb1ELi4EEvPKT_PKT0_S7_ifPKiS9_S9_iPKfiiiPfSC_PS2_PT2_iSB_SB_.uses_vcc, or(1, .L__assert_fail.uses_vcc)
	.set _Z39paged_attention_ll4mi_QKV_mfma16_kernelIDF16_DF16_LN4vllm18Fp8KVCacheDataTypeE0EhLi32ELi128ELi256ELb1ELi4EEvPKT_PKT0_S7_ifPKiS9_S9_iPKfiiiPfSC_PS2_PT2_iSB_SB_.uses_flat_scratch, or(0, .L__assert_fail.uses_flat_scratch)
	.set _Z39paged_attention_ll4mi_QKV_mfma16_kernelIDF16_DF16_LN4vllm18Fp8KVCacheDataTypeE0EhLi32ELi128ELi256ELb1ELi4EEvPKT_PKT0_S7_ifPKiS9_S9_iPKfiiiPfSC_PS2_PT2_iSB_SB_.has_dyn_sized_stack, or(0, .L__assert_fail.has_dyn_sized_stack)
	.set _Z39paged_attention_ll4mi_QKV_mfma16_kernelIDF16_DF16_LN4vllm18Fp8KVCacheDataTypeE0EhLi32ELi128ELi256ELb1ELi4EEvPKT_PKT0_S7_ifPKiS9_S9_iPKfiiiPfSC_PS2_PT2_iSB_SB_.has_recursion, or(0, .L__assert_fail.has_recursion)
	.set _Z39paged_attention_ll4mi_QKV_mfma16_kernelIDF16_DF16_LN4vllm18Fp8KVCacheDataTypeE0EhLi32ELi128ELi256ELb1ELi4EEvPKT_PKT0_S7_ifPKiS9_S9_iPKfiiiPfSC_PS2_PT2_iSB_SB_.has_indirect_call, or(0, .L__assert_fail.has_indirect_call)
	.section	.AMDGPU.csdata,"",@progbits
; Kernel info:
; codeLenInByte = 68
; TotalNumSgprs: 36
; NumVgprs: 51
; ScratchSize: 64
; MemoryBound: 0
; FloatMode: 240
; IeeeMode: 1
; LDSByteSize: 0 bytes/workgroup (compile time only)
; SGPRBlocks: 0
; VGPRBlocks: 3
; NumSGPRsForWavesPerEU: 36
; NumVGPRsForWavesPerEU: 51
; NamedBarCnt: 0
; Occupancy: 16
; WaveLimiterHint : 1
; COMPUTE_PGM_RSRC2:SCRATCH_EN: 1
; COMPUTE_PGM_RSRC2:USER_SGPR: 2
; COMPUTE_PGM_RSRC2:TRAP_HANDLER: 0
; COMPUTE_PGM_RSRC2:TGID_X_EN: 1
; COMPUTE_PGM_RSRC2:TGID_Y_EN: 0
; COMPUTE_PGM_RSRC2:TGID_Z_EN: 0
; COMPUTE_PGM_RSRC2:TIDIG_COMP_CNT: 0
	.section	.text._Z38paged_attention_ll4mi_QKV_mfma4_kernelIDF16_DF16_LN4vllm18Fp8KVCacheDataTypeE0EhLi32ELi128ELi256ELb0ELi1EEvPKT_PKT0_S7_ifPKiS9_S9_iPKfiiiPfSC_PS2_PT2_iSB_SB_,"axG",@progbits,_Z38paged_attention_ll4mi_QKV_mfma4_kernelIDF16_DF16_LN4vllm18Fp8KVCacheDataTypeE0EhLi32ELi128ELi256ELb0ELi1EEvPKT_PKT0_S7_ifPKiS9_S9_iPKfiiiPfSC_PS2_PT2_iSB_SB_,comdat
	.protected	_Z38paged_attention_ll4mi_QKV_mfma4_kernelIDF16_DF16_LN4vllm18Fp8KVCacheDataTypeE0EhLi32ELi128ELi256ELb0ELi1EEvPKT_PKT0_S7_ifPKiS9_S9_iPKfiiiPfSC_PS2_PT2_iSB_SB_ ; -- Begin function _Z38paged_attention_ll4mi_QKV_mfma4_kernelIDF16_DF16_LN4vllm18Fp8KVCacheDataTypeE0EhLi32ELi128ELi256ELb0ELi1EEvPKT_PKT0_S7_ifPKiS9_S9_iPKfiiiPfSC_PS2_PT2_iSB_SB_
	.globl	_Z38paged_attention_ll4mi_QKV_mfma4_kernelIDF16_DF16_LN4vllm18Fp8KVCacheDataTypeE0EhLi32ELi128ELi256ELb0ELi1EEvPKT_PKT0_S7_ifPKiS9_S9_iPKfiiiPfSC_PS2_PT2_iSB_SB_
	.p2align	8
	.type	_Z38paged_attention_ll4mi_QKV_mfma4_kernelIDF16_DF16_LN4vllm18Fp8KVCacheDataTypeE0EhLi32ELi128ELi256ELb0ELi1EEvPKT_PKT0_S7_ifPKiS9_S9_iPKfiiiPfSC_PS2_PT2_iSB_SB_,@function
_Z38paged_attention_ll4mi_QKV_mfma4_kernelIDF16_DF16_LN4vllm18Fp8KVCacheDataTypeE0EhLi32ELi128ELi256ELb0ELi1EEvPKT_PKT0_S7_ifPKiS9_S9_iPKfiiiPfSC_PS2_PT2_iSB_SB_: ; @_Z38paged_attention_ll4mi_QKV_mfma4_kernelIDF16_DF16_LN4vllm18Fp8KVCacheDataTypeE0EhLi32ELi128ELi256ELb0ELi1EEvPKT_PKT0_S7_ifPKiS9_S9_iPKfiiiPfSC_PS2_PT2_iSB_SB_
; %bb.0:
	s_get_pc_i64 s[2:3]
	s_add_nc_u64 s[2:3], s[2:3], __PRETTY_FUNCTION__._Z38paged_attention_ll4mi_QKV_mfma4_kernelIDF16_DF16_LN4vllm18Fp8KVCacheDataTypeE0EhLi32ELi128ELi256ELb0ELi1EEvPKT_PKT0_S7_ifPKiS9_S9_iPKfiiiPfSC_PS2_PT2_iSB_SB_@rel64+4
	s_delay_alu instid0(SALU_CYCLE_1)
	v_dual_mov_b32 v0, 0xbce :: v_dual_mov_b32 v1, s2
	v_mov_b32_e32 v2, s3
	s_add_nc_u64 s[8:9], s[0:1], 0x90
	s_get_pc_i64 s[0:1]
	s_add_nc_u64 s[0:1], s[0:1], __assert_fail@rel64+4
	s_mov_b32 s32, 0
	s_swap_pc_i64 s[30:31], s[0:1]
	.section	.rodata,"a",@progbits
	.p2align	6, 0x0
	.amdhsa_kernel _Z38paged_attention_ll4mi_QKV_mfma4_kernelIDF16_DF16_LN4vllm18Fp8KVCacheDataTypeE0EhLi32ELi128ELi256ELb0ELi1EEvPKT_PKT0_S7_ifPKiS9_S9_iPKfiiiPfSC_PS2_PT2_iSB_SB_
		.amdhsa_group_segment_fixed_size 0
		.amdhsa_private_segment_fixed_size 64
		.amdhsa_kernarg_size 400
		.amdhsa_user_sgpr_count 2
		.amdhsa_user_sgpr_dispatch_ptr 0
		.amdhsa_user_sgpr_queue_ptr 0
		.amdhsa_user_sgpr_kernarg_segment_ptr 1
		.amdhsa_user_sgpr_dispatch_id 0
		.amdhsa_user_sgpr_kernarg_preload_length 0
		.amdhsa_user_sgpr_kernarg_preload_offset 0
		.amdhsa_user_sgpr_private_segment_size 0
		.amdhsa_wavefront_size32 1
		.amdhsa_uses_dynamic_stack 0
		.amdhsa_enable_private_segment 1
		.amdhsa_system_sgpr_workgroup_id_x 1
		.amdhsa_system_sgpr_workgroup_id_y 0
		.amdhsa_system_sgpr_workgroup_id_z 0
		.amdhsa_system_sgpr_workgroup_info 0
		.amdhsa_system_vgpr_workitem_id 0
		.amdhsa_next_free_vgpr 51
		.amdhsa_next_free_sgpr 34
		.amdhsa_named_barrier_count 0
		.amdhsa_reserve_vcc 1
		.amdhsa_float_round_mode_32 0
		.amdhsa_float_round_mode_16_64 0
		.amdhsa_float_denorm_mode_32 3
		.amdhsa_float_denorm_mode_16_64 3
		.amdhsa_fp16_overflow 0
		.amdhsa_memory_ordered 1
		.amdhsa_forward_progress 1
		.amdhsa_inst_pref_size 1
		.amdhsa_round_robin_scheduling 0
		.amdhsa_exception_fp_ieee_invalid_op 0
		.amdhsa_exception_fp_denorm_src 0
		.amdhsa_exception_fp_ieee_div_zero 0
		.amdhsa_exception_fp_ieee_overflow 0
		.amdhsa_exception_fp_ieee_underflow 0
		.amdhsa_exception_fp_ieee_inexact 0
		.amdhsa_exception_int_div_zero 0
	.end_amdhsa_kernel
	.section	.text._Z38paged_attention_ll4mi_QKV_mfma4_kernelIDF16_DF16_LN4vllm18Fp8KVCacheDataTypeE0EhLi32ELi128ELi256ELb0ELi1EEvPKT_PKT0_S7_ifPKiS9_S9_iPKfiiiPfSC_PS2_PT2_iSB_SB_,"axG",@progbits,_Z38paged_attention_ll4mi_QKV_mfma4_kernelIDF16_DF16_LN4vllm18Fp8KVCacheDataTypeE0EhLi32ELi128ELi256ELb0ELi1EEvPKT_PKT0_S7_ifPKiS9_S9_iPKfiiiPfSC_PS2_PT2_iSB_SB_,comdat
.Lfunc_end326:
	.size	_Z38paged_attention_ll4mi_QKV_mfma4_kernelIDF16_DF16_LN4vllm18Fp8KVCacheDataTypeE0EhLi32ELi128ELi256ELb0ELi1EEvPKT_PKT0_S7_ifPKiS9_S9_iPKfiiiPfSC_PS2_PT2_iSB_SB_, .Lfunc_end326-_Z38paged_attention_ll4mi_QKV_mfma4_kernelIDF16_DF16_LN4vllm18Fp8KVCacheDataTypeE0EhLi32ELi128ELi256ELb0ELi1EEvPKT_PKT0_S7_ifPKiS9_S9_iPKfiiiPfSC_PS2_PT2_iSB_SB_
                                        ; -- End function
	.set _Z38paged_attention_ll4mi_QKV_mfma4_kernelIDF16_DF16_LN4vllm18Fp8KVCacheDataTypeE0EhLi32ELi128ELi256ELb0ELi1EEvPKT_PKT0_S7_ifPKiS9_S9_iPKfiiiPfSC_PS2_PT2_iSB_SB_.num_vgpr, max(3, .L__assert_fail.num_vgpr)
	.set _Z38paged_attention_ll4mi_QKV_mfma4_kernelIDF16_DF16_LN4vllm18Fp8KVCacheDataTypeE0EhLi32ELi128ELi256ELb0ELi1EEvPKT_PKT0_S7_ifPKiS9_S9_iPKfiiiPfSC_PS2_PT2_iSB_SB_.num_agpr, max(0, .L__assert_fail.num_agpr)
	.set _Z38paged_attention_ll4mi_QKV_mfma4_kernelIDF16_DF16_LN4vllm18Fp8KVCacheDataTypeE0EhLi32ELi128ELi256ELb0ELi1EEvPKT_PKT0_S7_ifPKiS9_S9_iPKfiiiPfSC_PS2_PT2_iSB_SB_.numbered_sgpr, max(33, .L__assert_fail.numbered_sgpr)
	.set _Z38paged_attention_ll4mi_QKV_mfma4_kernelIDF16_DF16_LN4vllm18Fp8KVCacheDataTypeE0EhLi32ELi128ELi256ELb0ELi1EEvPKT_PKT0_S7_ifPKiS9_S9_iPKfiiiPfSC_PS2_PT2_iSB_SB_.num_named_barrier, max(0, .L__assert_fail.num_named_barrier)
	.set _Z38paged_attention_ll4mi_QKV_mfma4_kernelIDF16_DF16_LN4vllm18Fp8KVCacheDataTypeE0EhLi32ELi128ELi256ELb0ELi1EEvPKT_PKT0_S7_ifPKiS9_S9_iPKfiiiPfSC_PS2_PT2_iSB_SB_.private_seg_size, 0+max(.L__assert_fail.private_seg_size)
	.set _Z38paged_attention_ll4mi_QKV_mfma4_kernelIDF16_DF16_LN4vllm18Fp8KVCacheDataTypeE0EhLi32ELi128ELi256ELb0ELi1EEvPKT_PKT0_S7_ifPKiS9_S9_iPKfiiiPfSC_PS2_PT2_iSB_SB_.uses_vcc, or(1, .L__assert_fail.uses_vcc)
	.set _Z38paged_attention_ll4mi_QKV_mfma4_kernelIDF16_DF16_LN4vllm18Fp8KVCacheDataTypeE0EhLi32ELi128ELi256ELb0ELi1EEvPKT_PKT0_S7_ifPKiS9_S9_iPKfiiiPfSC_PS2_PT2_iSB_SB_.uses_flat_scratch, or(0, .L__assert_fail.uses_flat_scratch)
	.set _Z38paged_attention_ll4mi_QKV_mfma4_kernelIDF16_DF16_LN4vllm18Fp8KVCacheDataTypeE0EhLi32ELi128ELi256ELb0ELi1EEvPKT_PKT0_S7_ifPKiS9_S9_iPKfiiiPfSC_PS2_PT2_iSB_SB_.has_dyn_sized_stack, or(0, .L__assert_fail.has_dyn_sized_stack)
	.set _Z38paged_attention_ll4mi_QKV_mfma4_kernelIDF16_DF16_LN4vllm18Fp8KVCacheDataTypeE0EhLi32ELi128ELi256ELb0ELi1EEvPKT_PKT0_S7_ifPKiS9_S9_iPKfiiiPfSC_PS2_PT2_iSB_SB_.has_recursion, or(0, .L__assert_fail.has_recursion)
	.set _Z38paged_attention_ll4mi_QKV_mfma4_kernelIDF16_DF16_LN4vllm18Fp8KVCacheDataTypeE0EhLi32ELi128ELi256ELb0ELi1EEvPKT_PKT0_S7_ifPKiS9_S9_iPKfiiiPfSC_PS2_PT2_iSB_SB_.has_indirect_call, or(0, .L__assert_fail.has_indirect_call)
	.section	.AMDGPU.csdata,"",@progbits
; Kernel info:
; codeLenInByte = 68
; TotalNumSgprs: 36
; NumVgprs: 51
; ScratchSize: 64
; MemoryBound: 0
; FloatMode: 240
; IeeeMode: 1
; LDSByteSize: 0 bytes/workgroup (compile time only)
; SGPRBlocks: 0
; VGPRBlocks: 3
; NumSGPRsForWavesPerEU: 36
; NumVGPRsForWavesPerEU: 51
; NamedBarCnt: 0
; Occupancy: 16
; WaveLimiterHint : 1
; COMPUTE_PGM_RSRC2:SCRATCH_EN: 1
; COMPUTE_PGM_RSRC2:USER_SGPR: 2
; COMPUTE_PGM_RSRC2:TRAP_HANDLER: 0
; COMPUTE_PGM_RSRC2:TGID_X_EN: 1
; COMPUTE_PGM_RSRC2:TGID_Y_EN: 0
; COMPUTE_PGM_RSRC2:TGID_Z_EN: 0
; COMPUTE_PGM_RSRC2:TIDIG_COMP_CNT: 0
	.section	.text._Z38paged_attention_ll4mi_QKV_mfma4_kernelIDF16_DF16_LN4vllm18Fp8KVCacheDataTypeE0EhLi32ELi128ELi256ELb0ELi2EEvPKT_PKT0_S7_ifPKiS9_S9_iPKfiiiPfSC_PS2_PT2_iSB_SB_,"axG",@progbits,_Z38paged_attention_ll4mi_QKV_mfma4_kernelIDF16_DF16_LN4vllm18Fp8KVCacheDataTypeE0EhLi32ELi128ELi256ELb0ELi2EEvPKT_PKT0_S7_ifPKiS9_S9_iPKfiiiPfSC_PS2_PT2_iSB_SB_,comdat
	.protected	_Z38paged_attention_ll4mi_QKV_mfma4_kernelIDF16_DF16_LN4vllm18Fp8KVCacheDataTypeE0EhLi32ELi128ELi256ELb0ELi2EEvPKT_PKT0_S7_ifPKiS9_S9_iPKfiiiPfSC_PS2_PT2_iSB_SB_ ; -- Begin function _Z38paged_attention_ll4mi_QKV_mfma4_kernelIDF16_DF16_LN4vllm18Fp8KVCacheDataTypeE0EhLi32ELi128ELi256ELb0ELi2EEvPKT_PKT0_S7_ifPKiS9_S9_iPKfiiiPfSC_PS2_PT2_iSB_SB_
	.globl	_Z38paged_attention_ll4mi_QKV_mfma4_kernelIDF16_DF16_LN4vllm18Fp8KVCacheDataTypeE0EhLi32ELi128ELi256ELb0ELi2EEvPKT_PKT0_S7_ifPKiS9_S9_iPKfiiiPfSC_PS2_PT2_iSB_SB_
	.p2align	8
	.type	_Z38paged_attention_ll4mi_QKV_mfma4_kernelIDF16_DF16_LN4vllm18Fp8KVCacheDataTypeE0EhLi32ELi128ELi256ELb0ELi2EEvPKT_PKT0_S7_ifPKiS9_S9_iPKfiiiPfSC_PS2_PT2_iSB_SB_,@function
_Z38paged_attention_ll4mi_QKV_mfma4_kernelIDF16_DF16_LN4vllm18Fp8KVCacheDataTypeE0EhLi32ELi128ELi256ELb0ELi2EEvPKT_PKT0_S7_ifPKiS9_S9_iPKfiiiPfSC_PS2_PT2_iSB_SB_: ; @_Z38paged_attention_ll4mi_QKV_mfma4_kernelIDF16_DF16_LN4vllm18Fp8KVCacheDataTypeE0EhLi32ELi128ELi256ELb0ELi2EEvPKT_PKT0_S7_ifPKiS9_S9_iPKfiiiPfSC_PS2_PT2_iSB_SB_
; %bb.0:
	s_get_pc_i64 s[2:3]
	s_add_nc_u64 s[2:3], s[2:3], __PRETTY_FUNCTION__._Z38paged_attention_ll4mi_QKV_mfma4_kernelIDF16_DF16_LN4vllm18Fp8KVCacheDataTypeE0EhLi32ELi128ELi256ELb0ELi2EEvPKT_PKT0_S7_ifPKiS9_S9_iPKfiiiPfSC_PS2_PT2_iSB_SB_@rel64+4
	s_delay_alu instid0(SALU_CYCLE_1)
	v_dual_mov_b32 v0, 0xbce :: v_dual_mov_b32 v1, s2
	v_mov_b32_e32 v2, s3
	s_add_nc_u64 s[8:9], s[0:1], 0x90
	s_get_pc_i64 s[0:1]
	s_add_nc_u64 s[0:1], s[0:1], __assert_fail@rel64+4
	s_mov_b32 s32, 0
	s_swap_pc_i64 s[30:31], s[0:1]
	.section	.rodata,"a",@progbits
	.p2align	6, 0x0
	.amdhsa_kernel _Z38paged_attention_ll4mi_QKV_mfma4_kernelIDF16_DF16_LN4vllm18Fp8KVCacheDataTypeE0EhLi32ELi128ELi256ELb0ELi2EEvPKT_PKT0_S7_ifPKiS9_S9_iPKfiiiPfSC_PS2_PT2_iSB_SB_
		.amdhsa_group_segment_fixed_size 0
		.amdhsa_private_segment_fixed_size 64
		.amdhsa_kernarg_size 400
		.amdhsa_user_sgpr_count 2
		.amdhsa_user_sgpr_dispatch_ptr 0
		.amdhsa_user_sgpr_queue_ptr 0
		.amdhsa_user_sgpr_kernarg_segment_ptr 1
		.amdhsa_user_sgpr_dispatch_id 0
		.amdhsa_user_sgpr_kernarg_preload_length 0
		.amdhsa_user_sgpr_kernarg_preload_offset 0
		.amdhsa_user_sgpr_private_segment_size 0
		.amdhsa_wavefront_size32 1
		.amdhsa_uses_dynamic_stack 0
		.amdhsa_enable_private_segment 1
		.amdhsa_system_sgpr_workgroup_id_x 1
		.amdhsa_system_sgpr_workgroup_id_y 0
		.amdhsa_system_sgpr_workgroup_id_z 0
		.amdhsa_system_sgpr_workgroup_info 0
		.amdhsa_system_vgpr_workitem_id 0
		.amdhsa_next_free_vgpr 51
		.amdhsa_next_free_sgpr 34
		.amdhsa_named_barrier_count 0
		.amdhsa_reserve_vcc 1
		.amdhsa_float_round_mode_32 0
		.amdhsa_float_round_mode_16_64 0
		.amdhsa_float_denorm_mode_32 3
		.amdhsa_float_denorm_mode_16_64 3
		.amdhsa_fp16_overflow 0
		.amdhsa_memory_ordered 1
		.amdhsa_forward_progress 1
		.amdhsa_inst_pref_size 1
		.amdhsa_round_robin_scheduling 0
		.amdhsa_exception_fp_ieee_invalid_op 0
		.amdhsa_exception_fp_denorm_src 0
		.amdhsa_exception_fp_ieee_div_zero 0
		.amdhsa_exception_fp_ieee_overflow 0
		.amdhsa_exception_fp_ieee_underflow 0
		.amdhsa_exception_fp_ieee_inexact 0
		.amdhsa_exception_int_div_zero 0
	.end_amdhsa_kernel
	.section	.text._Z38paged_attention_ll4mi_QKV_mfma4_kernelIDF16_DF16_LN4vllm18Fp8KVCacheDataTypeE0EhLi32ELi128ELi256ELb0ELi2EEvPKT_PKT0_S7_ifPKiS9_S9_iPKfiiiPfSC_PS2_PT2_iSB_SB_,"axG",@progbits,_Z38paged_attention_ll4mi_QKV_mfma4_kernelIDF16_DF16_LN4vllm18Fp8KVCacheDataTypeE0EhLi32ELi128ELi256ELb0ELi2EEvPKT_PKT0_S7_ifPKiS9_S9_iPKfiiiPfSC_PS2_PT2_iSB_SB_,comdat
.Lfunc_end327:
	.size	_Z38paged_attention_ll4mi_QKV_mfma4_kernelIDF16_DF16_LN4vllm18Fp8KVCacheDataTypeE0EhLi32ELi128ELi256ELb0ELi2EEvPKT_PKT0_S7_ifPKiS9_S9_iPKfiiiPfSC_PS2_PT2_iSB_SB_, .Lfunc_end327-_Z38paged_attention_ll4mi_QKV_mfma4_kernelIDF16_DF16_LN4vllm18Fp8KVCacheDataTypeE0EhLi32ELi128ELi256ELb0ELi2EEvPKT_PKT0_S7_ifPKiS9_S9_iPKfiiiPfSC_PS2_PT2_iSB_SB_
                                        ; -- End function
	.set _Z38paged_attention_ll4mi_QKV_mfma4_kernelIDF16_DF16_LN4vllm18Fp8KVCacheDataTypeE0EhLi32ELi128ELi256ELb0ELi2EEvPKT_PKT0_S7_ifPKiS9_S9_iPKfiiiPfSC_PS2_PT2_iSB_SB_.num_vgpr, max(3, .L__assert_fail.num_vgpr)
	.set _Z38paged_attention_ll4mi_QKV_mfma4_kernelIDF16_DF16_LN4vllm18Fp8KVCacheDataTypeE0EhLi32ELi128ELi256ELb0ELi2EEvPKT_PKT0_S7_ifPKiS9_S9_iPKfiiiPfSC_PS2_PT2_iSB_SB_.num_agpr, max(0, .L__assert_fail.num_agpr)
	.set _Z38paged_attention_ll4mi_QKV_mfma4_kernelIDF16_DF16_LN4vllm18Fp8KVCacheDataTypeE0EhLi32ELi128ELi256ELb0ELi2EEvPKT_PKT0_S7_ifPKiS9_S9_iPKfiiiPfSC_PS2_PT2_iSB_SB_.numbered_sgpr, max(33, .L__assert_fail.numbered_sgpr)
	.set _Z38paged_attention_ll4mi_QKV_mfma4_kernelIDF16_DF16_LN4vllm18Fp8KVCacheDataTypeE0EhLi32ELi128ELi256ELb0ELi2EEvPKT_PKT0_S7_ifPKiS9_S9_iPKfiiiPfSC_PS2_PT2_iSB_SB_.num_named_barrier, max(0, .L__assert_fail.num_named_barrier)
	.set _Z38paged_attention_ll4mi_QKV_mfma4_kernelIDF16_DF16_LN4vllm18Fp8KVCacheDataTypeE0EhLi32ELi128ELi256ELb0ELi2EEvPKT_PKT0_S7_ifPKiS9_S9_iPKfiiiPfSC_PS2_PT2_iSB_SB_.private_seg_size, 0+max(.L__assert_fail.private_seg_size)
	.set _Z38paged_attention_ll4mi_QKV_mfma4_kernelIDF16_DF16_LN4vllm18Fp8KVCacheDataTypeE0EhLi32ELi128ELi256ELb0ELi2EEvPKT_PKT0_S7_ifPKiS9_S9_iPKfiiiPfSC_PS2_PT2_iSB_SB_.uses_vcc, or(1, .L__assert_fail.uses_vcc)
	.set _Z38paged_attention_ll4mi_QKV_mfma4_kernelIDF16_DF16_LN4vllm18Fp8KVCacheDataTypeE0EhLi32ELi128ELi256ELb0ELi2EEvPKT_PKT0_S7_ifPKiS9_S9_iPKfiiiPfSC_PS2_PT2_iSB_SB_.uses_flat_scratch, or(0, .L__assert_fail.uses_flat_scratch)
	.set _Z38paged_attention_ll4mi_QKV_mfma4_kernelIDF16_DF16_LN4vllm18Fp8KVCacheDataTypeE0EhLi32ELi128ELi256ELb0ELi2EEvPKT_PKT0_S7_ifPKiS9_S9_iPKfiiiPfSC_PS2_PT2_iSB_SB_.has_dyn_sized_stack, or(0, .L__assert_fail.has_dyn_sized_stack)
	.set _Z38paged_attention_ll4mi_QKV_mfma4_kernelIDF16_DF16_LN4vllm18Fp8KVCacheDataTypeE0EhLi32ELi128ELi256ELb0ELi2EEvPKT_PKT0_S7_ifPKiS9_S9_iPKfiiiPfSC_PS2_PT2_iSB_SB_.has_recursion, or(0, .L__assert_fail.has_recursion)
	.set _Z38paged_attention_ll4mi_QKV_mfma4_kernelIDF16_DF16_LN4vllm18Fp8KVCacheDataTypeE0EhLi32ELi128ELi256ELb0ELi2EEvPKT_PKT0_S7_ifPKiS9_S9_iPKfiiiPfSC_PS2_PT2_iSB_SB_.has_indirect_call, or(0, .L__assert_fail.has_indirect_call)
	.section	.AMDGPU.csdata,"",@progbits
; Kernel info:
; codeLenInByte = 68
; TotalNumSgprs: 36
; NumVgprs: 51
; ScratchSize: 64
; MemoryBound: 0
; FloatMode: 240
; IeeeMode: 1
; LDSByteSize: 0 bytes/workgroup (compile time only)
; SGPRBlocks: 0
; VGPRBlocks: 3
; NumSGPRsForWavesPerEU: 36
; NumVGPRsForWavesPerEU: 51
; NamedBarCnt: 0
; Occupancy: 16
; WaveLimiterHint : 1
; COMPUTE_PGM_RSRC2:SCRATCH_EN: 1
; COMPUTE_PGM_RSRC2:USER_SGPR: 2
; COMPUTE_PGM_RSRC2:TRAP_HANDLER: 0
; COMPUTE_PGM_RSRC2:TGID_X_EN: 1
; COMPUTE_PGM_RSRC2:TGID_Y_EN: 0
; COMPUTE_PGM_RSRC2:TGID_Z_EN: 0
; COMPUTE_PGM_RSRC2:TIDIG_COMP_CNT: 0
	.section	.text._Z38paged_attention_ll4mi_QKV_mfma4_kernelIDF16_DF16_LN4vllm18Fp8KVCacheDataTypeE0EhLi32ELi128ELi256ELb0ELi3EEvPKT_PKT0_S7_ifPKiS9_S9_iPKfiiiPfSC_PS2_PT2_iSB_SB_,"axG",@progbits,_Z38paged_attention_ll4mi_QKV_mfma4_kernelIDF16_DF16_LN4vllm18Fp8KVCacheDataTypeE0EhLi32ELi128ELi256ELb0ELi3EEvPKT_PKT0_S7_ifPKiS9_S9_iPKfiiiPfSC_PS2_PT2_iSB_SB_,comdat
	.protected	_Z38paged_attention_ll4mi_QKV_mfma4_kernelIDF16_DF16_LN4vllm18Fp8KVCacheDataTypeE0EhLi32ELi128ELi256ELb0ELi3EEvPKT_PKT0_S7_ifPKiS9_S9_iPKfiiiPfSC_PS2_PT2_iSB_SB_ ; -- Begin function _Z38paged_attention_ll4mi_QKV_mfma4_kernelIDF16_DF16_LN4vllm18Fp8KVCacheDataTypeE0EhLi32ELi128ELi256ELb0ELi3EEvPKT_PKT0_S7_ifPKiS9_S9_iPKfiiiPfSC_PS2_PT2_iSB_SB_
	.globl	_Z38paged_attention_ll4mi_QKV_mfma4_kernelIDF16_DF16_LN4vllm18Fp8KVCacheDataTypeE0EhLi32ELi128ELi256ELb0ELi3EEvPKT_PKT0_S7_ifPKiS9_S9_iPKfiiiPfSC_PS2_PT2_iSB_SB_
	.p2align	8
	.type	_Z38paged_attention_ll4mi_QKV_mfma4_kernelIDF16_DF16_LN4vllm18Fp8KVCacheDataTypeE0EhLi32ELi128ELi256ELb0ELi3EEvPKT_PKT0_S7_ifPKiS9_S9_iPKfiiiPfSC_PS2_PT2_iSB_SB_,@function
_Z38paged_attention_ll4mi_QKV_mfma4_kernelIDF16_DF16_LN4vllm18Fp8KVCacheDataTypeE0EhLi32ELi128ELi256ELb0ELi3EEvPKT_PKT0_S7_ifPKiS9_S9_iPKfiiiPfSC_PS2_PT2_iSB_SB_: ; @_Z38paged_attention_ll4mi_QKV_mfma4_kernelIDF16_DF16_LN4vllm18Fp8KVCacheDataTypeE0EhLi32ELi128ELi256ELb0ELi3EEvPKT_PKT0_S7_ifPKiS9_S9_iPKfiiiPfSC_PS2_PT2_iSB_SB_
; %bb.0:
	s_get_pc_i64 s[2:3]
	s_add_nc_u64 s[2:3], s[2:3], __PRETTY_FUNCTION__._Z38paged_attention_ll4mi_QKV_mfma4_kernelIDF16_DF16_LN4vllm18Fp8KVCacheDataTypeE0EhLi32ELi128ELi256ELb0ELi3EEvPKT_PKT0_S7_ifPKiS9_S9_iPKfiiiPfSC_PS2_PT2_iSB_SB_@rel64+4
	s_delay_alu instid0(SALU_CYCLE_1)
	v_dual_mov_b32 v0, 0xbce :: v_dual_mov_b32 v1, s2
	v_mov_b32_e32 v2, s3
	s_add_nc_u64 s[8:9], s[0:1], 0x90
	s_get_pc_i64 s[0:1]
	s_add_nc_u64 s[0:1], s[0:1], __assert_fail@rel64+4
	s_mov_b32 s32, 0
	s_swap_pc_i64 s[30:31], s[0:1]
	.section	.rodata,"a",@progbits
	.p2align	6, 0x0
	.amdhsa_kernel _Z38paged_attention_ll4mi_QKV_mfma4_kernelIDF16_DF16_LN4vllm18Fp8KVCacheDataTypeE0EhLi32ELi128ELi256ELb0ELi3EEvPKT_PKT0_S7_ifPKiS9_S9_iPKfiiiPfSC_PS2_PT2_iSB_SB_
		.amdhsa_group_segment_fixed_size 0
		.amdhsa_private_segment_fixed_size 64
		.amdhsa_kernarg_size 400
		.amdhsa_user_sgpr_count 2
		.amdhsa_user_sgpr_dispatch_ptr 0
		.amdhsa_user_sgpr_queue_ptr 0
		.amdhsa_user_sgpr_kernarg_segment_ptr 1
		.amdhsa_user_sgpr_dispatch_id 0
		.amdhsa_user_sgpr_kernarg_preload_length 0
		.amdhsa_user_sgpr_kernarg_preload_offset 0
		.amdhsa_user_sgpr_private_segment_size 0
		.amdhsa_wavefront_size32 1
		.amdhsa_uses_dynamic_stack 0
		.amdhsa_enable_private_segment 1
		.amdhsa_system_sgpr_workgroup_id_x 1
		.amdhsa_system_sgpr_workgroup_id_y 0
		.amdhsa_system_sgpr_workgroup_id_z 0
		.amdhsa_system_sgpr_workgroup_info 0
		.amdhsa_system_vgpr_workitem_id 0
		.amdhsa_next_free_vgpr 51
		.amdhsa_next_free_sgpr 34
		.amdhsa_named_barrier_count 0
		.amdhsa_reserve_vcc 1
		.amdhsa_float_round_mode_32 0
		.amdhsa_float_round_mode_16_64 0
		.amdhsa_float_denorm_mode_32 3
		.amdhsa_float_denorm_mode_16_64 3
		.amdhsa_fp16_overflow 0
		.amdhsa_memory_ordered 1
		.amdhsa_forward_progress 1
		.amdhsa_inst_pref_size 1
		.amdhsa_round_robin_scheduling 0
		.amdhsa_exception_fp_ieee_invalid_op 0
		.amdhsa_exception_fp_denorm_src 0
		.amdhsa_exception_fp_ieee_div_zero 0
		.amdhsa_exception_fp_ieee_overflow 0
		.amdhsa_exception_fp_ieee_underflow 0
		.amdhsa_exception_fp_ieee_inexact 0
		.amdhsa_exception_int_div_zero 0
	.end_amdhsa_kernel
	.section	.text._Z38paged_attention_ll4mi_QKV_mfma4_kernelIDF16_DF16_LN4vllm18Fp8KVCacheDataTypeE0EhLi32ELi128ELi256ELb0ELi3EEvPKT_PKT0_S7_ifPKiS9_S9_iPKfiiiPfSC_PS2_PT2_iSB_SB_,"axG",@progbits,_Z38paged_attention_ll4mi_QKV_mfma4_kernelIDF16_DF16_LN4vllm18Fp8KVCacheDataTypeE0EhLi32ELi128ELi256ELb0ELi3EEvPKT_PKT0_S7_ifPKiS9_S9_iPKfiiiPfSC_PS2_PT2_iSB_SB_,comdat
.Lfunc_end328:
	.size	_Z38paged_attention_ll4mi_QKV_mfma4_kernelIDF16_DF16_LN4vllm18Fp8KVCacheDataTypeE0EhLi32ELi128ELi256ELb0ELi3EEvPKT_PKT0_S7_ifPKiS9_S9_iPKfiiiPfSC_PS2_PT2_iSB_SB_, .Lfunc_end328-_Z38paged_attention_ll4mi_QKV_mfma4_kernelIDF16_DF16_LN4vllm18Fp8KVCacheDataTypeE0EhLi32ELi128ELi256ELb0ELi3EEvPKT_PKT0_S7_ifPKiS9_S9_iPKfiiiPfSC_PS2_PT2_iSB_SB_
                                        ; -- End function
	.set _Z38paged_attention_ll4mi_QKV_mfma4_kernelIDF16_DF16_LN4vllm18Fp8KVCacheDataTypeE0EhLi32ELi128ELi256ELb0ELi3EEvPKT_PKT0_S7_ifPKiS9_S9_iPKfiiiPfSC_PS2_PT2_iSB_SB_.num_vgpr, max(3, .L__assert_fail.num_vgpr)
	.set _Z38paged_attention_ll4mi_QKV_mfma4_kernelIDF16_DF16_LN4vllm18Fp8KVCacheDataTypeE0EhLi32ELi128ELi256ELb0ELi3EEvPKT_PKT0_S7_ifPKiS9_S9_iPKfiiiPfSC_PS2_PT2_iSB_SB_.num_agpr, max(0, .L__assert_fail.num_agpr)
	.set _Z38paged_attention_ll4mi_QKV_mfma4_kernelIDF16_DF16_LN4vllm18Fp8KVCacheDataTypeE0EhLi32ELi128ELi256ELb0ELi3EEvPKT_PKT0_S7_ifPKiS9_S9_iPKfiiiPfSC_PS2_PT2_iSB_SB_.numbered_sgpr, max(33, .L__assert_fail.numbered_sgpr)
	.set _Z38paged_attention_ll4mi_QKV_mfma4_kernelIDF16_DF16_LN4vllm18Fp8KVCacheDataTypeE0EhLi32ELi128ELi256ELb0ELi3EEvPKT_PKT0_S7_ifPKiS9_S9_iPKfiiiPfSC_PS2_PT2_iSB_SB_.num_named_barrier, max(0, .L__assert_fail.num_named_barrier)
	.set _Z38paged_attention_ll4mi_QKV_mfma4_kernelIDF16_DF16_LN4vllm18Fp8KVCacheDataTypeE0EhLi32ELi128ELi256ELb0ELi3EEvPKT_PKT0_S7_ifPKiS9_S9_iPKfiiiPfSC_PS2_PT2_iSB_SB_.private_seg_size, 0+max(.L__assert_fail.private_seg_size)
	.set _Z38paged_attention_ll4mi_QKV_mfma4_kernelIDF16_DF16_LN4vllm18Fp8KVCacheDataTypeE0EhLi32ELi128ELi256ELb0ELi3EEvPKT_PKT0_S7_ifPKiS9_S9_iPKfiiiPfSC_PS2_PT2_iSB_SB_.uses_vcc, or(1, .L__assert_fail.uses_vcc)
	.set _Z38paged_attention_ll4mi_QKV_mfma4_kernelIDF16_DF16_LN4vllm18Fp8KVCacheDataTypeE0EhLi32ELi128ELi256ELb0ELi3EEvPKT_PKT0_S7_ifPKiS9_S9_iPKfiiiPfSC_PS2_PT2_iSB_SB_.uses_flat_scratch, or(0, .L__assert_fail.uses_flat_scratch)
	.set _Z38paged_attention_ll4mi_QKV_mfma4_kernelIDF16_DF16_LN4vllm18Fp8KVCacheDataTypeE0EhLi32ELi128ELi256ELb0ELi3EEvPKT_PKT0_S7_ifPKiS9_S9_iPKfiiiPfSC_PS2_PT2_iSB_SB_.has_dyn_sized_stack, or(0, .L__assert_fail.has_dyn_sized_stack)
	.set _Z38paged_attention_ll4mi_QKV_mfma4_kernelIDF16_DF16_LN4vllm18Fp8KVCacheDataTypeE0EhLi32ELi128ELi256ELb0ELi3EEvPKT_PKT0_S7_ifPKiS9_S9_iPKfiiiPfSC_PS2_PT2_iSB_SB_.has_recursion, or(0, .L__assert_fail.has_recursion)
	.set _Z38paged_attention_ll4mi_QKV_mfma4_kernelIDF16_DF16_LN4vllm18Fp8KVCacheDataTypeE0EhLi32ELi128ELi256ELb0ELi3EEvPKT_PKT0_S7_ifPKiS9_S9_iPKfiiiPfSC_PS2_PT2_iSB_SB_.has_indirect_call, or(0, .L__assert_fail.has_indirect_call)
	.section	.AMDGPU.csdata,"",@progbits
; Kernel info:
; codeLenInByte = 68
; TotalNumSgprs: 36
; NumVgprs: 51
; ScratchSize: 64
; MemoryBound: 0
; FloatMode: 240
; IeeeMode: 1
; LDSByteSize: 0 bytes/workgroup (compile time only)
; SGPRBlocks: 0
; VGPRBlocks: 3
; NumSGPRsForWavesPerEU: 36
; NumVGPRsForWavesPerEU: 51
; NamedBarCnt: 0
; Occupancy: 16
; WaveLimiterHint : 1
; COMPUTE_PGM_RSRC2:SCRATCH_EN: 1
; COMPUTE_PGM_RSRC2:USER_SGPR: 2
; COMPUTE_PGM_RSRC2:TRAP_HANDLER: 0
; COMPUTE_PGM_RSRC2:TGID_X_EN: 1
; COMPUTE_PGM_RSRC2:TGID_Y_EN: 0
; COMPUTE_PGM_RSRC2:TGID_Z_EN: 0
; COMPUTE_PGM_RSRC2:TIDIG_COMP_CNT: 0
	.section	.text._Z38paged_attention_ll4mi_QKV_mfma4_kernelIDF16_DF16_LN4vllm18Fp8KVCacheDataTypeE0EhLi32ELi128ELi256ELb0ELi4EEvPKT_PKT0_S7_ifPKiS9_S9_iPKfiiiPfSC_PS2_PT2_iSB_SB_,"axG",@progbits,_Z38paged_attention_ll4mi_QKV_mfma4_kernelIDF16_DF16_LN4vllm18Fp8KVCacheDataTypeE0EhLi32ELi128ELi256ELb0ELi4EEvPKT_PKT0_S7_ifPKiS9_S9_iPKfiiiPfSC_PS2_PT2_iSB_SB_,comdat
	.protected	_Z38paged_attention_ll4mi_QKV_mfma4_kernelIDF16_DF16_LN4vllm18Fp8KVCacheDataTypeE0EhLi32ELi128ELi256ELb0ELi4EEvPKT_PKT0_S7_ifPKiS9_S9_iPKfiiiPfSC_PS2_PT2_iSB_SB_ ; -- Begin function _Z38paged_attention_ll4mi_QKV_mfma4_kernelIDF16_DF16_LN4vllm18Fp8KVCacheDataTypeE0EhLi32ELi128ELi256ELb0ELi4EEvPKT_PKT0_S7_ifPKiS9_S9_iPKfiiiPfSC_PS2_PT2_iSB_SB_
	.globl	_Z38paged_attention_ll4mi_QKV_mfma4_kernelIDF16_DF16_LN4vllm18Fp8KVCacheDataTypeE0EhLi32ELi128ELi256ELb0ELi4EEvPKT_PKT0_S7_ifPKiS9_S9_iPKfiiiPfSC_PS2_PT2_iSB_SB_
	.p2align	8
	.type	_Z38paged_attention_ll4mi_QKV_mfma4_kernelIDF16_DF16_LN4vllm18Fp8KVCacheDataTypeE0EhLi32ELi128ELi256ELb0ELi4EEvPKT_PKT0_S7_ifPKiS9_S9_iPKfiiiPfSC_PS2_PT2_iSB_SB_,@function
_Z38paged_attention_ll4mi_QKV_mfma4_kernelIDF16_DF16_LN4vllm18Fp8KVCacheDataTypeE0EhLi32ELi128ELi256ELb0ELi4EEvPKT_PKT0_S7_ifPKiS9_S9_iPKfiiiPfSC_PS2_PT2_iSB_SB_: ; @_Z38paged_attention_ll4mi_QKV_mfma4_kernelIDF16_DF16_LN4vllm18Fp8KVCacheDataTypeE0EhLi32ELi128ELi256ELb0ELi4EEvPKT_PKT0_S7_ifPKiS9_S9_iPKfiiiPfSC_PS2_PT2_iSB_SB_
; %bb.0:
	s_get_pc_i64 s[2:3]
	s_add_nc_u64 s[2:3], s[2:3], __PRETTY_FUNCTION__._Z38paged_attention_ll4mi_QKV_mfma4_kernelIDF16_DF16_LN4vllm18Fp8KVCacheDataTypeE0EhLi32ELi128ELi256ELb0ELi4EEvPKT_PKT0_S7_ifPKiS9_S9_iPKfiiiPfSC_PS2_PT2_iSB_SB_@rel64+4
	s_delay_alu instid0(SALU_CYCLE_1)
	v_dual_mov_b32 v0, 0xbce :: v_dual_mov_b32 v1, s2
	v_mov_b32_e32 v2, s3
	s_add_nc_u64 s[8:9], s[0:1], 0x90
	s_get_pc_i64 s[0:1]
	s_add_nc_u64 s[0:1], s[0:1], __assert_fail@rel64+4
	s_mov_b32 s32, 0
	s_swap_pc_i64 s[30:31], s[0:1]
	.section	.rodata,"a",@progbits
	.p2align	6, 0x0
	.amdhsa_kernel _Z38paged_attention_ll4mi_QKV_mfma4_kernelIDF16_DF16_LN4vllm18Fp8KVCacheDataTypeE0EhLi32ELi128ELi256ELb0ELi4EEvPKT_PKT0_S7_ifPKiS9_S9_iPKfiiiPfSC_PS2_PT2_iSB_SB_
		.amdhsa_group_segment_fixed_size 0
		.amdhsa_private_segment_fixed_size 64
		.amdhsa_kernarg_size 400
		.amdhsa_user_sgpr_count 2
		.amdhsa_user_sgpr_dispatch_ptr 0
		.amdhsa_user_sgpr_queue_ptr 0
		.amdhsa_user_sgpr_kernarg_segment_ptr 1
		.amdhsa_user_sgpr_dispatch_id 0
		.amdhsa_user_sgpr_kernarg_preload_length 0
		.amdhsa_user_sgpr_kernarg_preload_offset 0
		.amdhsa_user_sgpr_private_segment_size 0
		.amdhsa_wavefront_size32 1
		.amdhsa_uses_dynamic_stack 0
		.amdhsa_enable_private_segment 1
		.amdhsa_system_sgpr_workgroup_id_x 1
		.amdhsa_system_sgpr_workgroup_id_y 0
		.amdhsa_system_sgpr_workgroup_id_z 0
		.amdhsa_system_sgpr_workgroup_info 0
		.amdhsa_system_vgpr_workitem_id 0
		.amdhsa_next_free_vgpr 51
		.amdhsa_next_free_sgpr 34
		.amdhsa_named_barrier_count 0
		.amdhsa_reserve_vcc 1
		.amdhsa_float_round_mode_32 0
		.amdhsa_float_round_mode_16_64 0
		.amdhsa_float_denorm_mode_32 3
		.amdhsa_float_denorm_mode_16_64 3
		.amdhsa_fp16_overflow 0
		.amdhsa_memory_ordered 1
		.amdhsa_forward_progress 1
		.amdhsa_inst_pref_size 1
		.amdhsa_round_robin_scheduling 0
		.amdhsa_exception_fp_ieee_invalid_op 0
		.amdhsa_exception_fp_denorm_src 0
		.amdhsa_exception_fp_ieee_div_zero 0
		.amdhsa_exception_fp_ieee_overflow 0
		.amdhsa_exception_fp_ieee_underflow 0
		.amdhsa_exception_fp_ieee_inexact 0
		.amdhsa_exception_int_div_zero 0
	.end_amdhsa_kernel
	.section	.text._Z38paged_attention_ll4mi_QKV_mfma4_kernelIDF16_DF16_LN4vllm18Fp8KVCacheDataTypeE0EhLi32ELi128ELi256ELb0ELi4EEvPKT_PKT0_S7_ifPKiS9_S9_iPKfiiiPfSC_PS2_PT2_iSB_SB_,"axG",@progbits,_Z38paged_attention_ll4mi_QKV_mfma4_kernelIDF16_DF16_LN4vllm18Fp8KVCacheDataTypeE0EhLi32ELi128ELi256ELb0ELi4EEvPKT_PKT0_S7_ifPKiS9_S9_iPKfiiiPfSC_PS2_PT2_iSB_SB_,comdat
.Lfunc_end329:
	.size	_Z38paged_attention_ll4mi_QKV_mfma4_kernelIDF16_DF16_LN4vllm18Fp8KVCacheDataTypeE0EhLi32ELi128ELi256ELb0ELi4EEvPKT_PKT0_S7_ifPKiS9_S9_iPKfiiiPfSC_PS2_PT2_iSB_SB_, .Lfunc_end329-_Z38paged_attention_ll4mi_QKV_mfma4_kernelIDF16_DF16_LN4vllm18Fp8KVCacheDataTypeE0EhLi32ELi128ELi256ELb0ELi4EEvPKT_PKT0_S7_ifPKiS9_S9_iPKfiiiPfSC_PS2_PT2_iSB_SB_
                                        ; -- End function
	.set _Z38paged_attention_ll4mi_QKV_mfma4_kernelIDF16_DF16_LN4vllm18Fp8KVCacheDataTypeE0EhLi32ELi128ELi256ELb0ELi4EEvPKT_PKT0_S7_ifPKiS9_S9_iPKfiiiPfSC_PS2_PT2_iSB_SB_.num_vgpr, max(3, .L__assert_fail.num_vgpr)
	.set _Z38paged_attention_ll4mi_QKV_mfma4_kernelIDF16_DF16_LN4vllm18Fp8KVCacheDataTypeE0EhLi32ELi128ELi256ELb0ELi4EEvPKT_PKT0_S7_ifPKiS9_S9_iPKfiiiPfSC_PS2_PT2_iSB_SB_.num_agpr, max(0, .L__assert_fail.num_agpr)
	.set _Z38paged_attention_ll4mi_QKV_mfma4_kernelIDF16_DF16_LN4vllm18Fp8KVCacheDataTypeE0EhLi32ELi128ELi256ELb0ELi4EEvPKT_PKT0_S7_ifPKiS9_S9_iPKfiiiPfSC_PS2_PT2_iSB_SB_.numbered_sgpr, max(33, .L__assert_fail.numbered_sgpr)
	.set _Z38paged_attention_ll4mi_QKV_mfma4_kernelIDF16_DF16_LN4vllm18Fp8KVCacheDataTypeE0EhLi32ELi128ELi256ELb0ELi4EEvPKT_PKT0_S7_ifPKiS9_S9_iPKfiiiPfSC_PS2_PT2_iSB_SB_.num_named_barrier, max(0, .L__assert_fail.num_named_barrier)
	.set _Z38paged_attention_ll4mi_QKV_mfma4_kernelIDF16_DF16_LN4vllm18Fp8KVCacheDataTypeE0EhLi32ELi128ELi256ELb0ELi4EEvPKT_PKT0_S7_ifPKiS9_S9_iPKfiiiPfSC_PS2_PT2_iSB_SB_.private_seg_size, 0+max(.L__assert_fail.private_seg_size)
	.set _Z38paged_attention_ll4mi_QKV_mfma4_kernelIDF16_DF16_LN4vllm18Fp8KVCacheDataTypeE0EhLi32ELi128ELi256ELb0ELi4EEvPKT_PKT0_S7_ifPKiS9_S9_iPKfiiiPfSC_PS2_PT2_iSB_SB_.uses_vcc, or(1, .L__assert_fail.uses_vcc)
	.set _Z38paged_attention_ll4mi_QKV_mfma4_kernelIDF16_DF16_LN4vllm18Fp8KVCacheDataTypeE0EhLi32ELi128ELi256ELb0ELi4EEvPKT_PKT0_S7_ifPKiS9_S9_iPKfiiiPfSC_PS2_PT2_iSB_SB_.uses_flat_scratch, or(0, .L__assert_fail.uses_flat_scratch)
	.set _Z38paged_attention_ll4mi_QKV_mfma4_kernelIDF16_DF16_LN4vllm18Fp8KVCacheDataTypeE0EhLi32ELi128ELi256ELb0ELi4EEvPKT_PKT0_S7_ifPKiS9_S9_iPKfiiiPfSC_PS2_PT2_iSB_SB_.has_dyn_sized_stack, or(0, .L__assert_fail.has_dyn_sized_stack)
	.set _Z38paged_attention_ll4mi_QKV_mfma4_kernelIDF16_DF16_LN4vllm18Fp8KVCacheDataTypeE0EhLi32ELi128ELi256ELb0ELi4EEvPKT_PKT0_S7_ifPKiS9_S9_iPKfiiiPfSC_PS2_PT2_iSB_SB_.has_recursion, or(0, .L__assert_fail.has_recursion)
	.set _Z38paged_attention_ll4mi_QKV_mfma4_kernelIDF16_DF16_LN4vllm18Fp8KVCacheDataTypeE0EhLi32ELi128ELi256ELb0ELi4EEvPKT_PKT0_S7_ifPKiS9_S9_iPKfiiiPfSC_PS2_PT2_iSB_SB_.has_indirect_call, or(0, .L__assert_fail.has_indirect_call)
	.section	.AMDGPU.csdata,"",@progbits
; Kernel info:
; codeLenInByte = 68
; TotalNumSgprs: 36
; NumVgprs: 51
; ScratchSize: 64
; MemoryBound: 0
; FloatMode: 240
; IeeeMode: 1
; LDSByteSize: 0 bytes/workgroup (compile time only)
; SGPRBlocks: 0
; VGPRBlocks: 3
; NumSGPRsForWavesPerEU: 36
; NumVGPRsForWavesPerEU: 51
; NamedBarCnt: 0
; Occupancy: 16
; WaveLimiterHint : 1
; COMPUTE_PGM_RSRC2:SCRATCH_EN: 1
; COMPUTE_PGM_RSRC2:USER_SGPR: 2
; COMPUTE_PGM_RSRC2:TRAP_HANDLER: 0
; COMPUTE_PGM_RSRC2:TGID_X_EN: 1
; COMPUTE_PGM_RSRC2:TGID_Y_EN: 0
; COMPUTE_PGM_RSRC2:TGID_Z_EN: 0
; COMPUTE_PGM_RSRC2:TIDIG_COMP_CNT: 0
	.section	.text._Z39paged_attention_ll4mi_QKV_mfma16_kernelIDF16_DF16_LN4vllm18Fp8KVCacheDataTypeE0EhLi32ELi128ELi256ELb0ELi5EEvPKT_PKT0_S7_ifPKiS9_S9_iPKfiiiPfSC_PS2_PT2_iSB_SB_,"axG",@progbits,_Z39paged_attention_ll4mi_QKV_mfma16_kernelIDF16_DF16_LN4vllm18Fp8KVCacheDataTypeE0EhLi32ELi128ELi256ELb0ELi5EEvPKT_PKT0_S7_ifPKiS9_S9_iPKfiiiPfSC_PS2_PT2_iSB_SB_,comdat
	.protected	_Z39paged_attention_ll4mi_QKV_mfma16_kernelIDF16_DF16_LN4vllm18Fp8KVCacheDataTypeE0EhLi32ELi128ELi256ELb0ELi5EEvPKT_PKT0_S7_ifPKiS9_S9_iPKfiiiPfSC_PS2_PT2_iSB_SB_ ; -- Begin function _Z39paged_attention_ll4mi_QKV_mfma16_kernelIDF16_DF16_LN4vllm18Fp8KVCacheDataTypeE0EhLi32ELi128ELi256ELb0ELi5EEvPKT_PKT0_S7_ifPKiS9_S9_iPKfiiiPfSC_PS2_PT2_iSB_SB_
	.globl	_Z39paged_attention_ll4mi_QKV_mfma16_kernelIDF16_DF16_LN4vllm18Fp8KVCacheDataTypeE0EhLi32ELi128ELi256ELb0ELi5EEvPKT_PKT0_S7_ifPKiS9_S9_iPKfiiiPfSC_PS2_PT2_iSB_SB_
	.p2align	8
	.type	_Z39paged_attention_ll4mi_QKV_mfma16_kernelIDF16_DF16_LN4vllm18Fp8KVCacheDataTypeE0EhLi32ELi128ELi256ELb0ELi5EEvPKT_PKT0_S7_ifPKiS9_S9_iPKfiiiPfSC_PS2_PT2_iSB_SB_,@function
_Z39paged_attention_ll4mi_QKV_mfma16_kernelIDF16_DF16_LN4vllm18Fp8KVCacheDataTypeE0EhLi32ELi128ELi256ELb0ELi5EEvPKT_PKT0_S7_ifPKiS9_S9_iPKfiiiPfSC_PS2_PT2_iSB_SB_: ; @_Z39paged_attention_ll4mi_QKV_mfma16_kernelIDF16_DF16_LN4vllm18Fp8KVCacheDataTypeE0EhLi32ELi128ELi256ELb0ELi5EEvPKT_PKT0_S7_ifPKiS9_S9_iPKfiiiPfSC_PS2_PT2_iSB_SB_
; %bb.0:
	s_get_pc_i64 s[2:3]
	s_add_nc_u64 s[2:3], s[2:3], __PRETTY_FUNCTION__._Z39paged_attention_ll4mi_QKV_mfma16_kernelIDF16_DF16_LN4vllm18Fp8KVCacheDataTypeE0EhLi32ELi128ELi256ELb0ELi5EEvPKT_PKT0_S7_ifPKiS9_S9_iPKfiiiPfSC_PS2_PT2_iSB_SB_@rel64+4
	s_delay_alu instid0(SALU_CYCLE_1)
	v_dual_mov_b32 v0, 0xbb3 :: v_dual_mov_b32 v1, s2
	v_mov_b32_e32 v2, s3
	s_add_nc_u64 s[8:9], s[0:1], 0x90
	s_get_pc_i64 s[0:1]
	s_add_nc_u64 s[0:1], s[0:1], __assert_fail@rel64+4
	s_mov_b32 s32, 0
	s_swap_pc_i64 s[30:31], s[0:1]
	.section	.rodata,"a",@progbits
	.p2align	6, 0x0
	.amdhsa_kernel _Z39paged_attention_ll4mi_QKV_mfma16_kernelIDF16_DF16_LN4vllm18Fp8KVCacheDataTypeE0EhLi32ELi128ELi256ELb0ELi5EEvPKT_PKT0_S7_ifPKiS9_S9_iPKfiiiPfSC_PS2_PT2_iSB_SB_
		.amdhsa_group_segment_fixed_size 0
		.amdhsa_private_segment_fixed_size 64
		.amdhsa_kernarg_size 400
		.amdhsa_user_sgpr_count 2
		.amdhsa_user_sgpr_dispatch_ptr 0
		.amdhsa_user_sgpr_queue_ptr 0
		.amdhsa_user_sgpr_kernarg_segment_ptr 1
		.amdhsa_user_sgpr_dispatch_id 0
		.amdhsa_user_sgpr_kernarg_preload_length 0
		.amdhsa_user_sgpr_kernarg_preload_offset 0
		.amdhsa_user_sgpr_private_segment_size 0
		.amdhsa_wavefront_size32 1
		.amdhsa_uses_dynamic_stack 0
		.amdhsa_enable_private_segment 1
		.amdhsa_system_sgpr_workgroup_id_x 1
		.amdhsa_system_sgpr_workgroup_id_y 0
		.amdhsa_system_sgpr_workgroup_id_z 0
		.amdhsa_system_sgpr_workgroup_info 0
		.amdhsa_system_vgpr_workitem_id 0
		.amdhsa_next_free_vgpr 51
		.amdhsa_next_free_sgpr 34
		.amdhsa_named_barrier_count 0
		.amdhsa_reserve_vcc 1
		.amdhsa_float_round_mode_32 0
		.amdhsa_float_round_mode_16_64 0
		.amdhsa_float_denorm_mode_32 3
		.amdhsa_float_denorm_mode_16_64 3
		.amdhsa_fp16_overflow 0
		.amdhsa_memory_ordered 1
		.amdhsa_forward_progress 1
		.amdhsa_inst_pref_size 1
		.amdhsa_round_robin_scheduling 0
		.amdhsa_exception_fp_ieee_invalid_op 0
		.amdhsa_exception_fp_denorm_src 0
		.amdhsa_exception_fp_ieee_div_zero 0
		.amdhsa_exception_fp_ieee_overflow 0
		.amdhsa_exception_fp_ieee_underflow 0
		.amdhsa_exception_fp_ieee_inexact 0
		.amdhsa_exception_int_div_zero 0
	.end_amdhsa_kernel
	.section	.text._Z39paged_attention_ll4mi_QKV_mfma16_kernelIDF16_DF16_LN4vllm18Fp8KVCacheDataTypeE0EhLi32ELi128ELi256ELb0ELi5EEvPKT_PKT0_S7_ifPKiS9_S9_iPKfiiiPfSC_PS2_PT2_iSB_SB_,"axG",@progbits,_Z39paged_attention_ll4mi_QKV_mfma16_kernelIDF16_DF16_LN4vllm18Fp8KVCacheDataTypeE0EhLi32ELi128ELi256ELb0ELi5EEvPKT_PKT0_S7_ifPKiS9_S9_iPKfiiiPfSC_PS2_PT2_iSB_SB_,comdat
.Lfunc_end330:
	.size	_Z39paged_attention_ll4mi_QKV_mfma16_kernelIDF16_DF16_LN4vllm18Fp8KVCacheDataTypeE0EhLi32ELi128ELi256ELb0ELi5EEvPKT_PKT0_S7_ifPKiS9_S9_iPKfiiiPfSC_PS2_PT2_iSB_SB_, .Lfunc_end330-_Z39paged_attention_ll4mi_QKV_mfma16_kernelIDF16_DF16_LN4vllm18Fp8KVCacheDataTypeE0EhLi32ELi128ELi256ELb0ELi5EEvPKT_PKT0_S7_ifPKiS9_S9_iPKfiiiPfSC_PS2_PT2_iSB_SB_
                                        ; -- End function
	.set _Z39paged_attention_ll4mi_QKV_mfma16_kernelIDF16_DF16_LN4vllm18Fp8KVCacheDataTypeE0EhLi32ELi128ELi256ELb0ELi5EEvPKT_PKT0_S7_ifPKiS9_S9_iPKfiiiPfSC_PS2_PT2_iSB_SB_.num_vgpr, max(3, .L__assert_fail.num_vgpr)
	.set _Z39paged_attention_ll4mi_QKV_mfma16_kernelIDF16_DF16_LN4vllm18Fp8KVCacheDataTypeE0EhLi32ELi128ELi256ELb0ELi5EEvPKT_PKT0_S7_ifPKiS9_S9_iPKfiiiPfSC_PS2_PT2_iSB_SB_.num_agpr, max(0, .L__assert_fail.num_agpr)
	.set _Z39paged_attention_ll4mi_QKV_mfma16_kernelIDF16_DF16_LN4vllm18Fp8KVCacheDataTypeE0EhLi32ELi128ELi256ELb0ELi5EEvPKT_PKT0_S7_ifPKiS9_S9_iPKfiiiPfSC_PS2_PT2_iSB_SB_.numbered_sgpr, max(33, .L__assert_fail.numbered_sgpr)
	.set _Z39paged_attention_ll4mi_QKV_mfma16_kernelIDF16_DF16_LN4vllm18Fp8KVCacheDataTypeE0EhLi32ELi128ELi256ELb0ELi5EEvPKT_PKT0_S7_ifPKiS9_S9_iPKfiiiPfSC_PS2_PT2_iSB_SB_.num_named_barrier, max(0, .L__assert_fail.num_named_barrier)
	.set _Z39paged_attention_ll4mi_QKV_mfma16_kernelIDF16_DF16_LN4vllm18Fp8KVCacheDataTypeE0EhLi32ELi128ELi256ELb0ELi5EEvPKT_PKT0_S7_ifPKiS9_S9_iPKfiiiPfSC_PS2_PT2_iSB_SB_.private_seg_size, 0+max(.L__assert_fail.private_seg_size)
	.set _Z39paged_attention_ll4mi_QKV_mfma16_kernelIDF16_DF16_LN4vllm18Fp8KVCacheDataTypeE0EhLi32ELi128ELi256ELb0ELi5EEvPKT_PKT0_S7_ifPKiS9_S9_iPKfiiiPfSC_PS2_PT2_iSB_SB_.uses_vcc, or(1, .L__assert_fail.uses_vcc)
	.set _Z39paged_attention_ll4mi_QKV_mfma16_kernelIDF16_DF16_LN4vllm18Fp8KVCacheDataTypeE0EhLi32ELi128ELi256ELb0ELi5EEvPKT_PKT0_S7_ifPKiS9_S9_iPKfiiiPfSC_PS2_PT2_iSB_SB_.uses_flat_scratch, or(0, .L__assert_fail.uses_flat_scratch)
	.set _Z39paged_attention_ll4mi_QKV_mfma16_kernelIDF16_DF16_LN4vllm18Fp8KVCacheDataTypeE0EhLi32ELi128ELi256ELb0ELi5EEvPKT_PKT0_S7_ifPKiS9_S9_iPKfiiiPfSC_PS2_PT2_iSB_SB_.has_dyn_sized_stack, or(0, .L__assert_fail.has_dyn_sized_stack)
	.set _Z39paged_attention_ll4mi_QKV_mfma16_kernelIDF16_DF16_LN4vllm18Fp8KVCacheDataTypeE0EhLi32ELi128ELi256ELb0ELi5EEvPKT_PKT0_S7_ifPKiS9_S9_iPKfiiiPfSC_PS2_PT2_iSB_SB_.has_recursion, or(0, .L__assert_fail.has_recursion)
	.set _Z39paged_attention_ll4mi_QKV_mfma16_kernelIDF16_DF16_LN4vllm18Fp8KVCacheDataTypeE0EhLi32ELi128ELi256ELb0ELi5EEvPKT_PKT0_S7_ifPKiS9_S9_iPKfiiiPfSC_PS2_PT2_iSB_SB_.has_indirect_call, or(0, .L__assert_fail.has_indirect_call)
	.section	.AMDGPU.csdata,"",@progbits
; Kernel info:
; codeLenInByte = 68
; TotalNumSgprs: 36
; NumVgprs: 51
; ScratchSize: 64
; MemoryBound: 0
; FloatMode: 240
; IeeeMode: 1
; LDSByteSize: 0 bytes/workgroup (compile time only)
; SGPRBlocks: 0
; VGPRBlocks: 3
; NumSGPRsForWavesPerEU: 36
; NumVGPRsForWavesPerEU: 51
; NamedBarCnt: 0
; Occupancy: 16
; WaveLimiterHint : 1
; COMPUTE_PGM_RSRC2:SCRATCH_EN: 1
; COMPUTE_PGM_RSRC2:USER_SGPR: 2
; COMPUTE_PGM_RSRC2:TRAP_HANDLER: 0
; COMPUTE_PGM_RSRC2:TGID_X_EN: 1
; COMPUTE_PGM_RSRC2:TGID_Y_EN: 0
; COMPUTE_PGM_RSRC2:TGID_Z_EN: 0
; COMPUTE_PGM_RSRC2:TIDIG_COMP_CNT: 0
	.section	.text._Z39paged_attention_ll4mi_QKV_mfma16_kernelIDF16_DF16_LN4vllm18Fp8KVCacheDataTypeE0EhLi32ELi128ELi256ELb0ELi6EEvPKT_PKT0_S7_ifPKiS9_S9_iPKfiiiPfSC_PS2_PT2_iSB_SB_,"axG",@progbits,_Z39paged_attention_ll4mi_QKV_mfma16_kernelIDF16_DF16_LN4vllm18Fp8KVCacheDataTypeE0EhLi32ELi128ELi256ELb0ELi6EEvPKT_PKT0_S7_ifPKiS9_S9_iPKfiiiPfSC_PS2_PT2_iSB_SB_,comdat
	.protected	_Z39paged_attention_ll4mi_QKV_mfma16_kernelIDF16_DF16_LN4vllm18Fp8KVCacheDataTypeE0EhLi32ELi128ELi256ELb0ELi6EEvPKT_PKT0_S7_ifPKiS9_S9_iPKfiiiPfSC_PS2_PT2_iSB_SB_ ; -- Begin function _Z39paged_attention_ll4mi_QKV_mfma16_kernelIDF16_DF16_LN4vllm18Fp8KVCacheDataTypeE0EhLi32ELi128ELi256ELb0ELi6EEvPKT_PKT0_S7_ifPKiS9_S9_iPKfiiiPfSC_PS2_PT2_iSB_SB_
	.globl	_Z39paged_attention_ll4mi_QKV_mfma16_kernelIDF16_DF16_LN4vllm18Fp8KVCacheDataTypeE0EhLi32ELi128ELi256ELb0ELi6EEvPKT_PKT0_S7_ifPKiS9_S9_iPKfiiiPfSC_PS2_PT2_iSB_SB_
	.p2align	8
	.type	_Z39paged_attention_ll4mi_QKV_mfma16_kernelIDF16_DF16_LN4vllm18Fp8KVCacheDataTypeE0EhLi32ELi128ELi256ELb0ELi6EEvPKT_PKT0_S7_ifPKiS9_S9_iPKfiiiPfSC_PS2_PT2_iSB_SB_,@function
_Z39paged_attention_ll4mi_QKV_mfma16_kernelIDF16_DF16_LN4vllm18Fp8KVCacheDataTypeE0EhLi32ELi128ELi256ELb0ELi6EEvPKT_PKT0_S7_ifPKiS9_S9_iPKfiiiPfSC_PS2_PT2_iSB_SB_: ; @_Z39paged_attention_ll4mi_QKV_mfma16_kernelIDF16_DF16_LN4vllm18Fp8KVCacheDataTypeE0EhLi32ELi128ELi256ELb0ELi6EEvPKT_PKT0_S7_ifPKiS9_S9_iPKfiiiPfSC_PS2_PT2_iSB_SB_
; %bb.0:
	s_get_pc_i64 s[2:3]
	s_add_nc_u64 s[2:3], s[2:3], __PRETTY_FUNCTION__._Z39paged_attention_ll4mi_QKV_mfma16_kernelIDF16_DF16_LN4vllm18Fp8KVCacheDataTypeE0EhLi32ELi128ELi256ELb0ELi6EEvPKT_PKT0_S7_ifPKiS9_S9_iPKfiiiPfSC_PS2_PT2_iSB_SB_@rel64+4
	s_delay_alu instid0(SALU_CYCLE_1)
	v_dual_mov_b32 v0, 0xbb3 :: v_dual_mov_b32 v1, s2
	v_mov_b32_e32 v2, s3
	s_add_nc_u64 s[8:9], s[0:1], 0x90
	s_get_pc_i64 s[0:1]
	s_add_nc_u64 s[0:1], s[0:1], __assert_fail@rel64+4
	s_mov_b32 s32, 0
	s_swap_pc_i64 s[30:31], s[0:1]
	.section	.rodata,"a",@progbits
	.p2align	6, 0x0
	.amdhsa_kernel _Z39paged_attention_ll4mi_QKV_mfma16_kernelIDF16_DF16_LN4vllm18Fp8KVCacheDataTypeE0EhLi32ELi128ELi256ELb0ELi6EEvPKT_PKT0_S7_ifPKiS9_S9_iPKfiiiPfSC_PS2_PT2_iSB_SB_
		.amdhsa_group_segment_fixed_size 0
		.amdhsa_private_segment_fixed_size 64
		.amdhsa_kernarg_size 400
		.amdhsa_user_sgpr_count 2
		.amdhsa_user_sgpr_dispatch_ptr 0
		.amdhsa_user_sgpr_queue_ptr 0
		.amdhsa_user_sgpr_kernarg_segment_ptr 1
		.amdhsa_user_sgpr_dispatch_id 0
		.amdhsa_user_sgpr_kernarg_preload_length 0
		.amdhsa_user_sgpr_kernarg_preload_offset 0
		.amdhsa_user_sgpr_private_segment_size 0
		.amdhsa_wavefront_size32 1
		.amdhsa_uses_dynamic_stack 0
		.amdhsa_enable_private_segment 1
		.amdhsa_system_sgpr_workgroup_id_x 1
		.amdhsa_system_sgpr_workgroup_id_y 0
		.amdhsa_system_sgpr_workgroup_id_z 0
		.amdhsa_system_sgpr_workgroup_info 0
		.amdhsa_system_vgpr_workitem_id 0
		.amdhsa_next_free_vgpr 51
		.amdhsa_next_free_sgpr 34
		.amdhsa_named_barrier_count 0
		.amdhsa_reserve_vcc 1
		.amdhsa_float_round_mode_32 0
		.amdhsa_float_round_mode_16_64 0
		.amdhsa_float_denorm_mode_32 3
		.amdhsa_float_denorm_mode_16_64 3
		.amdhsa_fp16_overflow 0
		.amdhsa_memory_ordered 1
		.amdhsa_forward_progress 1
		.amdhsa_inst_pref_size 1
		.amdhsa_round_robin_scheduling 0
		.amdhsa_exception_fp_ieee_invalid_op 0
		.amdhsa_exception_fp_denorm_src 0
		.amdhsa_exception_fp_ieee_div_zero 0
		.amdhsa_exception_fp_ieee_overflow 0
		.amdhsa_exception_fp_ieee_underflow 0
		.amdhsa_exception_fp_ieee_inexact 0
		.amdhsa_exception_int_div_zero 0
	.end_amdhsa_kernel
	.section	.text._Z39paged_attention_ll4mi_QKV_mfma16_kernelIDF16_DF16_LN4vllm18Fp8KVCacheDataTypeE0EhLi32ELi128ELi256ELb0ELi6EEvPKT_PKT0_S7_ifPKiS9_S9_iPKfiiiPfSC_PS2_PT2_iSB_SB_,"axG",@progbits,_Z39paged_attention_ll4mi_QKV_mfma16_kernelIDF16_DF16_LN4vllm18Fp8KVCacheDataTypeE0EhLi32ELi128ELi256ELb0ELi6EEvPKT_PKT0_S7_ifPKiS9_S9_iPKfiiiPfSC_PS2_PT2_iSB_SB_,comdat
.Lfunc_end331:
	.size	_Z39paged_attention_ll4mi_QKV_mfma16_kernelIDF16_DF16_LN4vllm18Fp8KVCacheDataTypeE0EhLi32ELi128ELi256ELb0ELi6EEvPKT_PKT0_S7_ifPKiS9_S9_iPKfiiiPfSC_PS2_PT2_iSB_SB_, .Lfunc_end331-_Z39paged_attention_ll4mi_QKV_mfma16_kernelIDF16_DF16_LN4vllm18Fp8KVCacheDataTypeE0EhLi32ELi128ELi256ELb0ELi6EEvPKT_PKT0_S7_ifPKiS9_S9_iPKfiiiPfSC_PS2_PT2_iSB_SB_
                                        ; -- End function
	.set _Z39paged_attention_ll4mi_QKV_mfma16_kernelIDF16_DF16_LN4vllm18Fp8KVCacheDataTypeE0EhLi32ELi128ELi256ELb0ELi6EEvPKT_PKT0_S7_ifPKiS9_S9_iPKfiiiPfSC_PS2_PT2_iSB_SB_.num_vgpr, max(3, .L__assert_fail.num_vgpr)
	.set _Z39paged_attention_ll4mi_QKV_mfma16_kernelIDF16_DF16_LN4vllm18Fp8KVCacheDataTypeE0EhLi32ELi128ELi256ELb0ELi6EEvPKT_PKT0_S7_ifPKiS9_S9_iPKfiiiPfSC_PS2_PT2_iSB_SB_.num_agpr, max(0, .L__assert_fail.num_agpr)
	.set _Z39paged_attention_ll4mi_QKV_mfma16_kernelIDF16_DF16_LN4vllm18Fp8KVCacheDataTypeE0EhLi32ELi128ELi256ELb0ELi6EEvPKT_PKT0_S7_ifPKiS9_S9_iPKfiiiPfSC_PS2_PT2_iSB_SB_.numbered_sgpr, max(33, .L__assert_fail.numbered_sgpr)
	.set _Z39paged_attention_ll4mi_QKV_mfma16_kernelIDF16_DF16_LN4vllm18Fp8KVCacheDataTypeE0EhLi32ELi128ELi256ELb0ELi6EEvPKT_PKT0_S7_ifPKiS9_S9_iPKfiiiPfSC_PS2_PT2_iSB_SB_.num_named_barrier, max(0, .L__assert_fail.num_named_barrier)
	.set _Z39paged_attention_ll4mi_QKV_mfma16_kernelIDF16_DF16_LN4vllm18Fp8KVCacheDataTypeE0EhLi32ELi128ELi256ELb0ELi6EEvPKT_PKT0_S7_ifPKiS9_S9_iPKfiiiPfSC_PS2_PT2_iSB_SB_.private_seg_size, 0+max(.L__assert_fail.private_seg_size)
	.set _Z39paged_attention_ll4mi_QKV_mfma16_kernelIDF16_DF16_LN4vllm18Fp8KVCacheDataTypeE0EhLi32ELi128ELi256ELb0ELi6EEvPKT_PKT0_S7_ifPKiS9_S9_iPKfiiiPfSC_PS2_PT2_iSB_SB_.uses_vcc, or(1, .L__assert_fail.uses_vcc)
	.set _Z39paged_attention_ll4mi_QKV_mfma16_kernelIDF16_DF16_LN4vllm18Fp8KVCacheDataTypeE0EhLi32ELi128ELi256ELb0ELi6EEvPKT_PKT0_S7_ifPKiS9_S9_iPKfiiiPfSC_PS2_PT2_iSB_SB_.uses_flat_scratch, or(0, .L__assert_fail.uses_flat_scratch)
	.set _Z39paged_attention_ll4mi_QKV_mfma16_kernelIDF16_DF16_LN4vllm18Fp8KVCacheDataTypeE0EhLi32ELi128ELi256ELb0ELi6EEvPKT_PKT0_S7_ifPKiS9_S9_iPKfiiiPfSC_PS2_PT2_iSB_SB_.has_dyn_sized_stack, or(0, .L__assert_fail.has_dyn_sized_stack)
	.set _Z39paged_attention_ll4mi_QKV_mfma16_kernelIDF16_DF16_LN4vllm18Fp8KVCacheDataTypeE0EhLi32ELi128ELi256ELb0ELi6EEvPKT_PKT0_S7_ifPKiS9_S9_iPKfiiiPfSC_PS2_PT2_iSB_SB_.has_recursion, or(0, .L__assert_fail.has_recursion)
	.set _Z39paged_attention_ll4mi_QKV_mfma16_kernelIDF16_DF16_LN4vllm18Fp8KVCacheDataTypeE0EhLi32ELi128ELi256ELb0ELi6EEvPKT_PKT0_S7_ifPKiS9_S9_iPKfiiiPfSC_PS2_PT2_iSB_SB_.has_indirect_call, or(0, .L__assert_fail.has_indirect_call)
	.section	.AMDGPU.csdata,"",@progbits
; Kernel info:
; codeLenInByte = 68
; TotalNumSgprs: 36
; NumVgprs: 51
; ScratchSize: 64
; MemoryBound: 0
; FloatMode: 240
; IeeeMode: 1
; LDSByteSize: 0 bytes/workgroup (compile time only)
; SGPRBlocks: 0
; VGPRBlocks: 3
; NumSGPRsForWavesPerEU: 36
; NumVGPRsForWavesPerEU: 51
; NamedBarCnt: 0
; Occupancy: 16
; WaveLimiterHint : 1
; COMPUTE_PGM_RSRC2:SCRATCH_EN: 1
; COMPUTE_PGM_RSRC2:USER_SGPR: 2
; COMPUTE_PGM_RSRC2:TRAP_HANDLER: 0
; COMPUTE_PGM_RSRC2:TGID_X_EN: 1
; COMPUTE_PGM_RSRC2:TGID_Y_EN: 0
; COMPUTE_PGM_RSRC2:TGID_Z_EN: 0
; COMPUTE_PGM_RSRC2:TIDIG_COMP_CNT: 0
	.section	.text._Z39paged_attention_ll4mi_QKV_mfma16_kernelIDF16_DF16_LN4vllm18Fp8KVCacheDataTypeE0EhLi32ELi128ELi256ELb0ELi7EEvPKT_PKT0_S7_ifPKiS9_S9_iPKfiiiPfSC_PS2_PT2_iSB_SB_,"axG",@progbits,_Z39paged_attention_ll4mi_QKV_mfma16_kernelIDF16_DF16_LN4vllm18Fp8KVCacheDataTypeE0EhLi32ELi128ELi256ELb0ELi7EEvPKT_PKT0_S7_ifPKiS9_S9_iPKfiiiPfSC_PS2_PT2_iSB_SB_,comdat
	.protected	_Z39paged_attention_ll4mi_QKV_mfma16_kernelIDF16_DF16_LN4vllm18Fp8KVCacheDataTypeE0EhLi32ELi128ELi256ELb0ELi7EEvPKT_PKT0_S7_ifPKiS9_S9_iPKfiiiPfSC_PS2_PT2_iSB_SB_ ; -- Begin function _Z39paged_attention_ll4mi_QKV_mfma16_kernelIDF16_DF16_LN4vllm18Fp8KVCacheDataTypeE0EhLi32ELi128ELi256ELb0ELi7EEvPKT_PKT0_S7_ifPKiS9_S9_iPKfiiiPfSC_PS2_PT2_iSB_SB_
	.globl	_Z39paged_attention_ll4mi_QKV_mfma16_kernelIDF16_DF16_LN4vllm18Fp8KVCacheDataTypeE0EhLi32ELi128ELi256ELb0ELi7EEvPKT_PKT0_S7_ifPKiS9_S9_iPKfiiiPfSC_PS2_PT2_iSB_SB_
	.p2align	8
	.type	_Z39paged_attention_ll4mi_QKV_mfma16_kernelIDF16_DF16_LN4vllm18Fp8KVCacheDataTypeE0EhLi32ELi128ELi256ELb0ELi7EEvPKT_PKT0_S7_ifPKiS9_S9_iPKfiiiPfSC_PS2_PT2_iSB_SB_,@function
_Z39paged_attention_ll4mi_QKV_mfma16_kernelIDF16_DF16_LN4vllm18Fp8KVCacheDataTypeE0EhLi32ELi128ELi256ELb0ELi7EEvPKT_PKT0_S7_ifPKiS9_S9_iPKfiiiPfSC_PS2_PT2_iSB_SB_: ; @_Z39paged_attention_ll4mi_QKV_mfma16_kernelIDF16_DF16_LN4vllm18Fp8KVCacheDataTypeE0EhLi32ELi128ELi256ELb0ELi7EEvPKT_PKT0_S7_ifPKiS9_S9_iPKfiiiPfSC_PS2_PT2_iSB_SB_
; %bb.0:
	s_get_pc_i64 s[2:3]
	s_add_nc_u64 s[2:3], s[2:3], __PRETTY_FUNCTION__._Z39paged_attention_ll4mi_QKV_mfma16_kernelIDF16_DF16_LN4vllm18Fp8KVCacheDataTypeE0EhLi32ELi128ELi256ELb0ELi7EEvPKT_PKT0_S7_ifPKiS9_S9_iPKfiiiPfSC_PS2_PT2_iSB_SB_@rel64+4
	s_delay_alu instid0(SALU_CYCLE_1)
	v_dual_mov_b32 v0, 0xbb3 :: v_dual_mov_b32 v1, s2
	v_mov_b32_e32 v2, s3
	s_add_nc_u64 s[8:9], s[0:1], 0x90
	s_get_pc_i64 s[0:1]
	s_add_nc_u64 s[0:1], s[0:1], __assert_fail@rel64+4
	s_mov_b32 s32, 0
	s_swap_pc_i64 s[30:31], s[0:1]
	.section	.rodata,"a",@progbits
	.p2align	6, 0x0
	.amdhsa_kernel _Z39paged_attention_ll4mi_QKV_mfma16_kernelIDF16_DF16_LN4vllm18Fp8KVCacheDataTypeE0EhLi32ELi128ELi256ELb0ELi7EEvPKT_PKT0_S7_ifPKiS9_S9_iPKfiiiPfSC_PS2_PT2_iSB_SB_
		.amdhsa_group_segment_fixed_size 0
		.amdhsa_private_segment_fixed_size 64
		.amdhsa_kernarg_size 400
		.amdhsa_user_sgpr_count 2
		.amdhsa_user_sgpr_dispatch_ptr 0
		.amdhsa_user_sgpr_queue_ptr 0
		.amdhsa_user_sgpr_kernarg_segment_ptr 1
		.amdhsa_user_sgpr_dispatch_id 0
		.amdhsa_user_sgpr_kernarg_preload_length 0
		.amdhsa_user_sgpr_kernarg_preload_offset 0
		.amdhsa_user_sgpr_private_segment_size 0
		.amdhsa_wavefront_size32 1
		.amdhsa_uses_dynamic_stack 0
		.amdhsa_enable_private_segment 1
		.amdhsa_system_sgpr_workgroup_id_x 1
		.amdhsa_system_sgpr_workgroup_id_y 0
		.amdhsa_system_sgpr_workgroup_id_z 0
		.amdhsa_system_sgpr_workgroup_info 0
		.amdhsa_system_vgpr_workitem_id 0
		.amdhsa_next_free_vgpr 51
		.amdhsa_next_free_sgpr 34
		.amdhsa_named_barrier_count 0
		.amdhsa_reserve_vcc 1
		.amdhsa_float_round_mode_32 0
		.amdhsa_float_round_mode_16_64 0
		.amdhsa_float_denorm_mode_32 3
		.amdhsa_float_denorm_mode_16_64 3
		.amdhsa_fp16_overflow 0
		.amdhsa_memory_ordered 1
		.amdhsa_forward_progress 1
		.amdhsa_inst_pref_size 1
		.amdhsa_round_robin_scheduling 0
		.amdhsa_exception_fp_ieee_invalid_op 0
		.amdhsa_exception_fp_denorm_src 0
		.amdhsa_exception_fp_ieee_div_zero 0
		.amdhsa_exception_fp_ieee_overflow 0
		.amdhsa_exception_fp_ieee_underflow 0
		.amdhsa_exception_fp_ieee_inexact 0
		.amdhsa_exception_int_div_zero 0
	.end_amdhsa_kernel
	.section	.text._Z39paged_attention_ll4mi_QKV_mfma16_kernelIDF16_DF16_LN4vllm18Fp8KVCacheDataTypeE0EhLi32ELi128ELi256ELb0ELi7EEvPKT_PKT0_S7_ifPKiS9_S9_iPKfiiiPfSC_PS2_PT2_iSB_SB_,"axG",@progbits,_Z39paged_attention_ll4mi_QKV_mfma16_kernelIDF16_DF16_LN4vllm18Fp8KVCacheDataTypeE0EhLi32ELi128ELi256ELb0ELi7EEvPKT_PKT0_S7_ifPKiS9_S9_iPKfiiiPfSC_PS2_PT2_iSB_SB_,comdat
.Lfunc_end332:
	.size	_Z39paged_attention_ll4mi_QKV_mfma16_kernelIDF16_DF16_LN4vllm18Fp8KVCacheDataTypeE0EhLi32ELi128ELi256ELb0ELi7EEvPKT_PKT0_S7_ifPKiS9_S9_iPKfiiiPfSC_PS2_PT2_iSB_SB_, .Lfunc_end332-_Z39paged_attention_ll4mi_QKV_mfma16_kernelIDF16_DF16_LN4vllm18Fp8KVCacheDataTypeE0EhLi32ELi128ELi256ELb0ELi7EEvPKT_PKT0_S7_ifPKiS9_S9_iPKfiiiPfSC_PS2_PT2_iSB_SB_
                                        ; -- End function
	.set _Z39paged_attention_ll4mi_QKV_mfma16_kernelIDF16_DF16_LN4vllm18Fp8KVCacheDataTypeE0EhLi32ELi128ELi256ELb0ELi7EEvPKT_PKT0_S7_ifPKiS9_S9_iPKfiiiPfSC_PS2_PT2_iSB_SB_.num_vgpr, max(3, .L__assert_fail.num_vgpr)
	.set _Z39paged_attention_ll4mi_QKV_mfma16_kernelIDF16_DF16_LN4vllm18Fp8KVCacheDataTypeE0EhLi32ELi128ELi256ELb0ELi7EEvPKT_PKT0_S7_ifPKiS9_S9_iPKfiiiPfSC_PS2_PT2_iSB_SB_.num_agpr, max(0, .L__assert_fail.num_agpr)
	.set _Z39paged_attention_ll4mi_QKV_mfma16_kernelIDF16_DF16_LN4vllm18Fp8KVCacheDataTypeE0EhLi32ELi128ELi256ELb0ELi7EEvPKT_PKT0_S7_ifPKiS9_S9_iPKfiiiPfSC_PS2_PT2_iSB_SB_.numbered_sgpr, max(33, .L__assert_fail.numbered_sgpr)
	.set _Z39paged_attention_ll4mi_QKV_mfma16_kernelIDF16_DF16_LN4vllm18Fp8KVCacheDataTypeE0EhLi32ELi128ELi256ELb0ELi7EEvPKT_PKT0_S7_ifPKiS9_S9_iPKfiiiPfSC_PS2_PT2_iSB_SB_.num_named_barrier, max(0, .L__assert_fail.num_named_barrier)
	.set _Z39paged_attention_ll4mi_QKV_mfma16_kernelIDF16_DF16_LN4vllm18Fp8KVCacheDataTypeE0EhLi32ELi128ELi256ELb0ELi7EEvPKT_PKT0_S7_ifPKiS9_S9_iPKfiiiPfSC_PS2_PT2_iSB_SB_.private_seg_size, 0+max(.L__assert_fail.private_seg_size)
	.set _Z39paged_attention_ll4mi_QKV_mfma16_kernelIDF16_DF16_LN4vllm18Fp8KVCacheDataTypeE0EhLi32ELi128ELi256ELb0ELi7EEvPKT_PKT0_S7_ifPKiS9_S9_iPKfiiiPfSC_PS2_PT2_iSB_SB_.uses_vcc, or(1, .L__assert_fail.uses_vcc)
	.set _Z39paged_attention_ll4mi_QKV_mfma16_kernelIDF16_DF16_LN4vllm18Fp8KVCacheDataTypeE0EhLi32ELi128ELi256ELb0ELi7EEvPKT_PKT0_S7_ifPKiS9_S9_iPKfiiiPfSC_PS2_PT2_iSB_SB_.uses_flat_scratch, or(0, .L__assert_fail.uses_flat_scratch)
	.set _Z39paged_attention_ll4mi_QKV_mfma16_kernelIDF16_DF16_LN4vllm18Fp8KVCacheDataTypeE0EhLi32ELi128ELi256ELb0ELi7EEvPKT_PKT0_S7_ifPKiS9_S9_iPKfiiiPfSC_PS2_PT2_iSB_SB_.has_dyn_sized_stack, or(0, .L__assert_fail.has_dyn_sized_stack)
	.set _Z39paged_attention_ll4mi_QKV_mfma16_kernelIDF16_DF16_LN4vllm18Fp8KVCacheDataTypeE0EhLi32ELi128ELi256ELb0ELi7EEvPKT_PKT0_S7_ifPKiS9_S9_iPKfiiiPfSC_PS2_PT2_iSB_SB_.has_recursion, or(0, .L__assert_fail.has_recursion)
	.set _Z39paged_attention_ll4mi_QKV_mfma16_kernelIDF16_DF16_LN4vllm18Fp8KVCacheDataTypeE0EhLi32ELi128ELi256ELb0ELi7EEvPKT_PKT0_S7_ifPKiS9_S9_iPKfiiiPfSC_PS2_PT2_iSB_SB_.has_indirect_call, or(0, .L__assert_fail.has_indirect_call)
	.section	.AMDGPU.csdata,"",@progbits
; Kernel info:
; codeLenInByte = 68
; TotalNumSgprs: 36
; NumVgprs: 51
; ScratchSize: 64
; MemoryBound: 0
; FloatMode: 240
; IeeeMode: 1
; LDSByteSize: 0 bytes/workgroup (compile time only)
; SGPRBlocks: 0
; VGPRBlocks: 3
; NumSGPRsForWavesPerEU: 36
; NumVGPRsForWavesPerEU: 51
; NamedBarCnt: 0
; Occupancy: 16
; WaveLimiterHint : 1
; COMPUTE_PGM_RSRC2:SCRATCH_EN: 1
; COMPUTE_PGM_RSRC2:USER_SGPR: 2
; COMPUTE_PGM_RSRC2:TRAP_HANDLER: 0
; COMPUTE_PGM_RSRC2:TGID_X_EN: 1
; COMPUTE_PGM_RSRC2:TGID_Y_EN: 0
; COMPUTE_PGM_RSRC2:TGID_Z_EN: 0
; COMPUTE_PGM_RSRC2:TIDIG_COMP_CNT: 0
	.section	.text._Z39paged_attention_ll4mi_QKV_mfma16_kernelIDF16_DF16_LN4vllm18Fp8KVCacheDataTypeE0EhLi32ELi128ELi256ELb0ELi8EEvPKT_PKT0_S7_ifPKiS9_S9_iPKfiiiPfSC_PS2_PT2_iSB_SB_,"axG",@progbits,_Z39paged_attention_ll4mi_QKV_mfma16_kernelIDF16_DF16_LN4vllm18Fp8KVCacheDataTypeE0EhLi32ELi128ELi256ELb0ELi8EEvPKT_PKT0_S7_ifPKiS9_S9_iPKfiiiPfSC_PS2_PT2_iSB_SB_,comdat
	.protected	_Z39paged_attention_ll4mi_QKV_mfma16_kernelIDF16_DF16_LN4vllm18Fp8KVCacheDataTypeE0EhLi32ELi128ELi256ELb0ELi8EEvPKT_PKT0_S7_ifPKiS9_S9_iPKfiiiPfSC_PS2_PT2_iSB_SB_ ; -- Begin function _Z39paged_attention_ll4mi_QKV_mfma16_kernelIDF16_DF16_LN4vllm18Fp8KVCacheDataTypeE0EhLi32ELi128ELi256ELb0ELi8EEvPKT_PKT0_S7_ifPKiS9_S9_iPKfiiiPfSC_PS2_PT2_iSB_SB_
	.globl	_Z39paged_attention_ll4mi_QKV_mfma16_kernelIDF16_DF16_LN4vllm18Fp8KVCacheDataTypeE0EhLi32ELi128ELi256ELb0ELi8EEvPKT_PKT0_S7_ifPKiS9_S9_iPKfiiiPfSC_PS2_PT2_iSB_SB_
	.p2align	8
	.type	_Z39paged_attention_ll4mi_QKV_mfma16_kernelIDF16_DF16_LN4vllm18Fp8KVCacheDataTypeE0EhLi32ELi128ELi256ELb0ELi8EEvPKT_PKT0_S7_ifPKiS9_S9_iPKfiiiPfSC_PS2_PT2_iSB_SB_,@function
_Z39paged_attention_ll4mi_QKV_mfma16_kernelIDF16_DF16_LN4vllm18Fp8KVCacheDataTypeE0EhLi32ELi128ELi256ELb0ELi8EEvPKT_PKT0_S7_ifPKiS9_S9_iPKfiiiPfSC_PS2_PT2_iSB_SB_: ; @_Z39paged_attention_ll4mi_QKV_mfma16_kernelIDF16_DF16_LN4vllm18Fp8KVCacheDataTypeE0EhLi32ELi128ELi256ELb0ELi8EEvPKT_PKT0_S7_ifPKiS9_S9_iPKfiiiPfSC_PS2_PT2_iSB_SB_
; %bb.0:
	s_get_pc_i64 s[2:3]
	s_add_nc_u64 s[2:3], s[2:3], __PRETTY_FUNCTION__._Z39paged_attention_ll4mi_QKV_mfma16_kernelIDF16_DF16_LN4vllm18Fp8KVCacheDataTypeE0EhLi32ELi128ELi256ELb0ELi8EEvPKT_PKT0_S7_ifPKiS9_S9_iPKfiiiPfSC_PS2_PT2_iSB_SB_@rel64+4
	s_delay_alu instid0(SALU_CYCLE_1)
	v_dual_mov_b32 v0, 0xbb3 :: v_dual_mov_b32 v1, s2
	v_mov_b32_e32 v2, s3
	s_add_nc_u64 s[8:9], s[0:1], 0x90
	s_get_pc_i64 s[0:1]
	s_add_nc_u64 s[0:1], s[0:1], __assert_fail@rel64+4
	s_mov_b32 s32, 0
	s_swap_pc_i64 s[30:31], s[0:1]
	.section	.rodata,"a",@progbits
	.p2align	6, 0x0
	.amdhsa_kernel _Z39paged_attention_ll4mi_QKV_mfma16_kernelIDF16_DF16_LN4vllm18Fp8KVCacheDataTypeE0EhLi32ELi128ELi256ELb0ELi8EEvPKT_PKT0_S7_ifPKiS9_S9_iPKfiiiPfSC_PS2_PT2_iSB_SB_
		.amdhsa_group_segment_fixed_size 0
		.amdhsa_private_segment_fixed_size 64
		.amdhsa_kernarg_size 400
		.amdhsa_user_sgpr_count 2
		.amdhsa_user_sgpr_dispatch_ptr 0
		.amdhsa_user_sgpr_queue_ptr 0
		.amdhsa_user_sgpr_kernarg_segment_ptr 1
		.amdhsa_user_sgpr_dispatch_id 0
		.amdhsa_user_sgpr_kernarg_preload_length 0
		.amdhsa_user_sgpr_kernarg_preload_offset 0
		.amdhsa_user_sgpr_private_segment_size 0
		.amdhsa_wavefront_size32 1
		.amdhsa_uses_dynamic_stack 0
		.amdhsa_enable_private_segment 1
		.amdhsa_system_sgpr_workgroup_id_x 1
		.amdhsa_system_sgpr_workgroup_id_y 0
		.amdhsa_system_sgpr_workgroup_id_z 0
		.amdhsa_system_sgpr_workgroup_info 0
		.amdhsa_system_vgpr_workitem_id 0
		.amdhsa_next_free_vgpr 51
		.amdhsa_next_free_sgpr 34
		.amdhsa_named_barrier_count 0
		.amdhsa_reserve_vcc 1
		.amdhsa_float_round_mode_32 0
		.amdhsa_float_round_mode_16_64 0
		.amdhsa_float_denorm_mode_32 3
		.amdhsa_float_denorm_mode_16_64 3
		.amdhsa_fp16_overflow 0
		.amdhsa_memory_ordered 1
		.amdhsa_forward_progress 1
		.amdhsa_inst_pref_size 1
		.amdhsa_round_robin_scheduling 0
		.amdhsa_exception_fp_ieee_invalid_op 0
		.amdhsa_exception_fp_denorm_src 0
		.amdhsa_exception_fp_ieee_div_zero 0
		.amdhsa_exception_fp_ieee_overflow 0
		.amdhsa_exception_fp_ieee_underflow 0
		.amdhsa_exception_fp_ieee_inexact 0
		.amdhsa_exception_int_div_zero 0
	.end_amdhsa_kernel
	.section	.text._Z39paged_attention_ll4mi_QKV_mfma16_kernelIDF16_DF16_LN4vllm18Fp8KVCacheDataTypeE0EhLi32ELi128ELi256ELb0ELi8EEvPKT_PKT0_S7_ifPKiS9_S9_iPKfiiiPfSC_PS2_PT2_iSB_SB_,"axG",@progbits,_Z39paged_attention_ll4mi_QKV_mfma16_kernelIDF16_DF16_LN4vllm18Fp8KVCacheDataTypeE0EhLi32ELi128ELi256ELb0ELi8EEvPKT_PKT0_S7_ifPKiS9_S9_iPKfiiiPfSC_PS2_PT2_iSB_SB_,comdat
.Lfunc_end333:
	.size	_Z39paged_attention_ll4mi_QKV_mfma16_kernelIDF16_DF16_LN4vllm18Fp8KVCacheDataTypeE0EhLi32ELi128ELi256ELb0ELi8EEvPKT_PKT0_S7_ifPKiS9_S9_iPKfiiiPfSC_PS2_PT2_iSB_SB_, .Lfunc_end333-_Z39paged_attention_ll4mi_QKV_mfma16_kernelIDF16_DF16_LN4vllm18Fp8KVCacheDataTypeE0EhLi32ELi128ELi256ELb0ELi8EEvPKT_PKT0_S7_ifPKiS9_S9_iPKfiiiPfSC_PS2_PT2_iSB_SB_
                                        ; -- End function
	.set _Z39paged_attention_ll4mi_QKV_mfma16_kernelIDF16_DF16_LN4vllm18Fp8KVCacheDataTypeE0EhLi32ELi128ELi256ELb0ELi8EEvPKT_PKT0_S7_ifPKiS9_S9_iPKfiiiPfSC_PS2_PT2_iSB_SB_.num_vgpr, max(3, .L__assert_fail.num_vgpr)
	.set _Z39paged_attention_ll4mi_QKV_mfma16_kernelIDF16_DF16_LN4vllm18Fp8KVCacheDataTypeE0EhLi32ELi128ELi256ELb0ELi8EEvPKT_PKT0_S7_ifPKiS9_S9_iPKfiiiPfSC_PS2_PT2_iSB_SB_.num_agpr, max(0, .L__assert_fail.num_agpr)
	.set _Z39paged_attention_ll4mi_QKV_mfma16_kernelIDF16_DF16_LN4vllm18Fp8KVCacheDataTypeE0EhLi32ELi128ELi256ELb0ELi8EEvPKT_PKT0_S7_ifPKiS9_S9_iPKfiiiPfSC_PS2_PT2_iSB_SB_.numbered_sgpr, max(33, .L__assert_fail.numbered_sgpr)
	.set _Z39paged_attention_ll4mi_QKV_mfma16_kernelIDF16_DF16_LN4vllm18Fp8KVCacheDataTypeE0EhLi32ELi128ELi256ELb0ELi8EEvPKT_PKT0_S7_ifPKiS9_S9_iPKfiiiPfSC_PS2_PT2_iSB_SB_.num_named_barrier, max(0, .L__assert_fail.num_named_barrier)
	.set _Z39paged_attention_ll4mi_QKV_mfma16_kernelIDF16_DF16_LN4vllm18Fp8KVCacheDataTypeE0EhLi32ELi128ELi256ELb0ELi8EEvPKT_PKT0_S7_ifPKiS9_S9_iPKfiiiPfSC_PS2_PT2_iSB_SB_.private_seg_size, 0+max(.L__assert_fail.private_seg_size)
	.set _Z39paged_attention_ll4mi_QKV_mfma16_kernelIDF16_DF16_LN4vllm18Fp8KVCacheDataTypeE0EhLi32ELi128ELi256ELb0ELi8EEvPKT_PKT0_S7_ifPKiS9_S9_iPKfiiiPfSC_PS2_PT2_iSB_SB_.uses_vcc, or(1, .L__assert_fail.uses_vcc)
	.set _Z39paged_attention_ll4mi_QKV_mfma16_kernelIDF16_DF16_LN4vllm18Fp8KVCacheDataTypeE0EhLi32ELi128ELi256ELb0ELi8EEvPKT_PKT0_S7_ifPKiS9_S9_iPKfiiiPfSC_PS2_PT2_iSB_SB_.uses_flat_scratch, or(0, .L__assert_fail.uses_flat_scratch)
	.set _Z39paged_attention_ll4mi_QKV_mfma16_kernelIDF16_DF16_LN4vllm18Fp8KVCacheDataTypeE0EhLi32ELi128ELi256ELb0ELi8EEvPKT_PKT0_S7_ifPKiS9_S9_iPKfiiiPfSC_PS2_PT2_iSB_SB_.has_dyn_sized_stack, or(0, .L__assert_fail.has_dyn_sized_stack)
	.set _Z39paged_attention_ll4mi_QKV_mfma16_kernelIDF16_DF16_LN4vllm18Fp8KVCacheDataTypeE0EhLi32ELi128ELi256ELb0ELi8EEvPKT_PKT0_S7_ifPKiS9_S9_iPKfiiiPfSC_PS2_PT2_iSB_SB_.has_recursion, or(0, .L__assert_fail.has_recursion)
	.set _Z39paged_attention_ll4mi_QKV_mfma16_kernelIDF16_DF16_LN4vllm18Fp8KVCacheDataTypeE0EhLi32ELi128ELi256ELb0ELi8EEvPKT_PKT0_S7_ifPKiS9_S9_iPKfiiiPfSC_PS2_PT2_iSB_SB_.has_indirect_call, or(0, .L__assert_fail.has_indirect_call)
	.section	.AMDGPU.csdata,"",@progbits
; Kernel info:
; codeLenInByte = 68
; TotalNumSgprs: 36
; NumVgprs: 51
; ScratchSize: 64
; MemoryBound: 0
; FloatMode: 240
; IeeeMode: 1
; LDSByteSize: 0 bytes/workgroup (compile time only)
; SGPRBlocks: 0
; VGPRBlocks: 3
; NumSGPRsForWavesPerEU: 36
; NumVGPRsForWavesPerEU: 51
; NamedBarCnt: 0
; Occupancy: 16
; WaveLimiterHint : 1
; COMPUTE_PGM_RSRC2:SCRATCH_EN: 1
; COMPUTE_PGM_RSRC2:USER_SGPR: 2
; COMPUTE_PGM_RSRC2:TRAP_HANDLER: 0
; COMPUTE_PGM_RSRC2:TGID_X_EN: 1
; COMPUTE_PGM_RSRC2:TGID_Y_EN: 0
; COMPUTE_PGM_RSRC2:TGID_Z_EN: 0
; COMPUTE_PGM_RSRC2:TIDIG_COMP_CNT: 0
	.section	.text._Z39paged_attention_ll4mi_QKV_mfma16_kernelIDF16_DF16_LN4vllm18Fp8KVCacheDataTypeE0EhLi32ELi128ELi256ELb0ELi9EEvPKT_PKT0_S7_ifPKiS9_S9_iPKfiiiPfSC_PS2_PT2_iSB_SB_,"axG",@progbits,_Z39paged_attention_ll4mi_QKV_mfma16_kernelIDF16_DF16_LN4vllm18Fp8KVCacheDataTypeE0EhLi32ELi128ELi256ELb0ELi9EEvPKT_PKT0_S7_ifPKiS9_S9_iPKfiiiPfSC_PS2_PT2_iSB_SB_,comdat
	.protected	_Z39paged_attention_ll4mi_QKV_mfma16_kernelIDF16_DF16_LN4vllm18Fp8KVCacheDataTypeE0EhLi32ELi128ELi256ELb0ELi9EEvPKT_PKT0_S7_ifPKiS9_S9_iPKfiiiPfSC_PS2_PT2_iSB_SB_ ; -- Begin function _Z39paged_attention_ll4mi_QKV_mfma16_kernelIDF16_DF16_LN4vllm18Fp8KVCacheDataTypeE0EhLi32ELi128ELi256ELb0ELi9EEvPKT_PKT0_S7_ifPKiS9_S9_iPKfiiiPfSC_PS2_PT2_iSB_SB_
	.globl	_Z39paged_attention_ll4mi_QKV_mfma16_kernelIDF16_DF16_LN4vllm18Fp8KVCacheDataTypeE0EhLi32ELi128ELi256ELb0ELi9EEvPKT_PKT0_S7_ifPKiS9_S9_iPKfiiiPfSC_PS2_PT2_iSB_SB_
	.p2align	8
	.type	_Z39paged_attention_ll4mi_QKV_mfma16_kernelIDF16_DF16_LN4vllm18Fp8KVCacheDataTypeE0EhLi32ELi128ELi256ELb0ELi9EEvPKT_PKT0_S7_ifPKiS9_S9_iPKfiiiPfSC_PS2_PT2_iSB_SB_,@function
_Z39paged_attention_ll4mi_QKV_mfma16_kernelIDF16_DF16_LN4vllm18Fp8KVCacheDataTypeE0EhLi32ELi128ELi256ELb0ELi9EEvPKT_PKT0_S7_ifPKiS9_S9_iPKfiiiPfSC_PS2_PT2_iSB_SB_: ; @_Z39paged_attention_ll4mi_QKV_mfma16_kernelIDF16_DF16_LN4vllm18Fp8KVCacheDataTypeE0EhLi32ELi128ELi256ELb0ELi9EEvPKT_PKT0_S7_ifPKiS9_S9_iPKfiiiPfSC_PS2_PT2_iSB_SB_
; %bb.0:
	s_get_pc_i64 s[2:3]
	s_add_nc_u64 s[2:3], s[2:3], __PRETTY_FUNCTION__._Z39paged_attention_ll4mi_QKV_mfma16_kernelIDF16_DF16_LN4vllm18Fp8KVCacheDataTypeE0EhLi32ELi128ELi256ELb0ELi9EEvPKT_PKT0_S7_ifPKiS9_S9_iPKfiiiPfSC_PS2_PT2_iSB_SB_@rel64+4
	s_delay_alu instid0(SALU_CYCLE_1)
	v_dual_mov_b32 v0, 0xbb3 :: v_dual_mov_b32 v1, s2
	v_mov_b32_e32 v2, s3
	s_add_nc_u64 s[8:9], s[0:1], 0x90
	s_get_pc_i64 s[0:1]
	s_add_nc_u64 s[0:1], s[0:1], __assert_fail@rel64+4
	s_mov_b32 s32, 0
	s_swap_pc_i64 s[30:31], s[0:1]
	.section	.rodata,"a",@progbits
	.p2align	6, 0x0
	.amdhsa_kernel _Z39paged_attention_ll4mi_QKV_mfma16_kernelIDF16_DF16_LN4vllm18Fp8KVCacheDataTypeE0EhLi32ELi128ELi256ELb0ELi9EEvPKT_PKT0_S7_ifPKiS9_S9_iPKfiiiPfSC_PS2_PT2_iSB_SB_
		.amdhsa_group_segment_fixed_size 0
		.amdhsa_private_segment_fixed_size 64
		.amdhsa_kernarg_size 400
		.amdhsa_user_sgpr_count 2
		.amdhsa_user_sgpr_dispatch_ptr 0
		.amdhsa_user_sgpr_queue_ptr 0
		.amdhsa_user_sgpr_kernarg_segment_ptr 1
		.amdhsa_user_sgpr_dispatch_id 0
		.amdhsa_user_sgpr_kernarg_preload_length 0
		.amdhsa_user_sgpr_kernarg_preload_offset 0
		.amdhsa_user_sgpr_private_segment_size 0
		.amdhsa_wavefront_size32 1
		.amdhsa_uses_dynamic_stack 0
		.amdhsa_enable_private_segment 1
		.amdhsa_system_sgpr_workgroup_id_x 1
		.amdhsa_system_sgpr_workgroup_id_y 0
		.amdhsa_system_sgpr_workgroup_id_z 0
		.amdhsa_system_sgpr_workgroup_info 0
		.amdhsa_system_vgpr_workitem_id 0
		.amdhsa_next_free_vgpr 51
		.amdhsa_next_free_sgpr 34
		.amdhsa_named_barrier_count 0
		.amdhsa_reserve_vcc 1
		.amdhsa_float_round_mode_32 0
		.amdhsa_float_round_mode_16_64 0
		.amdhsa_float_denorm_mode_32 3
		.amdhsa_float_denorm_mode_16_64 3
		.amdhsa_fp16_overflow 0
		.amdhsa_memory_ordered 1
		.amdhsa_forward_progress 1
		.amdhsa_inst_pref_size 1
		.amdhsa_round_robin_scheduling 0
		.amdhsa_exception_fp_ieee_invalid_op 0
		.amdhsa_exception_fp_denorm_src 0
		.amdhsa_exception_fp_ieee_div_zero 0
		.amdhsa_exception_fp_ieee_overflow 0
		.amdhsa_exception_fp_ieee_underflow 0
		.amdhsa_exception_fp_ieee_inexact 0
		.amdhsa_exception_int_div_zero 0
	.end_amdhsa_kernel
	.section	.text._Z39paged_attention_ll4mi_QKV_mfma16_kernelIDF16_DF16_LN4vllm18Fp8KVCacheDataTypeE0EhLi32ELi128ELi256ELb0ELi9EEvPKT_PKT0_S7_ifPKiS9_S9_iPKfiiiPfSC_PS2_PT2_iSB_SB_,"axG",@progbits,_Z39paged_attention_ll4mi_QKV_mfma16_kernelIDF16_DF16_LN4vllm18Fp8KVCacheDataTypeE0EhLi32ELi128ELi256ELb0ELi9EEvPKT_PKT0_S7_ifPKiS9_S9_iPKfiiiPfSC_PS2_PT2_iSB_SB_,comdat
.Lfunc_end334:
	.size	_Z39paged_attention_ll4mi_QKV_mfma16_kernelIDF16_DF16_LN4vllm18Fp8KVCacheDataTypeE0EhLi32ELi128ELi256ELb0ELi9EEvPKT_PKT0_S7_ifPKiS9_S9_iPKfiiiPfSC_PS2_PT2_iSB_SB_, .Lfunc_end334-_Z39paged_attention_ll4mi_QKV_mfma16_kernelIDF16_DF16_LN4vllm18Fp8KVCacheDataTypeE0EhLi32ELi128ELi256ELb0ELi9EEvPKT_PKT0_S7_ifPKiS9_S9_iPKfiiiPfSC_PS2_PT2_iSB_SB_
                                        ; -- End function
	.set _Z39paged_attention_ll4mi_QKV_mfma16_kernelIDF16_DF16_LN4vllm18Fp8KVCacheDataTypeE0EhLi32ELi128ELi256ELb0ELi9EEvPKT_PKT0_S7_ifPKiS9_S9_iPKfiiiPfSC_PS2_PT2_iSB_SB_.num_vgpr, max(3, .L__assert_fail.num_vgpr)
	.set _Z39paged_attention_ll4mi_QKV_mfma16_kernelIDF16_DF16_LN4vllm18Fp8KVCacheDataTypeE0EhLi32ELi128ELi256ELb0ELi9EEvPKT_PKT0_S7_ifPKiS9_S9_iPKfiiiPfSC_PS2_PT2_iSB_SB_.num_agpr, max(0, .L__assert_fail.num_agpr)
	.set _Z39paged_attention_ll4mi_QKV_mfma16_kernelIDF16_DF16_LN4vllm18Fp8KVCacheDataTypeE0EhLi32ELi128ELi256ELb0ELi9EEvPKT_PKT0_S7_ifPKiS9_S9_iPKfiiiPfSC_PS2_PT2_iSB_SB_.numbered_sgpr, max(33, .L__assert_fail.numbered_sgpr)
	.set _Z39paged_attention_ll4mi_QKV_mfma16_kernelIDF16_DF16_LN4vllm18Fp8KVCacheDataTypeE0EhLi32ELi128ELi256ELb0ELi9EEvPKT_PKT0_S7_ifPKiS9_S9_iPKfiiiPfSC_PS2_PT2_iSB_SB_.num_named_barrier, max(0, .L__assert_fail.num_named_barrier)
	.set _Z39paged_attention_ll4mi_QKV_mfma16_kernelIDF16_DF16_LN4vllm18Fp8KVCacheDataTypeE0EhLi32ELi128ELi256ELb0ELi9EEvPKT_PKT0_S7_ifPKiS9_S9_iPKfiiiPfSC_PS2_PT2_iSB_SB_.private_seg_size, 0+max(.L__assert_fail.private_seg_size)
	.set _Z39paged_attention_ll4mi_QKV_mfma16_kernelIDF16_DF16_LN4vllm18Fp8KVCacheDataTypeE0EhLi32ELi128ELi256ELb0ELi9EEvPKT_PKT0_S7_ifPKiS9_S9_iPKfiiiPfSC_PS2_PT2_iSB_SB_.uses_vcc, or(1, .L__assert_fail.uses_vcc)
	.set _Z39paged_attention_ll4mi_QKV_mfma16_kernelIDF16_DF16_LN4vllm18Fp8KVCacheDataTypeE0EhLi32ELi128ELi256ELb0ELi9EEvPKT_PKT0_S7_ifPKiS9_S9_iPKfiiiPfSC_PS2_PT2_iSB_SB_.uses_flat_scratch, or(0, .L__assert_fail.uses_flat_scratch)
	.set _Z39paged_attention_ll4mi_QKV_mfma16_kernelIDF16_DF16_LN4vllm18Fp8KVCacheDataTypeE0EhLi32ELi128ELi256ELb0ELi9EEvPKT_PKT0_S7_ifPKiS9_S9_iPKfiiiPfSC_PS2_PT2_iSB_SB_.has_dyn_sized_stack, or(0, .L__assert_fail.has_dyn_sized_stack)
	.set _Z39paged_attention_ll4mi_QKV_mfma16_kernelIDF16_DF16_LN4vllm18Fp8KVCacheDataTypeE0EhLi32ELi128ELi256ELb0ELi9EEvPKT_PKT0_S7_ifPKiS9_S9_iPKfiiiPfSC_PS2_PT2_iSB_SB_.has_recursion, or(0, .L__assert_fail.has_recursion)
	.set _Z39paged_attention_ll4mi_QKV_mfma16_kernelIDF16_DF16_LN4vllm18Fp8KVCacheDataTypeE0EhLi32ELi128ELi256ELb0ELi9EEvPKT_PKT0_S7_ifPKiS9_S9_iPKfiiiPfSC_PS2_PT2_iSB_SB_.has_indirect_call, or(0, .L__assert_fail.has_indirect_call)
	.section	.AMDGPU.csdata,"",@progbits
; Kernel info:
; codeLenInByte = 68
; TotalNumSgprs: 36
; NumVgprs: 51
; ScratchSize: 64
; MemoryBound: 0
; FloatMode: 240
; IeeeMode: 1
; LDSByteSize: 0 bytes/workgroup (compile time only)
; SGPRBlocks: 0
; VGPRBlocks: 3
; NumSGPRsForWavesPerEU: 36
; NumVGPRsForWavesPerEU: 51
; NamedBarCnt: 0
; Occupancy: 16
; WaveLimiterHint : 1
; COMPUTE_PGM_RSRC2:SCRATCH_EN: 1
; COMPUTE_PGM_RSRC2:USER_SGPR: 2
; COMPUTE_PGM_RSRC2:TRAP_HANDLER: 0
; COMPUTE_PGM_RSRC2:TGID_X_EN: 1
; COMPUTE_PGM_RSRC2:TGID_Y_EN: 0
; COMPUTE_PGM_RSRC2:TGID_Z_EN: 0
; COMPUTE_PGM_RSRC2:TIDIG_COMP_CNT: 0
	.section	.text._Z39paged_attention_ll4mi_QKV_mfma16_kernelIDF16_DF16_LN4vllm18Fp8KVCacheDataTypeE0EhLi32ELi128ELi256ELb0ELi10EEvPKT_PKT0_S7_ifPKiS9_S9_iPKfiiiPfSC_PS2_PT2_iSB_SB_,"axG",@progbits,_Z39paged_attention_ll4mi_QKV_mfma16_kernelIDF16_DF16_LN4vllm18Fp8KVCacheDataTypeE0EhLi32ELi128ELi256ELb0ELi10EEvPKT_PKT0_S7_ifPKiS9_S9_iPKfiiiPfSC_PS2_PT2_iSB_SB_,comdat
	.protected	_Z39paged_attention_ll4mi_QKV_mfma16_kernelIDF16_DF16_LN4vllm18Fp8KVCacheDataTypeE0EhLi32ELi128ELi256ELb0ELi10EEvPKT_PKT0_S7_ifPKiS9_S9_iPKfiiiPfSC_PS2_PT2_iSB_SB_ ; -- Begin function _Z39paged_attention_ll4mi_QKV_mfma16_kernelIDF16_DF16_LN4vllm18Fp8KVCacheDataTypeE0EhLi32ELi128ELi256ELb0ELi10EEvPKT_PKT0_S7_ifPKiS9_S9_iPKfiiiPfSC_PS2_PT2_iSB_SB_
	.globl	_Z39paged_attention_ll4mi_QKV_mfma16_kernelIDF16_DF16_LN4vllm18Fp8KVCacheDataTypeE0EhLi32ELi128ELi256ELb0ELi10EEvPKT_PKT0_S7_ifPKiS9_S9_iPKfiiiPfSC_PS2_PT2_iSB_SB_
	.p2align	8
	.type	_Z39paged_attention_ll4mi_QKV_mfma16_kernelIDF16_DF16_LN4vllm18Fp8KVCacheDataTypeE0EhLi32ELi128ELi256ELb0ELi10EEvPKT_PKT0_S7_ifPKiS9_S9_iPKfiiiPfSC_PS2_PT2_iSB_SB_,@function
_Z39paged_attention_ll4mi_QKV_mfma16_kernelIDF16_DF16_LN4vllm18Fp8KVCacheDataTypeE0EhLi32ELi128ELi256ELb0ELi10EEvPKT_PKT0_S7_ifPKiS9_S9_iPKfiiiPfSC_PS2_PT2_iSB_SB_: ; @_Z39paged_attention_ll4mi_QKV_mfma16_kernelIDF16_DF16_LN4vllm18Fp8KVCacheDataTypeE0EhLi32ELi128ELi256ELb0ELi10EEvPKT_PKT0_S7_ifPKiS9_S9_iPKfiiiPfSC_PS2_PT2_iSB_SB_
; %bb.0:
	s_get_pc_i64 s[2:3]
	s_add_nc_u64 s[2:3], s[2:3], __PRETTY_FUNCTION__._Z39paged_attention_ll4mi_QKV_mfma16_kernelIDF16_DF16_LN4vllm18Fp8KVCacheDataTypeE0EhLi32ELi128ELi256ELb0ELi10EEvPKT_PKT0_S7_ifPKiS9_S9_iPKfiiiPfSC_PS2_PT2_iSB_SB_@rel64+4
	s_delay_alu instid0(SALU_CYCLE_1)
	v_dual_mov_b32 v0, 0xbb3 :: v_dual_mov_b32 v1, s2
	v_mov_b32_e32 v2, s3
	s_add_nc_u64 s[8:9], s[0:1], 0x90
	s_get_pc_i64 s[0:1]
	s_add_nc_u64 s[0:1], s[0:1], __assert_fail@rel64+4
	s_mov_b32 s32, 0
	s_swap_pc_i64 s[30:31], s[0:1]
	.section	.rodata,"a",@progbits
	.p2align	6, 0x0
	.amdhsa_kernel _Z39paged_attention_ll4mi_QKV_mfma16_kernelIDF16_DF16_LN4vllm18Fp8KVCacheDataTypeE0EhLi32ELi128ELi256ELb0ELi10EEvPKT_PKT0_S7_ifPKiS9_S9_iPKfiiiPfSC_PS2_PT2_iSB_SB_
		.amdhsa_group_segment_fixed_size 0
		.amdhsa_private_segment_fixed_size 64
		.amdhsa_kernarg_size 400
		.amdhsa_user_sgpr_count 2
		.amdhsa_user_sgpr_dispatch_ptr 0
		.amdhsa_user_sgpr_queue_ptr 0
		.amdhsa_user_sgpr_kernarg_segment_ptr 1
		.amdhsa_user_sgpr_dispatch_id 0
		.amdhsa_user_sgpr_kernarg_preload_length 0
		.amdhsa_user_sgpr_kernarg_preload_offset 0
		.amdhsa_user_sgpr_private_segment_size 0
		.amdhsa_wavefront_size32 1
		.amdhsa_uses_dynamic_stack 0
		.amdhsa_enable_private_segment 1
		.amdhsa_system_sgpr_workgroup_id_x 1
		.amdhsa_system_sgpr_workgroup_id_y 0
		.amdhsa_system_sgpr_workgroup_id_z 0
		.amdhsa_system_sgpr_workgroup_info 0
		.amdhsa_system_vgpr_workitem_id 0
		.amdhsa_next_free_vgpr 51
		.amdhsa_next_free_sgpr 34
		.amdhsa_named_barrier_count 0
		.amdhsa_reserve_vcc 1
		.amdhsa_float_round_mode_32 0
		.amdhsa_float_round_mode_16_64 0
		.amdhsa_float_denorm_mode_32 3
		.amdhsa_float_denorm_mode_16_64 3
		.amdhsa_fp16_overflow 0
		.amdhsa_memory_ordered 1
		.amdhsa_forward_progress 1
		.amdhsa_inst_pref_size 1
		.amdhsa_round_robin_scheduling 0
		.amdhsa_exception_fp_ieee_invalid_op 0
		.amdhsa_exception_fp_denorm_src 0
		.amdhsa_exception_fp_ieee_div_zero 0
		.amdhsa_exception_fp_ieee_overflow 0
		.amdhsa_exception_fp_ieee_underflow 0
		.amdhsa_exception_fp_ieee_inexact 0
		.amdhsa_exception_int_div_zero 0
	.end_amdhsa_kernel
	.section	.text._Z39paged_attention_ll4mi_QKV_mfma16_kernelIDF16_DF16_LN4vllm18Fp8KVCacheDataTypeE0EhLi32ELi128ELi256ELb0ELi10EEvPKT_PKT0_S7_ifPKiS9_S9_iPKfiiiPfSC_PS2_PT2_iSB_SB_,"axG",@progbits,_Z39paged_attention_ll4mi_QKV_mfma16_kernelIDF16_DF16_LN4vllm18Fp8KVCacheDataTypeE0EhLi32ELi128ELi256ELb0ELi10EEvPKT_PKT0_S7_ifPKiS9_S9_iPKfiiiPfSC_PS2_PT2_iSB_SB_,comdat
.Lfunc_end335:
	.size	_Z39paged_attention_ll4mi_QKV_mfma16_kernelIDF16_DF16_LN4vllm18Fp8KVCacheDataTypeE0EhLi32ELi128ELi256ELb0ELi10EEvPKT_PKT0_S7_ifPKiS9_S9_iPKfiiiPfSC_PS2_PT2_iSB_SB_, .Lfunc_end335-_Z39paged_attention_ll4mi_QKV_mfma16_kernelIDF16_DF16_LN4vllm18Fp8KVCacheDataTypeE0EhLi32ELi128ELi256ELb0ELi10EEvPKT_PKT0_S7_ifPKiS9_S9_iPKfiiiPfSC_PS2_PT2_iSB_SB_
                                        ; -- End function
	.set _Z39paged_attention_ll4mi_QKV_mfma16_kernelIDF16_DF16_LN4vllm18Fp8KVCacheDataTypeE0EhLi32ELi128ELi256ELb0ELi10EEvPKT_PKT0_S7_ifPKiS9_S9_iPKfiiiPfSC_PS2_PT2_iSB_SB_.num_vgpr, max(3, .L__assert_fail.num_vgpr)
	.set _Z39paged_attention_ll4mi_QKV_mfma16_kernelIDF16_DF16_LN4vllm18Fp8KVCacheDataTypeE0EhLi32ELi128ELi256ELb0ELi10EEvPKT_PKT0_S7_ifPKiS9_S9_iPKfiiiPfSC_PS2_PT2_iSB_SB_.num_agpr, max(0, .L__assert_fail.num_agpr)
	.set _Z39paged_attention_ll4mi_QKV_mfma16_kernelIDF16_DF16_LN4vllm18Fp8KVCacheDataTypeE0EhLi32ELi128ELi256ELb0ELi10EEvPKT_PKT0_S7_ifPKiS9_S9_iPKfiiiPfSC_PS2_PT2_iSB_SB_.numbered_sgpr, max(33, .L__assert_fail.numbered_sgpr)
	.set _Z39paged_attention_ll4mi_QKV_mfma16_kernelIDF16_DF16_LN4vllm18Fp8KVCacheDataTypeE0EhLi32ELi128ELi256ELb0ELi10EEvPKT_PKT0_S7_ifPKiS9_S9_iPKfiiiPfSC_PS2_PT2_iSB_SB_.num_named_barrier, max(0, .L__assert_fail.num_named_barrier)
	.set _Z39paged_attention_ll4mi_QKV_mfma16_kernelIDF16_DF16_LN4vllm18Fp8KVCacheDataTypeE0EhLi32ELi128ELi256ELb0ELi10EEvPKT_PKT0_S7_ifPKiS9_S9_iPKfiiiPfSC_PS2_PT2_iSB_SB_.private_seg_size, 0+max(.L__assert_fail.private_seg_size)
	.set _Z39paged_attention_ll4mi_QKV_mfma16_kernelIDF16_DF16_LN4vllm18Fp8KVCacheDataTypeE0EhLi32ELi128ELi256ELb0ELi10EEvPKT_PKT0_S7_ifPKiS9_S9_iPKfiiiPfSC_PS2_PT2_iSB_SB_.uses_vcc, or(1, .L__assert_fail.uses_vcc)
	.set _Z39paged_attention_ll4mi_QKV_mfma16_kernelIDF16_DF16_LN4vllm18Fp8KVCacheDataTypeE0EhLi32ELi128ELi256ELb0ELi10EEvPKT_PKT0_S7_ifPKiS9_S9_iPKfiiiPfSC_PS2_PT2_iSB_SB_.uses_flat_scratch, or(0, .L__assert_fail.uses_flat_scratch)
	.set _Z39paged_attention_ll4mi_QKV_mfma16_kernelIDF16_DF16_LN4vllm18Fp8KVCacheDataTypeE0EhLi32ELi128ELi256ELb0ELi10EEvPKT_PKT0_S7_ifPKiS9_S9_iPKfiiiPfSC_PS2_PT2_iSB_SB_.has_dyn_sized_stack, or(0, .L__assert_fail.has_dyn_sized_stack)
	.set _Z39paged_attention_ll4mi_QKV_mfma16_kernelIDF16_DF16_LN4vllm18Fp8KVCacheDataTypeE0EhLi32ELi128ELi256ELb0ELi10EEvPKT_PKT0_S7_ifPKiS9_S9_iPKfiiiPfSC_PS2_PT2_iSB_SB_.has_recursion, or(0, .L__assert_fail.has_recursion)
	.set _Z39paged_attention_ll4mi_QKV_mfma16_kernelIDF16_DF16_LN4vllm18Fp8KVCacheDataTypeE0EhLi32ELi128ELi256ELb0ELi10EEvPKT_PKT0_S7_ifPKiS9_S9_iPKfiiiPfSC_PS2_PT2_iSB_SB_.has_indirect_call, or(0, .L__assert_fail.has_indirect_call)
	.section	.AMDGPU.csdata,"",@progbits
; Kernel info:
; codeLenInByte = 68
; TotalNumSgprs: 36
; NumVgprs: 51
; ScratchSize: 64
; MemoryBound: 0
; FloatMode: 240
; IeeeMode: 1
; LDSByteSize: 0 bytes/workgroup (compile time only)
; SGPRBlocks: 0
; VGPRBlocks: 3
; NumSGPRsForWavesPerEU: 36
; NumVGPRsForWavesPerEU: 51
; NamedBarCnt: 0
; Occupancy: 16
; WaveLimiterHint : 1
; COMPUTE_PGM_RSRC2:SCRATCH_EN: 1
; COMPUTE_PGM_RSRC2:USER_SGPR: 2
; COMPUTE_PGM_RSRC2:TRAP_HANDLER: 0
; COMPUTE_PGM_RSRC2:TGID_X_EN: 1
; COMPUTE_PGM_RSRC2:TGID_Y_EN: 0
; COMPUTE_PGM_RSRC2:TGID_Z_EN: 0
; COMPUTE_PGM_RSRC2:TIDIG_COMP_CNT: 0
	.section	.text._Z39paged_attention_ll4mi_QKV_mfma16_kernelIDF16_DF16_LN4vllm18Fp8KVCacheDataTypeE0EhLi32ELi128ELi256ELb0ELi11EEvPKT_PKT0_S7_ifPKiS9_S9_iPKfiiiPfSC_PS2_PT2_iSB_SB_,"axG",@progbits,_Z39paged_attention_ll4mi_QKV_mfma16_kernelIDF16_DF16_LN4vllm18Fp8KVCacheDataTypeE0EhLi32ELi128ELi256ELb0ELi11EEvPKT_PKT0_S7_ifPKiS9_S9_iPKfiiiPfSC_PS2_PT2_iSB_SB_,comdat
	.protected	_Z39paged_attention_ll4mi_QKV_mfma16_kernelIDF16_DF16_LN4vllm18Fp8KVCacheDataTypeE0EhLi32ELi128ELi256ELb0ELi11EEvPKT_PKT0_S7_ifPKiS9_S9_iPKfiiiPfSC_PS2_PT2_iSB_SB_ ; -- Begin function _Z39paged_attention_ll4mi_QKV_mfma16_kernelIDF16_DF16_LN4vllm18Fp8KVCacheDataTypeE0EhLi32ELi128ELi256ELb0ELi11EEvPKT_PKT0_S7_ifPKiS9_S9_iPKfiiiPfSC_PS2_PT2_iSB_SB_
	.globl	_Z39paged_attention_ll4mi_QKV_mfma16_kernelIDF16_DF16_LN4vllm18Fp8KVCacheDataTypeE0EhLi32ELi128ELi256ELb0ELi11EEvPKT_PKT0_S7_ifPKiS9_S9_iPKfiiiPfSC_PS2_PT2_iSB_SB_
	.p2align	8
	.type	_Z39paged_attention_ll4mi_QKV_mfma16_kernelIDF16_DF16_LN4vllm18Fp8KVCacheDataTypeE0EhLi32ELi128ELi256ELb0ELi11EEvPKT_PKT0_S7_ifPKiS9_S9_iPKfiiiPfSC_PS2_PT2_iSB_SB_,@function
_Z39paged_attention_ll4mi_QKV_mfma16_kernelIDF16_DF16_LN4vllm18Fp8KVCacheDataTypeE0EhLi32ELi128ELi256ELb0ELi11EEvPKT_PKT0_S7_ifPKiS9_S9_iPKfiiiPfSC_PS2_PT2_iSB_SB_: ; @_Z39paged_attention_ll4mi_QKV_mfma16_kernelIDF16_DF16_LN4vllm18Fp8KVCacheDataTypeE0EhLi32ELi128ELi256ELb0ELi11EEvPKT_PKT0_S7_ifPKiS9_S9_iPKfiiiPfSC_PS2_PT2_iSB_SB_
; %bb.0:
	s_get_pc_i64 s[2:3]
	s_add_nc_u64 s[2:3], s[2:3], __PRETTY_FUNCTION__._Z39paged_attention_ll4mi_QKV_mfma16_kernelIDF16_DF16_LN4vllm18Fp8KVCacheDataTypeE0EhLi32ELi128ELi256ELb0ELi11EEvPKT_PKT0_S7_ifPKiS9_S9_iPKfiiiPfSC_PS2_PT2_iSB_SB_@rel64+4
	s_delay_alu instid0(SALU_CYCLE_1)
	v_dual_mov_b32 v0, 0xbb3 :: v_dual_mov_b32 v1, s2
	v_mov_b32_e32 v2, s3
	s_add_nc_u64 s[8:9], s[0:1], 0x90
	s_get_pc_i64 s[0:1]
	s_add_nc_u64 s[0:1], s[0:1], __assert_fail@rel64+4
	s_mov_b32 s32, 0
	s_swap_pc_i64 s[30:31], s[0:1]
	.section	.rodata,"a",@progbits
	.p2align	6, 0x0
	.amdhsa_kernel _Z39paged_attention_ll4mi_QKV_mfma16_kernelIDF16_DF16_LN4vllm18Fp8KVCacheDataTypeE0EhLi32ELi128ELi256ELb0ELi11EEvPKT_PKT0_S7_ifPKiS9_S9_iPKfiiiPfSC_PS2_PT2_iSB_SB_
		.amdhsa_group_segment_fixed_size 0
		.amdhsa_private_segment_fixed_size 64
		.amdhsa_kernarg_size 400
		.amdhsa_user_sgpr_count 2
		.amdhsa_user_sgpr_dispatch_ptr 0
		.amdhsa_user_sgpr_queue_ptr 0
		.amdhsa_user_sgpr_kernarg_segment_ptr 1
		.amdhsa_user_sgpr_dispatch_id 0
		.amdhsa_user_sgpr_kernarg_preload_length 0
		.amdhsa_user_sgpr_kernarg_preload_offset 0
		.amdhsa_user_sgpr_private_segment_size 0
		.amdhsa_wavefront_size32 1
		.amdhsa_uses_dynamic_stack 0
		.amdhsa_enable_private_segment 1
		.amdhsa_system_sgpr_workgroup_id_x 1
		.amdhsa_system_sgpr_workgroup_id_y 0
		.amdhsa_system_sgpr_workgroup_id_z 0
		.amdhsa_system_sgpr_workgroup_info 0
		.amdhsa_system_vgpr_workitem_id 0
		.amdhsa_next_free_vgpr 51
		.amdhsa_next_free_sgpr 34
		.amdhsa_named_barrier_count 0
		.amdhsa_reserve_vcc 1
		.amdhsa_float_round_mode_32 0
		.amdhsa_float_round_mode_16_64 0
		.amdhsa_float_denorm_mode_32 3
		.amdhsa_float_denorm_mode_16_64 3
		.amdhsa_fp16_overflow 0
		.amdhsa_memory_ordered 1
		.amdhsa_forward_progress 1
		.amdhsa_inst_pref_size 1
		.amdhsa_round_robin_scheduling 0
		.amdhsa_exception_fp_ieee_invalid_op 0
		.amdhsa_exception_fp_denorm_src 0
		.amdhsa_exception_fp_ieee_div_zero 0
		.amdhsa_exception_fp_ieee_overflow 0
		.amdhsa_exception_fp_ieee_underflow 0
		.amdhsa_exception_fp_ieee_inexact 0
		.amdhsa_exception_int_div_zero 0
	.end_amdhsa_kernel
	.section	.text._Z39paged_attention_ll4mi_QKV_mfma16_kernelIDF16_DF16_LN4vllm18Fp8KVCacheDataTypeE0EhLi32ELi128ELi256ELb0ELi11EEvPKT_PKT0_S7_ifPKiS9_S9_iPKfiiiPfSC_PS2_PT2_iSB_SB_,"axG",@progbits,_Z39paged_attention_ll4mi_QKV_mfma16_kernelIDF16_DF16_LN4vllm18Fp8KVCacheDataTypeE0EhLi32ELi128ELi256ELb0ELi11EEvPKT_PKT0_S7_ifPKiS9_S9_iPKfiiiPfSC_PS2_PT2_iSB_SB_,comdat
.Lfunc_end336:
	.size	_Z39paged_attention_ll4mi_QKV_mfma16_kernelIDF16_DF16_LN4vllm18Fp8KVCacheDataTypeE0EhLi32ELi128ELi256ELb0ELi11EEvPKT_PKT0_S7_ifPKiS9_S9_iPKfiiiPfSC_PS2_PT2_iSB_SB_, .Lfunc_end336-_Z39paged_attention_ll4mi_QKV_mfma16_kernelIDF16_DF16_LN4vllm18Fp8KVCacheDataTypeE0EhLi32ELi128ELi256ELb0ELi11EEvPKT_PKT0_S7_ifPKiS9_S9_iPKfiiiPfSC_PS2_PT2_iSB_SB_
                                        ; -- End function
	.set _Z39paged_attention_ll4mi_QKV_mfma16_kernelIDF16_DF16_LN4vllm18Fp8KVCacheDataTypeE0EhLi32ELi128ELi256ELb0ELi11EEvPKT_PKT0_S7_ifPKiS9_S9_iPKfiiiPfSC_PS2_PT2_iSB_SB_.num_vgpr, max(3, .L__assert_fail.num_vgpr)
	.set _Z39paged_attention_ll4mi_QKV_mfma16_kernelIDF16_DF16_LN4vllm18Fp8KVCacheDataTypeE0EhLi32ELi128ELi256ELb0ELi11EEvPKT_PKT0_S7_ifPKiS9_S9_iPKfiiiPfSC_PS2_PT2_iSB_SB_.num_agpr, max(0, .L__assert_fail.num_agpr)
	.set _Z39paged_attention_ll4mi_QKV_mfma16_kernelIDF16_DF16_LN4vllm18Fp8KVCacheDataTypeE0EhLi32ELi128ELi256ELb0ELi11EEvPKT_PKT0_S7_ifPKiS9_S9_iPKfiiiPfSC_PS2_PT2_iSB_SB_.numbered_sgpr, max(33, .L__assert_fail.numbered_sgpr)
	.set _Z39paged_attention_ll4mi_QKV_mfma16_kernelIDF16_DF16_LN4vllm18Fp8KVCacheDataTypeE0EhLi32ELi128ELi256ELb0ELi11EEvPKT_PKT0_S7_ifPKiS9_S9_iPKfiiiPfSC_PS2_PT2_iSB_SB_.num_named_barrier, max(0, .L__assert_fail.num_named_barrier)
	.set _Z39paged_attention_ll4mi_QKV_mfma16_kernelIDF16_DF16_LN4vllm18Fp8KVCacheDataTypeE0EhLi32ELi128ELi256ELb0ELi11EEvPKT_PKT0_S7_ifPKiS9_S9_iPKfiiiPfSC_PS2_PT2_iSB_SB_.private_seg_size, 0+max(.L__assert_fail.private_seg_size)
	.set _Z39paged_attention_ll4mi_QKV_mfma16_kernelIDF16_DF16_LN4vllm18Fp8KVCacheDataTypeE0EhLi32ELi128ELi256ELb0ELi11EEvPKT_PKT0_S7_ifPKiS9_S9_iPKfiiiPfSC_PS2_PT2_iSB_SB_.uses_vcc, or(1, .L__assert_fail.uses_vcc)
	.set _Z39paged_attention_ll4mi_QKV_mfma16_kernelIDF16_DF16_LN4vllm18Fp8KVCacheDataTypeE0EhLi32ELi128ELi256ELb0ELi11EEvPKT_PKT0_S7_ifPKiS9_S9_iPKfiiiPfSC_PS2_PT2_iSB_SB_.uses_flat_scratch, or(0, .L__assert_fail.uses_flat_scratch)
	.set _Z39paged_attention_ll4mi_QKV_mfma16_kernelIDF16_DF16_LN4vllm18Fp8KVCacheDataTypeE0EhLi32ELi128ELi256ELb0ELi11EEvPKT_PKT0_S7_ifPKiS9_S9_iPKfiiiPfSC_PS2_PT2_iSB_SB_.has_dyn_sized_stack, or(0, .L__assert_fail.has_dyn_sized_stack)
	.set _Z39paged_attention_ll4mi_QKV_mfma16_kernelIDF16_DF16_LN4vllm18Fp8KVCacheDataTypeE0EhLi32ELi128ELi256ELb0ELi11EEvPKT_PKT0_S7_ifPKiS9_S9_iPKfiiiPfSC_PS2_PT2_iSB_SB_.has_recursion, or(0, .L__assert_fail.has_recursion)
	.set _Z39paged_attention_ll4mi_QKV_mfma16_kernelIDF16_DF16_LN4vllm18Fp8KVCacheDataTypeE0EhLi32ELi128ELi256ELb0ELi11EEvPKT_PKT0_S7_ifPKiS9_S9_iPKfiiiPfSC_PS2_PT2_iSB_SB_.has_indirect_call, or(0, .L__assert_fail.has_indirect_call)
	.section	.AMDGPU.csdata,"",@progbits
; Kernel info:
; codeLenInByte = 68
; TotalNumSgprs: 36
; NumVgprs: 51
; ScratchSize: 64
; MemoryBound: 0
; FloatMode: 240
; IeeeMode: 1
; LDSByteSize: 0 bytes/workgroup (compile time only)
; SGPRBlocks: 0
; VGPRBlocks: 3
; NumSGPRsForWavesPerEU: 36
; NumVGPRsForWavesPerEU: 51
; NamedBarCnt: 0
; Occupancy: 16
; WaveLimiterHint : 1
; COMPUTE_PGM_RSRC2:SCRATCH_EN: 1
; COMPUTE_PGM_RSRC2:USER_SGPR: 2
; COMPUTE_PGM_RSRC2:TRAP_HANDLER: 0
; COMPUTE_PGM_RSRC2:TGID_X_EN: 1
; COMPUTE_PGM_RSRC2:TGID_Y_EN: 0
; COMPUTE_PGM_RSRC2:TGID_Z_EN: 0
; COMPUTE_PGM_RSRC2:TIDIG_COMP_CNT: 0
	.section	.text._Z39paged_attention_ll4mi_QKV_mfma16_kernelIDF16_DF16_LN4vllm18Fp8KVCacheDataTypeE0EhLi32ELi128ELi256ELb0ELi12EEvPKT_PKT0_S7_ifPKiS9_S9_iPKfiiiPfSC_PS2_PT2_iSB_SB_,"axG",@progbits,_Z39paged_attention_ll4mi_QKV_mfma16_kernelIDF16_DF16_LN4vllm18Fp8KVCacheDataTypeE0EhLi32ELi128ELi256ELb0ELi12EEvPKT_PKT0_S7_ifPKiS9_S9_iPKfiiiPfSC_PS2_PT2_iSB_SB_,comdat
	.protected	_Z39paged_attention_ll4mi_QKV_mfma16_kernelIDF16_DF16_LN4vllm18Fp8KVCacheDataTypeE0EhLi32ELi128ELi256ELb0ELi12EEvPKT_PKT0_S7_ifPKiS9_S9_iPKfiiiPfSC_PS2_PT2_iSB_SB_ ; -- Begin function _Z39paged_attention_ll4mi_QKV_mfma16_kernelIDF16_DF16_LN4vllm18Fp8KVCacheDataTypeE0EhLi32ELi128ELi256ELb0ELi12EEvPKT_PKT0_S7_ifPKiS9_S9_iPKfiiiPfSC_PS2_PT2_iSB_SB_
	.globl	_Z39paged_attention_ll4mi_QKV_mfma16_kernelIDF16_DF16_LN4vllm18Fp8KVCacheDataTypeE0EhLi32ELi128ELi256ELb0ELi12EEvPKT_PKT0_S7_ifPKiS9_S9_iPKfiiiPfSC_PS2_PT2_iSB_SB_
	.p2align	8
	.type	_Z39paged_attention_ll4mi_QKV_mfma16_kernelIDF16_DF16_LN4vllm18Fp8KVCacheDataTypeE0EhLi32ELi128ELi256ELb0ELi12EEvPKT_PKT0_S7_ifPKiS9_S9_iPKfiiiPfSC_PS2_PT2_iSB_SB_,@function
_Z39paged_attention_ll4mi_QKV_mfma16_kernelIDF16_DF16_LN4vllm18Fp8KVCacheDataTypeE0EhLi32ELi128ELi256ELb0ELi12EEvPKT_PKT0_S7_ifPKiS9_S9_iPKfiiiPfSC_PS2_PT2_iSB_SB_: ; @_Z39paged_attention_ll4mi_QKV_mfma16_kernelIDF16_DF16_LN4vllm18Fp8KVCacheDataTypeE0EhLi32ELi128ELi256ELb0ELi12EEvPKT_PKT0_S7_ifPKiS9_S9_iPKfiiiPfSC_PS2_PT2_iSB_SB_
; %bb.0:
	s_get_pc_i64 s[2:3]
	s_add_nc_u64 s[2:3], s[2:3], __PRETTY_FUNCTION__._Z39paged_attention_ll4mi_QKV_mfma16_kernelIDF16_DF16_LN4vllm18Fp8KVCacheDataTypeE0EhLi32ELi128ELi256ELb0ELi12EEvPKT_PKT0_S7_ifPKiS9_S9_iPKfiiiPfSC_PS2_PT2_iSB_SB_@rel64+4
	s_delay_alu instid0(SALU_CYCLE_1)
	v_dual_mov_b32 v0, 0xbb3 :: v_dual_mov_b32 v1, s2
	v_mov_b32_e32 v2, s3
	s_add_nc_u64 s[8:9], s[0:1], 0x90
	s_get_pc_i64 s[0:1]
	s_add_nc_u64 s[0:1], s[0:1], __assert_fail@rel64+4
	s_mov_b32 s32, 0
	s_swap_pc_i64 s[30:31], s[0:1]
	.section	.rodata,"a",@progbits
	.p2align	6, 0x0
	.amdhsa_kernel _Z39paged_attention_ll4mi_QKV_mfma16_kernelIDF16_DF16_LN4vllm18Fp8KVCacheDataTypeE0EhLi32ELi128ELi256ELb0ELi12EEvPKT_PKT0_S7_ifPKiS9_S9_iPKfiiiPfSC_PS2_PT2_iSB_SB_
		.amdhsa_group_segment_fixed_size 0
		.amdhsa_private_segment_fixed_size 64
		.amdhsa_kernarg_size 400
		.amdhsa_user_sgpr_count 2
		.amdhsa_user_sgpr_dispatch_ptr 0
		.amdhsa_user_sgpr_queue_ptr 0
		.amdhsa_user_sgpr_kernarg_segment_ptr 1
		.amdhsa_user_sgpr_dispatch_id 0
		.amdhsa_user_sgpr_kernarg_preload_length 0
		.amdhsa_user_sgpr_kernarg_preload_offset 0
		.amdhsa_user_sgpr_private_segment_size 0
		.amdhsa_wavefront_size32 1
		.amdhsa_uses_dynamic_stack 0
		.amdhsa_enable_private_segment 1
		.amdhsa_system_sgpr_workgroup_id_x 1
		.amdhsa_system_sgpr_workgroup_id_y 0
		.amdhsa_system_sgpr_workgroup_id_z 0
		.amdhsa_system_sgpr_workgroup_info 0
		.amdhsa_system_vgpr_workitem_id 0
		.amdhsa_next_free_vgpr 51
		.amdhsa_next_free_sgpr 34
		.amdhsa_named_barrier_count 0
		.amdhsa_reserve_vcc 1
		.amdhsa_float_round_mode_32 0
		.amdhsa_float_round_mode_16_64 0
		.amdhsa_float_denorm_mode_32 3
		.amdhsa_float_denorm_mode_16_64 3
		.amdhsa_fp16_overflow 0
		.amdhsa_memory_ordered 1
		.amdhsa_forward_progress 1
		.amdhsa_inst_pref_size 1
		.amdhsa_round_robin_scheduling 0
		.amdhsa_exception_fp_ieee_invalid_op 0
		.amdhsa_exception_fp_denorm_src 0
		.amdhsa_exception_fp_ieee_div_zero 0
		.amdhsa_exception_fp_ieee_overflow 0
		.amdhsa_exception_fp_ieee_underflow 0
		.amdhsa_exception_fp_ieee_inexact 0
		.amdhsa_exception_int_div_zero 0
	.end_amdhsa_kernel
	.section	.text._Z39paged_attention_ll4mi_QKV_mfma16_kernelIDF16_DF16_LN4vllm18Fp8KVCacheDataTypeE0EhLi32ELi128ELi256ELb0ELi12EEvPKT_PKT0_S7_ifPKiS9_S9_iPKfiiiPfSC_PS2_PT2_iSB_SB_,"axG",@progbits,_Z39paged_attention_ll4mi_QKV_mfma16_kernelIDF16_DF16_LN4vllm18Fp8KVCacheDataTypeE0EhLi32ELi128ELi256ELb0ELi12EEvPKT_PKT0_S7_ifPKiS9_S9_iPKfiiiPfSC_PS2_PT2_iSB_SB_,comdat
.Lfunc_end337:
	.size	_Z39paged_attention_ll4mi_QKV_mfma16_kernelIDF16_DF16_LN4vllm18Fp8KVCacheDataTypeE0EhLi32ELi128ELi256ELb0ELi12EEvPKT_PKT0_S7_ifPKiS9_S9_iPKfiiiPfSC_PS2_PT2_iSB_SB_, .Lfunc_end337-_Z39paged_attention_ll4mi_QKV_mfma16_kernelIDF16_DF16_LN4vllm18Fp8KVCacheDataTypeE0EhLi32ELi128ELi256ELb0ELi12EEvPKT_PKT0_S7_ifPKiS9_S9_iPKfiiiPfSC_PS2_PT2_iSB_SB_
                                        ; -- End function
	.set _Z39paged_attention_ll4mi_QKV_mfma16_kernelIDF16_DF16_LN4vllm18Fp8KVCacheDataTypeE0EhLi32ELi128ELi256ELb0ELi12EEvPKT_PKT0_S7_ifPKiS9_S9_iPKfiiiPfSC_PS2_PT2_iSB_SB_.num_vgpr, max(3, .L__assert_fail.num_vgpr)
	.set _Z39paged_attention_ll4mi_QKV_mfma16_kernelIDF16_DF16_LN4vllm18Fp8KVCacheDataTypeE0EhLi32ELi128ELi256ELb0ELi12EEvPKT_PKT0_S7_ifPKiS9_S9_iPKfiiiPfSC_PS2_PT2_iSB_SB_.num_agpr, max(0, .L__assert_fail.num_agpr)
	.set _Z39paged_attention_ll4mi_QKV_mfma16_kernelIDF16_DF16_LN4vllm18Fp8KVCacheDataTypeE0EhLi32ELi128ELi256ELb0ELi12EEvPKT_PKT0_S7_ifPKiS9_S9_iPKfiiiPfSC_PS2_PT2_iSB_SB_.numbered_sgpr, max(33, .L__assert_fail.numbered_sgpr)
	.set _Z39paged_attention_ll4mi_QKV_mfma16_kernelIDF16_DF16_LN4vllm18Fp8KVCacheDataTypeE0EhLi32ELi128ELi256ELb0ELi12EEvPKT_PKT0_S7_ifPKiS9_S9_iPKfiiiPfSC_PS2_PT2_iSB_SB_.num_named_barrier, max(0, .L__assert_fail.num_named_barrier)
	.set _Z39paged_attention_ll4mi_QKV_mfma16_kernelIDF16_DF16_LN4vllm18Fp8KVCacheDataTypeE0EhLi32ELi128ELi256ELb0ELi12EEvPKT_PKT0_S7_ifPKiS9_S9_iPKfiiiPfSC_PS2_PT2_iSB_SB_.private_seg_size, 0+max(.L__assert_fail.private_seg_size)
	.set _Z39paged_attention_ll4mi_QKV_mfma16_kernelIDF16_DF16_LN4vllm18Fp8KVCacheDataTypeE0EhLi32ELi128ELi256ELb0ELi12EEvPKT_PKT0_S7_ifPKiS9_S9_iPKfiiiPfSC_PS2_PT2_iSB_SB_.uses_vcc, or(1, .L__assert_fail.uses_vcc)
	.set _Z39paged_attention_ll4mi_QKV_mfma16_kernelIDF16_DF16_LN4vllm18Fp8KVCacheDataTypeE0EhLi32ELi128ELi256ELb0ELi12EEvPKT_PKT0_S7_ifPKiS9_S9_iPKfiiiPfSC_PS2_PT2_iSB_SB_.uses_flat_scratch, or(0, .L__assert_fail.uses_flat_scratch)
	.set _Z39paged_attention_ll4mi_QKV_mfma16_kernelIDF16_DF16_LN4vllm18Fp8KVCacheDataTypeE0EhLi32ELi128ELi256ELb0ELi12EEvPKT_PKT0_S7_ifPKiS9_S9_iPKfiiiPfSC_PS2_PT2_iSB_SB_.has_dyn_sized_stack, or(0, .L__assert_fail.has_dyn_sized_stack)
	.set _Z39paged_attention_ll4mi_QKV_mfma16_kernelIDF16_DF16_LN4vllm18Fp8KVCacheDataTypeE0EhLi32ELi128ELi256ELb0ELi12EEvPKT_PKT0_S7_ifPKiS9_S9_iPKfiiiPfSC_PS2_PT2_iSB_SB_.has_recursion, or(0, .L__assert_fail.has_recursion)
	.set _Z39paged_attention_ll4mi_QKV_mfma16_kernelIDF16_DF16_LN4vllm18Fp8KVCacheDataTypeE0EhLi32ELi128ELi256ELb0ELi12EEvPKT_PKT0_S7_ifPKiS9_S9_iPKfiiiPfSC_PS2_PT2_iSB_SB_.has_indirect_call, or(0, .L__assert_fail.has_indirect_call)
	.section	.AMDGPU.csdata,"",@progbits
; Kernel info:
; codeLenInByte = 68
; TotalNumSgprs: 36
; NumVgprs: 51
; ScratchSize: 64
; MemoryBound: 0
; FloatMode: 240
; IeeeMode: 1
; LDSByteSize: 0 bytes/workgroup (compile time only)
; SGPRBlocks: 0
; VGPRBlocks: 3
; NumSGPRsForWavesPerEU: 36
; NumVGPRsForWavesPerEU: 51
; NamedBarCnt: 0
; Occupancy: 16
; WaveLimiterHint : 1
; COMPUTE_PGM_RSRC2:SCRATCH_EN: 1
; COMPUTE_PGM_RSRC2:USER_SGPR: 2
; COMPUTE_PGM_RSRC2:TRAP_HANDLER: 0
; COMPUTE_PGM_RSRC2:TGID_X_EN: 1
; COMPUTE_PGM_RSRC2:TGID_Y_EN: 0
; COMPUTE_PGM_RSRC2:TGID_Z_EN: 0
; COMPUTE_PGM_RSRC2:TIDIG_COMP_CNT: 0
	.section	.text._Z39paged_attention_ll4mi_QKV_mfma16_kernelIDF16_DF16_LN4vllm18Fp8KVCacheDataTypeE0EhLi32ELi128ELi256ELb0ELi13EEvPKT_PKT0_S7_ifPKiS9_S9_iPKfiiiPfSC_PS2_PT2_iSB_SB_,"axG",@progbits,_Z39paged_attention_ll4mi_QKV_mfma16_kernelIDF16_DF16_LN4vllm18Fp8KVCacheDataTypeE0EhLi32ELi128ELi256ELb0ELi13EEvPKT_PKT0_S7_ifPKiS9_S9_iPKfiiiPfSC_PS2_PT2_iSB_SB_,comdat
	.protected	_Z39paged_attention_ll4mi_QKV_mfma16_kernelIDF16_DF16_LN4vllm18Fp8KVCacheDataTypeE0EhLi32ELi128ELi256ELb0ELi13EEvPKT_PKT0_S7_ifPKiS9_S9_iPKfiiiPfSC_PS2_PT2_iSB_SB_ ; -- Begin function _Z39paged_attention_ll4mi_QKV_mfma16_kernelIDF16_DF16_LN4vllm18Fp8KVCacheDataTypeE0EhLi32ELi128ELi256ELb0ELi13EEvPKT_PKT0_S7_ifPKiS9_S9_iPKfiiiPfSC_PS2_PT2_iSB_SB_
	.globl	_Z39paged_attention_ll4mi_QKV_mfma16_kernelIDF16_DF16_LN4vllm18Fp8KVCacheDataTypeE0EhLi32ELi128ELi256ELb0ELi13EEvPKT_PKT0_S7_ifPKiS9_S9_iPKfiiiPfSC_PS2_PT2_iSB_SB_
	.p2align	8
	.type	_Z39paged_attention_ll4mi_QKV_mfma16_kernelIDF16_DF16_LN4vllm18Fp8KVCacheDataTypeE0EhLi32ELi128ELi256ELb0ELi13EEvPKT_PKT0_S7_ifPKiS9_S9_iPKfiiiPfSC_PS2_PT2_iSB_SB_,@function
_Z39paged_attention_ll4mi_QKV_mfma16_kernelIDF16_DF16_LN4vllm18Fp8KVCacheDataTypeE0EhLi32ELi128ELi256ELb0ELi13EEvPKT_PKT0_S7_ifPKiS9_S9_iPKfiiiPfSC_PS2_PT2_iSB_SB_: ; @_Z39paged_attention_ll4mi_QKV_mfma16_kernelIDF16_DF16_LN4vllm18Fp8KVCacheDataTypeE0EhLi32ELi128ELi256ELb0ELi13EEvPKT_PKT0_S7_ifPKiS9_S9_iPKfiiiPfSC_PS2_PT2_iSB_SB_
; %bb.0:
	s_get_pc_i64 s[2:3]
	s_add_nc_u64 s[2:3], s[2:3], __PRETTY_FUNCTION__._Z39paged_attention_ll4mi_QKV_mfma16_kernelIDF16_DF16_LN4vllm18Fp8KVCacheDataTypeE0EhLi32ELi128ELi256ELb0ELi13EEvPKT_PKT0_S7_ifPKiS9_S9_iPKfiiiPfSC_PS2_PT2_iSB_SB_@rel64+4
	s_delay_alu instid0(SALU_CYCLE_1)
	v_dual_mov_b32 v0, 0xbb3 :: v_dual_mov_b32 v1, s2
	v_mov_b32_e32 v2, s3
	s_add_nc_u64 s[8:9], s[0:1], 0x90
	s_get_pc_i64 s[0:1]
	s_add_nc_u64 s[0:1], s[0:1], __assert_fail@rel64+4
	s_mov_b32 s32, 0
	s_swap_pc_i64 s[30:31], s[0:1]
	.section	.rodata,"a",@progbits
	.p2align	6, 0x0
	.amdhsa_kernel _Z39paged_attention_ll4mi_QKV_mfma16_kernelIDF16_DF16_LN4vllm18Fp8KVCacheDataTypeE0EhLi32ELi128ELi256ELb0ELi13EEvPKT_PKT0_S7_ifPKiS9_S9_iPKfiiiPfSC_PS2_PT2_iSB_SB_
		.amdhsa_group_segment_fixed_size 0
		.amdhsa_private_segment_fixed_size 64
		.amdhsa_kernarg_size 400
		.amdhsa_user_sgpr_count 2
		.amdhsa_user_sgpr_dispatch_ptr 0
		.amdhsa_user_sgpr_queue_ptr 0
		.amdhsa_user_sgpr_kernarg_segment_ptr 1
		.amdhsa_user_sgpr_dispatch_id 0
		.amdhsa_user_sgpr_kernarg_preload_length 0
		.amdhsa_user_sgpr_kernarg_preload_offset 0
		.amdhsa_user_sgpr_private_segment_size 0
		.amdhsa_wavefront_size32 1
		.amdhsa_uses_dynamic_stack 0
		.amdhsa_enable_private_segment 1
		.amdhsa_system_sgpr_workgroup_id_x 1
		.amdhsa_system_sgpr_workgroup_id_y 0
		.amdhsa_system_sgpr_workgroup_id_z 0
		.amdhsa_system_sgpr_workgroup_info 0
		.amdhsa_system_vgpr_workitem_id 0
		.amdhsa_next_free_vgpr 51
		.amdhsa_next_free_sgpr 34
		.amdhsa_named_barrier_count 0
		.amdhsa_reserve_vcc 1
		.amdhsa_float_round_mode_32 0
		.amdhsa_float_round_mode_16_64 0
		.amdhsa_float_denorm_mode_32 3
		.amdhsa_float_denorm_mode_16_64 3
		.amdhsa_fp16_overflow 0
		.amdhsa_memory_ordered 1
		.amdhsa_forward_progress 1
		.amdhsa_inst_pref_size 1
		.amdhsa_round_robin_scheduling 0
		.amdhsa_exception_fp_ieee_invalid_op 0
		.amdhsa_exception_fp_denorm_src 0
		.amdhsa_exception_fp_ieee_div_zero 0
		.amdhsa_exception_fp_ieee_overflow 0
		.amdhsa_exception_fp_ieee_underflow 0
		.amdhsa_exception_fp_ieee_inexact 0
		.amdhsa_exception_int_div_zero 0
	.end_amdhsa_kernel
	.section	.text._Z39paged_attention_ll4mi_QKV_mfma16_kernelIDF16_DF16_LN4vllm18Fp8KVCacheDataTypeE0EhLi32ELi128ELi256ELb0ELi13EEvPKT_PKT0_S7_ifPKiS9_S9_iPKfiiiPfSC_PS2_PT2_iSB_SB_,"axG",@progbits,_Z39paged_attention_ll4mi_QKV_mfma16_kernelIDF16_DF16_LN4vllm18Fp8KVCacheDataTypeE0EhLi32ELi128ELi256ELb0ELi13EEvPKT_PKT0_S7_ifPKiS9_S9_iPKfiiiPfSC_PS2_PT2_iSB_SB_,comdat
.Lfunc_end338:
	.size	_Z39paged_attention_ll4mi_QKV_mfma16_kernelIDF16_DF16_LN4vllm18Fp8KVCacheDataTypeE0EhLi32ELi128ELi256ELb0ELi13EEvPKT_PKT0_S7_ifPKiS9_S9_iPKfiiiPfSC_PS2_PT2_iSB_SB_, .Lfunc_end338-_Z39paged_attention_ll4mi_QKV_mfma16_kernelIDF16_DF16_LN4vllm18Fp8KVCacheDataTypeE0EhLi32ELi128ELi256ELb0ELi13EEvPKT_PKT0_S7_ifPKiS9_S9_iPKfiiiPfSC_PS2_PT2_iSB_SB_
                                        ; -- End function
	.set _Z39paged_attention_ll4mi_QKV_mfma16_kernelIDF16_DF16_LN4vllm18Fp8KVCacheDataTypeE0EhLi32ELi128ELi256ELb0ELi13EEvPKT_PKT0_S7_ifPKiS9_S9_iPKfiiiPfSC_PS2_PT2_iSB_SB_.num_vgpr, max(3, .L__assert_fail.num_vgpr)
	.set _Z39paged_attention_ll4mi_QKV_mfma16_kernelIDF16_DF16_LN4vllm18Fp8KVCacheDataTypeE0EhLi32ELi128ELi256ELb0ELi13EEvPKT_PKT0_S7_ifPKiS9_S9_iPKfiiiPfSC_PS2_PT2_iSB_SB_.num_agpr, max(0, .L__assert_fail.num_agpr)
	.set _Z39paged_attention_ll4mi_QKV_mfma16_kernelIDF16_DF16_LN4vllm18Fp8KVCacheDataTypeE0EhLi32ELi128ELi256ELb0ELi13EEvPKT_PKT0_S7_ifPKiS9_S9_iPKfiiiPfSC_PS2_PT2_iSB_SB_.numbered_sgpr, max(33, .L__assert_fail.numbered_sgpr)
	.set _Z39paged_attention_ll4mi_QKV_mfma16_kernelIDF16_DF16_LN4vllm18Fp8KVCacheDataTypeE0EhLi32ELi128ELi256ELb0ELi13EEvPKT_PKT0_S7_ifPKiS9_S9_iPKfiiiPfSC_PS2_PT2_iSB_SB_.num_named_barrier, max(0, .L__assert_fail.num_named_barrier)
	.set _Z39paged_attention_ll4mi_QKV_mfma16_kernelIDF16_DF16_LN4vllm18Fp8KVCacheDataTypeE0EhLi32ELi128ELi256ELb0ELi13EEvPKT_PKT0_S7_ifPKiS9_S9_iPKfiiiPfSC_PS2_PT2_iSB_SB_.private_seg_size, 0+max(.L__assert_fail.private_seg_size)
	.set _Z39paged_attention_ll4mi_QKV_mfma16_kernelIDF16_DF16_LN4vllm18Fp8KVCacheDataTypeE0EhLi32ELi128ELi256ELb0ELi13EEvPKT_PKT0_S7_ifPKiS9_S9_iPKfiiiPfSC_PS2_PT2_iSB_SB_.uses_vcc, or(1, .L__assert_fail.uses_vcc)
	.set _Z39paged_attention_ll4mi_QKV_mfma16_kernelIDF16_DF16_LN4vllm18Fp8KVCacheDataTypeE0EhLi32ELi128ELi256ELb0ELi13EEvPKT_PKT0_S7_ifPKiS9_S9_iPKfiiiPfSC_PS2_PT2_iSB_SB_.uses_flat_scratch, or(0, .L__assert_fail.uses_flat_scratch)
	.set _Z39paged_attention_ll4mi_QKV_mfma16_kernelIDF16_DF16_LN4vllm18Fp8KVCacheDataTypeE0EhLi32ELi128ELi256ELb0ELi13EEvPKT_PKT0_S7_ifPKiS9_S9_iPKfiiiPfSC_PS2_PT2_iSB_SB_.has_dyn_sized_stack, or(0, .L__assert_fail.has_dyn_sized_stack)
	.set _Z39paged_attention_ll4mi_QKV_mfma16_kernelIDF16_DF16_LN4vllm18Fp8KVCacheDataTypeE0EhLi32ELi128ELi256ELb0ELi13EEvPKT_PKT0_S7_ifPKiS9_S9_iPKfiiiPfSC_PS2_PT2_iSB_SB_.has_recursion, or(0, .L__assert_fail.has_recursion)
	.set _Z39paged_attention_ll4mi_QKV_mfma16_kernelIDF16_DF16_LN4vllm18Fp8KVCacheDataTypeE0EhLi32ELi128ELi256ELb0ELi13EEvPKT_PKT0_S7_ifPKiS9_S9_iPKfiiiPfSC_PS2_PT2_iSB_SB_.has_indirect_call, or(0, .L__assert_fail.has_indirect_call)
	.section	.AMDGPU.csdata,"",@progbits
; Kernel info:
; codeLenInByte = 68
; TotalNumSgprs: 36
; NumVgprs: 51
; ScratchSize: 64
; MemoryBound: 0
; FloatMode: 240
; IeeeMode: 1
; LDSByteSize: 0 bytes/workgroup (compile time only)
; SGPRBlocks: 0
; VGPRBlocks: 3
; NumSGPRsForWavesPerEU: 36
; NumVGPRsForWavesPerEU: 51
; NamedBarCnt: 0
; Occupancy: 16
; WaveLimiterHint : 1
; COMPUTE_PGM_RSRC2:SCRATCH_EN: 1
; COMPUTE_PGM_RSRC2:USER_SGPR: 2
; COMPUTE_PGM_RSRC2:TRAP_HANDLER: 0
; COMPUTE_PGM_RSRC2:TGID_X_EN: 1
; COMPUTE_PGM_RSRC2:TGID_Y_EN: 0
; COMPUTE_PGM_RSRC2:TGID_Z_EN: 0
; COMPUTE_PGM_RSRC2:TIDIG_COMP_CNT: 0
	.section	.text._Z39paged_attention_ll4mi_QKV_mfma16_kernelIDF16_DF16_LN4vllm18Fp8KVCacheDataTypeE0EhLi32ELi128ELi256ELb0ELi14EEvPKT_PKT0_S7_ifPKiS9_S9_iPKfiiiPfSC_PS2_PT2_iSB_SB_,"axG",@progbits,_Z39paged_attention_ll4mi_QKV_mfma16_kernelIDF16_DF16_LN4vllm18Fp8KVCacheDataTypeE0EhLi32ELi128ELi256ELb0ELi14EEvPKT_PKT0_S7_ifPKiS9_S9_iPKfiiiPfSC_PS2_PT2_iSB_SB_,comdat
	.protected	_Z39paged_attention_ll4mi_QKV_mfma16_kernelIDF16_DF16_LN4vllm18Fp8KVCacheDataTypeE0EhLi32ELi128ELi256ELb0ELi14EEvPKT_PKT0_S7_ifPKiS9_S9_iPKfiiiPfSC_PS2_PT2_iSB_SB_ ; -- Begin function _Z39paged_attention_ll4mi_QKV_mfma16_kernelIDF16_DF16_LN4vllm18Fp8KVCacheDataTypeE0EhLi32ELi128ELi256ELb0ELi14EEvPKT_PKT0_S7_ifPKiS9_S9_iPKfiiiPfSC_PS2_PT2_iSB_SB_
	.globl	_Z39paged_attention_ll4mi_QKV_mfma16_kernelIDF16_DF16_LN4vllm18Fp8KVCacheDataTypeE0EhLi32ELi128ELi256ELb0ELi14EEvPKT_PKT0_S7_ifPKiS9_S9_iPKfiiiPfSC_PS2_PT2_iSB_SB_
	.p2align	8
	.type	_Z39paged_attention_ll4mi_QKV_mfma16_kernelIDF16_DF16_LN4vllm18Fp8KVCacheDataTypeE0EhLi32ELi128ELi256ELb0ELi14EEvPKT_PKT0_S7_ifPKiS9_S9_iPKfiiiPfSC_PS2_PT2_iSB_SB_,@function
_Z39paged_attention_ll4mi_QKV_mfma16_kernelIDF16_DF16_LN4vllm18Fp8KVCacheDataTypeE0EhLi32ELi128ELi256ELb0ELi14EEvPKT_PKT0_S7_ifPKiS9_S9_iPKfiiiPfSC_PS2_PT2_iSB_SB_: ; @_Z39paged_attention_ll4mi_QKV_mfma16_kernelIDF16_DF16_LN4vllm18Fp8KVCacheDataTypeE0EhLi32ELi128ELi256ELb0ELi14EEvPKT_PKT0_S7_ifPKiS9_S9_iPKfiiiPfSC_PS2_PT2_iSB_SB_
; %bb.0:
	s_get_pc_i64 s[2:3]
	s_add_nc_u64 s[2:3], s[2:3], __PRETTY_FUNCTION__._Z39paged_attention_ll4mi_QKV_mfma16_kernelIDF16_DF16_LN4vllm18Fp8KVCacheDataTypeE0EhLi32ELi128ELi256ELb0ELi14EEvPKT_PKT0_S7_ifPKiS9_S9_iPKfiiiPfSC_PS2_PT2_iSB_SB_@rel64+4
	s_delay_alu instid0(SALU_CYCLE_1)
	v_dual_mov_b32 v0, 0xbb3 :: v_dual_mov_b32 v1, s2
	v_mov_b32_e32 v2, s3
	s_add_nc_u64 s[8:9], s[0:1], 0x90
	s_get_pc_i64 s[0:1]
	s_add_nc_u64 s[0:1], s[0:1], __assert_fail@rel64+4
	s_mov_b32 s32, 0
	s_swap_pc_i64 s[30:31], s[0:1]
	.section	.rodata,"a",@progbits
	.p2align	6, 0x0
	.amdhsa_kernel _Z39paged_attention_ll4mi_QKV_mfma16_kernelIDF16_DF16_LN4vllm18Fp8KVCacheDataTypeE0EhLi32ELi128ELi256ELb0ELi14EEvPKT_PKT0_S7_ifPKiS9_S9_iPKfiiiPfSC_PS2_PT2_iSB_SB_
		.amdhsa_group_segment_fixed_size 0
		.amdhsa_private_segment_fixed_size 64
		.amdhsa_kernarg_size 400
		.amdhsa_user_sgpr_count 2
		.amdhsa_user_sgpr_dispatch_ptr 0
		.amdhsa_user_sgpr_queue_ptr 0
		.amdhsa_user_sgpr_kernarg_segment_ptr 1
		.amdhsa_user_sgpr_dispatch_id 0
		.amdhsa_user_sgpr_kernarg_preload_length 0
		.amdhsa_user_sgpr_kernarg_preload_offset 0
		.amdhsa_user_sgpr_private_segment_size 0
		.amdhsa_wavefront_size32 1
		.amdhsa_uses_dynamic_stack 0
		.amdhsa_enable_private_segment 1
		.amdhsa_system_sgpr_workgroup_id_x 1
		.amdhsa_system_sgpr_workgroup_id_y 0
		.amdhsa_system_sgpr_workgroup_id_z 0
		.amdhsa_system_sgpr_workgroup_info 0
		.amdhsa_system_vgpr_workitem_id 0
		.amdhsa_next_free_vgpr 51
		.amdhsa_next_free_sgpr 34
		.amdhsa_named_barrier_count 0
		.amdhsa_reserve_vcc 1
		.amdhsa_float_round_mode_32 0
		.amdhsa_float_round_mode_16_64 0
		.amdhsa_float_denorm_mode_32 3
		.amdhsa_float_denorm_mode_16_64 3
		.amdhsa_fp16_overflow 0
		.amdhsa_memory_ordered 1
		.amdhsa_forward_progress 1
		.amdhsa_inst_pref_size 1
		.amdhsa_round_robin_scheduling 0
		.amdhsa_exception_fp_ieee_invalid_op 0
		.amdhsa_exception_fp_denorm_src 0
		.amdhsa_exception_fp_ieee_div_zero 0
		.amdhsa_exception_fp_ieee_overflow 0
		.amdhsa_exception_fp_ieee_underflow 0
		.amdhsa_exception_fp_ieee_inexact 0
		.amdhsa_exception_int_div_zero 0
	.end_amdhsa_kernel
	.section	.text._Z39paged_attention_ll4mi_QKV_mfma16_kernelIDF16_DF16_LN4vllm18Fp8KVCacheDataTypeE0EhLi32ELi128ELi256ELb0ELi14EEvPKT_PKT0_S7_ifPKiS9_S9_iPKfiiiPfSC_PS2_PT2_iSB_SB_,"axG",@progbits,_Z39paged_attention_ll4mi_QKV_mfma16_kernelIDF16_DF16_LN4vllm18Fp8KVCacheDataTypeE0EhLi32ELi128ELi256ELb0ELi14EEvPKT_PKT0_S7_ifPKiS9_S9_iPKfiiiPfSC_PS2_PT2_iSB_SB_,comdat
.Lfunc_end339:
	.size	_Z39paged_attention_ll4mi_QKV_mfma16_kernelIDF16_DF16_LN4vllm18Fp8KVCacheDataTypeE0EhLi32ELi128ELi256ELb0ELi14EEvPKT_PKT0_S7_ifPKiS9_S9_iPKfiiiPfSC_PS2_PT2_iSB_SB_, .Lfunc_end339-_Z39paged_attention_ll4mi_QKV_mfma16_kernelIDF16_DF16_LN4vllm18Fp8KVCacheDataTypeE0EhLi32ELi128ELi256ELb0ELi14EEvPKT_PKT0_S7_ifPKiS9_S9_iPKfiiiPfSC_PS2_PT2_iSB_SB_
                                        ; -- End function
	.set _Z39paged_attention_ll4mi_QKV_mfma16_kernelIDF16_DF16_LN4vllm18Fp8KVCacheDataTypeE0EhLi32ELi128ELi256ELb0ELi14EEvPKT_PKT0_S7_ifPKiS9_S9_iPKfiiiPfSC_PS2_PT2_iSB_SB_.num_vgpr, max(3, .L__assert_fail.num_vgpr)
	.set _Z39paged_attention_ll4mi_QKV_mfma16_kernelIDF16_DF16_LN4vllm18Fp8KVCacheDataTypeE0EhLi32ELi128ELi256ELb0ELi14EEvPKT_PKT0_S7_ifPKiS9_S9_iPKfiiiPfSC_PS2_PT2_iSB_SB_.num_agpr, max(0, .L__assert_fail.num_agpr)
	.set _Z39paged_attention_ll4mi_QKV_mfma16_kernelIDF16_DF16_LN4vllm18Fp8KVCacheDataTypeE0EhLi32ELi128ELi256ELb0ELi14EEvPKT_PKT0_S7_ifPKiS9_S9_iPKfiiiPfSC_PS2_PT2_iSB_SB_.numbered_sgpr, max(33, .L__assert_fail.numbered_sgpr)
	.set _Z39paged_attention_ll4mi_QKV_mfma16_kernelIDF16_DF16_LN4vllm18Fp8KVCacheDataTypeE0EhLi32ELi128ELi256ELb0ELi14EEvPKT_PKT0_S7_ifPKiS9_S9_iPKfiiiPfSC_PS2_PT2_iSB_SB_.num_named_barrier, max(0, .L__assert_fail.num_named_barrier)
	.set _Z39paged_attention_ll4mi_QKV_mfma16_kernelIDF16_DF16_LN4vllm18Fp8KVCacheDataTypeE0EhLi32ELi128ELi256ELb0ELi14EEvPKT_PKT0_S7_ifPKiS9_S9_iPKfiiiPfSC_PS2_PT2_iSB_SB_.private_seg_size, 0+max(.L__assert_fail.private_seg_size)
	.set _Z39paged_attention_ll4mi_QKV_mfma16_kernelIDF16_DF16_LN4vllm18Fp8KVCacheDataTypeE0EhLi32ELi128ELi256ELb0ELi14EEvPKT_PKT0_S7_ifPKiS9_S9_iPKfiiiPfSC_PS2_PT2_iSB_SB_.uses_vcc, or(1, .L__assert_fail.uses_vcc)
	.set _Z39paged_attention_ll4mi_QKV_mfma16_kernelIDF16_DF16_LN4vllm18Fp8KVCacheDataTypeE0EhLi32ELi128ELi256ELb0ELi14EEvPKT_PKT0_S7_ifPKiS9_S9_iPKfiiiPfSC_PS2_PT2_iSB_SB_.uses_flat_scratch, or(0, .L__assert_fail.uses_flat_scratch)
	.set _Z39paged_attention_ll4mi_QKV_mfma16_kernelIDF16_DF16_LN4vllm18Fp8KVCacheDataTypeE0EhLi32ELi128ELi256ELb0ELi14EEvPKT_PKT0_S7_ifPKiS9_S9_iPKfiiiPfSC_PS2_PT2_iSB_SB_.has_dyn_sized_stack, or(0, .L__assert_fail.has_dyn_sized_stack)
	.set _Z39paged_attention_ll4mi_QKV_mfma16_kernelIDF16_DF16_LN4vllm18Fp8KVCacheDataTypeE0EhLi32ELi128ELi256ELb0ELi14EEvPKT_PKT0_S7_ifPKiS9_S9_iPKfiiiPfSC_PS2_PT2_iSB_SB_.has_recursion, or(0, .L__assert_fail.has_recursion)
	.set _Z39paged_attention_ll4mi_QKV_mfma16_kernelIDF16_DF16_LN4vllm18Fp8KVCacheDataTypeE0EhLi32ELi128ELi256ELb0ELi14EEvPKT_PKT0_S7_ifPKiS9_S9_iPKfiiiPfSC_PS2_PT2_iSB_SB_.has_indirect_call, or(0, .L__assert_fail.has_indirect_call)
	.section	.AMDGPU.csdata,"",@progbits
; Kernel info:
; codeLenInByte = 68
; TotalNumSgprs: 36
; NumVgprs: 51
; ScratchSize: 64
; MemoryBound: 0
; FloatMode: 240
; IeeeMode: 1
; LDSByteSize: 0 bytes/workgroup (compile time only)
; SGPRBlocks: 0
; VGPRBlocks: 3
; NumSGPRsForWavesPerEU: 36
; NumVGPRsForWavesPerEU: 51
; NamedBarCnt: 0
; Occupancy: 16
; WaveLimiterHint : 1
; COMPUTE_PGM_RSRC2:SCRATCH_EN: 1
; COMPUTE_PGM_RSRC2:USER_SGPR: 2
; COMPUTE_PGM_RSRC2:TRAP_HANDLER: 0
; COMPUTE_PGM_RSRC2:TGID_X_EN: 1
; COMPUTE_PGM_RSRC2:TGID_Y_EN: 0
; COMPUTE_PGM_RSRC2:TGID_Z_EN: 0
; COMPUTE_PGM_RSRC2:TIDIG_COMP_CNT: 0
	.section	.text._Z39paged_attention_ll4mi_QKV_mfma16_kernelIDF16_DF16_LN4vllm18Fp8KVCacheDataTypeE0EhLi32ELi128ELi256ELb0ELi15EEvPKT_PKT0_S7_ifPKiS9_S9_iPKfiiiPfSC_PS2_PT2_iSB_SB_,"axG",@progbits,_Z39paged_attention_ll4mi_QKV_mfma16_kernelIDF16_DF16_LN4vllm18Fp8KVCacheDataTypeE0EhLi32ELi128ELi256ELb0ELi15EEvPKT_PKT0_S7_ifPKiS9_S9_iPKfiiiPfSC_PS2_PT2_iSB_SB_,comdat
	.protected	_Z39paged_attention_ll4mi_QKV_mfma16_kernelIDF16_DF16_LN4vllm18Fp8KVCacheDataTypeE0EhLi32ELi128ELi256ELb0ELi15EEvPKT_PKT0_S7_ifPKiS9_S9_iPKfiiiPfSC_PS2_PT2_iSB_SB_ ; -- Begin function _Z39paged_attention_ll4mi_QKV_mfma16_kernelIDF16_DF16_LN4vllm18Fp8KVCacheDataTypeE0EhLi32ELi128ELi256ELb0ELi15EEvPKT_PKT0_S7_ifPKiS9_S9_iPKfiiiPfSC_PS2_PT2_iSB_SB_
	.globl	_Z39paged_attention_ll4mi_QKV_mfma16_kernelIDF16_DF16_LN4vllm18Fp8KVCacheDataTypeE0EhLi32ELi128ELi256ELb0ELi15EEvPKT_PKT0_S7_ifPKiS9_S9_iPKfiiiPfSC_PS2_PT2_iSB_SB_
	.p2align	8
	.type	_Z39paged_attention_ll4mi_QKV_mfma16_kernelIDF16_DF16_LN4vllm18Fp8KVCacheDataTypeE0EhLi32ELi128ELi256ELb0ELi15EEvPKT_PKT0_S7_ifPKiS9_S9_iPKfiiiPfSC_PS2_PT2_iSB_SB_,@function
_Z39paged_attention_ll4mi_QKV_mfma16_kernelIDF16_DF16_LN4vllm18Fp8KVCacheDataTypeE0EhLi32ELi128ELi256ELb0ELi15EEvPKT_PKT0_S7_ifPKiS9_S9_iPKfiiiPfSC_PS2_PT2_iSB_SB_: ; @_Z39paged_attention_ll4mi_QKV_mfma16_kernelIDF16_DF16_LN4vllm18Fp8KVCacheDataTypeE0EhLi32ELi128ELi256ELb0ELi15EEvPKT_PKT0_S7_ifPKiS9_S9_iPKfiiiPfSC_PS2_PT2_iSB_SB_
; %bb.0:
	s_get_pc_i64 s[2:3]
	s_add_nc_u64 s[2:3], s[2:3], __PRETTY_FUNCTION__._Z39paged_attention_ll4mi_QKV_mfma16_kernelIDF16_DF16_LN4vllm18Fp8KVCacheDataTypeE0EhLi32ELi128ELi256ELb0ELi15EEvPKT_PKT0_S7_ifPKiS9_S9_iPKfiiiPfSC_PS2_PT2_iSB_SB_@rel64+4
	s_delay_alu instid0(SALU_CYCLE_1)
	v_dual_mov_b32 v0, 0xbb3 :: v_dual_mov_b32 v1, s2
	v_mov_b32_e32 v2, s3
	s_add_nc_u64 s[8:9], s[0:1], 0x90
	s_get_pc_i64 s[0:1]
	s_add_nc_u64 s[0:1], s[0:1], __assert_fail@rel64+4
	s_mov_b32 s32, 0
	s_swap_pc_i64 s[30:31], s[0:1]
	.section	.rodata,"a",@progbits
	.p2align	6, 0x0
	.amdhsa_kernel _Z39paged_attention_ll4mi_QKV_mfma16_kernelIDF16_DF16_LN4vllm18Fp8KVCacheDataTypeE0EhLi32ELi128ELi256ELb0ELi15EEvPKT_PKT0_S7_ifPKiS9_S9_iPKfiiiPfSC_PS2_PT2_iSB_SB_
		.amdhsa_group_segment_fixed_size 0
		.amdhsa_private_segment_fixed_size 64
		.amdhsa_kernarg_size 400
		.amdhsa_user_sgpr_count 2
		.amdhsa_user_sgpr_dispatch_ptr 0
		.amdhsa_user_sgpr_queue_ptr 0
		.amdhsa_user_sgpr_kernarg_segment_ptr 1
		.amdhsa_user_sgpr_dispatch_id 0
		.amdhsa_user_sgpr_kernarg_preload_length 0
		.amdhsa_user_sgpr_kernarg_preload_offset 0
		.amdhsa_user_sgpr_private_segment_size 0
		.amdhsa_wavefront_size32 1
		.amdhsa_uses_dynamic_stack 0
		.amdhsa_enable_private_segment 1
		.amdhsa_system_sgpr_workgroup_id_x 1
		.amdhsa_system_sgpr_workgroup_id_y 0
		.amdhsa_system_sgpr_workgroup_id_z 0
		.amdhsa_system_sgpr_workgroup_info 0
		.amdhsa_system_vgpr_workitem_id 0
		.amdhsa_next_free_vgpr 51
		.amdhsa_next_free_sgpr 34
		.amdhsa_named_barrier_count 0
		.amdhsa_reserve_vcc 1
		.amdhsa_float_round_mode_32 0
		.amdhsa_float_round_mode_16_64 0
		.amdhsa_float_denorm_mode_32 3
		.amdhsa_float_denorm_mode_16_64 3
		.amdhsa_fp16_overflow 0
		.amdhsa_memory_ordered 1
		.amdhsa_forward_progress 1
		.amdhsa_inst_pref_size 1
		.amdhsa_round_robin_scheduling 0
		.amdhsa_exception_fp_ieee_invalid_op 0
		.amdhsa_exception_fp_denorm_src 0
		.amdhsa_exception_fp_ieee_div_zero 0
		.amdhsa_exception_fp_ieee_overflow 0
		.amdhsa_exception_fp_ieee_underflow 0
		.amdhsa_exception_fp_ieee_inexact 0
		.amdhsa_exception_int_div_zero 0
	.end_amdhsa_kernel
	.section	.text._Z39paged_attention_ll4mi_QKV_mfma16_kernelIDF16_DF16_LN4vllm18Fp8KVCacheDataTypeE0EhLi32ELi128ELi256ELb0ELi15EEvPKT_PKT0_S7_ifPKiS9_S9_iPKfiiiPfSC_PS2_PT2_iSB_SB_,"axG",@progbits,_Z39paged_attention_ll4mi_QKV_mfma16_kernelIDF16_DF16_LN4vllm18Fp8KVCacheDataTypeE0EhLi32ELi128ELi256ELb0ELi15EEvPKT_PKT0_S7_ifPKiS9_S9_iPKfiiiPfSC_PS2_PT2_iSB_SB_,comdat
.Lfunc_end340:
	.size	_Z39paged_attention_ll4mi_QKV_mfma16_kernelIDF16_DF16_LN4vllm18Fp8KVCacheDataTypeE0EhLi32ELi128ELi256ELb0ELi15EEvPKT_PKT0_S7_ifPKiS9_S9_iPKfiiiPfSC_PS2_PT2_iSB_SB_, .Lfunc_end340-_Z39paged_attention_ll4mi_QKV_mfma16_kernelIDF16_DF16_LN4vllm18Fp8KVCacheDataTypeE0EhLi32ELi128ELi256ELb0ELi15EEvPKT_PKT0_S7_ifPKiS9_S9_iPKfiiiPfSC_PS2_PT2_iSB_SB_
                                        ; -- End function
	.set _Z39paged_attention_ll4mi_QKV_mfma16_kernelIDF16_DF16_LN4vllm18Fp8KVCacheDataTypeE0EhLi32ELi128ELi256ELb0ELi15EEvPKT_PKT0_S7_ifPKiS9_S9_iPKfiiiPfSC_PS2_PT2_iSB_SB_.num_vgpr, max(3, .L__assert_fail.num_vgpr)
	.set _Z39paged_attention_ll4mi_QKV_mfma16_kernelIDF16_DF16_LN4vllm18Fp8KVCacheDataTypeE0EhLi32ELi128ELi256ELb0ELi15EEvPKT_PKT0_S7_ifPKiS9_S9_iPKfiiiPfSC_PS2_PT2_iSB_SB_.num_agpr, max(0, .L__assert_fail.num_agpr)
	.set _Z39paged_attention_ll4mi_QKV_mfma16_kernelIDF16_DF16_LN4vllm18Fp8KVCacheDataTypeE0EhLi32ELi128ELi256ELb0ELi15EEvPKT_PKT0_S7_ifPKiS9_S9_iPKfiiiPfSC_PS2_PT2_iSB_SB_.numbered_sgpr, max(33, .L__assert_fail.numbered_sgpr)
	.set _Z39paged_attention_ll4mi_QKV_mfma16_kernelIDF16_DF16_LN4vllm18Fp8KVCacheDataTypeE0EhLi32ELi128ELi256ELb0ELi15EEvPKT_PKT0_S7_ifPKiS9_S9_iPKfiiiPfSC_PS2_PT2_iSB_SB_.num_named_barrier, max(0, .L__assert_fail.num_named_barrier)
	.set _Z39paged_attention_ll4mi_QKV_mfma16_kernelIDF16_DF16_LN4vllm18Fp8KVCacheDataTypeE0EhLi32ELi128ELi256ELb0ELi15EEvPKT_PKT0_S7_ifPKiS9_S9_iPKfiiiPfSC_PS2_PT2_iSB_SB_.private_seg_size, 0+max(.L__assert_fail.private_seg_size)
	.set _Z39paged_attention_ll4mi_QKV_mfma16_kernelIDF16_DF16_LN4vllm18Fp8KVCacheDataTypeE0EhLi32ELi128ELi256ELb0ELi15EEvPKT_PKT0_S7_ifPKiS9_S9_iPKfiiiPfSC_PS2_PT2_iSB_SB_.uses_vcc, or(1, .L__assert_fail.uses_vcc)
	.set _Z39paged_attention_ll4mi_QKV_mfma16_kernelIDF16_DF16_LN4vllm18Fp8KVCacheDataTypeE0EhLi32ELi128ELi256ELb0ELi15EEvPKT_PKT0_S7_ifPKiS9_S9_iPKfiiiPfSC_PS2_PT2_iSB_SB_.uses_flat_scratch, or(0, .L__assert_fail.uses_flat_scratch)
	.set _Z39paged_attention_ll4mi_QKV_mfma16_kernelIDF16_DF16_LN4vllm18Fp8KVCacheDataTypeE0EhLi32ELi128ELi256ELb0ELi15EEvPKT_PKT0_S7_ifPKiS9_S9_iPKfiiiPfSC_PS2_PT2_iSB_SB_.has_dyn_sized_stack, or(0, .L__assert_fail.has_dyn_sized_stack)
	.set _Z39paged_attention_ll4mi_QKV_mfma16_kernelIDF16_DF16_LN4vllm18Fp8KVCacheDataTypeE0EhLi32ELi128ELi256ELb0ELi15EEvPKT_PKT0_S7_ifPKiS9_S9_iPKfiiiPfSC_PS2_PT2_iSB_SB_.has_recursion, or(0, .L__assert_fail.has_recursion)
	.set _Z39paged_attention_ll4mi_QKV_mfma16_kernelIDF16_DF16_LN4vllm18Fp8KVCacheDataTypeE0EhLi32ELi128ELi256ELb0ELi15EEvPKT_PKT0_S7_ifPKiS9_S9_iPKfiiiPfSC_PS2_PT2_iSB_SB_.has_indirect_call, or(0, .L__assert_fail.has_indirect_call)
	.section	.AMDGPU.csdata,"",@progbits
; Kernel info:
; codeLenInByte = 68
; TotalNumSgprs: 36
; NumVgprs: 51
; ScratchSize: 64
; MemoryBound: 0
; FloatMode: 240
; IeeeMode: 1
; LDSByteSize: 0 bytes/workgroup (compile time only)
; SGPRBlocks: 0
; VGPRBlocks: 3
; NumSGPRsForWavesPerEU: 36
; NumVGPRsForWavesPerEU: 51
; NamedBarCnt: 0
; Occupancy: 16
; WaveLimiterHint : 1
; COMPUTE_PGM_RSRC2:SCRATCH_EN: 1
; COMPUTE_PGM_RSRC2:USER_SGPR: 2
; COMPUTE_PGM_RSRC2:TRAP_HANDLER: 0
; COMPUTE_PGM_RSRC2:TGID_X_EN: 1
; COMPUTE_PGM_RSRC2:TGID_Y_EN: 0
; COMPUTE_PGM_RSRC2:TGID_Z_EN: 0
; COMPUTE_PGM_RSRC2:TIDIG_COMP_CNT: 0
	.section	.text._Z39paged_attention_ll4mi_QKV_mfma16_kernelIDF16_DF16_LN4vllm18Fp8KVCacheDataTypeE0EhLi32ELi128ELi256ELb0ELi16EEvPKT_PKT0_S7_ifPKiS9_S9_iPKfiiiPfSC_PS2_PT2_iSB_SB_,"axG",@progbits,_Z39paged_attention_ll4mi_QKV_mfma16_kernelIDF16_DF16_LN4vllm18Fp8KVCacheDataTypeE0EhLi32ELi128ELi256ELb0ELi16EEvPKT_PKT0_S7_ifPKiS9_S9_iPKfiiiPfSC_PS2_PT2_iSB_SB_,comdat
	.protected	_Z39paged_attention_ll4mi_QKV_mfma16_kernelIDF16_DF16_LN4vllm18Fp8KVCacheDataTypeE0EhLi32ELi128ELi256ELb0ELi16EEvPKT_PKT0_S7_ifPKiS9_S9_iPKfiiiPfSC_PS2_PT2_iSB_SB_ ; -- Begin function _Z39paged_attention_ll4mi_QKV_mfma16_kernelIDF16_DF16_LN4vllm18Fp8KVCacheDataTypeE0EhLi32ELi128ELi256ELb0ELi16EEvPKT_PKT0_S7_ifPKiS9_S9_iPKfiiiPfSC_PS2_PT2_iSB_SB_
	.globl	_Z39paged_attention_ll4mi_QKV_mfma16_kernelIDF16_DF16_LN4vllm18Fp8KVCacheDataTypeE0EhLi32ELi128ELi256ELb0ELi16EEvPKT_PKT0_S7_ifPKiS9_S9_iPKfiiiPfSC_PS2_PT2_iSB_SB_
	.p2align	8
	.type	_Z39paged_attention_ll4mi_QKV_mfma16_kernelIDF16_DF16_LN4vllm18Fp8KVCacheDataTypeE0EhLi32ELi128ELi256ELb0ELi16EEvPKT_PKT0_S7_ifPKiS9_S9_iPKfiiiPfSC_PS2_PT2_iSB_SB_,@function
_Z39paged_attention_ll4mi_QKV_mfma16_kernelIDF16_DF16_LN4vllm18Fp8KVCacheDataTypeE0EhLi32ELi128ELi256ELb0ELi16EEvPKT_PKT0_S7_ifPKiS9_S9_iPKfiiiPfSC_PS2_PT2_iSB_SB_: ; @_Z39paged_attention_ll4mi_QKV_mfma16_kernelIDF16_DF16_LN4vllm18Fp8KVCacheDataTypeE0EhLi32ELi128ELi256ELb0ELi16EEvPKT_PKT0_S7_ifPKiS9_S9_iPKfiiiPfSC_PS2_PT2_iSB_SB_
; %bb.0:
	s_get_pc_i64 s[2:3]
	s_add_nc_u64 s[2:3], s[2:3], __PRETTY_FUNCTION__._Z39paged_attention_ll4mi_QKV_mfma16_kernelIDF16_DF16_LN4vllm18Fp8KVCacheDataTypeE0EhLi32ELi128ELi256ELb0ELi16EEvPKT_PKT0_S7_ifPKiS9_S9_iPKfiiiPfSC_PS2_PT2_iSB_SB_@rel64+4
	s_delay_alu instid0(SALU_CYCLE_1)
	v_dual_mov_b32 v0, 0xbb3 :: v_dual_mov_b32 v1, s2
	v_mov_b32_e32 v2, s3
	s_add_nc_u64 s[8:9], s[0:1], 0x90
	s_get_pc_i64 s[0:1]
	s_add_nc_u64 s[0:1], s[0:1], __assert_fail@rel64+4
	s_mov_b32 s32, 0
	s_swap_pc_i64 s[30:31], s[0:1]
	.section	.rodata,"a",@progbits
	.p2align	6, 0x0
	.amdhsa_kernel _Z39paged_attention_ll4mi_QKV_mfma16_kernelIDF16_DF16_LN4vllm18Fp8KVCacheDataTypeE0EhLi32ELi128ELi256ELb0ELi16EEvPKT_PKT0_S7_ifPKiS9_S9_iPKfiiiPfSC_PS2_PT2_iSB_SB_
		.amdhsa_group_segment_fixed_size 0
		.amdhsa_private_segment_fixed_size 64
		.amdhsa_kernarg_size 400
		.amdhsa_user_sgpr_count 2
		.amdhsa_user_sgpr_dispatch_ptr 0
		.amdhsa_user_sgpr_queue_ptr 0
		.amdhsa_user_sgpr_kernarg_segment_ptr 1
		.amdhsa_user_sgpr_dispatch_id 0
		.amdhsa_user_sgpr_kernarg_preload_length 0
		.amdhsa_user_sgpr_kernarg_preload_offset 0
		.amdhsa_user_sgpr_private_segment_size 0
		.amdhsa_wavefront_size32 1
		.amdhsa_uses_dynamic_stack 0
		.amdhsa_enable_private_segment 1
		.amdhsa_system_sgpr_workgroup_id_x 1
		.amdhsa_system_sgpr_workgroup_id_y 0
		.amdhsa_system_sgpr_workgroup_id_z 0
		.amdhsa_system_sgpr_workgroup_info 0
		.amdhsa_system_vgpr_workitem_id 0
		.amdhsa_next_free_vgpr 51
		.amdhsa_next_free_sgpr 34
		.amdhsa_named_barrier_count 0
		.amdhsa_reserve_vcc 1
		.amdhsa_float_round_mode_32 0
		.amdhsa_float_round_mode_16_64 0
		.amdhsa_float_denorm_mode_32 3
		.amdhsa_float_denorm_mode_16_64 3
		.amdhsa_fp16_overflow 0
		.amdhsa_memory_ordered 1
		.amdhsa_forward_progress 1
		.amdhsa_inst_pref_size 1
		.amdhsa_round_robin_scheduling 0
		.amdhsa_exception_fp_ieee_invalid_op 0
		.amdhsa_exception_fp_denorm_src 0
		.amdhsa_exception_fp_ieee_div_zero 0
		.amdhsa_exception_fp_ieee_overflow 0
		.amdhsa_exception_fp_ieee_underflow 0
		.amdhsa_exception_fp_ieee_inexact 0
		.amdhsa_exception_int_div_zero 0
	.end_amdhsa_kernel
	.section	.text._Z39paged_attention_ll4mi_QKV_mfma16_kernelIDF16_DF16_LN4vllm18Fp8KVCacheDataTypeE0EhLi32ELi128ELi256ELb0ELi16EEvPKT_PKT0_S7_ifPKiS9_S9_iPKfiiiPfSC_PS2_PT2_iSB_SB_,"axG",@progbits,_Z39paged_attention_ll4mi_QKV_mfma16_kernelIDF16_DF16_LN4vllm18Fp8KVCacheDataTypeE0EhLi32ELi128ELi256ELb0ELi16EEvPKT_PKT0_S7_ifPKiS9_S9_iPKfiiiPfSC_PS2_PT2_iSB_SB_,comdat
.Lfunc_end341:
	.size	_Z39paged_attention_ll4mi_QKV_mfma16_kernelIDF16_DF16_LN4vllm18Fp8KVCacheDataTypeE0EhLi32ELi128ELi256ELb0ELi16EEvPKT_PKT0_S7_ifPKiS9_S9_iPKfiiiPfSC_PS2_PT2_iSB_SB_, .Lfunc_end341-_Z39paged_attention_ll4mi_QKV_mfma16_kernelIDF16_DF16_LN4vllm18Fp8KVCacheDataTypeE0EhLi32ELi128ELi256ELb0ELi16EEvPKT_PKT0_S7_ifPKiS9_S9_iPKfiiiPfSC_PS2_PT2_iSB_SB_
                                        ; -- End function
	.set _Z39paged_attention_ll4mi_QKV_mfma16_kernelIDF16_DF16_LN4vllm18Fp8KVCacheDataTypeE0EhLi32ELi128ELi256ELb0ELi16EEvPKT_PKT0_S7_ifPKiS9_S9_iPKfiiiPfSC_PS2_PT2_iSB_SB_.num_vgpr, max(3, .L__assert_fail.num_vgpr)
	.set _Z39paged_attention_ll4mi_QKV_mfma16_kernelIDF16_DF16_LN4vllm18Fp8KVCacheDataTypeE0EhLi32ELi128ELi256ELb0ELi16EEvPKT_PKT0_S7_ifPKiS9_S9_iPKfiiiPfSC_PS2_PT2_iSB_SB_.num_agpr, max(0, .L__assert_fail.num_agpr)
	.set _Z39paged_attention_ll4mi_QKV_mfma16_kernelIDF16_DF16_LN4vllm18Fp8KVCacheDataTypeE0EhLi32ELi128ELi256ELb0ELi16EEvPKT_PKT0_S7_ifPKiS9_S9_iPKfiiiPfSC_PS2_PT2_iSB_SB_.numbered_sgpr, max(33, .L__assert_fail.numbered_sgpr)
	.set _Z39paged_attention_ll4mi_QKV_mfma16_kernelIDF16_DF16_LN4vllm18Fp8KVCacheDataTypeE0EhLi32ELi128ELi256ELb0ELi16EEvPKT_PKT0_S7_ifPKiS9_S9_iPKfiiiPfSC_PS2_PT2_iSB_SB_.num_named_barrier, max(0, .L__assert_fail.num_named_barrier)
	.set _Z39paged_attention_ll4mi_QKV_mfma16_kernelIDF16_DF16_LN4vllm18Fp8KVCacheDataTypeE0EhLi32ELi128ELi256ELb0ELi16EEvPKT_PKT0_S7_ifPKiS9_S9_iPKfiiiPfSC_PS2_PT2_iSB_SB_.private_seg_size, 0+max(.L__assert_fail.private_seg_size)
	.set _Z39paged_attention_ll4mi_QKV_mfma16_kernelIDF16_DF16_LN4vllm18Fp8KVCacheDataTypeE0EhLi32ELi128ELi256ELb0ELi16EEvPKT_PKT0_S7_ifPKiS9_S9_iPKfiiiPfSC_PS2_PT2_iSB_SB_.uses_vcc, or(1, .L__assert_fail.uses_vcc)
	.set _Z39paged_attention_ll4mi_QKV_mfma16_kernelIDF16_DF16_LN4vllm18Fp8KVCacheDataTypeE0EhLi32ELi128ELi256ELb0ELi16EEvPKT_PKT0_S7_ifPKiS9_S9_iPKfiiiPfSC_PS2_PT2_iSB_SB_.uses_flat_scratch, or(0, .L__assert_fail.uses_flat_scratch)
	.set _Z39paged_attention_ll4mi_QKV_mfma16_kernelIDF16_DF16_LN4vllm18Fp8KVCacheDataTypeE0EhLi32ELi128ELi256ELb0ELi16EEvPKT_PKT0_S7_ifPKiS9_S9_iPKfiiiPfSC_PS2_PT2_iSB_SB_.has_dyn_sized_stack, or(0, .L__assert_fail.has_dyn_sized_stack)
	.set _Z39paged_attention_ll4mi_QKV_mfma16_kernelIDF16_DF16_LN4vllm18Fp8KVCacheDataTypeE0EhLi32ELi128ELi256ELb0ELi16EEvPKT_PKT0_S7_ifPKiS9_S9_iPKfiiiPfSC_PS2_PT2_iSB_SB_.has_recursion, or(0, .L__assert_fail.has_recursion)
	.set _Z39paged_attention_ll4mi_QKV_mfma16_kernelIDF16_DF16_LN4vllm18Fp8KVCacheDataTypeE0EhLi32ELi128ELi256ELb0ELi16EEvPKT_PKT0_S7_ifPKiS9_S9_iPKfiiiPfSC_PS2_PT2_iSB_SB_.has_indirect_call, or(0, .L__assert_fail.has_indirect_call)
	.section	.AMDGPU.csdata,"",@progbits
; Kernel info:
; codeLenInByte = 68
; TotalNumSgprs: 36
; NumVgprs: 51
; ScratchSize: 64
; MemoryBound: 0
; FloatMode: 240
; IeeeMode: 1
; LDSByteSize: 0 bytes/workgroup (compile time only)
; SGPRBlocks: 0
; VGPRBlocks: 3
; NumSGPRsForWavesPerEU: 36
; NumVGPRsForWavesPerEU: 51
; NamedBarCnt: 0
; Occupancy: 16
; WaveLimiterHint : 1
; COMPUTE_PGM_RSRC2:SCRATCH_EN: 1
; COMPUTE_PGM_RSRC2:USER_SGPR: 2
; COMPUTE_PGM_RSRC2:TRAP_HANDLER: 0
; COMPUTE_PGM_RSRC2:TGID_X_EN: 1
; COMPUTE_PGM_RSRC2:TGID_Y_EN: 0
; COMPUTE_PGM_RSRC2:TGID_Z_EN: 0
; COMPUTE_PGM_RSRC2:TIDIG_COMP_CNT: 0
	.section	.text._Z39paged_attention_ll4mi_QKV_mfma16_kernelIDF16_DF16_LN4vllm18Fp8KVCacheDataTypeE0EhLi32ELi128ELi256ELb0ELi1EEvPKT_PKT0_S7_ifPKiS9_S9_iPKfiiiPfSC_PS2_PT2_iSB_SB_,"axG",@progbits,_Z39paged_attention_ll4mi_QKV_mfma16_kernelIDF16_DF16_LN4vllm18Fp8KVCacheDataTypeE0EhLi32ELi128ELi256ELb0ELi1EEvPKT_PKT0_S7_ifPKiS9_S9_iPKfiiiPfSC_PS2_PT2_iSB_SB_,comdat
	.protected	_Z39paged_attention_ll4mi_QKV_mfma16_kernelIDF16_DF16_LN4vllm18Fp8KVCacheDataTypeE0EhLi32ELi128ELi256ELb0ELi1EEvPKT_PKT0_S7_ifPKiS9_S9_iPKfiiiPfSC_PS2_PT2_iSB_SB_ ; -- Begin function _Z39paged_attention_ll4mi_QKV_mfma16_kernelIDF16_DF16_LN4vllm18Fp8KVCacheDataTypeE0EhLi32ELi128ELi256ELb0ELi1EEvPKT_PKT0_S7_ifPKiS9_S9_iPKfiiiPfSC_PS2_PT2_iSB_SB_
	.globl	_Z39paged_attention_ll4mi_QKV_mfma16_kernelIDF16_DF16_LN4vllm18Fp8KVCacheDataTypeE0EhLi32ELi128ELi256ELb0ELi1EEvPKT_PKT0_S7_ifPKiS9_S9_iPKfiiiPfSC_PS2_PT2_iSB_SB_
	.p2align	8
	.type	_Z39paged_attention_ll4mi_QKV_mfma16_kernelIDF16_DF16_LN4vllm18Fp8KVCacheDataTypeE0EhLi32ELi128ELi256ELb0ELi1EEvPKT_PKT0_S7_ifPKiS9_S9_iPKfiiiPfSC_PS2_PT2_iSB_SB_,@function
_Z39paged_attention_ll4mi_QKV_mfma16_kernelIDF16_DF16_LN4vllm18Fp8KVCacheDataTypeE0EhLi32ELi128ELi256ELb0ELi1EEvPKT_PKT0_S7_ifPKiS9_S9_iPKfiiiPfSC_PS2_PT2_iSB_SB_: ; @_Z39paged_attention_ll4mi_QKV_mfma16_kernelIDF16_DF16_LN4vllm18Fp8KVCacheDataTypeE0EhLi32ELi128ELi256ELb0ELi1EEvPKT_PKT0_S7_ifPKiS9_S9_iPKfiiiPfSC_PS2_PT2_iSB_SB_
; %bb.0:
	s_get_pc_i64 s[2:3]
	s_add_nc_u64 s[2:3], s[2:3], __PRETTY_FUNCTION__._Z39paged_attention_ll4mi_QKV_mfma16_kernelIDF16_DF16_LN4vllm18Fp8KVCacheDataTypeE0EhLi32ELi128ELi256ELb0ELi1EEvPKT_PKT0_S7_ifPKiS9_S9_iPKfiiiPfSC_PS2_PT2_iSB_SB_@rel64+4
	s_delay_alu instid0(SALU_CYCLE_1)
	v_dual_mov_b32 v0, 0xbb3 :: v_dual_mov_b32 v1, s2
	v_mov_b32_e32 v2, s3
	s_add_nc_u64 s[8:9], s[0:1], 0x90
	s_get_pc_i64 s[0:1]
	s_add_nc_u64 s[0:1], s[0:1], __assert_fail@rel64+4
	s_mov_b32 s32, 0
	s_swap_pc_i64 s[30:31], s[0:1]
	.section	.rodata,"a",@progbits
	.p2align	6, 0x0
	.amdhsa_kernel _Z39paged_attention_ll4mi_QKV_mfma16_kernelIDF16_DF16_LN4vllm18Fp8KVCacheDataTypeE0EhLi32ELi128ELi256ELb0ELi1EEvPKT_PKT0_S7_ifPKiS9_S9_iPKfiiiPfSC_PS2_PT2_iSB_SB_
		.amdhsa_group_segment_fixed_size 0
		.amdhsa_private_segment_fixed_size 64
		.amdhsa_kernarg_size 400
		.amdhsa_user_sgpr_count 2
		.amdhsa_user_sgpr_dispatch_ptr 0
		.amdhsa_user_sgpr_queue_ptr 0
		.amdhsa_user_sgpr_kernarg_segment_ptr 1
		.amdhsa_user_sgpr_dispatch_id 0
		.amdhsa_user_sgpr_kernarg_preload_length 0
		.amdhsa_user_sgpr_kernarg_preload_offset 0
		.amdhsa_user_sgpr_private_segment_size 0
		.amdhsa_wavefront_size32 1
		.amdhsa_uses_dynamic_stack 0
		.amdhsa_enable_private_segment 1
		.amdhsa_system_sgpr_workgroup_id_x 1
		.amdhsa_system_sgpr_workgroup_id_y 0
		.amdhsa_system_sgpr_workgroup_id_z 0
		.amdhsa_system_sgpr_workgroup_info 0
		.amdhsa_system_vgpr_workitem_id 0
		.amdhsa_next_free_vgpr 51
		.amdhsa_next_free_sgpr 34
		.amdhsa_named_barrier_count 0
		.amdhsa_reserve_vcc 1
		.amdhsa_float_round_mode_32 0
		.amdhsa_float_round_mode_16_64 0
		.amdhsa_float_denorm_mode_32 3
		.amdhsa_float_denorm_mode_16_64 3
		.amdhsa_fp16_overflow 0
		.amdhsa_memory_ordered 1
		.amdhsa_forward_progress 1
		.amdhsa_inst_pref_size 1
		.amdhsa_round_robin_scheduling 0
		.amdhsa_exception_fp_ieee_invalid_op 0
		.amdhsa_exception_fp_denorm_src 0
		.amdhsa_exception_fp_ieee_div_zero 0
		.amdhsa_exception_fp_ieee_overflow 0
		.amdhsa_exception_fp_ieee_underflow 0
		.amdhsa_exception_fp_ieee_inexact 0
		.amdhsa_exception_int_div_zero 0
	.end_amdhsa_kernel
	.section	.text._Z39paged_attention_ll4mi_QKV_mfma16_kernelIDF16_DF16_LN4vllm18Fp8KVCacheDataTypeE0EhLi32ELi128ELi256ELb0ELi1EEvPKT_PKT0_S7_ifPKiS9_S9_iPKfiiiPfSC_PS2_PT2_iSB_SB_,"axG",@progbits,_Z39paged_attention_ll4mi_QKV_mfma16_kernelIDF16_DF16_LN4vllm18Fp8KVCacheDataTypeE0EhLi32ELi128ELi256ELb0ELi1EEvPKT_PKT0_S7_ifPKiS9_S9_iPKfiiiPfSC_PS2_PT2_iSB_SB_,comdat
.Lfunc_end342:
	.size	_Z39paged_attention_ll4mi_QKV_mfma16_kernelIDF16_DF16_LN4vllm18Fp8KVCacheDataTypeE0EhLi32ELi128ELi256ELb0ELi1EEvPKT_PKT0_S7_ifPKiS9_S9_iPKfiiiPfSC_PS2_PT2_iSB_SB_, .Lfunc_end342-_Z39paged_attention_ll4mi_QKV_mfma16_kernelIDF16_DF16_LN4vllm18Fp8KVCacheDataTypeE0EhLi32ELi128ELi256ELb0ELi1EEvPKT_PKT0_S7_ifPKiS9_S9_iPKfiiiPfSC_PS2_PT2_iSB_SB_
                                        ; -- End function
	.set _Z39paged_attention_ll4mi_QKV_mfma16_kernelIDF16_DF16_LN4vllm18Fp8KVCacheDataTypeE0EhLi32ELi128ELi256ELb0ELi1EEvPKT_PKT0_S7_ifPKiS9_S9_iPKfiiiPfSC_PS2_PT2_iSB_SB_.num_vgpr, max(3, .L__assert_fail.num_vgpr)
	.set _Z39paged_attention_ll4mi_QKV_mfma16_kernelIDF16_DF16_LN4vllm18Fp8KVCacheDataTypeE0EhLi32ELi128ELi256ELb0ELi1EEvPKT_PKT0_S7_ifPKiS9_S9_iPKfiiiPfSC_PS2_PT2_iSB_SB_.num_agpr, max(0, .L__assert_fail.num_agpr)
	.set _Z39paged_attention_ll4mi_QKV_mfma16_kernelIDF16_DF16_LN4vllm18Fp8KVCacheDataTypeE0EhLi32ELi128ELi256ELb0ELi1EEvPKT_PKT0_S7_ifPKiS9_S9_iPKfiiiPfSC_PS2_PT2_iSB_SB_.numbered_sgpr, max(33, .L__assert_fail.numbered_sgpr)
	.set _Z39paged_attention_ll4mi_QKV_mfma16_kernelIDF16_DF16_LN4vllm18Fp8KVCacheDataTypeE0EhLi32ELi128ELi256ELb0ELi1EEvPKT_PKT0_S7_ifPKiS9_S9_iPKfiiiPfSC_PS2_PT2_iSB_SB_.num_named_barrier, max(0, .L__assert_fail.num_named_barrier)
	.set _Z39paged_attention_ll4mi_QKV_mfma16_kernelIDF16_DF16_LN4vllm18Fp8KVCacheDataTypeE0EhLi32ELi128ELi256ELb0ELi1EEvPKT_PKT0_S7_ifPKiS9_S9_iPKfiiiPfSC_PS2_PT2_iSB_SB_.private_seg_size, 0+max(.L__assert_fail.private_seg_size)
	.set _Z39paged_attention_ll4mi_QKV_mfma16_kernelIDF16_DF16_LN4vllm18Fp8KVCacheDataTypeE0EhLi32ELi128ELi256ELb0ELi1EEvPKT_PKT0_S7_ifPKiS9_S9_iPKfiiiPfSC_PS2_PT2_iSB_SB_.uses_vcc, or(1, .L__assert_fail.uses_vcc)
	.set _Z39paged_attention_ll4mi_QKV_mfma16_kernelIDF16_DF16_LN4vllm18Fp8KVCacheDataTypeE0EhLi32ELi128ELi256ELb0ELi1EEvPKT_PKT0_S7_ifPKiS9_S9_iPKfiiiPfSC_PS2_PT2_iSB_SB_.uses_flat_scratch, or(0, .L__assert_fail.uses_flat_scratch)
	.set _Z39paged_attention_ll4mi_QKV_mfma16_kernelIDF16_DF16_LN4vllm18Fp8KVCacheDataTypeE0EhLi32ELi128ELi256ELb0ELi1EEvPKT_PKT0_S7_ifPKiS9_S9_iPKfiiiPfSC_PS2_PT2_iSB_SB_.has_dyn_sized_stack, or(0, .L__assert_fail.has_dyn_sized_stack)
	.set _Z39paged_attention_ll4mi_QKV_mfma16_kernelIDF16_DF16_LN4vllm18Fp8KVCacheDataTypeE0EhLi32ELi128ELi256ELb0ELi1EEvPKT_PKT0_S7_ifPKiS9_S9_iPKfiiiPfSC_PS2_PT2_iSB_SB_.has_recursion, or(0, .L__assert_fail.has_recursion)
	.set _Z39paged_attention_ll4mi_QKV_mfma16_kernelIDF16_DF16_LN4vllm18Fp8KVCacheDataTypeE0EhLi32ELi128ELi256ELb0ELi1EEvPKT_PKT0_S7_ifPKiS9_S9_iPKfiiiPfSC_PS2_PT2_iSB_SB_.has_indirect_call, or(0, .L__assert_fail.has_indirect_call)
	.section	.AMDGPU.csdata,"",@progbits
; Kernel info:
; codeLenInByte = 68
; TotalNumSgprs: 36
; NumVgprs: 51
; ScratchSize: 64
; MemoryBound: 0
; FloatMode: 240
; IeeeMode: 1
; LDSByteSize: 0 bytes/workgroup (compile time only)
; SGPRBlocks: 0
; VGPRBlocks: 3
; NumSGPRsForWavesPerEU: 36
; NumVGPRsForWavesPerEU: 51
; NamedBarCnt: 0
; Occupancy: 16
; WaveLimiterHint : 1
; COMPUTE_PGM_RSRC2:SCRATCH_EN: 1
; COMPUTE_PGM_RSRC2:USER_SGPR: 2
; COMPUTE_PGM_RSRC2:TRAP_HANDLER: 0
; COMPUTE_PGM_RSRC2:TGID_X_EN: 1
; COMPUTE_PGM_RSRC2:TGID_Y_EN: 0
; COMPUTE_PGM_RSRC2:TGID_Z_EN: 0
; COMPUTE_PGM_RSRC2:TIDIG_COMP_CNT: 0
	.section	.text._Z39paged_attention_ll4mi_QKV_mfma16_kernelIDF16_DF16_LN4vllm18Fp8KVCacheDataTypeE0EhLi32ELi128ELi256ELb0ELi2EEvPKT_PKT0_S7_ifPKiS9_S9_iPKfiiiPfSC_PS2_PT2_iSB_SB_,"axG",@progbits,_Z39paged_attention_ll4mi_QKV_mfma16_kernelIDF16_DF16_LN4vllm18Fp8KVCacheDataTypeE0EhLi32ELi128ELi256ELb0ELi2EEvPKT_PKT0_S7_ifPKiS9_S9_iPKfiiiPfSC_PS2_PT2_iSB_SB_,comdat
	.protected	_Z39paged_attention_ll4mi_QKV_mfma16_kernelIDF16_DF16_LN4vllm18Fp8KVCacheDataTypeE0EhLi32ELi128ELi256ELb0ELi2EEvPKT_PKT0_S7_ifPKiS9_S9_iPKfiiiPfSC_PS2_PT2_iSB_SB_ ; -- Begin function _Z39paged_attention_ll4mi_QKV_mfma16_kernelIDF16_DF16_LN4vllm18Fp8KVCacheDataTypeE0EhLi32ELi128ELi256ELb0ELi2EEvPKT_PKT0_S7_ifPKiS9_S9_iPKfiiiPfSC_PS2_PT2_iSB_SB_
	.globl	_Z39paged_attention_ll4mi_QKV_mfma16_kernelIDF16_DF16_LN4vllm18Fp8KVCacheDataTypeE0EhLi32ELi128ELi256ELb0ELi2EEvPKT_PKT0_S7_ifPKiS9_S9_iPKfiiiPfSC_PS2_PT2_iSB_SB_
	.p2align	8
	.type	_Z39paged_attention_ll4mi_QKV_mfma16_kernelIDF16_DF16_LN4vllm18Fp8KVCacheDataTypeE0EhLi32ELi128ELi256ELb0ELi2EEvPKT_PKT0_S7_ifPKiS9_S9_iPKfiiiPfSC_PS2_PT2_iSB_SB_,@function
_Z39paged_attention_ll4mi_QKV_mfma16_kernelIDF16_DF16_LN4vllm18Fp8KVCacheDataTypeE0EhLi32ELi128ELi256ELb0ELi2EEvPKT_PKT0_S7_ifPKiS9_S9_iPKfiiiPfSC_PS2_PT2_iSB_SB_: ; @_Z39paged_attention_ll4mi_QKV_mfma16_kernelIDF16_DF16_LN4vllm18Fp8KVCacheDataTypeE0EhLi32ELi128ELi256ELb0ELi2EEvPKT_PKT0_S7_ifPKiS9_S9_iPKfiiiPfSC_PS2_PT2_iSB_SB_
; %bb.0:
	s_get_pc_i64 s[2:3]
	s_add_nc_u64 s[2:3], s[2:3], __PRETTY_FUNCTION__._Z39paged_attention_ll4mi_QKV_mfma16_kernelIDF16_DF16_LN4vllm18Fp8KVCacheDataTypeE0EhLi32ELi128ELi256ELb0ELi2EEvPKT_PKT0_S7_ifPKiS9_S9_iPKfiiiPfSC_PS2_PT2_iSB_SB_@rel64+4
	s_delay_alu instid0(SALU_CYCLE_1)
	v_dual_mov_b32 v0, 0xbb3 :: v_dual_mov_b32 v1, s2
	v_mov_b32_e32 v2, s3
	s_add_nc_u64 s[8:9], s[0:1], 0x90
	s_get_pc_i64 s[0:1]
	s_add_nc_u64 s[0:1], s[0:1], __assert_fail@rel64+4
	s_mov_b32 s32, 0
	s_swap_pc_i64 s[30:31], s[0:1]
	.section	.rodata,"a",@progbits
	.p2align	6, 0x0
	.amdhsa_kernel _Z39paged_attention_ll4mi_QKV_mfma16_kernelIDF16_DF16_LN4vllm18Fp8KVCacheDataTypeE0EhLi32ELi128ELi256ELb0ELi2EEvPKT_PKT0_S7_ifPKiS9_S9_iPKfiiiPfSC_PS2_PT2_iSB_SB_
		.amdhsa_group_segment_fixed_size 0
		.amdhsa_private_segment_fixed_size 64
		.amdhsa_kernarg_size 400
		.amdhsa_user_sgpr_count 2
		.amdhsa_user_sgpr_dispatch_ptr 0
		.amdhsa_user_sgpr_queue_ptr 0
		.amdhsa_user_sgpr_kernarg_segment_ptr 1
		.amdhsa_user_sgpr_dispatch_id 0
		.amdhsa_user_sgpr_kernarg_preload_length 0
		.amdhsa_user_sgpr_kernarg_preload_offset 0
		.amdhsa_user_sgpr_private_segment_size 0
		.amdhsa_wavefront_size32 1
		.amdhsa_uses_dynamic_stack 0
		.amdhsa_enable_private_segment 1
		.amdhsa_system_sgpr_workgroup_id_x 1
		.amdhsa_system_sgpr_workgroup_id_y 0
		.amdhsa_system_sgpr_workgroup_id_z 0
		.amdhsa_system_sgpr_workgroup_info 0
		.amdhsa_system_vgpr_workitem_id 0
		.amdhsa_next_free_vgpr 51
		.amdhsa_next_free_sgpr 34
		.amdhsa_named_barrier_count 0
		.amdhsa_reserve_vcc 1
		.amdhsa_float_round_mode_32 0
		.amdhsa_float_round_mode_16_64 0
		.amdhsa_float_denorm_mode_32 3
		.amdhsa_float_denorm_mode_16_64 3
		.amdhsa_fp16_overflow 0
		.amdhsa_memory_ordered 1
		.amdhsa_forward_progress 1
		.amdhsa_inst_pref_size 1
		.amdhsa_round_robin_scheduling 0
		.amdhsa_exception_fp_ieee_invalid_op 0
		.amdhsa_exception_fp_denorm_src 0
		.amdhsa_exception_fp_ieee_div_zero 0
		.amdhsa_exception_fp_ieee_overflow 0
		.amdhsa_exception_fp_ieee_underflow 0
		.amdhsa_exception_fp_ieee_inexact 0
		.amdhsa_exception_int_div_zero 0
	.end_amdhsa_kernel
	.section	.text._Z39paged_attention_ll4mi_QKV_mfma16_kernelIDF16_DF16_LN4vllm18Fp8KVCacheDataTypeE0EhLi32ELi128ELi256ELb0ELi2EEvPKT_PKT0_S7_ifPKiS9_S9_iPKfiiiPfSC_PS2_PT2_iSB_SB_,"axG",@progbits,_Z39paged_attention_ll4mi_QKV_mfma16_kernelIDF16_DF16_LN4vllm18Fp8KVCacheDataTypeE0EhLi32ELi128ELi256ELb0ELi2EEvPKT_PKT0_S7_ifPKiS9_S9_iPKfiiiPfSC_PS2_PT2_iSB_SB_,comdat
.Lfunc_end343:
	.size	_Z39paged_attention_ll4mi_QKV_mfma16_kernelIDF16_DF16_LN4vllm18Fp8KVCacheDataTypeE0EhLi32ELi128ELi256ELb0ELi2EEvPKT_PKT0_S7_ifPKiS9_S9_iPKfiiiPfSC_PS2_PT2_iSB_SB_, .Lfunc_end343-_Z39paged_attention_ll4mi_QKV_mfma16_kernelIDF16_DF16_LN4vllm18Fp8KVCacheDataTypeE0EhLi32ELi128ELi256ELb0ELi2EEvPKT_PKT0_S7_ifPKiS9_S9_iPKfiiiPfSC_PS2_PT2_iSB_SB_
                                        ; -- End function
	.set _Z39paged_attention_ll4mi_QKV_mfma16_kernelIDF16_DF16_LN4vllm18Fp8KVCacheDataTypeE0EhLi32ELi128ELi256ELb0ELi2EEvPKT_PKT0_S7_ifPKiS9_S9_iPKfiiiPfSC_PS2_PT2_iSB_SB_.num_vgpr, max(3, .L__assert_fail.num_vgpr)
	.set _Z39paged_attention_ll4mi_QKV_mfma16_kernelIDF16_DF16_LN4vllm18Fp8KVCacheDataTypeE0EhLi32ELi128ELi256ELb0ELi2EEvPKT_PKT0_S7_ifPKiS9_S9_iPKfiiiPfSC_PS2_PT2_iSB_SB_.num_agpr, max(0, .L__assert_fail.num_agpr)
	.set _Z39paged_attention_ll4mi_QKV_mfma16_kernelIDF16_DF16_LN4vllm18Fp8KVCacheDataTypeE0EhLi32ELi128ELi256ELb0ELi2EEvPKT_PKT0_S7_ifPKiS9_S9_iPKfiiiPfSC_PS2_PT2_iSB_SB_.numbered_sgpr, max(33, .L__assert_fail.numbered_sgpr)
	.set _Z39paged_attention_ll4mi_QKV_mfma16_kernelIDF16_DF16_LN4vllm18Fp8KVCacheDataTypeE0EhLi32ELi128ELi256ELb0ELi2EEvPKT_PKT0_S7_ifPKiS9_S9_iPKfiiiPfSC_PS2_PT2_iSB_SB_.num_named_barrier, max(0, .L__assert_fail.num_named_barrier)
	.set _Z39paged_attention_ll4mi_QKV_mfma16_kernelIDF16_DF16_LN4vllm18Fp8KVCacheDataTypeE0EhLi32ELi128ELi256ELb0ELi2EEvPKT_PKT0_S7_ifPKiS9_S9_iPKfiiiPfSC_PS2_PT2_iSB_SB_.private_seg_size, 0+max(.L__assert_fail.private_seg_size)
	.set _Z39paged_attention_ll4mi_QKV_mfma16_kernelIDF16_DF16_LN4vllm18Fp8KVCacheDataTypeE0EhLi32ELi128ELi256ELb0ELi2EEvPKT_PKT0_S7_ifPKiS9_S9_iPKfiiiPfSC_PS2_PT2_iSB_SB_.uses_vcc, or(1, .L__assert_fail.uses_vcc)
	.set _Z39paged_attention_ll4mi_QKV_mfma16_kernelIDF16_DF16_LN4vllm18Fp8KVCacheDataTypeE0EhLi32ELi128ELi256ELb0ELi2EEvPKT_PKT0_S7_ifPKiS9_S9_iPKfiiiPfSC_PS2_PT2_iSB_SB_.uses_flat_scratch, or(0, .L__assert_fail.uses_flat_scratch)
	.set _Z39paged_attention_ll4mi_QKV_mfma16_kernelIDF16_DF16_LN4vllm18Fp8KVCacheDataTypeE0EhLi32ELi128ELi256ELb0ELi2EEvPKT_PKT0_S7_ifPKiS9_S9_iPKfiiiPfSC_PS2_PT2_iSB_SB_.has_dyn_sized_stack, or(0, .L__assert_fail.has_dyn_sized_stack)
	.set _Z39paged_attention_ll4mi_QKV_mfma16_kernelIDF16_DF16_LN4vllm18Fp8KVCacheDataTypeE0EhLi32ELi128ELi256ELb0ELi2EEvPKT_PKT0_S7_ifPKiS9_S9_iPKfiiiPfSC_PS2_PT2_iSB_SB_.has_recursion, or(0, .L__assert_fail.has_recursion)
	.set _Z39paged_attention_ll4mi_QKV_mfma16_kernelIDF16_DF16_LN4vllm18Fp8KVCacheDataTypeE0EhLi32ELi128ELi256ELb0ELi2EEvPKT_PKT0_S7_ifPKiS9_S9_iPKfiiiPfSC_PS2_PT2_iSB_SB_.has_indirect_call, or(0, .L__assert_fail.has_indirect_call)
	.section	.AMDGPU.csdata,"",@progbits
; Kernel info:
; codeLenInByte = 68
; TotalNumSgprs: 36
; NumVgprs: 51
; ScratchSize: 64
; MemoryBound: 0
; FloatMode: 240
; IeeeMode: 1
; LDSByteSize: 0 bytes/workgroup (compile time only)
; SGPRBlocks: 0
; VGPRBlocks: 3
; NumSGPRsForWavesPerEU: 36
; NumVGPRsForWavesPerEU: 51
; NamedBarCnt: 0
; Occupancy: 16
; WaveLimiterHint : 1
; COMPUTE_PGM_RSRC2:SCRATCH_EN: 1
; COMPUTE_PGM_RSRC2:USER_SGPR: 2
; COMPUTE_PGM_RSRC2:TRAP_HANDLER: 0
; COMPUTE_PGM_RSRC2:TGID_X_EN: 1
; COMPUTE_PGM_RSRC2:TGID_Y_EN: 0
; COMPUTE_PGM_RSRC2:TGID_Z_EN: 0
; COMPUTE_PGM_RSRC2:TIDIG_COMP_CNT: 0
	.section	.text._Z39paged_attention_ll4mi_QKV_mfma16_kernelIDF16_DF16_LN4vllm18Fp8KVCacheDataTypeE0EhLi32ELi128ELi256ELb0ELi3EEvPKT_PKT0_S7_ifPKiS9_S9_iPKfiiiPfSC_PS2_PT2_iSB_SB_,"axG",@progbits,_Z39paged_attention_ll4mi_QKV_mfma16_kernelIDF16_DF16_LN4vllm18Fp8KVCacheDataTypeE0EhLi32ELi128ELi256ELb0ELi3EEvPKT_PKT0_S7_ifPKiS9_S9_iPKfiiiPfSC_PS2_PT2_iSB_SB_,comdat
	.protected	_Z39paged_attention_ll4mi_QKV_mfma16_kernelIDF16_DF16_LN4vllm18Fp8KVCacheDataTypeE0EhLi32ELi128ELi256ELb0ELi3EEvPKT_PKT0_S7_ifPKiS9_S9_iPKfiiiPfSC_PS2_PT2_iSB_SB_ ; -- Begin function _Z39paged_attention_ll4mi_QKV_mfma16_kernelIDF16_DF16_LN4vllm18Fp8KVCacheDataTypeE0EhLi32ELi128ELi256ELb0ELi3EEvPKT_PKT0_S7_ifPKiS9_S9_iPKfiiiPfSC_PS2_PT2_iSB_SB_
	.globl	_Z39paged_attention_ll4mi_QKV_mfma16_kernelIDF16_DF16_LN4vllm18Fp8KVCacheDataTypeE0EhLi32ELi128ELi256ELb0ELi3EEvPKT_PKT0_S7_ifPKiS9_S9_iPKfiiiPfSC_PS2_PT2_iSB_SB_
	.p2align	8
	.type	_Z39paged_attention_ll4mi_QKV_mfma16_kernelIDF16_DF16_LN4vllm18Fp8KVCacheDataTypeE0EhLi32ELi128ELi256ELb0ELi3EEvPKT_PKT0_S7_ifPKiS9_S9_iPKfiiiPfSC_PS2_PT2_iSB_SB_,@function
_Z39paged_attention_ll4mi_QKV_mfma16_kernelIDF16_DF16_LN4vllm18Fp8KVCacheDataTypeE0EhLi32ELi128ELi256ELb0ELi3EEvPKT_PKT0_S7_ifPKiS9_S9_iPKfiiiPfSC_PS2_PT2_iSB_SB_: ; @_Z39paged_attention_ll4mi_QKV_mfma16_kernelIDF16_DF16_LN4vllm18Fp8KVCacheDataTypeE0EhLi32ELi128ELi256ELb0ELi3EEvPKT_PKT0_S7_ifPKiS9_S9_iPKfiiiPfSC_PS2_PT2_iSB_SB_
; %bb.0:
	s_get_pc_i64 s[2:3]
	s_add_nc_u64 s[2:3], s[2:3], __PRETTY_FUNCTION__._Z39paged_attention_ll4mi_QKV_mfma16_kernelIDF16_DF16_LN4vllm18Fp8KVCacheDataTypeE0EhLi32ELi128ELi256ELb0ELi3EEvPKT_PKT0_S7_ifPKiS9_S9_iPKfiiiPfSC_PS2_PT2_iSB_SB_@rel64+4
	s_delay_alu instid0(SALU_CYCLE_1)
	v_dual_mov_b32 v0, 0xbb3 :: v_dual_mov_b32 v1, s2
	v_mov_b32_e32 v2, s3
	s_add_nc_u64 s[8:9], s[0:1], 0x90
	s_get_pc_i64 s[0:1]
	s_add_nc_u64 s[0:1], s[0:1], __assert_fail@rel64+4
	s_mov_b32 s32, 0
	s_swap_pc_i64 s[30:31], s[0:1]
	.section	.rodata,"a",@progbits
	.p2align	6, 0x0
	.amdhsa_kernel _Z39paged_attention_ll4mi_QKV_mfma16_kernelIDF16_DF16_LN4vllm18Fp8KVCacheDataTypeE0EhLi32ELi128ELi256ELb0ELi3EEvPKT_PKT0_S7_ifPKiS9_S9_iPKfiiiPfSC_PS2_PT2_iSB_SB_
		.amdhsa_group_segment_fixed_size 0
		.amdhsa_private_segment_fixed_size 64
		.amdhsa_kernarg_size 400
		.amdhsa_user_sgpr_count 2
		.amdhsa_user_sgpr_dispatch_ptr 0
		.amdhsa_user_sgpr_queue_ptr 0
		.amdhsa_user_sgpr_kernarg_segment_ptr 1
		.amdhsa_user_sgpr_dispatch_id 0
		.amdhsa_user_sgpr_kernarg_preload_length 0
		.amdhsa_user_sgpr_kernarg_preload_offset 0
		.amdhsa_user_sgpr_private_segment_size 0
		.amdhsa_wavefront_size32 1
		.amdhsa_uses_dynamic_stack 0
		.amdhsa_enable_private_segment 1
		.amdhsa_system_sgpr_workgroup_id_x 1
		.amdhsa_system_sgpr_workgroup_id_y 0
		.amdhsa_system_sgpr_workgroup_id_z 0
		.amdhsa_system_sgpr_workgroup_info 0
		.amdhsa_system_vgpr_workitem_id 0
		.amdhsa_next_free_vgpr 51
		.amdhsa_next_free_sgpr 34
		.amdhsa_named_barrier_count 0
		.amdhsa_reserve_vcc 1
		.amdhsa_float_round_mode_32 0
		.amdhsa_float_round_mode_16_64 0
		.amdhsa_float_denorm_mode_32 3
		.amdhsa_float_denorm_mode_16_64 3
		.amdhsa_fp16_overflow 0
		.amdhsa_memory_ordered 1
		.amdhsa_forward_progress 1
		.amdhsa_inst_pref_size 1
		.amdhsa_round_robin_scheduling 0
		.amdhsa_exception_fp_ieee_invalid_op 0
		.amdhsa_exception_fp_denorm_src 0
		.amdhsa_exception_fp_ieee_div_zero 0
		.amdhsa_exception_fp_ieee_overflow 0
		.amdhsa_exception_fp_ieee_underflow 0
		.amdhsa_exception_fp_ieee_inexact 0
		.amdhsa_exception_int_div_zero 0
	.end_amdhsa_kernel
	.section	.text._Z39paged_attention_ll4mi_QKV_mfma16_kernelIDF16_DF16_LN4vllm18Fp8KVCacheDataTypeE0EhLi32ELi128ELi256ELb0ELi3EEvPKT_PKT0_S7_ifPKiS9_S9_iPKfiiiPfSC_PS2_PT2_iSB_SB_,"axG",@progbits,_Z39paged_attention_ll4mi_QKV_mfma16_kernelIDF16_DF16_LN4vllm18Fp8KVCacheDataTypeE0EhLi32ELi128ELi256ELb0ELi3EEvPKT_PKT0_S7_ifPKiS9_S9_iPKfiiiPfSC_PS2_PT2_iSB_SB_,comdat
.Lfunc_end344:
	.size	_Z39paged_attention_ll4mi_QKV_mfma16_kernelIDF16_DF16_LN4vllm18Fp8KVCacheDataTypeE0EhLi32ELi128ELi256ELb0ELi3EEvPKT_PKT0_S7_ifPKiS9_S9_iPKfiiiPfSC_PS2_PT2_iSB_SB_, .Lfunc_end344-_Z39paged_attention_ll4mi_QKV_mfma16_kernelIDF16_DF16_LN4vllm18Fp8KVCacheDataTypeE0EhLi32ELi128ELi256ELb0ELi3EEvPKT_PKT0_S7_ifPKiS9_S9_iPKfiiiPfSC_PS2_PT2_iSB_SB_
                                        ; -- End function
	.set _Z39paged_attention_ll4mi_QKV_mfma16_kernelIDF16_DF16_LN4vllm18Fp8KVCacheDataTypeE0EhLi32ELi128ELi256ELb0ELi3EEvPKT_PKT0_S7_ifPKiS9_S9_iPKfiiiPfSC_PS2_PT2_iSB_SB_.num_vgpr, max(3, .L__assert_fail.num_vgpr)
	.set _Z39paged_attention_ll4mi_QKV_mfma16_kernelIDF16_DF16_LN4vllm18Fp8KVCacheDataTypeE0EhLi32ELi128ELi256ELb0ELi3EEvPKT_PKT0_S7_ifPKiS9_S9_iPKfiiiPfSC_PS2_PT2_iSB_SB_.num_agpr, max(0, .L__assert_fail.num_agpr)
	.set _Z39paged_attention_ll4mi_QKV_mfma16_kernelIDF16_DF16_LN4vllm18Fp8KVCacheDataTypeE0EhLi32ELi128ELi256ELb0ELi3EEvPKT_PKT0_S7_ifPKiS9_S9_iPKfiiiPfSC_PS2_PT2_iSB_SB_.numbered_sgpr, max(33, .L__assert_fail.numbered_sgpr)
	.set _Z39paged_attention_ll4mi_QKV_mfma16_kernelIDF16_DF16_LN4vllm18Fp8KVCacheDataTypeE0EhLi32ELi128ELi256ELb0ELi3EEvPKT_PKT0_S7_ifPKiS9_S9_iPKfiiiPfSC_PS2_PT2_iSB_SB_.num_named_barrier, max(0, .L__assert_fail.num_named_barrier)
	.set _Z39paged_attention_ll4mi_QKV_mfma16_kernelIDF16_DF16_LN4vllm18Fp8KVCacheDataTypeE0EhLi32ELi128ELi256ELb0ELi3EEvPKT_PKT0_S7_ifPKiS9_S9_iPKfiiiPfSC_PS2_PT2_iSB_SB_.private_seg_size, 0+max(.L__assert_fail.private_seg_size)
	.set _Z39paged_attention_ll4mi_QKV_mfma16_kernelIDF16_DF16_LN4vllm18Fp8KVCacheDataTypeE0EhLi32ELi128ELi256ELb0ELi3EEvPKT_PKT0_S7_ifPKiS9_S9_iPKfiiiPfSC_PS2_PT2_iSB_SB_.uses_vcc, or(1, .L__assert_fail.uses_vcc)
	.set _Z39paged_attention_ll4mi_QKV_mfma16_kernelIDF16_DF16_LN4vllm18Fp8KVCacheDataTypeE0EhLi32ELi128ELi256ELb0ELi3EEvPKT_PKT0_S7_ifPKiS9_S9_iPKfiiiPfSC_PS2_PT2_iSB_SB_.uses_flat_scratch, or(0, .L__assert_fail.uses_flat_scratch)
	.set _Z39paged_attention_ll4mi_QKV_mfma16_kernelIDF16_DF16_LN4vllm18Fp8KVCacheDataTypeE0EhLi32ELi128ELi256ELb0ELi3EEvPKT_PKT0_S7_ifPKiS9_S9_iPKfiiiPfSC_PS2_PT2_iSB_SB_.has_dyn_sized_stack, or(0, .L__assert_fail.has_dyn_sized_stack)
	.set _Z39paged_attention_ll4mi_QKV_mfma16_kernelIDF16_DF16_LN4vllm18Fp8KVCacheDataTypeE0EhLi32ELi128ELi256ELb0ELi3EEvPKT_PKT0_S7_ifPKiS9_S9_iPKfiiiPfSC_PS2_PT2_iSB_SB_.has_recursion, or(0, .L__assert_fail.has_recursion)
	.set _Z39paged_attention_ll4mi_QKV_mfma16_kernelIDF16_DF16_LN4vllm18Fp8KVCacheDataTypeE0EhLi32ELi128ELi256ELb0ELi3EEvPKT_PKT0_S7_ifPKiS9_S9_iPKfiiiPfSC_PS2_PT2_iSB_SB_.has_indirect_call, or(0, .L__assert_fail.has_indirect_call)
	.section	.AMDGPU.csdata,"",@progbits
; Kernel info:
; codeLenInByte = 68
; TotalNumSgprs: 36
; NumVgprs: 51
; ScratchSize: 64
; MemoryBound: 0
; FloatMode: 240
; IeeeMode: 1
; LDSByteSize: 0 bytes/workgroup (compile time only)
; SGPRBlocks: 0
; VGPRBlocks: 3
; NumSGPRsForWavesPerEU: 36
; NumVGPRsForWavesPerEU: 51
; NamedBarCnt: 0
; Occupancy: 16
; WaveLimiterHint : 1
; COMPUTE_PGM_RSRC2:SCRATCH_EN: 1
; COMPUTE_PGM_RSRC2:USER_SGPR: 2
; COMPUTE_PGM_RSRC2:TRAP_HANDLER: 0
; COMPUTE_PGM_RSRC2:TGID_X_EN: 1
; COMPUTE_PGM_RSRC2:TGID_Y_EN: 0
; COMPUTE_PGM_RSRC2:TGID_Z_EN: 0
; COMPUTE_PGM_RSRC2:TIDIG_COMP_CNT: 0
	.section	.text._Z39paged_attention_ll4mi_QKV_mfma16_kernelIDF16_DF16_LN4vllm18Fp8KVCacheDataTypeE0EhLi32ELi128ELi256ELb0ELi4EEvPKT_PKT0_S7_ifPKiS9_S9_iPKfiiiPfSC_PS2_PT2_iSB_SB_,"axG",@progbits,_Z39paged_attention_ll4mi_QKV_mfma16_kernelIDF16_DF16_LN4vllm18Fp8KVCacheDataTypeE0EhLi32ELi128ELi256ELb0ELi4EEvPKT_PKT0_S7_ifPKiS9_S9_iPKfiiiPfSC_PS2_PT2_iSB_SB_,comdat
	.protected	_Z39paged_attention_ll4mi_QKV_mfma16_kernelIDF16_DF16_LN4vllm18Fp8KVCacheDataTypeE0EhLi32ELi128ELi256ELb0ELi4EEvPKT_PKT0_S7_ifPKiS9_S9_iPKfiiiPfSC_PS2_PT2_iSB_SB_ ; -- Begin function _Z39paged_attention_ll4mi_QKV_mfma16_kernelIDF16_DF16_LN4vllm18Fp8KVCacheDataTypeE0EhLi32ELi128ELi256ELb0ELi4EEvPKT_PKT0_S7_ifPKiS9_S9_iPKfiiiPfSC_PS2_PT2_iSB_SB_
	.globl	_Z39paged_attention_ll4mi_QKV_mfma16_kernelIDF16_DF16_LN4vllm18Fp8KVCacheDataTypeE0EhLi32ELi128ELi256ELb0ELi4EEvPKT_PKT0_S7_ifPKiS9_S9_iPKfiiiPfSC_PS2_PT2_iSB_SB_
	.p2align	8
	.type	_Z39paged_attention_ll4mi_QKV_mfma16_kernelIDF16_DF16_LN4vllm18Fp8KVCacheDataTypeE0EhLi32ELi128ELi256ELb0ELi4EEvPKT_PKT0_S7_ifPKiS9_S9_iPKfiiiPfSC_PS2_PT2_iSB_SB_,@function
_Z39paged_attention_ll4mi_QKV_mfma16_kernelIDF16_DF16_LN4vllm18Fp8KVCacheDataTypeE0EhLi32ELi128ELi256ELb0ELi4EEvPKT_PKT0_S7_ifPKiS9_S9_iPKfiiiPfSC_PS2_PT2_iSB_SB_: ; @_Z39paged_attention_ll4mi_QKV_mfma16_kernelIDF16_DF16_LN4vllm18Fp8KVCacheDataTypeE0EhLi32ELi128ELi256ELb0ELi4EEvPKT_PKT0_S7_ifPKiS9_S9_iPKfiiiPfSC_PS2_PT2_iSB_SB_
; %bb.0:
	s_get_pc_i64 s[2:3]
	s_add_nc_u64 s[2:3], s[2:3], __PRETTY_FUNCTION__._Z39paged_attention_ll4mi_QKV_mfma16_kernelIDF16_DF16_LN4vllm18Fp8KVCacheDataTypeE0EhLi32ELi128ELi256ELb0ELi4EEvPKT_PKT0_S7_ifPKiS9_S9_iPKfiiiPfSC_PS2_PT2_iSB_SB_@rel64+4
	s_delay_alu instid0(SALU_CYCLE_1)
	v_dual_mov_b32 v0, 0xbb3 :: v_dual_mov_b32 v1, s2
	v_mov_b32_e32 v2, s3
	s_add_nc_u64 s[8:9], s[0:1], 0x90
	s_get_pc_i64 s[0:1]
	s_add_nc_u64 s[0:1], s[0:1], __assert_fail@rel64+4
	s_mov_b32 s32, 0
	s_swap_pc_i64 s[30:31], s[0:1]
	.section	.rodata,"a",@progbits
	.p2align	6, 0x0
	.amdhsa_kernel _Z39paged_attention_ll4mi_QKV_mfma16_kernelIDF16_DF16_LN4vllm18Fp8KVCacheDataTypeE0EhLi32ELi128ELi256ELb0ELi4EEvPKT_PKT0_S7_ifPKiS9_S9_iPKfiiiPfSC_PS2_PT2_iSB_SB_
		.amdhsa_group_segment_fixed_size 0
		.amdhsa_private_segment_fixed_size 64
		.amdhsa_kernarg_size 400
		.amdhsa_user_sgpr_count 2
		.amdhsa_user_sgpr_dispatch_ptr 0
		.amdhsa_user_sgpr_queue_ptr 0
		.amdhsa_user_sgpr_kernarg_segment_ptr 1
		.amdhsa_user_sgpr_dispatch_id 0
		.amdhsa_user_sgpr_kernarg_preload_length 0
		.amdhsa_user_sgpr_kernarg_preload_offset 0
		.amdhsa_user_sgpr_private_segment_size 0
		.amdhsa_wavefront_size32 1
		.amdhsa_uses_dynamic_stack 0
		.amdhsa_enable_private_segment 1
		.amdhsa_system_sgpr_workgroup_id_x 1
		.amdhsa_system_sgpr_workgroup_id_y 0
		.amdhsa_system_sgpr_workgroup_id_z 0
		.amdhsa_system_sgpr_workgroup_info 0
		.amdhsa_system_vgpr_workitem_id 0
		.amdhsa_next_free_vgpr 51
		.amdhsa_next_free_sgpr 34
		.amdhsa_named_barrier_count 0
		.amdhsa_reserve_vcc 1
		.amdhsa_float_round_mode_32 0
		.amdhsa_float_round_mode_16_64 0
		.amdhsa_float_denorm_mode_32 3
		.amdhsa_float_denorm_mode_16_64 3
		.amdhsa_fp16_overflow 0
		.amdhsa_memory_ordered 1
		.amdhsa_forward_progress 1
		.amdhsa_inst_pref_size 1
		.amdhsa_round_robin_scheduling 0
		.amdhsa_exception_fp_ieee_invalid_op 0
		.amdhsa_exception_fp_denorm_src 0
		.amdhsa_exception_fp_ieee_div_zero 0
		.amdhsa_exception_fp_ieee_overflow 0
		.amdhsa_exception_fp_ieee_underflow 0
		.amdhsa_exception_fp_ieee_inexact 0
		.amdhsa_exception_int_div_zero 0
	.end_amdhsa_kernel
	.section	.text._Z39paged_attention_ll4mi_QKV_mfma16_kernelIDF16_DF16_LN4vllm18Fp8KVCacheDataTypeE0EhLi32ELi128ELi256ELb0ELi4EEvPKT_PKT0_S7_ifPKiS9_S9_iPKfiiiPfSC_PS2_PT2_iSB_SB_,"axG",@progbits,_Z39paged_attention_ll4mi_QKV_mfma16_kernelIDF16_DF16_LN4vllm18Fp8KVCacheDataTypeE0EhLi32ELi128ELi256ELb0ELi4EEvPKT_PKT0_S7_ifPKiS9_S9_iPKfiiiPfSC_PS2_PT2_iSB_SB_,comdat
.Lfunc_end345:
	.size	_Z39paged_attention_ll4mi_QKV_mfma16_kernelIDF16_DF16_LN4vllm18Fp8KVCacheDataTypeE0EhLi32ELi128ELi256ELb0ELi4EEvPKT_PKT0_S7_ifPKiS9_S9_iPKfiiiPfSC_PS2_PT2_iSB_SB_, .Lfunc_end345-_Z39paged_attention_ll4mi_QKV_mfma16_kernelIDF16_DF16_LN4vllm18Fp8KVCacheDataTypeE0EhLi32ELi128ELi256ELb0ELi4EEvPKT_PKT0_S7_ifPKiS9_S9_iPKfiiiPfSC_PS2_PT2_iSB_SB_
                                        ; -- End function
	.set _Z39paged_attention_ll4mi_QKV_mfma16_kernelIDF16_DF16_LN4vllm18Fp8KVCacheDataTypeE0EhLi32ELi128ELi256ELb0ELi4EEvPKT_PKT0_S7_ifPKiS9_S9_iPKfiiiPfSC_PS2_PT2_iSB_SB_.num_vgpr, max(3, .L__assert_fail.num_vgpr)
	.set _Z39paged_attention_ll4mi_QKV_mfma16_kernelIDF16_DF16_LN4vllm18Fp8KVCacheDataTypeE0EhLi32ELi128ELi256ELb0ELi4EEvPKT_PKT0_S7_ifPKiS9_S9_iPKfiiiPfSC_PS2_PT2_iSB_SB_.num_agpr, max(0, .L__assert_fail.num_agpr)
	.set _Z39paged_attention_ll4mi_QKV_mfma16_kernelIDF16_DF16_LN4vllm18Fp8KVCacheDataTypeE0EhLi32ELi128ELi256ELb0ELi4EEvPKT_PKT0_S7_ifPKiS9_S9_iPKfiiiPfSC_PS2_PT2_iSB_SB_.numbered_sgpr, max(33, .L__assert_fail.numbered_sgpr)
	.set _Z39paged_attention_ll4mi_QKV_mfma16_kernelIDF16_DF16_LN4vllm18Fp8KVCacheDataTypeE0EhLi32ELi128ELi256ELb0ELi4EEvPKT_PKT0_S7_ifPKiS9_S9_iPKfiiiPfSC_PS2_PT2_iSB_SB_.num_named_barrier, max(0, .L__assert_fail.num_named_barrier)
	.set _Z39paged_attention_ll4mi_QKV_mfma16_kernelIDF16_DF16_LN4vllm18Fp8KVCacheDataTypeE0EhLi32ELi128ELi256ELb0ELi4EEvPKT_PKT0_S7_ifPKiS9_S9_iPKfiiiPfSC_PS2_PT2_iSB_SB_.private_seg_size, 0+max(.L__assert_fail.private_seg_size)
	.set _Z39paged_attention_ll4mi_QKV_mfma16_kernelIDF16_DF16_LN4vllm18Fp8KVCacheDataTypeE0EhLi32ELi128ELi256ELb0ELi4EEvPKT_PKT0_S7_ifPKiS9_S9_iPKfiiiPfSC_PS2_PT2_iSB_SB_.uses_vcc, or(1, .L__assert_fail.uses_vcc)
	.set _Z39paged_attention_ll4mi_QKV_mfma16_kernelIDF16_DF16_LN4vllm18Fp8KVCacheDataTypeE0EhLi32ELi128ELi256ELb0ELi4EEvPKT_PKT0_S7_ifPKiS9_S9_iPKfiiiPfSC_PS2_PT2_iSB_SB_.uses_flat_scratch, or(0, .L__assert_fail.uses_flat_scratch)
	.set _Z39paged_attention_ll4mi_QKV_mfma16_kernelIDF16_DF16_LN4vllm18Fp8KVCacheDataTypeE0EhLi32ELi128ELi256ELb0ELi4EEvPKT_PKT0_S7_ifPKiS9_S9_iPKfiiiPfSC_PS2_PT2_iSB_SB_.has_dyn_sized_stack, or(0, .L__assert_fail.has_dyn_sized_stack)
	.set _Z39paged_attention_ll4mi_QKV_mfma16_kernelIDF16_DF16_LN4vllm18Fp8KVCacheDataTypeE0EhLi32ELi128ELi256ELb0ELi4EEvPKT_PKT0_S7_ifPKiS9_S9_iPKfiiiPfSC_PS2_PT2_iSB_SB_.has_recursion, or(0, .L__assert_fail.has_recursion)
	.set _Z39paged_attention_ll4mi_QKV_mfma16_kernelIDF16_DF16_LN4vllm18Fp8KVCacheDataTypeE0EhLi32ELi128ELi256ELb0ELi4EEvPKT_PKT0_S7_ifPKiS9_S9_iPKfiiiPfSC_PS2_PT2_iSB_SB_.has_indirect_call, or(0, .L__assert_fail.has_indirect_call)
	.section	.AMDGPU.csdata,"",@progbits
; Kernel info:
; codeLenInByte = 68
; TotalNumSgprs: 36
; NumVgprs: 51
; ScratchSize: 64
; MemoryBound: 0
; FloatMode: 240
; IeeeMode: 1
; LDSByteSize: 0 bytes/workgroup (compile time only)
; SGPRBlocks: 0
; VGPRBlocks: 3
; NumSGPRsForWavesPerEU: 36
; NumVGPRsForWavesPerEU: 51
; NamedBarCnt: 0
; Occupancy: 16
; WaveLimiterHint : 1
; COMPUTE_PGM_RSRC2:SCRATCH_EN: 1
; COMPUTE_PGM_RSRC2:USER_SGPR: 2
; COMPUTE_PGM_RSRC2:TRAP_HANDLER: 0
; COMPUTE_PGM_RSRC2:TGID_X_EN: 1
; COMPUTE_PGM_RSRC2:TGID_Y_EN: 0
; COMPUTE_PGM_RSRC2:TGID_Z_EN: 0
; COMPUTE_PGM_RSRC2:TIDIG_COMP_CNT: 0
	.section	.text._Z38paged_attention_ll4mi_QKV_mfma4_kernelIDF16_DF16_LN4vllm18Fp8KVCacheDataTypeE0EDF16_Li32ELi128ELi256ELb1ELi1EEvPKT_PKT0_S7_ifPKiS9_S9_iPKfiiiPfSC_PS2_PT2_iSB_SB_,"axG",@progbits,_Z38paged_attention_ll4mi_QKV_mfma4_kernelIDF16_DF16_LN4vllm18Fp8KVCacheDataTypeE0EDF16_Li32ELi128ELi256ELb1ELi1EEvPKT_PKT0_S7_ifPKiS9_S9_iPKfiiiPfSC_PS2_PT2_iSB_SB_,comdat
	.protected	_Z38paged_attention_ll4mi_QKV_mfma4_kernelIDF16_DF16_LN4vllm18Fp8KVCacheDataTypeE0EDF16_Li32ELi128ELi256ELb1ELi1EEvPKT_PKT0_S7_ifPKiS9_S9_iPKfiiiPfSC_PS2_PT2_iSB_SB_ ; -- Begin function _Z38paged_attention_ll4mi_QKV_mfma4_kernelIDF16_DF16_LN4vllm18Fp8KVCacheDataTypeE0EDF16_Li32ELi128ELi256ELb1ELi1EEvPKT_PKT0_S7_ifPKiS9_S9_iPKfiiiPfSC_PS2_PT2_iSB_SB_
	.globl	_Z38paged_attention_ll4mi_QKV_mfma4_kernelIDF16_DF16_LN4vllm18Fp8KVCacheDataTypeE0EDF16_Li32ELi128ELi256ELb1ELi1EEvPKT_PKT0_S7_ifPKiS9_S9_iPKfiiiPfSC_PS2_PT2_iSB_SB_
	.p2align	8
	.type	_Z38paged_attention_ll4mi_QKV_mfma4_kernelIDF16_DF16_LN4vllm18Fp8KVCacheDataTypeE0EDF16_Li32ELi128ELi256ELb1ELi1EEvPKT_PKT0_S7_ifPKiS9_S9_iPKfiiiPfSC_PS2_PT2_iSB_SB_,@function
_Z38paged_attention_ll4mi_QKV_mfma4_kernelIDF16_DF16_LN4vllm18Fp8KVCacheDataTypeE0EDF16_Li32ELi128ELi256ELb1ELi1EEvPKT_PKT0_S7_ifPKiS9_S9_iPKfiiiPfSC_PS2_PT2_iSB_SB_: ; @_Z38paged_attention_ll4mi_QKV_mfma4_kernelIDF16_DF16_LN4vllm18Fp8KVCacheDataTypeE0EDF16_Li32ELi128ELi256ELb1ELi1EEvPKT_PKT0_S7_ifPKiS9_S9_iPKfiiiPfSC_PS2_PT2_iSB_SB_
; %bb.0:
	s_get_pc_i64 s[2:3]
	s_add_nc_u64 s[2:3], s[2:3], __PRETTY_FUNCTION__._Z38paged_attention_ll4mi_QKV_mfma4_kernelIDF16_DF16_LN4vllm18Fp8KVCacheDataTypeE0EDF16_Li32ELi128ELi256ELb1ELi1EEvPKT_PKT0_S7_ifPKiS9_S9_iPKfiiiPfSC_PS2_PT2_iSB_SB_@rel64+4
	s_delay_alu instid0(SALU_CYCLE_1)
	v_dual_mov_b32 v0, 0xbce :: v_dual_mov_b32 v1, s2
	v_mov_b32_e32 v2, s3
	s_add_nc_u64 s[8:9], s[0:1], 0x90
	s_get_pc_i64 s[0:1]
	s_add_nc_u64 s[0:1], s[0:1], __assert_fail@rel64+4
	s_mov_b32 s32, 0
	s_swap_pc_i64 s[30:31], s[0:1]
	.section	.rodata,"a",@progbits
	.p2align	6, 0x0
	.amdhsa_kernel _Z38paged_attention_ll4mi_QKV_mfma4_kernelIDF16_DF16_LN4vllm18Fp8KVCacheDataTypeE0EDF16_Li32ELi128ELi256ELb1ELi1EEvPKT_PKT0_S7_ifPKiS9_S9_iPKfiiiPfSC_PS2_PT2_iSB_SB_
		.amdhsa_group_segment_fixed_size 0
		.amdhsa_private_segment_fixed_size 64
		.amdhsa_kernarg_size 400
		.amdhsa_user_sgpr_count 2
		.amdhsa_user_sgpr_dispatch_ptr 0
		.amdhsa_user_sgpr_queue_ptr 0
		.amdhsa_user_sgpr_kernarg_segment_ptr 1
		.amdhsa_user_sgpr_dispatch_id 0
		.amdhsa_user_sgpr_kernarg_preload_length 0
		.amdhsa_user_sgpr_kernarg_preload_offset 0
		.amdhsa_user_sgpr_private_segment_size 0
		.amdhsa_wavefront_size32 1
		.amdhsa_uses_dynamic_stack 0
		.amdhsa_enable_private_segment 1
		.amdhsa_system_sgpr_workgroup_id_x 1
		.amdhsa_system_sgpr_workgroup_id_y 0
		.amdhsa_system_sgpr_workgroup_id_z 0
		.amdhsa_system_sgpr_workgroup_info 0
		.amdhsa_system_vgpr_workitem_id 0
		.amdhsa_next_free_vgpr 51
		.amdhsa_next_free_sgpr 34
		.amdhsa_named_barrier_count 0
		.amdhsa_reserve_vcc 1
		.amdhsa_float_round_mode_32 0
		.amdhsa_float_round_mode_16_64 0
		.amdhsa_float_denorm_mode_32 3
		.amdhsa_float_denorm_mode_16_64 3
		.amdhsa_fp16_overflow 0
		.amdhsa_memory_ordered 1
		.amdhsa_forward_progress 1
		.amdhsa_inst_pref_size 1
		.amdhsa_round_robin_scheduling 0
		.amdhsa_exception_fp_ieee_invalid_op 0
		.amdhsa_exception_fp_denorm_src 0
		.amdhsa_exception_fp_ieee_div_zero 0
		.amdhsa_exception_fp_ieee_overflow 0
		.amdhsa_exception_fp_ieee_underflow 0
		.amdhsa_exception_fp_ieee_inexact 0
		.amdhsa_exception_int_div_zero 0
	.end_amdhsa_kernel
	.section	.text._Z38paged_attention_ll4mi_QKV_mfma4_kernelIDF16_DF16_LN4vllm18Fp8KVCacheDataTypeE0EDF16_Li32ELi128ELi256ELb1ELi1EEvPKT_PKT0_S7_ifPKiS9_S9_iPKfiiiPfSC_PS2_PT2_iSB_SB_,"axG",@progbits,_Z38paged_attention_ll4mi_QKV_mfma4_kernelIDF16_DF16_LN4vllm18Fp8KVCacheDataTypeE0EDF16_Li32ELi128ELi256ELb1ELi1EEvPKT_PKT0_S7_ifPKiS9_S9_iPKfiiiPfSC_PS2_PT2_iSB_SB_,comdat
.Lfunc_end346:
	.size	_Z38paged_attention_ll4mi_QKV_mfma4_kernelIDF16_DF16_LN4vllm18Fp8KVCacheDataTypeE0EDF16_Li32ELi128ELi256ELb1ELi1EEvPKT_PKT0_S7_ifPKiS9_S9_iPKfiiiPfSC_PS2_PT2_iSB_SB_, .Lfunc_end346-_Z38paged_attention_ll4mi_QKV_mfma4_kernelIDF16_DF16_LN4vllm18Fp8KVCacheDataTypeE0EDF16_Li32ELi128ELi256ELb1ELi1EEvPKT_PKT0_S7_ifPKiS9_S9_iPKfiiiPfSC_PS2_PT2_iSB_SB_
                                        ; -- End function
	.set _Z38paged_attention_ll4mi_QKV_mfma4_kernelIDF16_DF16_LN4vllm18Fp8KVCacheDataTypeE0EDF16_Li32ELi128ELi256ELb1ELi1EEvPKT_PKT0_S7_ifPKiS9_S9_iPKfiiiPfSC_PS2_PT2_iSB_SB_.num_vgpr, max(3, .L__assert_fail.num_vgpr)
	.set _Z38paged_attention_ll4mi_QKV_mfma4_kernelIDF16_DF16_LN4vllm18Fp8KVCacheDataTypeE0EDF16_Li32ELi128ELi256ELb1ELi1EEvPKT_PKT0_S7_ifPKiS9_S9_iPKfiiiPfSC_PS2_PT2_iSB_SB_.num_agpr, max(0, .L__assert_fail.num_agpr)
	.set _Z38paged_attention_ll4mi_QKV_mfma4_kernelIDF16_DF16_LN4vllm18Fp8KVCacheDataTypeE0EDF16_Li32ELi128ELi256ELb1ELi1EEvPKT_PKT0_S7_ifPKiS9_S9_iPKfiiiPfSC_PS2_PT2_iSB_SB_.numbered_sgpr, max(33, .L__assert_fail.numbered_sgpr)
	.set _Z38paged_attention_ll4mi_QKV_mfma4_kernelIDF16_DF16_LN4vllm18Fp8KVCacheDataTypeE0EDF16_Li32ELi128ELi256ELb1ELi1EEvPKT_PKT0_S7_ifPKiS9_S9_iPKfiiiPfSC_PS2_PT2_iSB_SB_.num_named_barrier, max(0, .L__assert_fail.num_named_barrier)
	.set _Z38paged_attention_ll4mi_QKV_mfma4_kernelIDF16_DF16_LN4vllm18Fp8KVCacheDataTypeE0EDF16_Li32ELi128ELi256ELb1ELi1EEvPKT_PKT0_S7_ifPKiS9_S9_iPKfiiiPfSC_PS2_PT2_iSB_SB_.private_seg_size, 0+max(.L__assert_fail.private_seg_size)
	.set _Z38paged_attention_ll4mi_QKV_mfma4_kernelIDF16_DF16_LN4vllm18Fp8KVCacheDataTypeE0EDF16_Li32ELi128ELi256ELb1ELi1EEvPKT_PKT0_S7_ifPKiS9_S9_iPKfiiiPfSC_PS2_PT2_iSB_SB_.uses_vcc, or(1, .L__assert_fail.uses_vcc)
	.set _Z38paged_attention_ll4mi_QKV_mfma4_kernelIDF16_DF16_LN4vllm18Fp8KVCacheDataTypeE0EDF16_Li32ELi128ELi256ELb1ELi1EEvPKT_PKT0_S7_ifPKiS9_S9_iPKfiiiPfSC_PS2_PT2_iSB_SB_.uses_flat_scratch, or(0, .L__assert_fail.uses_flat_scratch)
	.set _Z38paged_attention_ll4mi_QKV_mfma4_kernelIDF16_DF16_LN4vllm18Fp8KVCacheDataTypeE0EDF16_Li32ELi128ELi256ELb1ELi1EEvPKT_PKT0_S7_ifPKiS9_S9_iPKfiiiPfSC_PS2_PT2_iSB_SB_.has_dyn_sized_stack, or(0, .L__assert_fail.has_dyn_sized_stack)
	.set _Z38paged_attention_ll4mi_QKV_mfma4_kernelIDF16_DF16_LN4vllm18Fp8KVCacheDataTypeE0EDF16_Li32ELi128ELi256ELb1ELi1EEvPKT_PKT0_S7_ifPKiS9_S9_iPKfiiiPfSC_PS2_PT2_iSB_SB_.has_recursion, or(0, .L__assert_fail.has_recursion)
	.set _Z38paged_attention_ll4mi_QKV_mfma4_kernelIDF16_DF16_LN4vllm18Fp8KVCacheDataTypeE0EDF16_Li32ELi128ELi256ELb1ELi1EEvPKT_PKT0_S7_ifPKiS9_S9_iPKfiiiPfSC_PS2_PT2_iSB_SB_.has_indirect_call, or(0, .L__assert_fail.has_indirect_call)
	.section	.AMDGPU.csdata,"",@progbits
; Kernel info:
; codeLenInByte = 68
; TotalNumSgprs: 36
; NumVgprs: 51
; ScratchSize: 64
; MemoryBound: 0
; FloatMode: 240
; IeeeMode: 1
; LDSByteSize: 0 bytes/workgroup (compile time only)
; SGPRBlocks: 0
; VGPRBlocks: 3
; NumSGPRsForWavesPerEU: 36
; NumVGPRsForWavesPerEU: 51
; NamedBarCnt: 0
; Occupancy: 16
; WaveLimiterHint : 1
; COMPUTE_PGM_RSRC2:SCRATCH_EN: 1
; COMPUTE_PGM_RSRC2:USER_SGPR: 2
; COMPUTE_PGM_RSRC2:TRAP_HANDLER: 0
; COMPUTE_PGM_RSRC2:TGID_X_EN: 1
; COMPUTE_PGM_RSRC2:TGID_Y_EN: 0
; COMPUTE_PGM_RSRC2:TGID_Z_EN: 0
; COMPUTE_PGM_RSRC2:TIDIG_COMP_CNT: 0
	.section	.text._Z38paged_attention_ll4mi_QKV_mfma4_kernelIDF16_DF16_LN4vllm18Fp8KVCacheDataTypeE0EDF16_Li32ELi128ELi256ELb1ELi2EEvPKT_PKT0_S7_ifPKiS9_S9_iPKfiiiPfSC_PS2_PT2_iSB_SB_,"axG",@progbits,_Z38paged_attention_ll4mi_QKV_mfma4_kernelIDF16_DF16_LN4vllm18Fp8KVCacheDataTypeE0EDF16_Li32ELi128ELi256ELb1ELi2EEvPKT_PKT0_S7_ifPKiS9_S9_iPKfiiiPfSC_PS2_PT2_iSB_SB_,comdat
	.protected	_Z38paged_attention_ll4mi_QKV_mfma4_kernelIDF16_DF16_LN4vllm18Fp8KVCacheDataTypeE0EDF16_Li32ELi128ELi256ELb1ELi2EEvPKT_PKT0_S7_ifPKiS9_S9_iPKfiiiPfSC_PS2_PT2_iSB_SB_ ; -- Begin function _Z38paged_attention_ll4mi_QKV_mfma4_kernelIDF16_DF16_LN4vllm18Fp8KVCacheDataTypeE0EDF16_Li32ELi128ELi256ELb1ELi2EEvPKT_PKT0_S7_ifPKiS9_S9_iPKfiiiPfSC_PS2_PT2_iSB_SB_
	.globl	_Z38paged_attention_ll4mi_QKV_mfma4_kernelIDF16_DF16_LN4vllm18Fp8KVCacheDataTypeE0EDF16_Li32ELi128ELi256ELb1ELi2EEvPKT_PKT0_S7_ifPKiS9_S9_iPKfiiiPfSC_PS2_PT2_iSB_SB_
	.p2align	8
	.type	_Z38paged_attention_ll4mi_QKV_mfma4_kernelIDF16_DF16_LN4vllm18Fp8KVCacheDataTypeE0EDF16_Li32ELi128ELi256ELb1ELi2EEvPKT_PKT0_S7_ifPKiS9_S9_iPKfiiiPfSC_PS2_PT2_iSB_SB_,@function
_Z38paged_attention_ll4mi_QKV_mfma4_kernelIDF16_DF16_LN4vllm18Fp8KVCacheDataTypeE0EDF16_Li32ELi128ELi256ELb1ELi2EEvPKT_PKT0_S7_ifPKiS9_S9_iPKfiiiPfSC_PS2_PT2_iSB_SB_: ; @_Z38paged_attention_ll4mi_QKV_mfma4_kernelIDF16_DF16_LN4vllm18Fp8KVCacheDataTypeE0EDF16_Li32ELi128ELi256ELb1ELi2EEvPKT_PKT0_S7_ifPKiS9_S9_iPKfiiiPfSC_PS2_PT2_iSB_SB_
; %bb.0:
	s_get_pc_i64 s[2:3]
	s_add_nc_u64 s[2:3], s[2:3], __PRETTY_FUNCTION__._Z38paged_attention_ll4mi_QKV_mfma4_kernelIDF16_DF16_LN4vllm18Fp8KVCacheDataTypeE0EDF16_Li32ELi128ELi256ELb1ELi2EEvPKT_PKT0_S7_ifPKiS9_S9_iPKfiiiPfSC_PS2_PT2_iSB_SB_@rel64+4
	s_delay_alu instid0(SALU_CYCLE_1)
	v_dual_mov_b32 v0, 0xbce :: v_dual_mov_b32 v1, s2
	v_mov_b32_e32 v2, s3
	s_add_nc_u64 s[8:9], s[0:1], 0x90
	s_get_pc_i64 s[0:1]
	s_add_nc_u64 s[0:1], s[0:1], __assert_fail@rel64+4
	s_mov_b32 s32, 0
	s_swap_pc_i64 s[30:31], s[0:1]
	.section	.rodata,"a",@progbits
	.p2align	6, 0x0
	.amdhsa_kernel _Z38paged_attention_ll4mi_QKV_mfma4_kernelIDF16_DF16_LN4vllm18Fp8KVCacheDataTypeE0EDF16_Li32ELi128ELi256ELb1ELi2EEvPKT_PKT0_S7_ifPKiS9_S9_iPKfiiiPfSC_PS2_PT2_iSB_SB_
		.amdhsa_group_segment_fixed_size 0
		.amdhsa_private_segment_fixed_size 64
		.amdhsa_kernarg_size 400
		.amdhsa_user_sgpr_count 2
		.amdhsa_user_sgpr_dispatch_ptr 0
		.amdhsa_user_sgpr_queue_ptr 0
		.amdhsa_user_sgpr_kernarg_segment_ptr 1
		.amdhsa_user_sgpr_dispatch_id 0
		.amdhsa_user_sgpr_kernarg_preload_length 0
		.amdhsa_user_sgpr_kernarg_preload_offset 0
		.amdhsa_user_sgpr_private_segment_size 0
		.amdhsa_wavefront_size32 1
		.amdhsa_uses_dynamic_stack 0
		.amdhsa_enable_private_segment 1
		.amdhsa_system_sgpr_workgroup_id_x 1
		.amdhsa_system_sgpr_workgroup_id_y 0
		.amdhsa_system_sgpr_workgroup_id_z 0
		.amdhsa_system_sgpr_workgroup_info 0
		.amdhsa_system_vgpr_workitem_id 0
		.amdhsa_next_free_vgpr 51
		.amdhsa_next_free_sgpr 34
		.amdhsa_named_barrier_count 0
		.amdhsa_reserve_vcc 1
		.amdhsa_float_round_mode_32 0
		.amdhsa_float_round_mode_16_64 0
		.amdhsa_float_denorm_mode_32 3
		.amdhsa_float_denorm_mode_16_64 3
		.amdhsa_fp16_overflow 0
		.amdhsa_memory_ordered 1
		.amdhsa_forward_progress 1
		.amdhsa_inst_pref_size 1
		.amdhsa_round_robin_scheduling 0
		.amdhsa_exception_fp_ieee_invalid_op 0
		.amdhsa_exception_fp_denorm_src 0
		.amdhsa_exception_fp_ieee_div_zero 0
		.amdhsa_exception_fp_ieee_overflow 0
		.amdhsa_exception_fp_ieee_underflow 0
		.amdhsa_exception_fp_ieee_inexact 0
		.amdhsa_exception_int_div_zero 0
	.end_amdhsa_kernel
	.section	.text._Z38paged_attention_ll4mi_QKV_mfma4_kernelIDF16_DF16_LN4vllm18Fp8KVCacheDataTypeE0EDF16_Li32ELi128ELi256ELb1ELi2EEvPKT_PKT0_S7_ifPKiS9_S9_iPKfiiiPfSC_PS2_PT2_iSB_SB_,"axG",@progbits,_Z38paged_attention_ll4mi_QKV_mfma4_kernelIDF16_DF16_LN4vllm18Fp8KVCacheDataTypeE0EDF16_Li32ELi128ELi256ELb1ELi2EEvPKT_PKT0_S7_ifPKiS9_S9_iPKfiiiPfSC_PS2_PT2_iSB_SB_,comdat
.Lfunc_end347:
	.size	_Z38paged_attention_ll4mi_QKV_mfma4_kernelIDF16_DF16_LN4vllm18Fp8KVCacheDataTypeE0EDF16_Li32ELi128ELi256ELb1ELi2EEvPKT_PKT0_S7_ifPKiS9_S9_iPKfiiiPfSC_PS2_PT2_iSB_SB_, .Lfunc_end347-_Z38paged_attention_ll4mi_QKV_mfma4_kernelIDF16_DF16_LN4vllm18Fp8KVCacheDataTypeE0EDF16_Li32ELi128ELi256ELb1ELi2EEvPKT_PKT0_S7_ifPKiS9_S9_iPKfiiiPfSC_PS2_PT2_iSB_SB_
                                        ; -- End function
	.set _Z38paged_attention_ll4mi_QKV_mfma4_kernelIDF16_DF16_LN4vllm18Fp8KVCacheDataTypeE0EDF16_Li32ELi128ELi256ELb1ELi2EEvPKT_PKT0_S7_ifPKiS9_S9_iPKfiiiPfSC_PS2_PT2_iSB_SB_.num_vgpr, max(3, .L__assert_fail.num_vgpr)
	.set _Z38paged_attention_ll4mi_QKV_mfma4_kernelIDF16_DF16_LN4vllm18Fp8KVCacheDataTypeE0EDF16_Li32ELi128ELi256ELb1ELi2EEvPKT_PKT0_S7_ifPKiS9_S9_iPKfiiiPfSC_PS2_PT2_iSB_SB_.num_agpr, max(0, .L__assert_fail.num_agpr)
	.set _Z38paged_attention_ll4mi_QKV_mfma4_kernelIDF16_DF16_LN4vllm18Fp8KVCacheDataTypeE0EDF16_Li32ELi128ELi256ELb1ELi2EEvPKT_PKT0_S7_ifPKiS9_S9_iPKfiiiPfSC_PS2_PT2_iSB_SB_.numbered_sgpr, max(33, .L__assert_fail.numbered_sgpr)
	.set _Z38paged_attention_ll4mi_QKV_mfma4_kernelIDF16_DF16_LN4vllm18Fp8KVCacheDataTypeE0EDF16_Li32ELi128ELi256ELb1ELi2EEvPKT_PKT0_S7_ifPKiS9_S9_iPKfiiiPfSC_PS2_PT2_iSB_SB_.num_named_barrier, max(0, .L__assert_fail.num_named_barrier)
	.set _Z38paged_attention_ll4mi_QKV_mfma4_kernelIDF16_DF16_LN4vllm18Fp8KVCacheDataTypeE0EDF16_Li32ELi128ELi256ELb1ELi2EEvPKT_PKT0_S7_ifPKiS9_S9_iPKfiiiPfSC_PS2_PT2_iSB_SB_.private_seg_size, 0+max(.L__assert_fail.private_seg_size)
	.set _Z38paged_attention_ll4mi_QKV_mfma4_kernelIDF16_DF16_LN4vllm18Fp8KVCacheDataTypeE0EDF16_Li32ELi128ELi256ELb1ELi2EEvPKT_PKT0_S7_ifPKiS9_S9_iPKfiiiPfSC_PS2_PT2_iSB_SB_.uses_vcc, or(1, .L__assert_fail.uses_vcc)
	.set _Z38paged_attention_ll4mi_QKV_mfma4_kernelIDF16_DF16_LN4vllm18Fp8KVCacheDataTypeE0EDF16_Li32ELi128ELi256ELb1ELi2EEvPKT_PKT0_S7_ifPKiS9_S9_iPKfiiiPfSC_PS2_PT2_iSB_SB_.uses_flat_scratch, or(0, .L__assert_fail.uses_flat_scratch)
	.set _Z38paged_attention_ll4mi_QKV_mfma4_kernelIDF16_DF16_LN4vllm18Fp8KVCacheDataTypeE0EDF16_Li32ELi128ELi256ELb1ELi2EEvPKT_PKT0_S7_ifPKiS9_S9_iPKfiiiPfSC_PS2_PT2_iSB_SB_.has_dyn_sized_stack, or(0, .L__assert_fail.has_dyn_sized_stack)
	.set _Z38paged_attention_ll4mi_QKV_mfma4_kernelIDF16_DF16_LN4vllm18Fp8KVCacheDataTypeE0EDF16_Li32ELi128ELi256ELb1ELi2EEvPKT_PKT0_S7_ifPKiS9_S9_iPKfiiiPfSC_PS2_PT2_iSB_SB_.has_recursion, or(0, .L__assert_fail.has_recursion)
	.set _Z38paged_attention_ll4mi_QKV_mfma4_kernelIDF16_DF16_LN4vllm18Fp8KVCacheDataTypeE0EDF16_Li32ELi128ELi256ELb1ELi2EEvPKT_PKT0_S7_ifPKiS9_S9_iPKfiiiPfSC_PS2_PT2_iSB_SB_.has_indirect_call, or(0, .L__assert_fail.has_indirect_call)
	.section	.AMDGPU.csdata,"",@progbits
; Kernel info:
; codeLenInByte = 68
; TotalNumSgprs: 36
; NumVgprs: 51
; ScratchSize: 64
; MemoryBound: 0
; FloatMode: 240
; IeeeMode: 1
; LDSByteSize: 0 bytes/workgroup (compile time only)
; SGPRBlocks: 0
; VGPRBlocks: 3
; NumSGPRsForWavesPerEU: 36
; NumVGPRsForWavesPerEU: 51
; NamedBarCnt: 0
; Occupancy: 16
; WaveLimiterHint : 1
; COMPUTE_PGM_RSRC2:SCRATCH_EN: 1
; COMPUTE_PGM_RSRC2:USER_SGPR: 2
; COMPUTE_PGM_RSRC2:TRAP_HANDLER: 0
; COMPUTE_PGM_RSRC2:TGID_X_EN: 1
; COMPUTE_PGM_RSRC2:TGID_Y_EN: 0
; COMPUTE_PGM_RSRC2:TGID_Z_EN: 0
; COMPUTE_PGM_RSRC2:TIDIG_COMP_CNT: 0
	.section	.text._Z38paged_attention_ll4mi_QKV_mfma4_kernelIDF16_DF16_LN4vllm18Fp8KVCacheDataTypeE0EDF16_Li32ELi128ELi256ELb1ELi3EEvPKT_PKT0_S7_ifPKiS9_S9_iPKfiiiPfSC_PS2_PT2_iSB_SB_,"axG",@progbits,_Z38paged_attention_ll4mi_QKV_mfma4_kernelIDF16_DF16_LN4vllm18Fp8KVCacheDataTypeE0EDF16_Li32ELi128ELi256ELb1ELi3EEvPKT_PKT0_S7_ifPKiS9_S9_iPKfiiiPfSC_PS2_PT2_iSB_SB_,comdat
	.protected	_Z38paged_attention_ll4mi_QKV_mfma4_kernelIDF16_DF16_LN4vllm18Fp8KVCacheDataTypeE0EDF16_Li32ELi128ELi256ELb1ELi3EEvPKT_PKT0_S7_ifPKiS9_S9_iPKfiiiPfSC_PS2_PT2_iSB_SB_ ; -- Begin function _Z38paged_attention_ll4mi_QKV_mfma4_kernelIDF16_DF16_LN4vllm18Fp8KVCacheDataTypeE0EDF16_Li32ELi128ELi256ELb1ELi3EEvPKT_PKT0_S7_ifPKiS9_S9_iPKfiiiPfSC_PS2_PT2_iSB_SB_
	.globl	_Z38paged_attention_ll4mi_QKV_mfma4_kernelIDF16_DF16_LN4vllm18Fp8KVCacheDataTypeE0EDF16_Li32ELi128ELi256ELb1ELi3EEvPKT_PKT0_S7_ifPKiS9_S9_iPKfiiiPfSC_PS2_PT2_iSB_SB_
	.p2align	8
	.type	_Z38paged_attention_ll4mi_QKV_mfma4_kernelIDF16_DF16_LN4vllm18Fp8KVCacheDataTypeE0EDF16_Li32ELi128ELi256ELb1ELi3EEvPKT_PKT0_S7_ifPKiS9_S9_iPKfiiiPfSC_PS2_PT2_iSB_SB_,@function
_Z38paged_attention_ll4mi_QKV_mfma4_kernelIDF16_DF16_LN4vllm18Fp8KVCacheDataTypeE0EDF16_Li32ELi128ELi256ELb1ELi3EEvPKT_PKT0_S7_ifPKiS9_S9_iPKfiiiPfSC_PS2_PT2_iSB_SB_: ; @_Z38paged_attention_ll4mi_QKV_mfma4_kernelIDF16_DF16_LN4vllm18Fp8KVCacheDataTypeE0EDF16_Li32ELi128ELi256ELb1ELi3EEvPKT_PKT0_S7_ifPKiS9_S9_iPKfiiiPfSC_PS2_PT2_iSB_SB_
; %bb.0:
	s_get_pc_i64 s[2:3]
	s_add_nc_u64 s[2:3], s[2:3], __PRETTY_FUNCTION__._Z38paged_attention_ll4mi_QKV_mfma4_kernelIDF16_DF16_LN4vllm18Fp8KVCacheDataTypeE0EDF16_Li32ELi128ELi256ELb1ELi3EEvPKT_PKT0_S7_ifPKiS9_S9_iPKfiiiPfSC_PS2_PT2_iSB_SB_@rel64+4
	s_delay_alu instid0(SALU_CYCLE_1)
	v_dual_mov_b32 v0, 0xbce :: v_dual_mov_b32 v1, s2
	v_mov_b32_e32 v2, s3
	s_add_nc_u64 s[8:9], s[0:1], 0x90
	s_get_pc_i64 s[0:1]
	s_add_nc_u64 s[0:1], s[0:1], __assert_fail@rel64+4
	s_mov_b32 s32, 0
	s_swap_pc_i64 s[30:31], s[0:1]
	.section	.rodata,"a",@progbits
	.p2align	6, 0x0
	.amdhsa_kernel _Z38paged_attention_ll4mi_QKV_mfma4_kernelIDF16_DF16_LN4vllm18Fp8KVCacheDataTypeE0EDF16_Li32ELi128ELi256ELb1ELi3EEvPKT_PKT0_S7_ifPKiS9_S9_iPKfiiiPfSC_PS2_PT2_iSB_SB_
		.amdhsa_group_segment_fixed_size 0
		.amdhsa_private_segment_fixed_size 64
		.amdhsa_kernarg_size 400
		.amdhsa_user_sgpr_count 2
		.amdhsa_user_sgpr_dispatch_ptr 0
		.amdhsa_user_sgpr_queue_ptr 0
		.amdhsa_user_sgpr_kernarg_segment_ptr 1
		.amdhsa_user_sgpr_dispatch_id 0
		.amdhsa_user_sgpr_kernarg_preload_length 0
		.amdhsa_user_sgpr_kernarg_preload_offset 0
		.amdhsa_user_sgpr_private_segment_size 0
		.amdhsa_wavefront_size32 1
		.amdhsa_uses_dynamic_stack 0
		.amdhsa_enable_private_segment 1
		.amdhsa_system_sgpr_workgroup_id_x 1
		.amdhsa_system_sgpr_workgroup_id_y 0
		.amdhsa_system_sgpr_workgroup_id_z 0
		.amdhsa_system_sgpr_workgroup_info 0
		.amdhsa_system_vgpr_workitem_id 0
		.amdhsa_next_free_vgpr 51
		.amdhsa_next_free_sgpr 34
		.amdhsa_named_barrier_count 0
		.amdhsa_reserve_vcc 1
		.amdhsa_float_round_mode_32 0
		.amdhsa_float_round_mode_16_64 0
		.amdhsa_float_denorm_mode_32 3
		.amdhsa_float_denorm_mode_16_64 3
		.amdhsa_fp16_overflow 0
		.amdhsa_memory_ordered 1
		.amdhsa_forward_progress 1
		.amdhsa_inst_pref_size 1
		.amdhsa_round_robin_scheduling 0
		.amdhsa_exception_fp_ieee_invalid_op 0
		.amdhsa_exception_fp_denorm_src 0
		.amdhsa_exception_fp_ieee_div_zero 0
		.amdhsa_exception_fp_ieee_overflow 0
		.amdhsa_exception_fp_ieee_underflow 0
		.amdhsa_exception_fp_ieee_inexact 0
		.amdhsa_exception_int_div_zero 0
	.end_amdhsa_kernel
	.section	.text._Z38paged_attention_ll4mi_QKV_mfma4_kernelIDF16_DF16_LN4vllm18Fp8KVCacheDataTypeE0EDF16_Li32ELi128ELi256ELb1ELi3EEvPKT_PKT0_S7_ifPKiS9_S9_iPKfiiiPfSC_PS2_PT2_iSB_SB_,"axG",@progbits,_Z38paged_attention_ll4mi_QKV_mfma4_kernelIDF16_DF16_LN4vllm18Fp8KVCacheDataTypeE0EDF16_Li32ELi128ELi256ELb1ELi3EEvPKT_PKT0_S7_ifPKiS9_S9_iPKfiiiPfSC_PS2_PT2_iSB_SB_,comdat
.Lfunc_end348:
	.size	_Z38paged_attention_ll4mi_QKV_mfma4_kernelIDF16_DF16_LN4vllm18Fp8KVCacheDataTypeE0EDF16_Li32ELi128ELi256ELb1ELi3EEvPKT_PKT0_S7_ifPKiS9_S9_iPKfiiiPfSC_PS2_PT2_iSB_SB_, .Lfunc_end348-_Z38paged_attention_ll4mi_QKV_mfma4_kernelIDF16_DF16_LN4vllm18Fp8KVCacheDataTypeE0EDF16_Li32ELi128ELi256ELb1ELi3EEvPKT_PKT0_S7_ifPKiS9_S9_iPKfiiiPfSC_PS2_PT2_iSB_SB_
                                        ; -- End function
	.set _Z38paged_attention_ll4mi_QKV_mfma4_kernelIDF16_DF16_LN4vllm18Fp8KVCacheDataTypeE0EDF16_Li32ELi128ELi256ELb1ELi3EEvPKT_PKT0_S7_ifPKiS9_S9_iPKfiiiPfSC_PS2_PT2_iSB_SB_.num_vgpr, max(3, .L__assert_fail.num_vgpr)
	.set _Z38paged_attention_ll4mi_QKV_mfma4_kernelIDF16_DF16_LN4vllm18Fp8KVCacheDataTypeE0EDF16_Li32ELi128ELi256ELb1ELi3EEvPKT_PKT0_S7_ifPKiS9_S9_iPKfiiiPfSC_PS2_PT2_iSB_SB_.num_agpr, max(0, .L__assert_fail.num_agpr)
	.set _Z38paged_attention_ll4mi_QKV_mfma4_kernelIDF16_DF16_LN4vllm18Fp8KVCacheDataTypeE0EDF16_Li32ELi128ELi256ELb1ELi3EEvPKT_PKT0_S7_ifPKiS9_S9_iPKfiiiPfSC_PS2_PT2_iSB_SB_.numbered_sgpr, max(33, .L__assert_fail.numbered_sgpr)
	.set _Z38paged_attention_ll4mi_QKV_mfma4_kernelIDF16_DF16_LN4vllm18Fp8KVCacheDataTypeE0EDF16_Li32ELi128ELi256ELb1ELi3EEvPKT_PKT0_S7_ifPKiS9_S9_iPKfiiiPfSC_PS2_PT2_iSB_SB_.num_named_barrier, max(0, .L__assert_fail.num_named_barrier)
	.set _Z38paged_attention_ll4mi_QKV_mfma4_kernelIDF16_DF16_LN4vllm18Fp8KVCacheDataTypeE0EDF16_Li32ELi128ELi256ELb1ELi3EEvPKT_PKT0_S7_ifPKiS9_S9_iPKfiiiPfSC_PS2_PT2_iSB_SB_.private_seg_size, 0+max(.L__assert_fail.private_seg_size)
	.set _Z38paged_attention_ll4mi_QKV_mfma4_kernelIDF16_DF16_LN4vllm18Fp8KVCacheDataTypeE0EDF16_Li32ELi128ELi256ELb1ELi3EEvPKT_PKT0_S7_ifPKiS9_S9_iPKfiiiPfSC_PS2_PT2_iSB_SB_.uses_vcc, or(1, .L__assert_fail.uses_vcc)
	.set _Z38paged_attention_ll4mi_QKV_mfma4_kernelIDF16_DF16_LN4vllm18Fp8KVCacheDataTypeE0EDF16_Li32ELi128ELi256ELb1ELi3EEvPKT_PKT0_S7_ifPKiS9_S9_iPKfiiiPfSC_PS2_PT2_iSB_SB_.uses_flat_scratch, or(0, .L__assert_fail.uses_flat_scratch)
	.set _Z38paged_attention_ll4mi_QKV_mfma4_kernelIDF16_DF16_LN4vllm18Fp8KVCacheDataTypeE0EDF16_Li32ELi128ELi256ELb1ELi3EEvPKT_PKT0_S7_ifPKiS9_S9_iPKfiiiPfSC_PS2_PT2_iSB_SB_.has_dyn_sized_stack, or(0, .L__assert_fail.has_dyn_sized_stack)
	.set _Z38paged_attention_ll4mi_QKV_mfma4_kernelIDF16_DF16_LN4vllm18Fp8KVCacheDataTypeE0EDF16_Li32ELi128ELi256ELb1ELi3EEvPKT_PKT0_S7_ifPKiS9_S9_iPKfiiiPfSC_PS2_PT2_iSB_SB_.has_recursion, or(0, .L__assert_fail.has_recursion)
	.set _Z38paged_attention_ll4mi_QKV_mfma4_kernelIDF16_DF16_LN4vllm18Fp8KVCacheDataTypeE0EDF16_Li32ELi128ELi256ELb1ELi3EEvPKT_PKT0_S7_ifPKiS9_S9_iPKfiiiPfSC_PS2_PT2_iSB_SB_.has_indirect_call, or(0, .L__assert_fail.has_indirect_call)
	.section	.AMDGPU.csdata,"",@progbits
; Kernel info:
; codeLenInByte = 68
; TotalNumSgprs: 36
; NumVgprs: 51
; ScratchSize: 64
; MemoryBound: 0
; FloatMode: 240
; IeeeMode: 1
; LDSByteSize: 0 bytes/workgroup (compile time only)
; SGPRBlocks: 0
; VGPRBlocks: 3
; NumSGPRsForWavesPerEU: 36
; NumVGPRsForWavesPerEU: 51
; NamedBarCnt: 0
; Occupancy: 16
; WaveLimiterHint : 1
; COMPUTE_PGM_RSRC2:SCRATCH_EN: 1
; COMPUTE_PGM_RSRC2:USER_SGPR: 2
; COMPUTE_PGM_RSRC2:TRAP_HANDLER: 0
; COMPUTE_PGM_RSRC2:TGID_X_EN: 1
; COMPUTE_PGM_RSRC2:TGID_Y_EN: 0
; COMPUTE_PGM_RSRC2:TGID_Z_EN: 0
; COMPUTE_PGM_RSRC2:TIDIG_COMP_CNT: 0
	.section	.text._Z38paged_attention_ll4mi_QKV_mfma4_kernelIDF16_DF16_LN4vllm18Fp8KVCacheDataTypeE0EDF16_Li32ELi128ELi256ELb1ELi4EEvPKT_PKT0_S7_ifPKiS9_S9_iPKfiiiPfSC_PS2_PT2_iSB_SB_,"axG",@progbits,_Z38paged_attention_ll4mi_QKV_mfma4_kernelIDF16_DF16_LN4vllm18Fp8KVCacheDataTypeE0EDF16_Li32ELi128ELi256ELb1ELi4EEvPKT_PKT0_S7_ifPKiS9_S9_iPKfiiiPfSC_PS2_PT2_iSB_SB_,comdat
	.protected	_Z38paged_attention_ll4mi_QKV_mfma4_kernelIDF16_DF16_LN4vllm18Fp8KVCacheDataTypeE0EDF16_Li32ELi128ELi256ELb1ELi4EEvPKT_PKT0_S7_ifPKiS9_S9_iPKfiiiPfSC_PS2_PT2_iSB_SB_ ; -- Begin function _Z38paged_attention_ll4mi_QKV_mfma4_kernelIDF16_DF16_LN4vllm18Fp8KVCacheDataTypeE0EDF16_Li32ELi128ELi256ELb1ELi4EEvPKT_PKT0_S7_ifPKiS9_S9_iPKfiiiPfSC_PS2_PT2_iSB_SB_
	.globl	_Z38paged_attention_ll4mi_QKV_mfma4_kernelIDF16_DF16_LN4vllm18Fp8KVCacheDataTypeE0EDF16_Li32ELi128ELi256ELb1ELi4EEvPKT_PKT0_S7_ifPKiS9_S9_iPKfiiiPfSC_PS2_PT2_iSB_SB_
	.p2align	8
	.type	_Z38paged_attention_ll4mi_QKV_mfma4_kernelIDF16_DF16_LN4vllm18Fp8KVCacheDataTypeE0EDF16_Li32ELi128ELi256ELb1ELi4EEvPKT_PKT0_S7_ifPKiS9_S9_iPKfiiiPfSC_PS2_PT2_iSB_SB_,@function
_Z38paged_attention_ll4mi_QKV_mfma4_kernelIDF16_DF16_LN4vllm18Fp8KVCacheDataTypeE0EDF16_Li32ELi128ELi256ELb1ELi4EEvPKT_PKT0_S7_ifPKiS9_S9_iPKfiiiPfSC_PS2_PT2_iSB_SB_: ; @_Z38paged_attention_ll4mi_QKV_mfma4_kernelIDF16_DF16_LN4vllm18Fp8KVCacheDataTypeE0EDF16_Li32ELi128ELi256ELb1ELi4EEvPKT_PKT0_S7_ifPKiS9_S9_iPKfiiiPfSC_PS2_PT2_iSB_SB_
; %bb.0:
	s_get_pc_i64 s[2:3]
	s_add_nc_u64 s[2:3], s[2:3], __PRETTY_FUNCTION__._Z38paged_attention_ll4mi_QKV_mfma4_kernelIDF16_DF16_LN4vllm18Fp8KVCacheDataTypeE0EDF16_Li32ELi128ELi256ELb1ELi4EEvPKT_PKT0_S7_ifPKiS9_S9_iPKfiiiPfSC_PS2_PT2_iSB_SB_@rel64+4
	s_delay_alu instid0(SALU_CYCLE_1)
	v_dual_mov_b32 v0, 0xbce :: v_dual_mov_b32 v1, s2
	v_mov_b32_e32 v2, s3
	s_add_nc_u64 s[8:9], s[0:1], 0x90
	s_get_pc_i64 s[0:1]
	s_add_nc_u64 s[0:1], s[0:1], __assert_fail@rel64+4
	s_mov_b32 s32, 0
	s_swap_pc_i64 s[30:31], s[0:1]
	.section	.rodata,"a",@progbits
	.p2align	6, 0x0
	.amdhsa_kernel _Z38paged_attention_ll4mi_QKV_mfma4_kernelIDF16_DF16_LN4vllm18Fp8KVCacheDataTypeE0EDF16_Li32ELi128ELi256ELb1ELi4EEvPKT_PKT0_S7_ifPKiS9_S9_iPKfiiiPfSC_PS2_PT2_iSB_SB_
		.amdhsa_group_segment_fixed_size 0
		.amdhsa_private_segment_fixed_size 64
		.amdhsa_kernarg_size 400
		.amdhsa_user_sgpr_count 2
		.amdhsa_user_sgpr_dispatch_ptr 0
		.amdhsa_user_sgpr_queue_ptr 0
		.amdhsa_user_sgpr_kernarg_segment_ptr 1
		.amdhsa_user_sgpr_dispatch_id 0
		.amdhsa_user_sgpr_kernarg_preload_length 0
		.amdhsa_user_sgpr_kernarg_preload_offset 0
		.amdhsa_user_sgpr_private_segment_size 0
		.amdhsa_wavefront_size32 1
		.amdhsa_uses_dynamic_stack 0
		.amdhsa_enable_private_segment 1
		.amdhsa_system_sgpr_workgroup_id_x 1
		.amdhsa_system_sgpr_workgroup_id_y 0
		.amdhsa_system_sgpr_workgroup_id_z 0
		.amdhsa_system_sgpr_workgroup_info 0
		.amdhsa_system_vgpr_workitem_id 0
		.amdhsa_next_free_vgpr 51
		.amdhsa_next_free_sgpr 34
		.amdhsa_named_barrier_count 0
		.amdhsa_reserve_vcc 1
		.amdhsa_float_round_mode_32 0
		.amdhsa_float_round_mode_16_64 0
		.amdhsa_float_denorm_mode_32 3
		.amdhsa_float_denorm_mode_16_64 3
		.amdhsa_fp16_overflow 0
		.amdhsa_memory_ordered 1
		.amdhsa_forward_progress 1
		.amdhsa_inst_pref_size 1
		.amdhsa_round_robin_scheduling 0
		.amdhsa_exception_fp_ieee_invalid_op 0
		.amdhsa_exception_fp_denorm_src 0
		.amdhsa_exception_fp_ieee_div_zero 0
		.amdhsa_exception_fp_ieee_overflow 0
		.amdhsa_exception_fp_ieee_underflow 0
		.amdhsa_exception_fp_ieee_inexact 0
		.amdhsa_exception_int_div_zero 0
	.end_amdhsa_kernel
	.section	.text._Z38paged_attention_ll4mi_QKV_mfma4_kernelIDF16_DF16_LN4vllm18Fp8KVCacheDataTypeE0EDF16_Li32ELi128ELi256ELb1ELi4EEvPKT_PKT0_S7_ifPKiS9_S9_iPKfiiiPfSC_PS2_PT2_iSB_SB_,"axG",@progbits,_Z38paged_attention_ll4mi_QKV_mfma4_kernelIDF16_DF16_LN4vllm18Fp8KVCacheDataTypeE0EDF16_Li32ELi128ELi256ELb1ELi4EEvPKT_PKT0_S7_ifPKiS9_S9_iPKfiiiPfSC_PS2_PT2_iSB_SB_,comdat
.Lfunc_end349:
	.size	_Z38paged_attention_ll4mi_QKV_mfma4_kernelIDF16_DF16_LN4vllm18Fp8KVCacheDataTypeE0EDF16_Li32ELi128ELi256ELb1ELi4EEvPKT_PKT0_S7_ifPKiS9_S9_iPKfiiiPfSC_PS2_PT2_iSB_SB_, .Lfunc_end349-_Z38paged_attention_ll4mi_QKV_mfma4_kernelIDF16_DF16_LN4vllm18Fp8KVCacheDataTypeE0EDF16_Li32ELi128ELi256ELb1ELi4EEvPKT_PKT0_S7_ifPKiS9_S9_iPKfiiiPfSC_PS2_PT2_iSB_SB_
                                        ; -- End function
	.set _Z38paged_attention_ll4mi_QKV_mfma4_kernelIDF16_DF16_LN4vllm18Fp8KVCacheDataTypeE0EDF16_Li32ELi128ELi256ELb1ELi4EEvPKT_PKT0_S7_ifPKiS9_S9_iPKfiiiPfSC_PS2_PT2_iSB_SB_.num_vgpr, max(3, .L__assert_fail.num_vgpr)
	.set _Z38paged_attention_ll4mi_QKV_mfma4_kernelIDF16_DF16_LN4vllm18Fp8KVCacheDataTypeE0EDF16_Li32ELi128ELi256ELb1ELi4EEvPKT_PKT0_S7_ifPKiS9_S9_iPKfiiiPfSC_PS2_PT2_iSB_SB_.num_agpr, max(0, .L__assert_fail.num_agpr)
	.set _Z38paged_attention_ll4mi_QKV_mfma4_kernelIDF16_DF16_LN4vllm18Fp8KVCacheDataTypeE0EDF16_Li32ELi128ELi256ELb1ELi4EEvPKT_PKT0_S7_ifPKiS9_S9_iPKfiiiPfSC_PS2_PT2_iSB_SB_.numbered_sgpr, max(33, .L__assert_fail.numbered_sgpr)
	.set _Z38paged_attention_ll4mi_QKV_mfma4_kernelIDF16_DF16_LN4vllm18Fp8KVCacheDataTypeE0EDF16_Li32ELi128ELi256ELb1ELi4EEvPKT_PKT0_S7_ifPKiS9_S9_iPKfiiiPfSC_PS2_PT2_iSB_SB_.num_named_barrier, max(0, .L__assert_fail.num_named_barrier)
	.set _Z38paged_attention_ll4mi_QKV_mfma4_kernelIDF16_DF16_LN4vllm18Fp8KVCacheDataTypeE0EDF16_Li32ELi128ELi256ELb1ELi4EEvPKT_PKT0_S7_ifPKiS9_S9_iPKfiiiPfSC_PS2_PT2_iSB_SB_.private_seg_size, 0+max(.L__assert_fail.private_seg_size)
	.set _Z38paged_attention_ll4mi_QKV_mfma4_kernelIDF16_DF16_LN4vllm18Fp8KVCacheDataTypeE0EDF16_Li32ELi128ELi256ELb1ELi4EEvPKT_PKT0_S7_ifPKiS9_S9_iPKfiiiPfSC_PS2_PT2_iSB_SB_.uses_vcc, or(1, .L__assert_fail.uses_vcc)
	.set _Z38paged_attention_ll4mi_QKV_mfma4_kernelIDF16_DF16_LN4vllm18Fp8KVCacheDataTypeE0EDF16_Li32ELi128ELi256ELb1ELi4EEvPKT_PKT0_S7_ifPKiS9_S9_iPKfiiiPfSC_PS2_PT2_iSB_SB_.uses_flat_scratch, or(0, .L__assert_fail.uses_flat_scratch)
	.set _Z38paged_attention_ll4mi_QKV_mfma4_kernelIDF16_DF16_LN4vllm18Fp8KVCacheDataTypeE0EDF16_Li32ELi128ELi256ELb1ELi4EEvPKT_PKT0_S7_ifPKiS9_S9_iPKfiiiPfSC_PS2_PT2_iSB_SB_.has_dyn_sized_stack, or(0, .L__assert_fail.has_dyn_sized_stack)
	.set _Z38paged_attention_ll4mi_QKV_mfma4_kernelIDF16_DF16_LN4vllm18Fp8KVCacheDataTypeE0EDF16_Li32ELi128ELi256ELb1ELi4EEvPKT_PKT0_S7_ifPKiS9_S9_iPKfiiiPfSC_PS2_PT2_iSB_SB_.has_recursion, or(0, .L__assert_fail.has_recursion)
	.set _Z38paged_attention_ll4mi_QKV_mfma4_kernelIDF16_DF16_LN4vllm18Fp8KVCacheDataTypeE0EDF16_Li32ELi128ELi256ELb1ELi4EEvPKT_PKT0_S7_ifPKiS9_S9_iPKfiiiPfSC_PS2_PT2_iSB_SB_.has_indirect_call, or(0, .L__assert_fail.has_indirect_call)
	.section	.AMDGPU.csdata,"",@progbits
; Kernel info:
; codeLenInByte = 68
; TotalNumSgprs: 36
; NumVgprs: 51
; ScratchSize: 64
; MemoryBound: 0
; FloatMode: 240
; IeeeMode: 1
; LDSByteSize: 0 bytes/workgroup (compile time only)
; SGPRBlocks: 0
; VGPRBlocks: 3
; NumSGPRsForWavesPerEU: 36
; NumVGPRsForWavesPerEU: 51
; NamedBarCnt: 0
; Occupancy: 16
; WaveLimiterHint : 1
; COMPUTE_PGM_RSRC2:SCRATCH_EN: 1
; COMPUTE_PGM_RSRC2:USER_SGPR: 2
; COMPUTE_PGM_RSRC2:TRAP_HANDLER: 0
; COMPUTE_PGM_RSRC2:TGID_X_EN: 1
; COMPUTE_PGM_RSRC2:TGID_Y_EN: 0
; COMPUTE_PGM_RSRC2:TGID_Z_EN: 0
; COMPUTE_PGM_RSRC2:TIDIG_COMP_CNT: 0
	.section	.text._Z39paged_attention_ll4mi_QKV_mfma16_kernelIDF16_DF16_LN4vllm18Fp8KVCacheDataTypeE0EDF16_Li32ELi128ELi256ELb1ELi5EEvPKT_PKT0_S7_ifPKiS9_S9_iPKfiiiPfSC_PS2_PT2_iSB_SB_,"axG",@progbits,_Z39paged_attention_ll4mi_QKV_mfma16_kernelIDF16_DF16_LN4vllm18Fp8KVCacheDataTypeE0EDF16_Li32ELi128ELi256ELb1ELi5EEvPKT_PKT0_S7_ifPKiS9_S9_iPKfiiiPfSC_PS2_PT2_iSB_SB_,comdat
	.protected	_Z39paged_attention_ll4mi_QKV_mfma16_kernelIDF16_DF16_LN4vllm18Fp8KVCacheDataTypeE0EDF16_Li32ELi128ELi256ELb1ELi5EEvPKT_PKT0_S7_ifPKiS9_S9_iPKfiiiPfSC_PS2_PT2_iSB_SB_ ; -- Begin function _Z39paged_attention_ll4mi_QKV_mfma16_kernelIDF16_DF16_LN4vllm18Fp8KVCacheDataTypeE0EDF16_Li32ELi128ELi256ELb1ELi5EEvPKT_PKT0_S7_ifPKiS9_S9_iPKfiiiPfSC_PS2_PT2_iSB_SB_
	.globl	_Z39paged_attention_ll4mi_QKV_mfma16_kernelIDF16_DF16_LN4vllm18Fp8KVCacheDataTypeE0EDF16_Li32ELi128ELi256ELb1ELi5EEvPKT_PKT0_S7_ifPKiS9_S9_iPKfiiiPfSC_PS2_PT2_iSB_SB_
	.p2align	8
	.type	_Z39paged_attention_ll4mi_QKV_mfma16_kernelIDF16_DF16_LN4vllm18Fp8KVCacheDataTypeE0EDF16_Li32ELi128ELi256ELb1ELi5EEvPKT_PKT0_S7_ifPKiS9_S9_iPKfiiiPfSC_PS2_PT2_iSB_SB_,@function
_Z39paged_attention_ll4mi_QKV_mfma16_kernelIDF16_DF16_LN4vllm18Fp8KVCacheDataTypeE0EDF16_Li32ELi128ELi256ELb1ELi5EEvPKT_PKT0_S7_ifPKiS9_S9_iPKfiiiPfSC_PS2_PT2_iSB_SB_: ; @_Z39paged_attention_ll4mi_QKV_mfma16_kernelIDF16_DF16_LN4vllm18Fp8KVCacheDataTypeE0EDF16_Li32ELi128ELi256ELb1ELi5EEvPKT_PKT0_S7_ifPKiS9_S9_iPKfiiiPfSC_PS2_PT2_iSB_SB_
; %bb.0:
	s_get_pc_i64 s[2:3]
	s_add_nc_u64 s[2:3], s[2:3], __PRETTY_FUNCTION__._Z39paged_attention_ll4mi_QKV_mfma16_kernelIDF16_DF16_LN4vllm18Fp8KVCacheDataTypeE0EDF16_Li32ELi128ELi256ELb1ELi5EEvPKT_PKT0_S7_ifPKiS9_S9_iPKfiiiPfSC_PS2_PT2_iSB_SB_@rel64+4
	s_delay_alu instid0(SALU_CYCLE_1)
	v_dual_mov_b32 v0, 0xbb3 :: v_dual_mov_b32 v1, s2
	v_mov_b32_e32 v2, s3
	s_add_nc_u64 s[8:9], s[0:1], 0x90
	s_get_pc_i64 s[0:1]
	s_add_nc_u64 s[0:1], s[0:1], __assert_fail@rel64+4
	s_mov_b32 s32, 0
	s_swap_pc_i64 s[30:31], s[0:1]
	.section	.rodata,"a",@progbits
	.p2align	6, 0x0
	.amdhsa_kernel _Z39paged_attention_ll4mi_QKV_mfma16_kernelIDF16_DF16_LN4vllm18Fp8KVCacheDataTypeE0EDF16_Li32ELi128ELi256ELb1ELi5EEvPKT_PKT0_S7_ifPKiS9_S9_iPKfiiiPfSC_PS2_PT2_iSB_SB_
		.amdhsa_group_segment_fixed_size 0
		.amdhsa_private_segment_fixed_size 64
		.amdhsa_kernarg_size 400
		.amdhsa_user_sgpr_count 2
		.amdhsa_user_sgpr_dispatch_ptr 0
		.amdhsa_user_sgpr_queue_ptr 0
		.amdhsa_user_sgpr_kernarg_segment_ptr 1
		.amdhsa_user_sgpr_dispatch_id 0
		.amdhsa_user_sgpr_kernarg_preload_length 0
		.amdhsa_user_sgpr_kernarg_preload_offset 0
		.amdhsa_user_sgpr_private_segment_size 0
		.amdhsa_wavefront_size32 1
		.amdhsa_uses_dynamic_stack 0
		.amdhsa_enable_private_segment 1
		.amdhsa_system_sgpr_workgroup_id_x 1
		.amdhsa_system_sgpr_workgroup_id_y 0
		.amdhsa_system_sgpr_workgroup_id_z 0
		.amdhsa_system_sgpr_workgroup_info 0
		.amdhsa_system_vgpr_workitem_id 0
		.amdhsa_next_free_vgpr 51
		.amdhsa_next_free_sgpr 34
		.amdhsa_named_barrier_count 0
		.amdhsa_reserve_vcc 1
		.amdhsa_float_round_mode_32 0
		.amdhsa_float_round_mode_16_64 0
		.amdhsa_float_denorm_mode_32 3
		.amdhsa_float_denorm_mode_16_64 3
		.amdhsa_fp16_overflow 0
		.amdhsa_memory_ordered 1
		.amdhsa_forward_progress 1
		.amdhsa_inst_pref_size 1
		.amdhsa_round_robin_scheduling 0
		.amdhsa_exception_fp_ieee_invalid_op 0
		.amdhsa_exception_fp_denorm_src 0
		.amdhsa_exception_fp_ieee_div_zero 0
		.amdhsa_exception_fp_ieee_overflow 0
		.amdhsa_exception_fp_ieee_underflow 0
		.amdhsa_exception_fp_ieee_inexact 0
		.amdhsa_exception_int_div_zero 0
	.end_amdhsa_kernel
	.section	.text._Z39paged_attention_ll4mi_QKV_mfma16_kernelIDF16_DF16_LN4vllm18Fp8KVCacheDataTypeE0EDF16_Li32ELi128ELi256ELb1ELi5EEvPKT_PKT0_S7_ifPKiS9_S9_iPKfiiiPfSC_PS2_PT2_iSB_SB_,"axG",@progbits,_Z39paged_attention_ll4mi_QKV_mfma16_kernelIDF16_DF16_LN4vllm18Fp8KVCacheDataTypeE0EDF16_Li32ELi128ELi256ELb1ELi5EEvPKT_PKT0_S7_ifPKiS9_S9_iPKfiiiPfSC_PS2_PT2_iSB_SB_,comdat
.Lfunc_end350:
	.size	_Z39paged_attention_ll4mi_QKV_mfma16_kernelIDF16_DF16_LN4vllm18Fp8KVCacheDataTypeE0EDF16_Li32ELi128ELi256ELb1ELi5EEvPKT_PKT0_S7_ifPKiS9_S9_iPKfiiiPfSC_PS2_PT2_iSB_SB_, .Lfunc_end350-_Z39paged_attention_ll4mi_QKV_mfma16_kernelIDF16_DF16_LN4vllm18Fp8KVCacheDataTypeE0EDF16_Li32ELi128ELi256ELb1ELi5EEvPKT_PKT0_S7_ifPKiS9_S9_iPKfiiiPfSC_PS2_PT2_iSB_SB_
                                        ; -- End function
	.set _Z39paged_attention_ll4mi_QKV_mfma16_kernelIDF16_DF16_LN4vllm18Fp8KVCacheDataTypeE0EDF16_Li32ELi128ELi256ELb1ELi5EEvPKT_PKT0_S7_ifPKiS9_S9_iPKfiiiPfSC_PS2_PT2_iSB_SB_.num_vgpr, max(3, .L__assert_fail.num_vgpr)
	.set _Z39paged_attention_ll4mi_QKV_mfma16_kernelIDF16_DF16_LN4vllm18Fp8KVCacheDataTypeE0EDF16_Li32ELi128ELi256ELb1ELi5EEvPKT_PKT0_S7_ifPKiS9_S9_iPKfiiiPfSC_PS2_PT2_iSB_SB_.num_agpr, max(0, .L__assert_fail.num_agpr)
	.set _Z39paged_attention_ll4mi_QKV_mfma16_kernelIDF16_DF16_LN4vllm18Fp8KVCacheDataTypeE0EDF16_Li32ELi128ELi256ELb1ELi5EEvPKT_PKT0_S7_ifPKiS9_S9_iPKfiiiPfSC_PS2_PT2_iSB_SB_.numbered_sgpr, max(33, .L__assert_fail.numbered_sgpr)
	.set _Z39paged_attention_ll4mi_QKV_mfma16_kernelIDF16_DF16_LN4vllm18Fp8KVCacheDataTypeE0EDF16_Li32ELi128ELi256ELb1ELi5EEvPKT_PKT0_S7_ifPKiS9_S9_iPKfiiiPfSC_PS2_PT2_iSB_SB_.num_named_barrier, max(0, .L__assert_fail.num_named_barrier)
	.set _Z39paged_attention_ll4mi_QKV_mfma16_kernelIDF16_DF16_LN4vllm18Fp8KVCacheDataTypeE0EDF16_Li32ELi128ELi256ELb1ELi5EEvPKT_PKT0_S7_ifPKiS9_S9_iPKfiiiPfSC_PS2_PT2_iSB_SB_.private_seg_size, 0+max(.L__assert_fail.private_seg_size)
	.set _Z39paged_attention_ll4mi_QKV_mfma16_kernelIDF16_DF16_LN4vllm18Fp8KVCacheDataTypeE0EDF16_Li32ELi128ELi256ELb1ELi5EEvPKT_PKT0_S7_ifPKiS9_S9_iPKfiiiPfSC_PS2_PT2_iSB_SB_.uses_vcc, or(1, .L__assert_fail.uses_vcc)
	.set _Z39paged_attention_ll4mi_QKV_mfma16_kernelIDF16_DF16_LN4vllm18Fp8KVCacheDataTypeE0EDF16_Li32ELi128ELi256ELb1ELi5EEvPKT_PKT0_S7_ifPKiS9_S9_iPKfiiiPfSC_PS2_PT2_iSB_SB_.uses_flat_scratch, or(0, .L__assert_fail.uses_flat_scratch)
	.set _Z39paged_attention_ll4mi_QKV_mfma16_kernelIDF16_DF16_LN4vllm18Fp8KVCacheDataTypeE0EDF16_Li32ELi128ELi256ELb1ELi5EEvPKT_PKT0_S7_ifPKiS9_S9_iPKfiiiPfSC_PS2_PT2_iSB_SB_.has_dyn_sized_stack, or(0, .L__assert_fail.has_dyn_sized_stack)
	.set _Z39paged_attention_ll4mi_QKV_mfma16_kernelIDF16_DF16_LN4vllm18Fp8KVCacheDataTypeE0EDF16_Li32ELi128ELi256ELb1ELi5EEvPKT_PKT0_S7_ifPKiS9_S9_iPKfiiiPfSC_PS2_PT2_iSB_SB_.has_recursion, or(0, .L__assert_fail.has_recursion)
	.set _Z39paged_attention_ll4mi_QKV_mfma16_kernelIDF16_DF16_LN4vllm18Fp8KVCacheDataTypeE0EDF16_Li32ELi128ELi256ELb1ELi5EEvPKT_PKT0_S7_ifPKiS9_S9_iPKfiiiPfSC_PS2_PT2_iSB_SB_.has_indirect_call, or(0, .L__assert_fail.has_indirect_call)
	.section	.AMDGPU.csdata,"",@progbits
; Kernel info:
; codeLenInByte = 68
; TotalNumSgprs: 36
; NumVgprs: 51
; ScratchSize: 64
; MemoryBound: 0
; FloatMode: 240
; IeeeMode: 1
; LDSByteSize: 0 bytes/workgroup (compile time only)
; SGPRBlocks: 0
; VGPRBlocks: 3
; NumSGPRsForWavesPerEU: 36
; NumVGPRsForWavesPerEU: 51
; NamedBarCnt: 0
; Occupancy: 16
; WaveLimiterHint : 1
; COMPUTE_PGM_RSRC2:SCRATCH_EN: 1
; COMPUTE_PGM_RSRC2:USER_SGPR: 2
; COMPUTE_PGM_RSRC2:TRAP_HANDLER: 0
; COMPUTE_PGM_RSRC2:TGID_X_EN: 1
; COMPUTE_PGM_RSRC2:TGID_Y_EN: 0
; COMPUTE_PGM_RSRC2:TGID_Z_EN: 0
; COMPUTE_PGM_RSRC2:TIDIG_COMP_CNT: 0
	.section	.text._Z39paged_attention_ll4mi_QKV_mfma16_kernelIDF16_DF16_LN4vllm18Fp8KVCacheDataTypeE0EDF16_Li32ELi128ELi256ELb1ELi6EEvPKT_PKT0_S7_ifPKiS9_S9_iPKfiiiPfSC_PS2_PT2_iSB_SB_,"axG",@progbits,_Z39paged_attention_ll4mi_QKV_mfma16_kernelIDF16_DF16_LN4vllm18Fp8KVCacheDataTypeE0EDF16_Li32ELi128ELi256ELb1ELi6EEvPKT_PKT0_S7_ifPKiS9_S9_iPKfiiiPfSC_PS2_PT2_iSB_SB_,comdat
	.protected	_Z39paged_attention_ll4mi_QKV_mfma16_kernelIDF16_DF16_LN4vllm18Fp8KVCacheDataTypeE0EDF16_Li32ELi128ELi256ELb1ELi6EEvPKT_PKT0_S7_ifPKiS9_S9_iPKfiiiPfSC_PS2_PT2_iSB_SB_ ; -- Begin function _Z39paged_attention_ll4mi_QKV_mfma16_kernelIDF16_DF16_LN4vllm18Fp8KVCacheDataTypeE0EDF16_Li32ELi128ELi256ELb1ELi6EEvPKT_PKT0_S7_ifPKiS9_S9_iPKfiiiPfSC_PS2_PT2_iSB_SB_
	.globl	_Z39paged_attention_ll4mi_QKV_mfma16_kernelIDF16_DF16_LN4vllm18Fp8KVCacheDataTypeE0EDF16_Li32ELi128ELi256ELb1ELi6EEvPKT_PKT0_S7_ifPKiS9_S9_iPKfiiiPfSC_PS2_PT2_iSB_SB_
	.p2align	8
	.type	_Z39paged_attention_ll4mi_QKV_mfma16_kernelIDF16_DF16_LN4vllm18Fp8KVCacheDataTypeE0EDF16_Li32ELi128ELi256ELb1ELi6EEvPKT_PKT0_S7_ifPKiS9_S9_iPKfiiiPfSC_PS2_PT2_iSB_SB_,@function
_Z39paged_attention_ll4mi_QKV_mfma16_kernelIDF16_DF16_LN4vllm18Fp8KVCacheDataTypeE0EDF16_Li32ELi128ELi256ELb1ELi6EEvPKT_PKT0_S7_ifPKiS9_S9_iPKfiiiPfSC_PS2_PT2_iSB_SB_: ; @_Z39paged_attention_ll4mi_QKV_mfma16_kernelIDF16_DF16_LN4vllm18Fp8KVCacheDataTypeE0EDF16_Li32ELi128ELi256ELb1ELi6EEvPKT_PKT0_S7_ifPKiS9_S9_iPKfiiiPfSC_PS2_PT2_iSB_SB_
; %bb.0:
	s_get_pc_i64 s[2:3]
	s_add_nc_u64 s[2:3], s[2:3], __PRETTY_FUNCTION__._Z39paged_attention_ll4mi_QKV_mfma16_kernelIDF16_DF16_LN4vllm18Fp8KVCacheDataTypeE0EDF16_Li32ELi128ELi256ELb1ELi6EEvPKT_PKT0_S7_ifPKiS9_S9_iPKfiiiPfSC_PS2_PT2_iSB_SB_@rel64+4
	s_delay_alu instid0(SALU_CYCLE_1)
	v_dual_mov_b32 v0, 0xbb3 :: v_dual_mov_b32 v1, s2
	v_mov_b32_e32 v2, s3
	s_add_nc_u64 s[8:9], s[0:1], 0x90
	s_get_pc_i64 s[0:1]
	s_add_nc_u64 s[0:1], s[0:1], __assert_fail@rel64+4
	s_mov_b32 s32, 0
	s_swap_pc_i64 s[30:31], s[0:1]
	.section	.rodata,"a",@progbits
	.p2align	6, 0x0
	.amdhsa_kernel _Z39paged_attention_ll4mi_QKV_mfma16_kernelIDF16_DF16_LN4vllm18Fp8KVCacheDataTypeE0EDF16_Li32ELi128ELi256ELb1ELi6EEvPKT_PKT0_S7_ifPKiS9_S9_iPKfiiiPfSC_PS2_PT2_iSB_SB_
		.amdhsa_group_segment_fixed_size 0
		.amdhsa_private_segment_fixed_size 64
		.amdhsa_kernarg_size 400
		.amdhsa_user_sgpr_count 2
		.amdhsa_user_sgpr_dispatch_ptr 0
		.amdhsa_user_sgpr_queue_ptr 0
		.amdhsa_user_sgpr_kernarg_segment_ptr 1
		.amdhsa_user_sgpr_dispatch_id 0
		.amdhsa_user_sgpr_kernarg_preload_length 0
		.amdhsa_user_sgpr_kernarg_preload_offset 0
		.amdhsa_user_sgpr_private_segment_size 0
		.amdhsa_wavefront_size32 1
		.amdhsa_uses_dynamic_stack 0
		.amdhsa_enable_private_segment 1
		.amdhsa_system_sgpr_workgroup_id_x 1
		.amdhsa_system_sgpr_workgroup_id_y 0
		.amdhsa_system_sgpr_workgroup_id_z 0
		.amdhsa_system_sgpr_workgroup_info 0
		.amdhsa_system_vgpr_workitem_id 0
		.amdhsa_next_free_vgpr 51
		.amdhsa_next_free_sgpr 34
		.amdhsa_named_barrier_count 0
		.amdhsa_reserve_vcc 1
		.amdhsa_float_round_mode_32 0
		.amdhsa_float_round_mode_16_64 0
		.amdhsa_float_denorm_mode_32 3
		.amdhsa_float_denorm_mode_16_64 3
		.amdhsa_fp16_overflow 0
		.amdhsa_memory_ordered 1
		.amdhsa_forward_progress 1
		.amdhsa_inst_pref_size 1
		.amdhsa_round_robin_scheduling 0
		.amdhsa_exception_fp_ieee_invalid_op 0
		.amdhsa_exception_fp_denorm_src 0
		.amdhsa_exception_fp_ieee_div_zero 0
		.amdhsa_exception_fp_ieee_overflow 0
		.amdhsa_exception_fp_ieee_underflow 0
		.amdhsa_exception_fp_ieee_inexact 0
		.amdhsa_exception_int_div_zero 0
	.end_amdhsa_kernel
	.section	.text._Z39paged_attention_ll4mi_QKV_mfma16_kernelIDF16_DF16_LN4vllm18Fp8KVCacheDataTypeE0EDF16_Li32ELi128ELi256ELb1ELi6EEvPKT_PKT0_S7_ifPKiS9_S9_iPKfiiiPfSC_PS2_PT2_iSB_SB_,"axG",@progbits,_Z39paged_attention_ll4mi_QKV_mfma16_kernelIDF16_DF16_LN4vllm18Fp8KVCacheDataTypeE0EDF16_Li32ELi128ELi256ELb1ELi6EEvPKT_PKT0_S7_ifPKiS9_S9_iPKfiiiPfSC_PS2_PT2_iSB_SB_,comdat
.Lfunc_end351:
	.size	_Z39paged_attention_ll4mi_QKV_mfma16_kernelIDF16_DF16_LN4vllm18Fp8KVCacheDataTypeE0EDF16_Li32ELi128ELi256ELb1ELi6EEvPKT_PKT0_S7_ifPKiS9_S9_iPKfiiiPfSC_PS2_PT2_iSB_SB_, .Lfunc_end351-_Z39paged_attention_ll4mi_QKV_mfma16_kernelIDF16_DF16_LN4vllm18Fp8KVCacheDataTypeE0EDF16_Li32ELi128ELi256ELb1ELi6EEvPKT_PKT0_S7_ifPKiS9_S9_iPKfiiiPfSC_PS2_PT2_iSB_SB_
                                        ; -- End function
	.set _Z39paged_attention_ll4mi_QKV_mfma16_kernelIDF16_DF16_LN4vllm18Fp8KVCacheDataTypeE0EDF16_Li32ELi128ELi256ELb1ELi6EEvPKT_PKT0_S7_ifPKiS9_S9_iPKfiiiPfSC_PS2_PT2_iSB_SB_.num_vgpr, max(3, .L__assert_fail.num_vgpr)
	.set _Z39paged_attention_ll4mi_QKV_mfma16_kernelIDF16_DF16_LN4vllm18Fp8KVCacheDataTypeE0EDF16_Li32ELi128ELi256ELb1ELi6EEvPKT_PKT0_S7_ifPKiS9_S9_iPKfiiiPfSC_PS2_PT2_iSB_SB_.num_agpr, max(0, .L__assert_fail.num_agpr)
	.set _Z39paged_attention_ll4mi_QKV_mfma16_kernelIDF16_DF16_LN4vllm18Fp8KVCacheDataTypeE0EDF16_Li32ELi128ELi256ELb1ELi6EEvPKT_PKT0_S7_ifPKiS9_S9_iPKfiiiPfSC_PS2_PT2_iSB_SB_.numbered_sgpr, max(33, .L__assert_fail.numbered_sgpr)
	.set _Z39paged_attention_ll4mi_QKV_mfma16_kernelIDF16_DF16_LN4vllm18Fp8KVCacheDataTypeE0EDF16_Li32ELi128ELi256ELb1ELi6EEvPKT_PKT0_S7_ifPKiS9_S9_iPKfiiiPfSC_PS2_PT2_iSB_SB_.num_named_barrier, max(0, .L__assert_fail.num_named_barrier)
	.set _Z39paged_attention_ll4mi_QKV_mfma16_kernelIDF16_DF16_LN4vllm18Fp8KVCacheDataTypeE0EDF16_Li32ELi128ELi256ELb1ELi6EEvPKT_PKT0_S7_ifPKiS9_S9_iPKfiiiPfSC_PS2_PT2_iSB_SB_.private_seg_size, 0+max(.L__assert_fail.private_seg_size)
	.set _Z39paged_attention_ll4mi_QKV_mfma16_kernelIDF16_DF16_LN4vllm18Fp8KVCacheDataTypeE0EDF16_Li32ELi128ELi256ELb1ELi6EEvPKT_PKT0_S7_ifPKiS9_S9_iPKfiiiPfSC_PS2_PT2_iSB_SB_.uses_vcc, or(1, .L__assert_fail.uses_vcc)
	.set _Z39paged_attention_ll4mi_QKV_mfma16_kernelIDF16_DF16_LN4vllm18Fp8KVCacheDataTypeE0EDF16_Li32ELi128ELi256ELb1ELi6EEvPKT_PKT0_S7_ifPKiS9_S9_iPKfiiiPfSC_PS2_PT2_iSB_SB_.uses_flat_scratch, or(0, .L__assert_fail.uses_flat_scratch)
	.set _Z39paged_attention_ll4mi_QKV_mfma16_kernelIDF16_DF16_LN4vllm18Fp8KVCacheDataTypeE0EDF16_Li32ELi128ELi256ELb1ELi6EEvPKT_PKT0_S7_ifPKiS9_S9_iPKfiiiPfSC_PS2_PT2_iSB_SB_.has_dyn_sized_stack, or(0, .L__assert_fail.has_dyn_sized_stack)
	.set _Z39paged_attention_ll4mi_QKV_mfma16_kernelIDF16_DF16_LN4vllm18Fp8KVCacheDataTypeE0EDF16_Li32ELi128ELi256ELb1ELi6EEvPKT_PKT0_S7_ifPKiS9_S9_iPKfiiiPfSC_PS2_PT2_iSB_SB_.has_recursion, or(0, .L__assert_fail.has_recursion)
	.set _Z39paged_attention_ll4mi_QKV_mfma16_kernelIDF16_DF16_LN4vllm18Fp8KVCacheDataTypeE0EDF16_Li32ELi128ELi256ELb1ELi6EEvPKT_PKT0_S7_ifPKiS9_S9_iPKfiiiPfSC_PS2_PT2_iSB_SB_.has_indirect_call, or(0, .L__assert_fail.has_indirect_call)
	.section	.AMDGPU.csdata,"",@progbits
; Kernel info:
; codeLenInByte = 68
; TotalNumSgprs: 36
; NumVgprs: 51
; ScratchSize: 64
; MemoryBound: 0
; FloatMode: 240
; IeeeMode: 1
; LDSByteSize: 0 bytes/workgroup (compile time only)
; SGPRBlocks: 0
; VGPRBlocks: 3
; NumSGPRsForWavesPerEU: 36
; NumVGPRsForWavesPerEU: 51
; NamedBarCnt: 0
; Occupancy: 16
; WaveLimiterHint : 1
; COMPUTE_PGM_RSRC2:SCRATCH_EN: 1
; COMPUTE_PGM_RSRC2:USER_SGPR: 2
; COMPUTE_PGM_RSRC2:TRAP_HANDLER: 0
; COMPUTE_PGM_RSRC2:TGID_X_EN: 1
; COMPUTE_PGM_RSRC2:TGID_Y_EN: 0
; COMPUTE_PGM_RSRC2:TGID_Z_EN: 0
; COMPUTE_PGM_RSRC2:TIDIG_COMP_CNT: 0
	.section	.text._Z39paged_attention_ll4mi_QKV_mfma16_kernelIDF16_DF16_LN4vllm18Fp8KVCacheDataTypeE0EDF16_Li32ELi128ELi256ELb1ELi7EEvPKT_PKT0_S7_ifPKiS9_S9_iPKfiiiPfSC_PS2_PT2_iSB_SB_,"axG",@progbits,_Z39paged_attention_ll4mi_QKV_mfma16_kernelIDF16_DF16_LN4vllm18Fp8KVCacheDataTypeE0EDF16_Li32ELi128ELi256ELb1ELi7EEvPKT_PKT0_S7_ifPKiS9_S9_iPKfiiiPfSC_PS2_PT2_iSB_SB_,comdat
	.protected	_Z39paged_attention_ll4mi_QKV_mfma16_kernelIDF16_DF16_LN4vllm18Fp8KVCacheDataTypeE0EDF16_Li32ELi128ELi256ELb1ELi7EEvPKT_PKT0_S7_ifPKiS9_S9_iPKfiiiPfSC_PS2_PT2_iSB_SB_ ; -- Begin function _Z39paged_attention_ll4mi_QKV_mfma16_kernelIDF16_DF16_LN4vllm18Fp8KVCacheDataTypeE0EDF16_Li32ELi128ELi256ELb1ELi7EEvPKT_PKT0_S7_ifPKiS9_S9_iPKfiiiPfSC_PS2_PT2_iSB_SB_
	.globl	_Z39paged_attention_ll4mi_QKV_mfma16_kernelIDF16_DF16_LN4vllm18Fp8KVCacheDataTypeE0EDF16_Li32ELi128ELi256ELb1ELi7EEvPKT_PKT0_S7_ifPKiS9_S9_iPKfiiiPfSC_PS2_PT2_iSB_SB_
	.p2align	8
	.type	_Z39paged_attention_ll4mi_QKV_mfma16_kernelIDF16_DF16_LN4vllm18Fp8KVCacheDataTypeE0EDF16_Li32ELi128ELi256ELb1ELi7EEvPKT_PKT0_S7_ifPKiS9_S9_iPKfiiiPfSC_PS2_PT2_iSB_SB_,@function
_Z39paged_attention_ll4mi_QKV_mfma16_kernelIDF16_DF16_LN4vllm18Fp8KVCacheDataTypeE0EDF16_Li32ELi128ELi256ELb1ELi7EEvPKT_PKT0_S7_ifPKiS9_S9_iPKfiiiPfSC_PS2_PT2_iSB_SB_: ; @_Z39paged_attention_ll4mi_QKV_mfma16_kernelIDF16_DF16_LN4vllm18Fp8KVCacheDataTypeE0EDF16_Li32ELi128ELi256ELb1ELi7EEvPKT_PKT0_S7_ifPKiS9_S9_iPKfiiiPfSC_PS2_PT2_iSB_SB_
; %bb.0:
	s_get_pc_i64 s[2:3]
	s_add_nc_u64 s[2:3], s[2:3], __PRETTY_FUNCTION__._Z39paged_attention_ll4mi_QKV_mfma16_kernelIDF16_DF16_LN4vllm18Fp8KVCacheDataTypeE0EDF16_Li32ELi128ELi256ELb1ELi7EEvPKT_PKT0_S7_ifPKiS9_S9_iPKfiiiPfSC_PS2_PT2_iSB_SB_@rel64+4
	s_delay_alu instid0(SALU_CYCLE_1)
	v_dual_mov_b32 v0, 0xbb3 :: v_dual_mov_b32 v1, s2
	v_mov_b32_e32 v2, s3
	s_add_nc_u64 s[8:9], s[0:1], 0x90
	s_get_pc_i64 s[0:1]
	s_add_nc_u64 s[0:1], s[0:1], __assert_fail@rel64+4
	s_mov_b32 s32, 0
	s_swap_pc_i64 s[30:31], s[0:1]
	.section	.rodata,"a",@progbits
	.p2align	6, 0x0
	.amdhsa_kernel _Z39paged_attention_ll4mi_QKV_mfma16_kernelIDF16_DF16_LN4vllm18Fp8KVCacheDataTypeE0EDF16_Li32ELi128ELi256ELb1ELi7EEvPKT_PKT0_S7_ifPKiS9_S9_iPKfiiiPfSC_PS2_PT2_iSB_SB_
		.amdhsa_group_segment_fixed_size 0
		.amdhsa_private_segment_fixed_size 64
		.amdhsa_kernarg_size 400
		.amdhsa_user_sgpr_count 2
		.amdhsa_user_sgpr_dispatch_ptr 0
		.amdhsa_user_sgpr_queue_ptr 0
		.amdhsa_user_sgpr_kernarg_segment_ptr 1
		.amdhsa_user_sgpr_dispatch_id 0
		.amdhsa_user_sgpr_kernarg_preload_length 0
		.amdhsa_user_sgpr_kernarg_preload_offset 0
		.amdhsa_user_sgpr_private_segment_size 0
		.amdhsa_wavefront_size32 1
		.amdhsa_uses_dynamic_stack 0
		.amdhsa_enable_private_segment 1
		.amdhsa_system_sgpr_workgroup_id_x 1
		.amdhsa_system_sgpr_workgroup_id_y 0
		.amdhsa_system_sgpr_workgroup_id_z 0
		.amdhsa_system_sgpr_workgroup_info 0
		.amdhsa_system_vgpr_workitem_id 0
		.amdhsa_next_free_vgpr 51
		.amdhsa_next_free_sgpr 34
		.amdhsa_named_barrier_count 0
		.amdhsa_reserve_vcc 1
		.amdhsa_float_round_mode_32 0
		.amdhsa_float_round_mode_16_64 0
		.amdhsa_float_denorm_mode_32 3
		.amdhsa_float_denorm_mode_16_64 3
		.amdhsa_fp16_overflow 0
		.amdhsa_memory_ordered 1
		.amdhsa_forward_progress 1
		.amdhsa_inst_pref_size 1
		.amdhsa_round_robin_scheduling 0
		.amdhsa_exception_fp_ieee_invalid_op 0
		.amdhsa_exception_fp_denorm_src 0
		.amdhsa_exception_fp_ieee_div_zero 0
		.amdhsa_exception_fp_ieee_overflow 0
		.amdhsa_exception_fp_ieee_underflow 0
		.amdhsa_exception_fp_ieee_inexact 0
		.amdhsa_exception_int_div_zero 0
	.end_amdhsa_kernel
	.section	.text._Z39paged_attention_ll4mi_QKV_mfma16_kernelIDF16_DF16_LN4vllm18Fp8KVCacheDataTypeE0EDF16_Li32ELi128ELi256ELb1ELi7EEvPKT_PKT0_S7_ifPKiS9_S9_iPKfiiiPfSC_PS2_PT2_iSB_SB_,"axG",@progbits,_Z39paged_attention_ll4mi_QKV_mfma16_kernelIDF16_DF16_LN4vllm18Fp8KVCacheDataTypeE0EDF16_Li32ELi128ELi256ELb1ELi7EEvPKT_PKT0_S7_ifPKiS9_S9_iPKfiiiPfSC_PS2_PT2_iSB_SB_,comdat
.Lfunc_end352:
	.size	_Z39paged_attention_ll4mi_QKV_mfma16_kernelIDF16_DF16_LN4vllm18Fp8KVCacheDataTypeE0EDF16_Li32ELi128ELi256ELb1ELi7EEvPKT_PKT0_S7_ifPKiS9_S9_iPKfiiiPfSC_PS2_PT2_iSB_SB_, .Lfunc_end352-_Z39paged_attention_ll4mi_QKV_mfma16_kernelIDF16_DF16_LN4vllm18Fp8KVCacheDataTypeE0EDF16_Li32ELi128ELi256ELb1ELi7EEvPKT_PKT0_S7_ifPKiS9_S9_iPKfiiiPfSC_PS2_PT2_iSB_SB_
                                        ; -- End function
	.set _Z39paged_attention_ll4mi_QKV_mfma16_kernelIDF16_DF16_LN4vllm18Fp8KVCacheDataTypeE0EDF16_Li32ELi128ELi256ELb1ELi7EEvPKT_PKT0_S7_ifPKiS9_S9_iPKfiiiPfSC_PS2_PT2_iSB_SB_.num_vgpr, max(3, .L__assert_fail.num_vgpr)
	.set _Z39paged_attention_ll4mi_QKV_mfma16_kernelIDF16_DF16_LN4vllm18Fp8KVCacheDataTypeE0EDF16_Li32ELi128ELi256ELb1ELi7EEvPKT_PKT0_S7_ifPKiS9_S9_iPKfiiiPfSC_PS2_PT2_iSB_SB_.num_agpr, max(0, .L__assert_fail.num_agpr)
	.set _Z39paged_attention_ll4mi_QKV_mfma16_kernelIDF16_DF16_LN4vllm18Fp8KVCacheDataTypeE0EDF16_Li32ELi128ELi256ELb1ELi7EEvPKT_PKT0_S7_ifPKiS9_S9_iPKfiiiPfSC_PS2_PT2_iSB_SB_.numbered_sgpr, max(33, .L__assert_fail.numbered_sgpr)
	.set _Z39paged_attention_ll4mi_QKV_mfma16_kernelIDF16_DF16_LN4vllm18Fp8KVCacheDataTypeE0EDF16_Li32ELi128ELi256ELb1ELi7EEvPKT_PKT0_S7_ifPKiS9_S9_iPKfiiiPfSC_PS2_PT2_iSB_SB_.num_named_barrier, max(0, .L__assert_fail.num_named_barrier)
	.set _Z39paged_attention_ll4mi_QKV_mfma16_kernelIDF16_DF16_LN4vllm18Fp8KVCacheDataTypeE0EDF16_Li32ELi128ELi256ELb1ELi7EEvPKT_PKT0_S7_ifPKiS9_S9_iPKfiiiPfSC_PS2_PT2_iSB_SB_.private_seg_size, 0+max(.L__assert_fail.private_seg_size)
	.set _Z39paged_attention_ll4mi_QKV_mfma16_kernelIDF16_DF16_LN4vllm18Fp8KVCacheDataTypeE0EDF16_Li32ELi128ELi256ELb1ELi7EEvPKT_PKT0_S7_ifPKiS9_S9_iPKfiiiPfSC_PS2_PT2_iSB_SB_.uses_vcc, or(1, .L__assert_fail.uses_vcc)
	.set _Z39paged_attention_ll4mi_QKV_mfma16_kernelIDF16_DF16_LN4vllm18Fp8KVCacheDataTypeE0EDF16_Li32ELi128ELi256ELb1ELi7EEvPKT_PKT0_S7_ifPKiS9_S9_iPKfiiiPfSC_PS2_PT2_iSB_SB_.uses_flat_scratch, or(0, .L__assert_fail.uses_flat_scratch)
	.set _Z39paged_attention_ll4mi_QKV_mfma16_kernelIDF16_DF16_LN4vllm18Fp8KVCacheDataTypeE0EDF16_Li32ELi128ELi256ELb1ELi7EEvPKT_PKT0_S7_ifPKiS9_S9_iPKfiiiPfSC_PS2_PT2_iSB_SB_.has_dyn_sized_stack, or(0, .L__assert_fail.has_dyn_sized_stack)
	.set _Z39paged_attention_ll4mi_QKV_mfma16_kernelIDF16_DF16_LN4vllm18Fp8KVCacheDataTypeE0EDF16_Li32ELi128ELi256ELb1ELi7EEvPKT_PKT0_S7_ifPKiS9_S9_iPKfiiiPfSC_PS2_PT2_iSB_SB_.has_recursion, or(0, .L__assert_fail.has_recursion)
	.set _Z39paged_attention_ll4mi_QKV_mfma16_kernelIDF16_DF16_LN4vllm18Fp8KVCacheDataTypeE0EDF16_Li32ELi128ELi256ELb1ELi7EEvPKT_PKT0_S7_ifPKiS9_S9_iPKfiiiPfSC_PS2_PT2_iSB_SB_.has_indirect_call, or(0, .L__assert_fail.has_indirect_call)
	.section	.AMDGPU.csdata,"",@progbits
; Kernel info:
; codeLenInByte = 68
; TotalNumSgprs: 36
; NumVgprs: 51
; ScratchSize: 64
; MemoryBound: 0
; FloatMode: 240
; IeeeMode: 1
; LDSByteSize: 0 bytes/workgroup (compile time only)
; SGPRBlocks: 0
; VGPRBlocks: 3
; NumSGPRsForWavesPerEU: 36
; NumVGPRsForWavesPerEU: 51
; NamedBarCnt: 0
; Occupancy: 16
; WaveLimiterHint : 1
; COMPUTE_PGM_RSRC2:SCRATCH_EN: 1
; COMPUTE_PGM_RSRC2:USER_SGPR: 2
; COMPUTE_PGM_RSRC2:TRAP_HANDLER: 0
; COMPUTE_PGM_RSRC2:TGID_X_EN: 1
; COMPUTE_PGM_RSRC2:TGID_Y_EN: 0
; COMPUTE_PGM_RSRC2:TGID_Z_EN: 0
; COMPUTE_PGM_RSRC2:TIDIG_COMP_CNT: 0
	.section	.text._Z39paged_attention_ll4mi_QKV_mfma16_kernelIDF16_DF16_LN4vllm18Fp8KVCacheDataTypeE0EDF16_Li32ELi128ELi256ELb1ELi8EEvPKT_PKT0_S7_ifPKiS9_S9_iPKfiiiPfSC_PS2_PT2_iSB_SB_,"axG",@progbits,_Z39paged_attention_ll4mi_QKV_mfma16_kernelIDF16_DF16_LN4vllm18Fp8KVCacheDataTypeE0EDF16_Li32ELi128ELi256ELb1ELi8EEvPKT_PKT0_S7_ifPKiS9_S9_iPKfiiiPfSC_PS2_PT2_iSB_SB_,comdat
	.protected	_Z39paged_attention_ll4mi_QKV_mfma16_kernelIDF16_DF16_LN4vllm18Fp8KVCacheDataTypeE0EDF16_Li32ELi128ELi256ELb1ELi8EEvPKT_PKT0_S7_ifPKiS9_S9_iPKfiiiPfSC_PS2_PT2_iSB_SB_ ; -- Begin function _Z39paged_attention_ll4mi_QKV_mfma16_kernelIDF16_DF16_LN4vllm18Fp8KVCacheDataTypeE0EDF16_Li32ELi128ELi256ELb1ELi8EEvPKT_PKT0_S7_ifPKiS9_S9_iPKfiiiPfSC_PS2_PT2_iSB_SB_
	.globl	_Z39paged_attention_ll4mi_QKV_mfma16_kernelIDF16_DF16_LN4vllm18Fp8KVCacheDataTypeE0EDF16_Li32ELi128ELi256ELb1ELi8EEvPKT_PKT0_S7_ifPKiS9_S9_iPKfiiiPfSC_PS2_PT2_iSB_SB_
	.p2align	8
	.type	_Z39paged_attention_ll4mi_QKV_mfma16_kernelIDF16_DF16_LN4vllm18Fp8KVCacheDataTypeE0EDF16_Li32ELi128ELi256ELb1ELi8EEvPKT_PKT0_S7_ifPKiS9_S9_iPKfiiiPfSC_PS2_PT2_iSB_SB_,@function
_Z39paged_attention_ll4mi_QKV_mfma16_kernelIDF16_DF16_LN4vllm18Fp8KVCacheDataTypeE0EDF16_Li32ELi128ELi256ELb1ELi8EEvPKT_PKT0_S7_ifPKiS9_S9_iPKfiiiPfSC_PS2_PT2_iSB_SB_: ; @_Z39paged_attention_ll4mi_QKV_mfma16_kernelIDF16_DF16_LN4vllm18Fp8KVCacheDataTypeE0EDF16_Li32ELi128ELi256ELb1ELi8EEvPKT_PKT0_S7_ifPKiS9_S9_iPKfiiiPfSC_PS2_PT2_iSB_SB_
; %bb.0:
	s_get_pc_i64 s[2:3]
	s_add_nc_u64 s[2:3], s[2:3], __PRETTY_FUNCTION__._Z39paged_attention_ll4mi_QKV_mfma16_kernelIDF16_DF16_LN4vllm18Fp8KVCacheDataTypeE0EDF16_Li32ELi128ELi256ELb1ELi8EEvPKT_PKT0_S7_ifPKiS9_S9_iPKfiiiPfSC_PS2_PT2_iSB_SB_@rel64+4
	s_delay_alu instid0(SALU_CYCLE_1)
	v_dual_mov_b32 v0, 0xbb3 :: v_dual_mov_b32 v1, s2
	v_mov_b32_e32 v2, s3
	s_add_nc_u64 s[8:9], s[0:1], 0x90
	s_get_pc_i64 s[0:1]
	s_add_nc_u64 s[0:1], s[0:1], __assert_fail@rel64+4
	s_mov_b32 s32, 0
	s_swap_pc_i64 s[30:31], s[0:1]
	.section	.rodata,"a",@progbits
	.p2align	6, 0x0
	.amdhsa_kernel _Z39paged_attention_ll4mi_QKV_mfma16_kernelIDF16_DF16_LN4vllm18Fp8KVCacheDataTypeE0EDF16_Li32ELi128ELi256ELb1ELi8EEvPKT_PKT0_S7_ifPKiS9_S9_iPKfiiiPfSC_PS2_PT2_iSB_SB_
		.amdhsa_group_segment_fixed_size 0
		.amdhsa_private_segment_fixed_size 64
		.amdhsa_kernarg_size 400
		.amdhsa_user_sgpr_count 2
		.amdhsa_user_sgpr_dispatch_ptr 0
		.amdhsa_user_sgpr_queue_ptr 0
		.amdhsa_user_sgpr_kernarg_segment_ptr 1
		.amdhsa_user_sgpr_dispatch_id 0
		.amdhsa_user_sgpr_kernarg_preload_length 0
		.amdhsa_user_sgpr_kernarg_preload_offset 0
		.amdhsa_user_sgpr_private_segment_size 0
		.amdhsa_wavefront_size32 1
		.amdhsa_uses_dynamic_stack 0
		.amdhsa_enable_private_segment 1
		.amdhsa_system_sgpr_workgroup_id_x 1
		.amdhsa_system_sgpr_workgroup_id_y 0
		.amdhsa_system_sgpr_workgroup_id_z 0
		.amdhsa_system_sgpr_workgroup_info 0
		.amdhsa_system_vgpr_workitem_id 0
		.amdhsa_next_free_vgpr 51
		.amdhsa_next_free_sgpr 34
		.amdhsa_named_barrier_count 0
		.amdhsa_reserve_vcc 1
		.amdhsa_float_round_mode_32 0
		.amdhsa_float_round_mode_16_64 0
		.amdhsa_float_denorm_mode_32 3
		.amdhsa_float_denorm_mode_16_64 3
		.amdhsa_fp16_overflow 0
		.amdhsa_memory_ordered 1
		.amdhsa_forward_progress 1
		.amdhsa_inst_pref_size 1
		.amdhsa_round_robin_scheduling 0
		.amdhsa_exception_fp_ieee_invalid_op 0
		.amdhsa_exception_fp_denorm_src 0
		.amdhsa_exception_fp_ieee_div_zero 0
		.amdhsa_exception_fp_ieee_overflow 0
		.amdhsa_exception_fp_ieee_underflow 0
		.amdhsa_exception_fp_ieee_inexact 0
		.amdhsa_exception_int_div_zero 0
	.end_amdhsa_kernel
	.section	.text._Z39paged_attention_ll4mi_QKV_mfma16_kernelIDF16_DF16_LN4vllm18Fp8KVCacheDataTypeE0EDF16_Li32ELi128ELi256ELb1ELi8EEvPKT_PKT0_S7_ifPKiS9_S9_iPKfiiiPfSC_PS2_PT2_iSB_SB_,"axG",@progbits,_Z39paged_attention_ll4mi_QKV_mfma16_kernelIDF16_DF16_LN4vllm18Fp8KVCacheDataTypeE0EDF16_Li32ELi128ELi256ELb1ELi8EEvPKT_PKT0_S7_ifPKiS9_S9_iPKfiiiPfSC_PS2_PT2_iSB_SB_,comdat
.Lfunc_end353:
	.size	_Z39paged_attention_ll4mi_QKV_mfma16_kernelIDF16_DF16_LN4vllm18Fp8KVCacheDataTypeE0EDF16_Li32ELi128ELi256ELb1ELi8EEvPKT_PKT0_S7_ifPKiS9_S9_iPKfiiiPfSC_PS2_PT2_iSB_SB_, .Lfunc_end353-_Z39paged_attention_ll4mi_QKV_mfma16_kernelIDF16_DF16_LN4vllm18Fp8KVCacheDataTypeE0EDF16_Li32ELi128ELi256ELb1ELi8EEvPKT_PKT0_S7_ifPKiS9_S9_iPKfiiiPfSC_PS2_PT2_iSB_SB_
                                        ; -- End function
	.set _Z39paged_attention_ll4mi_QKV_mfma16_kernelIDF16_DF16_LN4vllm18Fp8KVCacheDataTypeE0EDF16_Li32ELi128ELi256ELb1ELi8EEvPKT_PKT0_S7_ifPKiS9_S9_iPKfiiiPfSC_PS2_PT2_iSB_SB_.num_vgpr, max(3, .L__assert_fail.num_vgpr)
	.set _Z39paged_attention_ll4mi_QKV_mfma16_kernelIDF16_DF16_LN4vllm18Fp8KVCacheDataTypeE0EDF16_Li32ELi128ELi256ELb1ELi8EEvPKT_PKT0_S7_ifPKiS9_S9_iPKfiiiPfSC_PS2_PT2_iSB_SB_.num_agpr, max(0, .L__assert_fail.num_agpr)
	.set _Z39paged_attention_ll4mi_QKV_mfma16_kernelIDF16_DF16_LN4vllm18Fp8KVCacheDataTypeE0EDF16_Li32ELi128ELi256ELb1ELi8EEvPKT_PKT0_S7_ifPKiS9_S9_iPKfiiiPfSC_PS2_PT2_iSB_SB_.numbered_sgpr, max(33, .L__assert_fail.numbered_sgpr)
	.set _Z39paged_attention_ll4mi_QKV_mfma16_kernelIDF16_DF16_LN4vllm18Fp8KVCacheDataTypeE0EDF16_Li32ELi128ELi256ELb1ELi8EEvPKT_PKT0_S7_ifPKiS9_S9_iPKfiiiPfSC_PS2_PT2_iSB_SB_.num_named_barrier, max(0, .L__assert_fail.num_named_barrier)
	.set _Z39paged_attention_ll4mi_QKV_mfma16_kernelIDF16_DF16_LN4vllm18Fp8KVCacheDataTypeE0EDF16_Li32ELi128ELi256ELb1ELi8EEvPKT_PKT0_S7_ifPKiS9_S9_iPKfiiiPfSC_PS2_PT2_iSB_SB_.private_seg_size, 0+max(.L__assert_fail.private_seg_size)
	.set _Z39paged_attention_ll4mi_QKV_mfma16_kernelIDF16_DF16_LN4vllm18Fp8KVCacheDataTypeE0EDF16_Li32ELi128ELi256ELb1ELi8EEvPKT_PKT0_S7_ifPKiS9_S9_iPKfiiiPfSC_PS2_PT2_iSB_SB_.uses_vcc, or(1, .L__assert_fail.uses_vcc)
	.set _Z39paged_attention_ll4mi_QKV_mfma16_kernelIDF16_DF16_LN4vllm18Fp8KVCacheDataTypeE0EDF16_Li32ELi128ELi256ELb1ELi8EEvPKT_PKT0_S7_ifPKiS9_S9_iPKfiiiPfSC_PS2_PT2_iSB_SB_.uses_flat_scratch, or(0, .L__assert_fail.uses_flat_scratch)
	.set _Z39paged_attention_ll4mi_QKV_mfma16_kernelIDF16_DF16_LN4vllm18Fp8KVCacheDataTypeE0EDF16_Li32ELi128ELi256ELb1ELi8EEvPKT_PKT0_S7_ifPKiS9_S9_iPKfiiiPfSC_PS2_PT2_iSB_SB_.has_dyn_sized_stack, or(0, .L__assert_fail.has_dyn_sized_stack)
	.set _Z39paged_attention_ll4mi_QKV_mfma16_kernelIDF16_DF16_LN4vllm18Fp8KVCacheDataTypeE0EDF16_Li32ELi128ELi256ELb1ELi8EEvPKT_PKT0_S7_ifPKiS9_S9_iPKfiiiPfSC_PS2_PT2_iSB_SB_.has_recursion, or(0, .L__assert_fail.has_recursion)
	.set _Z39paged_attention_ll4mi_QKV_mfma16_kernelIDF16_DF16_LN4vllm18Fp8KVCacheDataTypeE0EDF16_Li32ELi128ELi256ELb1ELi8EEvPKT_PKT0_S7_ifPKiS9_S9_iPKfiiiPfSC_PS2_PT2_iSB_SB_.has_indirect_call, or(0, .L__assert_fail.has_indirect_call)
	.section	.AMDGPU.csdata,"",@progbits
; Kernel info:
; codeLenInByte = 68
; TotalNumSgprs: 36
; NumVgprs: 51
; ScratchSize: 64
; MemoryBound: 0
; FloatMode: 240
; IeeeMode: 1
; LDSByteSize: 0 bytes/workgroup (compile time only)
; SGPRBlocks: 0
; VGPRBlocks: 3
; NumSGPRsForWavesPerEU: 36
; NumVGPRsForWavesPerEU: 51
; NamedBarCnt: 0
; Occupancy: 16
; WaveLimiterHint : 1
; COMPUTE_PGM_RSRC2:SCRATCH_EN: 1
; COMPUTE_PGM_RSRC2:USER_SGPR: 2
; COMPUTE_PGM_RSRC2:TRAP_HANDLER: 0
; COMPUTE_PGM_RSRC2:TGID_X_EN: 1
; COMPUTE_PGM_RSRC2:TGID_Y_EN: 0
; COMPUTE_PGM_RSRC2:TGID_Z_EN: 0
; COMPUTE_PGM_RSRC2:TIDIG_COMP_CNT: 0
	.section	.text._Z39paged_attention_ll4mi_QKV_mfma16_kernelIDF16_DF16_LN4vllm18Fp8KVCacheDataTypeE0EDF16_Li32ELi128ELi256ELb1ELi9EEvPKT_PKT0_S7_ifPKiS9_S9_iPKfiiiPfSC_PS2_PT2_iSB_SB_,"axG",@progbits,_Z39paged_attention_ll4mi_QKV_mfma16_kernelIDF16_DF16_LN4vllm18Fp8KVCacheDataTypeE0EDF16_Li32ELi128ELi256ELb1ELi9EEvPKT_PKT0_S7_ifPKiS9_S9_iPKfiiiPfSC_PS2_PT2_iSB_SB_,comdat
	.protected	_Z39paged_attention_ll4mi_QKV_mfma16_kernelIDF16_DF16_LN4vllm18Fp8KVCacheDataTypeE0EDF16_Li32ELi128ELi256ELb1ELi9EEvPKT_PKT0_S7_ifPKiS9_S9_iPKfiiiPfSC_PS2_PT2_iSB_SB_ ; -- Begin function _Z39paged_attention_ll4mi_QKV_mfma16_kernelIDF16_DF16_LN4vllm18Fp8KVCacheDataTypeE0EDF16_Li32ELi128ELi256ELb1ELi9EEvPKT_PKT0_S7_ifPKiS9_S9_iPKfiiiPfSC_PS2_PT2_iSB_SB_
	.globl	_Z39paged_attention_ll4mi_QKV_mfma16_kernelIDF16_DF16_LN4vllm18Fp8KVCacheDataTypeE0EDF16_Li32ELi128ELi256ELb1ELi9EEvPKT_PKT0_S7_ifPKiS9_S9_iPKfiiiPfSC_PS2_PT2_iSB_SB_
	.p2align	8
	.type	_Z39paged_attention_ll4mi_QKV_mfma16_kernelIDF16_DF16_LN4vllm18Fp8KVCacheDataTypeE0EDF16_Li32ELi128ELi256ELb1ELi9EEvPKT_PKT0_S7_ifPKiS9_S9_iPKfiiiPfSC_PS2_PT2_iSB_SB_,@function
_Z39paged_attention_ll4mi_QKV_mfma16_kernelIDF16_DF16_LN4vllm18Fp8KVCacheDataTypeE0EDF16_Li32ELi128ELi256ELb1ELi9EEvPKT_PKT0_S7_ifPKiS9_S9_iPKfiiiPfSC_PS2_PT2_iSB_SB_: ; @_Z39paged_attention_ll4mi_QKV_mfma16_kernelIDF16_DF16_LN4vllm18Fp8KVCacheDataTypeE0EDF16_Li32ELi128ELi256ELb1ELi9EEvPKT_PKT0_S7_ifPKiS9_S9_iPKfiiiPfSC_PS2_PT2_iSB_SB_
; %bb.0:
	s_get_pc_i64 s[2:3]
	s_add_nc_u64 s[2:3], s[2:3], __PRETTY_FUNCTION__._Z39paged_attention_ll4mi_QKV_mfma16_kernelIDF16_DF16_LN4vllm18Fp8KVCacheDataTypeE0EDF16_Li32ELi128ELi256ELb1ELi9EEvPKT_PKT0_S7_ifPKiS9_S9_iPKfiiiPfSC_PS2_PT2_iSB_SB_@rel64+4
	s_delay_alu instid0(SALU_CYCLE_1)
	v_dual_mov_b32 v0, 0xbb3 :: v_dual_mov_b32 v1, s2
	v_mov_b32_e32 v2, s3
	s_add_nc_u64 s[8:9], s[0:1], 0x90
	s_get_pc_i64 s[0:1]
	s_add_nc_u64 s[0:1], s[0:1], __assert_fail@rel64+4
	s_mov_b32 s32, 0
	s_swap_pc_i64 s[30:31], s[0:1]
	.section	.rodata,"a",@progbits
	.p2align	6, 0x0
	.amdhsa_kernel _Z39paged_attention_ll4mi_QKV_mfma16_kernelIDF16_DF16_LN4vllm18Fp8KVCacheDataTypeE0EDF16_Li32ELi128ELi256ELb1ELi9EEvPKT_PKT0_S7_ifPKiS9_S9_iPKfiiiPfSC_PS2_PT2_iSB_SB_
		.amdhsa_group_segment_fixed_size 0
		.amdhsa_private_segment_fixed_size 64
		.amdhsa_kernarg_size 400
		.amdhsa_user_sgpr_count 2
		.amdhsa_user_sgpr_dispatch_ptr 0
		.amdhsa_user_sgpr_queue_ptr 0
		.amdhsa_user_sgpr_kernarg_segment_ptr 1
		.amdhsa_user_sgpr_dispatch_id 0
		.amdhsa_user_sgpr_kernarg_preload_length 0
		.amdhsa_user_sgpr_kernarg_preload_offset 0
		.amdhsa_user_sgpr_private_segment_size 0
		.amdhsa_wavefront_size32 1
		.amdhsa_uses_dynamic_stack 0
		.amdhsa_enable_private_segment 1
		.amdhsa_system_sgpr_workgroup_id_x 1
		.amdhsa_system_sgpr_workgroup_id_y 0
		.amdhsa_system_sgpr_workgroup_id_z 0
		.amdhsa_system_sgpr_workgroup_info 0
		.amdhsa_system_vgpr_workitem_id 0
		.amdhsa_next_free_vgpr 51
		.amdhsa_next_free_sgpr 34
		.amdhsa_named_barrier_count 0
		.amdhsa_reserve_vcc 1
		.amdhsa_float_round_mode_32 0
		.amdhsa_float_round_mode_16_64 0
		.amdhsa_float_denorm_mode_32 3
		.amdhsa_float_denorm_mode_16_64 3
		.amdhsa_fp16_overflow 0
		.amdhsa_memory_ordered 1
		.amdhsa_forward_progress 1
		.amdhsa_inst_pref_size 1
		.amdhsa_round_robin_scheduling 0
		.amdhsa_exception_fp_ieee_invalid_op 0
		.amdhsa_exception_fp_denorm_src 0
		.amdhsa_exception_fp_ieee_div_zero 0
		.amdhsa_exception_fp_ieee_overflow 0
		.amdhsa_exception_fp_ieee_underflow 0
		.amdhsa_exception_fp_ieee_inexact 0
		.amdhsa_exception_int_div_zero 0
	.end_amdhsa_kernel
	.section	.text._Z39paged_attention_ll4mi_QKV_mfma16_kernelIDF16_DF16_LN4vllm18Fp8KVCacheDataTypeE0EDF16_Li32ELi128ELi256ELb1ELi9EEvPKT_PKT0_S7_ifPKiS9_S9_iPKfiiiPfSC_PS2_PT2_iSB_SB_,"axG",@progbits,_Z39paged_attention_ll4mi_QKV_mfma16_kernelIDF16_DF16_LN4vllm18Fp8KVCacheDataTypeE0EDF16_Li32ELi128ELi256ELb1ELi9EEvPKT_PKT0_S7_ifPKiS9_S9_iPKfiiiPfSC_PS2_PT2_iSB_SB_,comdat
.Lfunc_end354:
	.size	_Z39paged_attention_ll4mi_QKV_mfma16_kernelIDF16_DF16_LN4vllm18Fp8KVCacheDataTypeE0EDF16_Li32ELi128ELi256ELb1ELi9EEvPKT_PKT0_S7_ifPKiS9_S9_iPKfiiiPfSC_PS2_PT2_iSB_SB_, .Lfunc_end354-_Z39paged_attention_ll4mi_QKV_mfma16_kernelIDF16_DF16_LN4vllm18Fp8KVCacheDataTypeE0EDF16_Li32ELi128ELi256ELb1ELi9EEvPKT_PKT0_S7_ifPKiS9_S9_iPKfiiiPfSC_PS2_PT2_iSB_SB_
                                        ; -- End function
	.set _Z39paged_attention_ll4mi_QKV_mfma16_kernelIDF16_DF16_LN4vllm18Fp8KVCacheDataTypeE0EDF16_Li32ELi128ELi256ELb1ELi9EEvPKT_PKT0_S7_ifPKiS9_S9_iPKfiiiPfSC_PS2_PT2_iSB_SB_.num_vgpr, max(3, .L__assert_fail.num_vgpr)
	.set _Z39paged_attention_ll4mi_QKV_mfma16_kernelIDF16_DF16_LN4vllm18Fp8KVCacheDataTypeE0EDF16_Li32ELi128ELi256ELb1ELi9EEvPKT_PKT0_S7_ifPKiS9_S9_iPKfiiiPfSC_PS2_PT2_iSB_SB_.num_agpr, max(0, .L__assert_fail.num_agpr)
	.set _Z39paged_attention_ll4mi_QKV_mfma16_kernelIDF16_DF16_LN4vllm18Fp8KVCacheDataTypeE0EDF16_Li32ELi128ELi256ELb1ELi9EEvPKT_PKT0_S7_ifPKiS9_S9_iPKfiiiPfSC_PS2_PT2_iSB_SB_.numbered_sgpr, max(33, .L__assert_fail.numbered_sgpr)
	.set _Z39paged_attention_ll4mi_QKV_mfma16_kernelIDF16_DF16_LN4vllm18Fp8KVCacheDataTypeE0EDF16_Li32ELi128ELi256ELb1ELi9EEvPKT_PKT0_S7_ifPKiS9_S9_iPKfiiiPfSC_PS2_PT2_iSB_SB_.num_named_barrier, max(0, .L__assert_fail.num_named_barrier)
	.set _Z39paged_attention_ll4mi_QKV_mfma16_kernelIDF16_DF16_LN4vllm18Fp8KVCacheDataTypeE0EDF16_Li32ELi128ELi256ELb1ELi9EEvPKT_PKT0_S7_ifPKiS9_S9_iPKfiiiPfSC_PS2_PT2_iSB_SB_.private_seg_size, 0+max(.L__assert_fail.private_seg_size)
	.set _Z39paged_attention_ll4mi_QKV_mfma16_kernelIDF16_DF16_LN4vllm18Fp8KVCacheDataTypeE0EDF16_Li32ELi128ELi256ELb1ELi9EEvPKT_PKT0_S7_ifPKiS9_S9_iPKfiiiPfSC_PS2_PT2_iSB_SB_.uses_vcc, or(1, .L__assert_fail.uses_vcc)
	.set _Z39paged_attention_ll4mi_QKV_mfma16_kernelIDF16_DF16_LN4vllm18Fp8KVCacheDataTypeE0EDF16_Li32ELi128ELi256ELb1ELi9EEvPKT_PKT0_S7_ifPKiS9_S9_iPKfiiiPfSC_PS2_PT2_iSB_SB_.uses_flat_scratch, or(0, .L__assert_fail.uses_flat_scratch)
	.set _Z39paged_attention_ll4mi_QKV_mfma16_kernelIDF16_DF16_LN4vllm18Fp8KVCacheDataTypeE0EDF16_Li32ELi128ELi256ELb1ELi9EEvPKT_PKT0_S7_ifPKiS9_S9_iPKfiiiPfSC_PS2_PT2_iSB_SB_.has_dyn_sized_stack, or(0, .L__assert_fail.has_dyn_sized_stack)
	.set _Z39paged_attention_ll4mi_QKV_mfma16_kernelIDF16_DF16_LN4vllm18Fp8KVCacheDataTypeE0EDF16_Li32ELi128ELi256ELb1ELi9EEvPKT_PKT0_S7_ifPKiS9_S9_iPKfiiiPfSC_PS2_PT2_iSB_SB_.has_recursion, or(0, .L__assert_fail.has_recursion)
	.set _Z39paged_attention_ll4mi_QKV_mfma16_kernelIDF16_DF16_LN4vllm18Fp8KVCacheDataTypeE0EDF16_Li32ELi128ELi256ELb1ELi9EEvPKT_PKT0_S7_ifPKiS9_S9_iPKfiiiPfSC_PS2_PT2_iSB_SB_.has_indirect_call, or(0, .L__assert_fail.has_indirect_call)
	.section	.AMDGPU.csdata,"",@progbits
; Kernel info:
; codeLenInByte = 68
; TotalNumSgprs: 36
; NumVgprs: 51
; ScratchSize: 64
; MemoryBound: 0
; FloatMode: 240
; IeeeMode: 1
; LDSByteSize: 0 bytes/workgroup (compile time only)
; SGPRBlocks: 0
; VGPRBlocks: 3
; NumSGPRsForWavesPerEU: 36
; NumVGPRsForWavesPerEU: 51
; NamedBarCnt: 0
; Occupancy: 16
; WaveLimiterHint : 1
; COMPUTE_PGM_RSRC2:SCRATCH_EN: 1
; COMPUTE_PGM_RSRC2:USER_SGPR: 2
; COMPUTE_PGM_RSRC2:TRAP_HANDLER: 0
; COMPUTE_PGM_RSRC2:TGID_X_EN: 1
; COMPUTE_PGM_RSRC2:TGID_Y_EN: 0
; COMPUTE_PGM_RSRC2:TGID_Z_EN: 0
; COMPUTE_PGM_RSRC2:TIDIG_COMP_CNT: 0
	.section	.text._Z39paged_attention_ll4mi_QKV_mfma16_kernelIDF16_DF16_LN4vllm18Fp8KVCacheDataTypeE0EDF16_Li32ELi128ELi256ELb1ELi10EEvPKT_PKT0_S7_ifPKiS9_S9_iPKfiiiPfSC_PS2_PT2_iSB_SB_,"axG",@progbits,_Z39paged_attention_ll4mi_QKV_mfma16_kernelIDF16_DF16_LN4vllm18Fp8KVCacheDataTypeE0EDF16_Li32ELi128ELi256ELb1ELi10EEvPKT_PKT0_S7_ifPKiS9_S9_iPKfiiiPfSC_PS2_PT2_iSB_SB_,comdat
	.protected	_Z39paged_attention_ll4mi_QKV_mfma16_kernelIDF16_DF16_LN4vllm18Fp8KVCacheDataTypeE0EDF16_Li32ELi128ELi256ELb1ELi10EEvPKT_PKT0_S7_ifPKiS9_S9_iPKfiiiPfSC_PS2_PT2_iSB_SB_ ; -- Begin function _Z39paged_attention_ll4mi_QKV_mfma16_kernelIDF16_DF16_LN4vllm18Fp8KVCacheDataTypeE0EDF16_Li32ELi128ELi256ELb1ELi10EEvPKT_PKT0_S7_ifPKiS9_S9_iPKfiiiPfSC_PS2_PT2_iSB_SB_
	.globl	_Z39paged_attention_ll4mi_QKV_mfma16_kernelIDF16_DF16_LN4vllm18Fp8KVCacheDataTypeE0EDF16_Li32ELi128ELi256ELb1ELi10EEvPKT_PKT0_S7_ifPKiS9_S9_iPKfiiiPfSC_PS2_PT2_iSB_SB_
	.p2align	8
	.type	_Z39paged_attention_ll4mi_QKV_mfma16_kernelIDF16_DF16_LN4vllm18Fp8KVCacheDataTypeE0EDF16_Li32ELi128ELi256ELb1ELi10EEvPKT_PKT0_S7_ifPKiS9_S9_iPKfiiiPfSC_PS2_PT2_iSB_SB_,@function
_Z39paged_attention_ll4mi_QKV_mfma16_kernelIDF16_DF16_LN4vllm18Fp8KVCacheDataTypeE0EDF16_Li32ELi128ELi256ELb1ELi10EEvPKT_PKT0_S7_ifPKiS9_S9_iPKfiiiPfSC_PS2_PT2_iSB_SB_: ; @_Z39paged_attention_ll4mi_QKV_mfma16_kernelIDF16_DF16_LN4vllm18Fp8KVCacheDataTypeE0EDF16_Li32ELi128ELi256ELb1ELi10EEvPKT_PKT0_S7_ifPKiS9_S9_iPKfiiiPfSC_PS2_PT2_iSB_SB_
; %bb.0:
	s_get_pc_i64 s[2:3]
	s_add_nc_u64 s[2:3], s[2:3], __PRETTY_FUNCTION__._Z39paged_attention_ll4mi_QKV_mfma16_kernelIDF16_DF16_LN4vllm18Fp8KVCacheDataTypeE0EDF16_Li32ELi128ELi256ELb1ELi10EEvPKT_PKT0_S7_ifPKiS9_S9_iPKfiiiPfSC_PS2_PT2_iSB_SB_@rel64+4
	s_delay_alu instid0(SALU_CYCLE_1)
	v_dual_mov_b32 v0, 0xbb3 :: v_dual_mov_b32 v1, s2
	v_mov_b32_e32 v2, s3
	s_add_nc_u64 s[8:9], s[0:1], 0x90
	s_get_pc_i64 s[0:1]
	s_add_nc_u64 s[0:1], s[0:1], __assert_fail@rel64+4
	s_mov_b32 s32, 0
	s_swap_pc_i64 s[30:31], s[0:1]
	.section	.rodata,"a",@progbits
	.p2align	6, 0x0
	.amdhsa_kernel _Z39paged_attention_ll4mi_QKV_mfma16_kernelIDF16_DF16_LN4vllm18Fp8KVCacheDataTypeE0EDF16_Li32ELi128ELi256ELb1ELi10EEvPKT_PKT0_S7_ifPKiS9_S9_iPKfiiiPfSC_PS2_PT2_iSB_SB_
		.amdhsa_group_segment_fixed_size 0
		.amdhsa_private_segment_fixed_size 64
		.amdhsa_kernarg_size 400
		.amdhsa_user_sgpr_count 2
		.amdhsa_user_sgpr_dispatch_ptr 0
		.amdhsa_user_sgpr_queue_ptr 0
		.amdhsa_user_sgpr_kernarg_segment_ptr 1
		.amdhsa_user_sgpr_dispatch_id 0
		.amdhsa_user_sgpr_kernarg_preload_length 0
		.amdhsa_user_sgpr_kernarg_preload_offset 0
		.amdhsa_user_sgpr_private_segment_size 0
		.amdhsa_wavefront_size32 1
		.amdhsa_uses_dynamic_stack 0
		.amdhsa_enable_private_segment 1
		.amdhsa_system_sgpr_workgroup_id_x 1
		.amdhsa_system_sgpr_workgroup_id_y 0
		.amdhsa_system_sgpr_workgroup_id_z 0
		.amdhsa_system_sgpr_workgroup_info 0
		.amdhsa_system_vgpr_workitem_id 0
		.amdhsa_next_free_vgpr 51
		.amdhsa_next_free_sgpr 34
		.amdhsa_named_barrier_count 0
		.amdhsa_reserve_vcc 1
		.amdhsa_float_round_mode_32 0
		.amdhsa_float_round_mode_16_64 0
		.amdhsa_float_denorm_mode_32 3
		.amdhsa_float_denorm_mode_16_64 3
		.amdhsa_fp16_overflow 0
		.amdhsa_memory_ordered 1
		.amdhsa_forward_progress 1
		.amdhsa_inst_pref_size 1
		.amdhsa_round_robin_scheduling 0
		.amdhsa_exception_fp_ieee_invalid_op 0
		.amdhsa_exception_fp_denorm_src 0
		.amdhsa_exception_fp_ieee_div_zero 0
		.amdhsa_exception_fp_ieee_overflow 0
		.amdhsa_exception_fp_ieee_underflow 0
		.amdhsa_exception_fp_ieee_inexact 0
		.amdhsa_exception_int_div_zero 0
	.end_amdhsa_kernel
	.section	.text._Z39paged_attention_ll4mi_QKV_mfma16_kernelIDF16_DF16_LN4vllm18Fp8KVCacheDataTypeE0EDF16_Li32ELi128ELi256ELb1ELi10EEvPKT_PKT0_S7_ifPKiS9_S9_iPKfiiiPfSC_PS2_PT2_iSB_SB_,"axG",@progbits,_Z39paged_attention_ll4mi_QKV_mfma16_kernelIDF16_DF16_LN4vllm18Fp8KVCacheDataTypeE0EDF16_Li32ELi128ELi256ELb1ELi10EEvPKT_PKT0_S7_ifPKiS9_S9_iPKfiiiPfSC_PS2_PT2_iSB_SB_,comdat
.Lfunc_end355:
	.size	_Z39paged_attention_ll4mi_QKV_mfma16_kernelIDF16_DF16_LN4vllm18Fp8KVCacheDataTypeE0EDF16_Li32ELi128ELi256ELb1ELi10EEvPKT_PKT0_S7_ifPKiS9_S9_iPKfiiiPfSC_PS2_PT2_iSB_SB_, .Lfunc_end355-_Z39paged_attention_ll4mi_QKV_mfma16_kernelIDF16_DF16_LN4vllm18Fp8KVCacheDataTypeE0EDF16_Li32ELi128ELi256ELb1ELi10EEvPKT_PKT0_S7_ifPKiS9_S9_iPKfiiiPfSC_PS2_PT2_iSB_SB_
                                        ; -- End function
	.set _Z39paged_attention_ll4mi_QKV_mfma16_kernelIDF16_DF16_LN4vllm18Fp8KVCacheDataTypeE0EDF16_Li32ELi128ELi256ELb1ELi10EEvPKT_PKT0_S7_ifPKiS9_S9_iPKfiiiPfSC_PS2_PT2_iSB_SB_.num_vgpr, max(3, .L__assert_fail.num_vgpr)
	.set _Z39paged_attention_ll4mi_QKV_mfma16_kernelIDF16_DF16_LN4vllm18Fp8KVCacheDataTypeE0EDF16_Li32ELi128ELi256ELb1ELi10EEvPKT_PKT0_S7_ifPKiS9_S9_iPKfiiiPfSC_PS2_PT2_iSB_SB_.num_agpr, max(0, .L__assert_fail.num_agpr)
	.set _Z39paged_attention_ll4mi_QKV_mfma16_kernelIDF16_DF16_LN4vllm18Fp8KVCacheDataTypeE0EDF16_Li32ELi128ELi256ELb1ELi10EEvPKT_PKT0_S7_ifPKiS9_S9_iPKfiiiPfSC_PS2_PT2_iSB_SB_.numbered_sgpr, max(33, .L__assert_fail.numbered_sgpr)
	.set _Z39paged_attention_ll4mi_QKV_mfma16_kernelIDF16_DF16_LN4vllm18Fp8KVCacheDataTypeE0EDF16_Li32ELi128ELi256ELb1ELi10EEvPKT_PKT0_S7_ifPKiS9_S9_iPKfiiiPfSC_PS2_PT2_iSB_SB_.num_named_barrier, max(0, .L__assert_fail.num_named_barrier)
	.set _Z39paged_attention_ll4mi_QKV_mfma16_kernelIDF16_DF16_LN4vllm18Fp8KVCacheDataTypeE0EDF16_Li32ELi128ELi256ELb1ELi10EEvPKT_PKT0_S7_ifPKiS9_S9_iPKfiiiPfSC_PS2_PT2_iSB_SB_.private_seg_size, 0+max(.L__assert_fail.private_seg_size)
	.set _Z39paged_attention_ll4mi_QKV_mfma16_kernelIDF16_DF16_LN4vllm18Fp8KVCacheDataTypeE0EDF16_Li32ELi128ELi256ELb1ELi10EEvPKT_PKT0_S7_ifPKiS9_S9_iPKfiiiPfSC_PS2_PT2_iSB_SB_.uses_vcc, or(1, .L__assert_fail.uses_vcc)
	.set _Z39paged_attention_ll4mi_QKV_mfma16_kernelIDF16_DF16_LN4vllm18Fp8KVCacheDataTypeE0EDF16_Li32ELi128ELi256ELb1ELi10EEvPKT_PKT0_S7_ifPKiS9_S9_iPKfiiiPfSC_PS2_PT2_iSB_SB_.uses_flat_scratch, or(0, .L__assert_fail.uses_flat_scratch)
	.set _Z39paged_attention_ll4mi_QKV_mfma16_kernelIDF16_DF16_LN4vllm18Fp8KVCacheDataTypeE0EDF16_Li32ELi128ELi256ELb1ELi10EEvPKT_PKT0_S7_ifPKiS9_S9_iPKfiiiPfSC_PS2_PT2_iSB_SB_.has_dyn_sized_stack, or(0, .L__assert_fail.has_dyn_sized_stack)
	.set _Z39paged_attention_ll4mi_QKV_mfma16_kernelIDF16_DF16_LN4vllm18Fp8KVCacheDataTypeE0EDF16_Li32ELi128ELi256ELb1ELi10EEvPKT_PKT0_S7_ifPKiS9_S9_iPKfiiiPfSC_PS2_PT2_iSB_SB_.has_recursion, or(0, .L__assert_fail.has_recursion)
	.set _Z39paged_attention_ll4mi_QKV_mfma16_kernelIDF16_DF16_LN4vllm18Fp8KVCacheDataTypeE0EDF16_Li32ELi128ELi256ELb1ELi10EEvPKT_PKT0_S7_ifPKiS9_S9_iPKfiiiPfSC_PS2_PT2_iSB_SB_.has_indirect_call, or(0, .L__assert_fail.has_indirect_call)
	.section	.AMDGPU.csdata,"",@progbits
; Kernel info:
; codeLenInByte = 68
; TotalNumSgprs: 36
; NumVgprs: 51
; ScratchSize: 64
; MemoryBound: 0
; FloatMode: 240
; IeeeMode: 1
; LDSByteSize: 0 bytes/workgroup (compile time only)
; SGPRBlocks: 0
; VGPRBlocks: 3
; NumSGPRsForWavesPerEU: 36
; NumVGPRsForWavesPerEU: 51
; NamedBarCnt: 0
; Occupancy: 16
; WaveLimiterHint : 1
; COMPUTE_PGM_RSRC2:SCRATCH_EN: 1
; COMPUTE_PGM_RSRC2:USER_SGPR: 2
; COMPUTE_PGM_RSRC2:TRAP_HANDLER: 0
; COMPUTE_PGM_RSRC2:TGID_X_EN: 1
; COMPUTE_PGM_RSRC2:TGID_Y_EN: 0
; COMPUTE_PGM_RSRC2:TGID_Z_EN: 0
; COMPUTE_PGM_RSRC2:TIDIG_COMP_CNT: 0
	.section	.text._Z39paged_attention_ll4mi_QKV_mfma16_kernelIDF16_DF16_LN4vllm18Fp8KVCacheDataTypeE0EDF16_Li32ELi128ELi256ELb1ELi11EEvPKT_PKT0_S7_ifPKiS9_S9_iPKfiiiPfSC_PS2_PT2_iSB_SB_,"axG",@progbits,_Z39paged_attention_ll4mi_QKV_mfma16_kernelIDF16_DF16_LN4vllm18Fp8KVCacheDataTypeE0EDF16_Li32ELi128ELi256ELb1ELi11EEvPKT_PKT0_S7_ifPKiS9_S9_iPKfiiiPfSC_PS2_PT2_iSB_SB_,comdat
	.protected	_Z39paged_attention_ll4mi_QKV_mfma16_kernelIDF16_DF16_LN4vllm18Fp8KVCacheDataTypeE0EDF16_Li32ELi128ELi256ELb1ELi11EEvPKT_PKT0_S7_ifPKiS9_S9_iPKfiiiPfSC_PS2_PT2_iSB_SB_ ; -- Begin function _Z39paged_attention_ll4mi_QKV_mfma16_kernelIDF16_DF16_LN4vllm18Fp8KVCacheDataTypeE0EDF16_Li32ELi128ELi256ELb1ELi11EEvPKT_PKT0_S7_ifPKiS9_S9_iPKfiiiPfSC_PS2_PT2_iSB_SB_
	.globl	_Z39paged_attention_ll4mi_QKV_mfma16_kernelIDF16_DF16_LN4vllm18Fp8KVCacheDataTypeE0EDF16_Li32ELi128ELi256ELb1ELi11EEvPKT_PKT0_S7_ifPKiS9_S9_iPKfiiiPfSC_PS2_PT2_iSB_SB_
	.p2align	8
	.type	_Z39paged_attention_ll4mi_QKV_mfma16_kernelIDF16_DF16_LN4vllm18Fp8KVCacheDataTypeE0EDF16_Li32ELi128ELi256ELb1ELi11EEvPKT_PKT0_S7_ifPKiS9_S9_iPKfiiiPfSC_PS2_PT2_iSB_SB_,@function
_Z39paged_attention_ll4mi_QKV_mfma16_kernelIDF16_DF16_LN4vllm18Fp8KVCacheDataTypeE0EDF16_Li32ELi128ELi256ELb1ELi11EEvPKT_PKT0_S7_ifPKiS9_S9_iPKfiiiPfSC_PS2_PT2_iSB_SB_: ; @_Z39paged_attention_ll4mi_QKV_mfma16_kernelIDF16_DF16_LN4vllm18Fp8KVCacheDataTypeE0EDF16_Li32ELi128ELi256ELb1ELi11EEvPKT_PKT0_S7_ifPKiS9_S9_iPKfiiiPfSC_PS2_PT2_iSB_SB_
; %bb.0:
	s_get_pc_i64 s[2:3]
	s_add_nc_u64 s[2:3], s[2:3], __PRETTY_FUNCTION__._Z39paged_attention_ll4mi_QKV_mfma16_kernelIDF16_DF16_LN4vllm18Fp8KVCacheDataTypeE0EDF16_Li32ELi128ELi256ELb1ELi11EEvPKT_PKT0_S7_ifPKiS9_S9_iPKfiiiPfSC_PS2_PT2_iSB_SB_@rel64+4
	s_delay_alu instid0(SALU_CYCLE_1)
	v_dual_mov_b32 v0, 0xbb3 :: v_dual_mov_b32 v1, s2
	v_mov_b32_e32 v2, s3
	s_add_nc_u64 s[8:9], s[0:1], 0x90
	s_get_pc_i64 s[0:1]
	s_add_nc_u64 s[0:1], s[0:1], __assert_fail@rel64+4
	s_mov_b32 s32, 0
	s_swap_pc_i64 s[30:31], s[0:1]
	.section	.rodata,"a",@progbits
	.p2align	6, 0x0
	.amdhsa_kernel _Z39paged_attention_ll4mi_QKV_mfma16_kernelIDF16_DF16_LN4vllm18Fp8KVCacheDataTypeE0EDF16_Li32ELi128ELi256ELb1ELi11EEvPKT_PKT0_S7_ifPKiS9_S9_iPKfiiiPfSC_PS2_PT2_iSB_SB_
		.amdhsa_group_segment_fixed_size 0
		.amdhsa_private_segment_fixed_size 64
		.amdhsa_kernarg_size 400
		.amdhsa_user_sgpr_count 2
		.amdhsa_user_sgpr_dispatch_ptr 0
		.amdhsa_user_sgpr_queue_ptr 0
		.amdhsa_user_sgpr_kernarg_segment_ptr 1
		.amdhsa_user_sgpr_dispatch_id 0
		.amdhsa_user_sgpr_kernarg_preload_length 0
		.amdhsa_user_sgpr_kernarg_preload_offset 0
		.amdhsa_user_sgpr_private_segment_size 0
		.amdhsa_wavefront_size32 1
		.amdhsa_uses_dynamic_stack 0
		.amdhsa_enable_private_segment 1
		.amdhsa_system_sgpr_workgroup_id_x 1
		.amdhsa_system_sgpr_workgroup_id_y 0
		.amdhsa_system_sgpr_workgroup_id_z 0
		.amdhsa_system_sgpr_workgroup_info 0
		.amdhsa_system_vgpr_workitem_id 0
		.amdhsa_next_free_vgpr 51
		.amdhsa_next_free_sgpr 34
		.amdhsa_named_barrier_count 0
		.amdhsa_reserve_vcc 1
		.amdhsa_float_round_mode_32 0
		.amdhsa_float_round_mode_16_64 0
		.amdhsa_float_denorm_mode_32 3
		.amdhsa_float_denorm_mode_16_64 3
		.amdhsa_fp16_overflow 0
		.amdhsa_memory_ordered 1
		.amdhsa_forward_progress 1
		.amdhsa_inst_pref_size 1
		.amdhsa_round_robin_scheduling 0
		.amdhsa_exception_fp_ieee_invalid_op 0
		.amdhsa_exception_fp_denorm_src 0
		.amdhsa_exception_fp_ieee_div_zero 0
		.amdhsa_exception_fp_ieee_overflow 0
		.amdhsa_exception_fp_ieee_underflow 0
		.amdhsa_exception_fp_ieee_inexact 0
		.amdhsa_exception_int_div_zero 0
	.end_amdhsa_kernel
	.section	.text._Z39paged_attention_ll4mi_QKV_mfma16_kernelIDF16_DF16_LN4vllm18Fp8KVCacheDataTypeE0EDF16_Li32ELi128ELi256ELb1ELi11EEvPKT_PKT0_S7_ifPKiS9_S9_iPKfiiiPfSC_PS2_PT2_iSB_SB_,"axG",@progbits,_Z39paged_attention_ll4mi_QKV_mfma16_kernelIDF16_DF16_LN4vllm18Fp8KVCacheDataTypeE0EDF16_Li32ELi128ELi256ELb1ELi11EEvPKT_PKT0_S7_ifPKiS9_S9_iPKfiiiPfSC_PS2_PT2_iSB_SB_,comdat
.Lfunc_end356:
	.size	_Z39paged_attention_ll4mi_QKV_mfma16_kernelIDF16_DF16_LN4vllm18Fp8KVCacheDataTypeE0EDF16_Li32ELi128ELi256ELb1ELi11EEvPKT_PKT0_S7_ifPKiS9_S9_iPKfiiiPfSC_PS2_PT2_iSB_SB_, .Lfunc_end356-_Z39paged_attention_ll4mi_QKV_mfma16_kernelIDF16_DF16_LN4vllm18Fp8KVCacheDataTypeE0EDF16_Li32ELi128ELi256ELb1ELi11EEvPKT_PKT0_S7_ifPKiS9_S9_iPKfiiiPfSC_PS2_PT2_iSB_SB_
                                        ; -- End function
	.set _Z39paged_attention_ll4mi_QKV_mfma16_kernelIDF16_DF16_LN4vllm18Fp8KVCacheDataTypeE0EDF16_Li32ELi128ELi256ELb1ELi11EEvPKT_PKT0_S7_ifPKiS9_S9_iPKfiiiPfSC_PS2_PT2_iSB_SB_.num_vgpr, max(3, .L__assert_fail.num_vgpr)
	.set _Z39paged_attention_ll4mi_QKV_mfma16_kernelIDF16_DF16_LN4vllm18Fp8KVCacheDataTypeE0EDF16_Li32ELi128ELi256ELb1ELi11EEvPKT_PKT0_S7_ifPKiS9_S9_iPKfiiiPfSC_PS2_PT2_iSB_SB_.num_agpr, max(0, .L__assert_fail.num_agpr)
	.set _Z39paged_attention_ll4mi_QKV_mfma16_kernelIDF16_DF16_LN4vllm18Fp8KVCacheDataTypeE0EDF16_Li32ELi128ELi256ELb1ELi11EEvPKT_PKT0_S7_ifPKiS9_S9_iPKfiiiPfSC_PS2_PT2_iSB_SB_.numbered_sgpr, max(33, .L__assert_fail.numbered_sgpr)
	.set _Z39paged_attention_ll4mi_QKV_mfma16_kernelIDF16_DF16_LN4vllm18Fp8KVCacheDataTypeE0EDF16_Li32ELi128ELi256ELb1ELi11EEvPKT_PKT0_S7_ifPKiS9_S9_iPKfiiiPfSC_PS2_PT2_iSB_SB_.num_named_barrier, max(0, .L__assert_fail.num_named_barrier)
	.set _Z39paged_attention_ll4mi_QKV_mfma16_kernelIDF16_DF16_LN4vllm18Fp8KVCacheDataTypeE0EDF16_Li32ELi128ELi256ELb1ELi11EEvPKT_PKT0_S7_ifPKiS9_S9_iPKfiiiPfSC_PS2_PT2_iSB_SB_.private_seg_size, 0+max(.L__assert_fail.private_seg_size)
	.set _Z39paged_attention_ll4mi_QKV_mfma16_kernelIDF16_DF16_LN4vllm18Fp8KVCacheDataTypeE0EDF16_Li32ELi128ELi256ELb1ELi11EEvPKT_PKT0_S7_ifPKiS9_S9_iPKfiiiPfSC_PS2_PT2_iSB_SB_.uses_vcc, or(1, .L__assert_fail.uses_vcc)
	.set _Z39paged_attention_ll4mi_QKV_mfma16_kernelIDF16_DF16_LN4vllm18Fp8KVCacheDataTypeE0EDF16_Li32ELi128ELi256ELb1ELi11EEvPKT_PKT0_S7_ifPKiS9_S9_iPKfiiiPfSC_PS2_PT2_iSB_SB_.uses_flat_scratch, or(0, .L__assert_fail.uses_flat_scratch)
	.set _Z39paged_attention_ll4mi_QKV_mfma16_kernelIDF16_DF16_LN4vllm18Fp8KVCacheDataTypeE0EDF16_Li32ELi128ELi256ELb1ELi11EEvPKT_PKT0_S7_ifPKiS9_S9_iPKfiiiPfSC_PS2_PT2_iSB_SB_.has_dyn_sized_stack, or(0, .L__assert_fail.has_dyn_sized_stack)
	.set _Z39paged_attention_ll4mi_QKV_mfma16_kernelIDF16_DF16_LN4vllm18Fp8KVCacheDataTypeE0EDF16_Li32ELi128ELi256ELb1ELi11EEvPKT_PKT0_S7_ifPKiS9_S9_iPKfiiiPfSC_PS2_PT2_iSB_SB_.has_recursion, or(0, .L__assert_fail.has_recursion)
	.set _Z39paged_attention_ll4mi_QKV_mfma16_kernelIDF16_DF16_LN4vllm18Fp8KVCacheDataTypeE0EDF16_Li32ELi128ELi256ELb1ELi11EEvPKT_PKT0_S7_ifPKiS9_S9_iPKfiiiPfSC_PS2_PT2_iSB_SB_.has_indirect_call, or(0, .L__assert_fail.has_indirect_call)
	.section	.AMDGPU.csdata,"",@progbits
; Kernel info:
; codeLenInByte = 68
; TotalNumSgprs: 36
; NumVgprs: 51
; ScratchSize: 64
; MemoryBound: 0
; FloatMode: 240
; IeeeMode: 1
; LDSByteSize: 0 bytes/workgroup (compile time only)
; SGPRBlocks: 0
; VGPRBlocks: 3
; NumSGPRsForWavesPerEU: 36
; NumVGPRsForWavesPerEU: 51
; NamedBarCnt: 0
; Occupancy: 16
; WaveLimiterHint : 1
; COMPUTE_PGM_RSRC2:SCRATCH_EN: 1
; COMPUTE_PGM_RSRC2:USER_SGPR: 2
; COMPUTE_PGM_RSRC2:TRAP_HANDLER: 0
; COMPUTE_PGM_RSRC2:TGID_X_EN: 1
; COMPUTE_PGM_RSRC2:TGID_Y_EN: 0
; COMPUTE_PGM_RSRC2:TGID_Z_EN: 0
; COMPUTE_PGM_RSRC2:TIDIG_COMP_CNT: 0
	.section	.text._Z39paged_attention_ll4mi_QKV_mfma16_kernelIDF16_DF16_LN4vllm18Fp8KVCacheDataTypeE0EDF16_Li32ELi128ELi256ELb1ELi12EEvPKT_PKT0_S7_ifPKiS9_S9_iPKfiiiPfSC_PS2_PT2_iSB_SB_,"axG",@progbits,_Z39paged_attention_ll4mi_QKV_mfma16_kernelIDF16_DF16_LN4vllm18Fp8KVCacheDataTypeE0EDF16_Li32ELi128ELi256ELb1ELi12EEvPKT_PKT0_S7_ifPKiS9_S9_iPKfiiiPfSC_PS2_PT2_iSB_SB_,comdat
	.protected	_Z39paged_attention_ll4mi_QKV_mfma16_kernelIDF16_DF16_LN4vllm18Fp8KVCacheDataTypeE0EDF16_Li32ELi128ELi256ELb1ELi12EEvPKT_PKT0_S7_ifPKiS9_S9_iPKfiiiPfSC_PS2_PT2_iSB_SB_ ; -- Begin function _Z39paged_attention_ll4mi_QKV_mfma16_kernelIDF16_DF16_LN4vllm18Fp8KVCacheDataTypeE0EDF16_Li32ELi128ELi256ELb1ELi12EEvPKT_PKT0_S7_ifPKiS9_S9_iPKfiiiPfSC_PS2_PT2_iSB_SB_
	.globl	_Z39paged_attention_ll4mi_QKV_mfma16_kernelIDF16_DF16_LN4vllm18Fp8KVCacheDataTypeE0EDF16_Li32ELi128ELi256ELb1ELi12EEvPKT_PKT0_S7_ifPKiS9_S9_iPKfiiiPfSC_PS2_PT2_iSB_SB_
	.p2align	8
	.type	_Z39paged_attention_ll4mi_QKV_mfma16_kernelIDF16_DF16_LN4vllm18Fp8KVCacheDataTypeE0EDF16_Li32ELi128ELi256ELb1ELi12EEvPKT_PKT0_S7_ifPKiS9_S9_iPKfiiiPfSC_PS2_PT2_iSB_SB_,@function
_Z39paged_attention_ll4mi_QKV_mfma16_kernelIDF16_DF16_LN4vllm18Fp8KVCacheDataTypeE0EDF16_Li32ELi128ELi256ELb1ELi12EEvPKT_PKT0_S7_ifPKiS9_S9_iPKfiiiPfSC_PS2_PT2_iSB_SB_: ; @_Z39paged_attention_ll4mi_QKV_mfma16_kernelIDF16_DF16_LN4vllm18Fp8KVCacheDataTypeE0EDF16_Li32ELi128ELi256ELb1ELi12EEvPKT_PKT0_S7_ifPKiS9_S9_iPKfiiiPfSC_PS2_PT2_iSB_SB_
; %bb.0:
	s_get_pc_i64 s[2:3]
	s_add_nc_u64 s[2:3], s[2:3], __PRETTY_FUNCTION__._Z39paged_attention_ll4mi_QKV_mfma16_kernelIDF16_DF16_LN4vllm18Fp8KVCacheDataTypeE0EDF16_Li32ELi128ELi256ELb1ELi12EEvPKT_PKT0_S7_ifPKiS9_S9_iPKfiiiPfSC_PS2_PT2_iSB_SB_@rel64+4
	s_delay_alu instid0(SALU_CYCLE_1)
	v_dual_mov_b32 v0, 0xbb3 :: v_dual_mov_b32 v1, s2
	v_mov_b32_e32 v2, s3
	s_add_nc_u64 s[8:9], s[0:1], 0x90
	s_get_pc_i64 s[0:1]
	s_add_nc_u64 s[0:1], s[0:1], __assert_fail@rel64+4
	s_mov_b32 s32, 0
	s_swap_pc_i64 s[30:31], s[0:1]
	.section	.rodata,"a",@progbits
	.p2align	6, 0x0
	.amdhsa_kernel _Z39paged_attention_ll4mi_QKV_mfma16_kernelIDF16_DF16_LN4vllm18Fp8KVCacheDataTypeE0EDF16_Li32ELi128ELi256ELb1ELi12EEvPKT_PKT0_S7_ifPKiS9_S9_iPKfiiiPfSC_PS2_PT2_iSB_SB_
		.amdhsa_group_segment_fixed_size 0
		.amdhsa_private_segment_fixed_size 64
		.amdhsa_kernarg_size 400
		.amdhsa_user_sgpr_count 2
		.amdhsa_user_sgpr_dispatch_ptr 0
		.amdhsa_user_sgpr_queue_ptr 0
		.amdhsa_user_sgpr_kernarg_segment_ptr 1
		.amdhsa_user_sgpr_dispatch_id 0
		.amdhsa_user_sgpr_kernarg_preload_length 0
		.amdhsa_user_sgpr_kernarg_preload_offset 0
		.amdhsa_user_sgpr_private_segment_size 0
		.amdhsa_wavefront_size32 1
		.amdhsa_uses_dynamic_stack 0
		.amdhsa_enable_private_segment 1
		.amdhsa_system_sgpr_workgroup_id_x 1
		.amdhsa_system_sgpr_workgroup_id_y 0
		.amdhsa_system_sgpr_workgroup_id_z 0
		.amdhsa_system_sgpr_workgroup_info 0
		.amdhsa_system_vgpr_workitem_id 0
		.amdhsa_next_free_vgpr 51
		.amdhsa_next_free_sgpr 34
		.amdhsa_named_barrier_count 0
		.amdhsa_reserve_vcc 1
		.amdhsa_float_round_mode_32 0
		.amdhsa_float_round_mode_16_64 0
		.amdhsa_float_denorm_mode_32 3
		.amdhsa_float_denorm_mode_16_64 3
		.amdhsa_fp16_overflow 0
		.amdhsa_memory_ordered 1
		.amdhsa_forward_progress 1
		.amdhsa_inst_pref_size 1
		.amdhsa_round_robin_scheduling 0
		.amdhsa_exception_fp_ieee_invalid_op 0
		.amdhsa_exception_fp_denorm_src 0
		.amdhsa_exception_fp_ieee_div_zero 0
		.amdhsa_exception_fp_ieee_overflow 0
		.amdhsa_exception_fp_ieee_underflow 0
		.amdhsa_exception_fp_ieee_inexact 0
		.amdhsa_exception_int_div_zero 0
	.end_amdhsa_kernel
	.section	.text._Z39paged_attention_ll4mi_QKV_mfma16_kernelIDF16_DF16_LN4vllm18Fp8KVCacheDataTypeE0EDF16_Li32ELi128ELi256ELb1ELi12EEvPKT_PKT0_S7_ifPKiS9_S9_iPKfiiiPfSC_PS2_PT2_iSB_SB_,"axG",@progbits,_Z39paged_attention_ll4mi_QKV_mfma16_kernelIDF16_DF16_LN4vllm18Fp8KVCacheDataTypeE0EDF16_Li32ELi128ELi256ELb1ELi12EEvPKT_PKT0_S7_ifPKiS9_S9_iPKfiiiPfSC_PS2_PT2_iSB_SB_,comdat
.Lfunc_end357:
	.size	_Z39paged_attention_ll4mi_QKV_mfma16_kernelIDF16_DF16_LN4vllm18Fp8KVCacheDataTypeE0EDF16_Li32ELi128ELi256ELb1ELi12EEvPKT_PKT0_S7_ifPKiS9_S9_iPKfiiiPfSC_PS2_PT2_iSB_SB_, .Lfunc_end357-_Z39paged_attention_ll4mi_QKV_mfma16_kernelIDF16_DF16_LN4vllm18Fp8KVCacheDataTypeE0EDF16_Li32ELi128ELi256ELb1ELi12EEvPKT_PKT0_S7_ifPKiS9_S9_iPKfiiiPfSC_PS2_PT2_iSB_SB_
                                        ; -- End function
	.set _Z39paged_attention_ll4mi_QKV_mfma16_kernelIDF16_DF16_LN4vllm18Fp8KVCacheDataTypeE0EDF16_Li32ELi128ELi256ELb1ELi12EEvPKT_PKT0_S7_ifPKiS9_S9_iPKfiiiPfSC_PS2_PT2_iSB_SB_.num_vgpr, max(3, .L__assert_fail.num_vgpr)
	.set _Z39paged_attention_ll4mi_QKV_mfma16_kernelIDF16_DF16_LN4vllm18Fp8KVCacheDataTypeE0EDF16_Li32ELi128ELi256ELb1ELi12EEvPKT_PKT0_S7_ifPKiS9_S9_iPKfiiiPfSC_PS2_PT2_iSB_SB_.num_agpr, max(0, .L__assert_fail.num_agpr)
	.set _Z39paged_attention_ll4mi_QKV_mfma16_kernelIDF16_DF16_LN4vllm18Fp8KVCacheDataTypeE0EDF16_Li32ELi128ELi256ELb1ELi12EEvPKT_PKT0_S7_ifPKiS9_S9_iPKfiiiPfSC_PS2_PT2_iSB_SB_.numbered_sgpr, max(33, .L__assert_fail.numbered_sgpr)
	.set _Z39paged_attention_ll4mi_QKV_mfma16_kernelIDF16_DF16_LN4vllm18Fp8KVCacheDataTypeE0EDF16_Li32ELi128ELi256ELb1ELi12EEvPKT_PKT0_S7_ifPKiS9_S9_iPKfiiiPfSC_PS2_PT2_iSB_SB_.num_named_barrier, max(0, .L__assert_fail.num_named_barrier)
	.set _Z39paged_attention_ll4mi_QKV_mfma16_kernelIDF16_DF16_LN4vllm18Fp8KVCacheDataTypeE0EDF16_Li32ELi128ELi256ELb1ELi12EEvPKT_PKT0_S7_ifPKiS9_S9_iPKfiiiPfSC_PS2_PT2_iSB_SB_.private_seg_size, 0+max(.L__assert_fail.private_seg_size)
	.set _Z39paged_attention_ll4mi_QKV_mfma16_kernelIDF16_DF16_LN4vllm18Fp8KVCacheDataTypeE0EDF16_Li32ELi128ELi256ELb1ELi12EEvPKT_PKT0_S7_ifPKiS9_S9_iPKfiiiPfSC_PS2_PT2_iSB_SB_.uses_vcc, or(1, .L__assert_fail.uses_vcc)
	.set _Z39paged_attention_ll4mi_QKV_mfma16_kernelIDF16_DF16_LN4vllm18Fp8KVCacheDataTypeE0EDF16_Li32ELi128ELi256ELb1ELi12EEvPKT_PKT0_S7_ifPKiS9_S9_iPKfiiiPfSC_PS2_PT2_iSB_SB_.uses_flat_scratch, or(0, .L__assert_fail.uses_flat_scratch)
	.set _Z39paged_attention_ll4mi_QKV_mfma16_kernelIDF16_DF16_LN4vllm18Fp8KVCacheDataTypeE0EDF16_Li32ELi128ELi256ELb1ELi12EEvPKT_PKT0_S7_ifPKiS9_S9_iPKfiiiPfSC_PS2_PT2_iSB_SB_.has_dyn_sized_stack, or(0, .L__assert_fail.has_dyn_sized_stack)
	.set _Z39paged_attention_ll4mi_QKV_mfma16_kernelIDF16_DF16_LN4vllm18Fp8KVCacheDataTypeE0EDF16_Li32ELi128ELi256ELb1ELi12EEvPKT_PKT0_S7_ifPKiS9_S9_iPKfiiiPfSC_PS2_PT2_iSB_SB_.has_recursion, or(0, .L__assert_fail.has_recursion)
	.set _Z39paged_attention_ll4mi_QKV_mfma16_kernelIDF16_DF16_LN4vllm18Fp8KVCacheDataTypeE0EDF16_Li32ELi128ELi256ELb1ELi12EEvPKT_PKT0_S7_ifPKiS9_S9_iPKfiiiPfSC_PS2_PT2_iSB_SB_.has_indirect_call, or(0, .L__assert_fail.has_indirect_call)
	.section	.AMDGPU.csdata,"",@progbits
; Kernel info:
; codeLenInByte = 68
; TotalNumSgprs: 36
; NumVgprs: 51
; ScratchSize: 64
; MemoryBound: 0
; FloatMode: 240
; IeeeMode: 1
; LDSByteSize: 0 bytes/workgroup (compile time only)
; SGPRBlocks: 0
; VGPRBlocks: 3
; NumSGPRsForWavesPerEU: 36
; NumVGPRsForWavesPerEU: 51
; NamedBarCnt: 0
; Occupancy: 16
; WaveLimiterHint : 1
; COMPUTE_PGM_RSRC2:SCRATCH_EN: 1
; COMPUTE_PGM_RSRC2:USER_SGPR: 2
; COMPUTE_PGM_RSRC2:TRAP_HANDLER: 0
; COMPUTE_PGM_RSRC2:TGID_X_EN: 1
; COMPUTE_PGM_RSRC2:TGID_Y_EN: 0
; COMPUTE_PGM_RSRC2:TGID_Z_EN: 0
; COMPUTE_PGM_RSRC2:TIDIG_COMP_CNT: 0
	.section	.text._Z39paged_attention_ll4mi_QKV_mfma16_kernelIDF16_DF16_LN4vllm18Fp8KVCacheDataTypeE0EDF16_Li32ELi128ELi256ELb1ELi13EEvPKT_PKT0_S7_ifPKiS9_S9_iPKfiiiPfSC_PS2_PT2_iSB_SB_,"axG",@progbits,_Z39paged_attention_ll4mi_QKV_mfma16_kernelIDF16_DF16_LN4vllm18Fp8KVCacheDataTypeE0EDF16_Li32ELi128ELi256ELb1ELi13EEvPKT_PKT0_S7_ifPKiS9_S9_iPKfiiiPfSC_PS2_PT2_iSB_SB_,comdat
	.protected	_Z39paged_attention_ll4mi_QKV_mfma16_kernelIDF16_DF16_LN4vllm18Fp8KVCacheDataTypeE0EDF16_Li32ELi128ELi256ELb1ELi13EEvPKT_PKT0_S7_ifPKiS9_S9_iPKfiiiPfSC_PS2_PT2_iSB_SB_ ; -- Begin function _Z39paged_attention_ll4mi_QKV_mfma16_kernelIDF16_DF16_LN4vllm18Fp8KVCacheDataTypeE0EDF16_Li32ELi128ELi256ELb1ELi13EEvPKT_PKT0_S7_ifPKiS9_S9_iPKfiiiPfSC_PS2_PT2_iSB_SB_
	.globl	_Z39paged_attention_ll4mi_QKV_mfma16_kernelIDF16_DF16_LN4vllm18Fp8KVCacheDataTypeE0EDF16_Li32ELi128ELi256ELb1ELi13EEvPKT_PKT0_S7_ifPKiS9_S9_iPKfiiiPfSC_PS2_PT2_iSB_SB_
	.p2align	8
	.type	_Z39paged_attention_ll4mi_QKV_mfma16_kernelIDF16_DF16_LN4vllm18Fp8KVCacheDataTypeE0EDF16_Li32ELi128ELi256ELb1ELi13EEvPKT_PKT0_S7_ifPKiS9_S9_iPKfiiiPfSC_PS2_PT2_iSB_SB_,@function
_Z39paged_attention_ll4mi_QKV_mfma16_kernelIDF16_DF16_LN4vllm18Fp8KVCacheDataTypeE0EDF16_Li32ELi128ELi256ELb1ELi13EEvPKT_PKT0_S7_ifPKiS9_S9_iPKfiiiPfSC_PS2_PT2_iSB_SB_: ; @_Z39paged_attention_ll4mi_QKV_mfma16_kernelIDF16_DF16_LN4vllm18Fp8KVCacheDataTypeE0EDF16_Li32ELi128ELi256ELb1ELi13EEvPKT_PKT0_S7_ifPKiS9_S9_iPKfiiiPfSC_PS2_PT2_iSB_SB_
; %bb.0:
	s_get_pc_i64 s[2:3]
	s_add_nc_u64 s[2:3], s[2:3], __PRETTY_FUNCTION__._Z39paged_attention_ll4mi_QKV_mfma16_kernelIDF16_DF16_LN4vllm18Fp8KVCacheDataTypeE0EDF16_Li32ELi128ELi256ELb1ELi13EEvPKT_PKT0_S7_ifPKiS9_S9_iPKfiiiPfSC_PS2_PT2_iSB_SB_@rel64+4
	s_delay_alu instid0(SALU_CYCLE_1)
	v_dual_mov_b32 v0, 0xbb3 :: v_dual_mov_b32 v1, s2
	v_mov_b32_e32 v2, s3
	s_add_nc_u64 s[8:9], s[0:1], 0x90
	s_get_pc_i64 s[0:1]
	s_add_nc_u64 s[0:1], s[0:1], __assert_fail@rel64+4
	s_mov_b32 s32, 0
	s_swap_pc_i64 s[30:31], s[0:1]
	.section	.rodata,"a",@progbits
	.p2align	6, 0x0
	.amdhsa_kernel _Z39paged_attention_ll4mi_QKV_mfma16_kernelIDF16_DF16_LN4vllm18Fp8KVCacheDataTypeE0EDF16_Li32ELi128ELi256ELb1ELi13EEvPKT_PKT0_S7_ifPKiS9_S9_iPKfiiiPfSC_PS2_PT2_iSB_SB_
		.amdhsa_group_segment_fixed_size 0
		.amdhsa_private_segment_fixed_size 64
		.amdhsa_kernarg_size 400
		.amdhsa_user_sgpr_count 2
		.amdhsa_user_sgpr_dispatch_ptr 0
		.amdhsa_user_sgpr_queue_ptr 0
		.amdhsa_user_sgpr_kernarg_segment_ptr 1
		.amdhsa_user_sgpr_dispatch_id 0
		.amdhsa_user_sgpr_kernarg_preload_length 0
		.amdhsa_user_sgpr_kernarg_preload_offset 0
		.amdhsa_user_sgpr_private_segment_size 0
		.amdhsa_wavefront_size32 1
		.amdhsa_uses_dynamic_stack 0
		.amdhsa_enable_private_segment 1
		.amdhsa_system_sgpr_workgroup_id_x 1
		.amdhsa_system_sgpr_workgroup_id_y 0
		.amdhsa_system_sgpr_workgroup_id_z 0
		.amdhsa_system_sgpr_workgroup_info 0
		.amdhsa_system_vgpr_workitem_id 0
		.amdhsa_next_free_vgpr 51
		.amdhsa_next_free_sgpr 34
		.amdhsa_named_barrier_count 0
		.amdhsa_reserve_vcc 1
		.amdhsa_float_round_mode_32 0
		.amdhsa_float_round_mode_16_64 0
		.amdhsa_float_denorm_mode_32 3
		.amdhsa_float_denorm_mode_16_64 3
		.amdhsa_fp16_overflow 0
		.amdhsa_memory_ordered 1
		.amdhsa_forward_progress 1
		.amdhsa_inst_pref_size 1
		.amdhsa_round_robin_scheduling 0
		.amdhsa_exception_fp_ieee_invalid_op 0
		.amdhsa_exception_fp_denorm_src 0
		.amdhsa_exception_fp_ieee_div_zero 0
		.amdhsa_exception_fp_ieee_overflow 0
		.amdhsa_exception_fp_ieee_underflow 0
		.amdhsa_exception_fp_ieee_inexact 0
		.amdhsa_exception_int_div_zero 0
	.end_amdhsa_kernel
	.section	.text._Z39paged_attention_ll4mi_QKV_mfma16_kernelIDF16_DF16_LN4vllm18Fp8KVCacheDataTypeE0EDF16_Li32ELi128ELi256ELb1ELi13EEvPKT_PKT0_S7_ifPKiS9_S9_iPKfiiiPfSC_PS2_PT2_iSB_SB_,"axG",@progbits,_Z39paged_attention_ll4mi_QKV_mfma16_kernelIDF16_DF16_LN4vllm18Fp8KVCacheDataTypeE0EDF16_Li32ELi128ELi256ELb1ELi13EEvPKT_PKT0_S7_ifPKiS9_S9_iPKfiiiPfSC_PS2_PT2_iSB_SB_,comdat
.Lfunc_end358:
	.size	_Z39paged_attention_ll4mi_QKV_mfma16_kernelIDF16_DF16_LN4vllm18Fp8KVCacheDataTypeE0EDF16_Li32ELi128ELi256ELb1ELi13EEvPKT_PKT0_S7_ifPKiS9_S9_iPKfiiiPfSC_PS2_PT2_iSB_SB_, .Lfunc_end358-_Z39paged_attention_ll4mi_QKV_mfma16_kernelIDF16_DF16_LN4vllm18Fp8KVCacheDataTypeE0EDF16_Li32ELi128ELi256ELb1ELi13EEvPKT_PKT0_S7_ifPKiS9_S9_iPKfiiiPfSC_PS2_PT2_iSB_SB_
                                        ; -- End function
	.set _Z39paged_attention_ll4mi_QKV_mfma16_kernelIDF16_DF16_LN4vllm18Fp8KVCacheDataTypeE0EDF16_Li32ELi128ELi256ELb1ELi13EEvPKT_PKT0_S7_ifPKiS9_S9_iPKfiiiPfSC_PS2_PT2_iSB_SB_.num_vgpr, max(3, .L__assert_fail.num_vgpr)
	.set _Z39paged_attention_ll4mi_QKV_mfma16_kernelIDF16_DF16_LN4vllm18Fp8KVCacheDataTypeE0EDF16_Li32ELi128ELi256ELb1ELi13EEvPKT_PKT0_S7_ifPKiS9_S9_iPKfiiiPfSC_PS2_PT2_iSB_SB_.num_agpr, max(0, .L__assert_fail.num_agpr)
	.set _Z39paged_attention_ll4mi_QKV_mfma16_kernelIDF16_DF16_LN4vllm18Fp8KVCacheDataTypeE0EDF16_Li32ELi128ELi256ELb1ELi13EEvPKT_PKT0_S7_ifPKiS9_S9_iPKfiiiPfSC_PS2_PT2_iSB_SB_.numbered_sgpr, max(33, .L__assert_fail.numbered_sgpr)
	.set _Z39paged_attention_ll4mi_QKV_mfma16_kernelIDF16_DF16_LN4vllm18Fp8KVCacheDataTypeE0EDF16_Li32ELi128ELi256ELb1ELi13EEvPKT_PKT0_S7_ifPKiS9_S9_iPKfiiiPfSC_PS2_PT2_iSB_SB_.num_named_barrier, max(0, .L__assert_fail.num_named_barrier)
	.set _Z39paged_attention_ll4mi_QKV_mfma16_kernelIDF16_DF16_LN4vllm18Fp8KVCacheDataTypeE0EDF16_Li32ELi128ELi256ELb1ELi13EEvPKT_PKT0_S7_ifPKiS9_S9_iPKfiiiPfSC_PS2_PT2_iSB_SB_.private_seg_size, 0+max(.L__assert_fail.private_seg_size)
	.set _Z39paged_attention_ll4mi_QKV_mfma16_kernelIDF16_DF16_LN4vllm18Fp8KVCacheDataTypeE0EDF16_Li32ELi128ELi256ELb1ELi13EEvPKT_PKT0_S7_ifPKiS9_S9_iPKfiiiPfSC_PS2_PT2_iSB_SB_.uses_vcc, or(1, .L__assert_fail.uses_vcc)
	.set _Z39paged_attention_ll4mi_QKV_mfma16_kernelIDF16_DF16_LN4vllm18Fp8KVCacheDataTypeE0EDF16_Li32ELi128ELi256ELb1ELi13EEvPKT_PKT0_S7_ifPKiS9_S9_iPKfiiiPfSC_PS2_PT2_iSB_SB_.uses_flat_scratch, or(0, .L__assert_fail.uses_flat_scratch)
	.set _Z39paged_attention_ll4mi_QKV_mfma16_kernelIDF16_DF16_LN4vllm18Fp8KVCacheDataTypeE0EDF16_Li32ELi128ELi256ELb1ELi13EEvPKT_PKT0_S7_ifPKiS9_S9_iPKfiiiPfSC_PS2_PT2_iSB_SB_.has_dyn_sized_stack, or(0, .L__assert_fail.has_dyn_sized_stack)
	.set _Z39paged_attention_ll4mi_QKV_mfma16_kernelIDF16_DF16_LN4vllm18Fp8KVCacheDataTypeE0EDF16_Li32ELi128ELi256ELb1ELi13EEvPKT_PKT0_S7_ifPKiS9_S9_iPKfiiiPfSC_PS2_PT2_iSB_SB_.has_recursion, or(0, .L__assert_fail.has_recursion)
	.set _Z39paged_attention_ll4mi_QKV_mfma16_kernelIDF16_DF16_LN4vllm18Fp8KVCacheDataTypeE0EDF16_Li32ELi128ELi256ELb1ELi13EEvPKT_PKT0_S7_ifPKiS9_S9_iPKfiiiPfSC_PS2_PT2_iSB_SB_.has_indirect_call, or(0, .L__assert_fail.has_indirect_call)
	.section	.AMDGPU.csdata,"",@progbits
; Kernel info:
; codeLenInByte = 68
; TotalNumSgprs: 36
; NumVgprs: 51
; ScratchSize: 64
; MemoryBound: 0
; FloatMode: 240
; IeeeMode: 1
; LDSByteSize: 0 bytes/workgroup (compile time only)
; SGPRBlocks: 0
; VGPRBlocks: 3
; NumSGPRsForWavesPerEU: 36
; NumVGPRsForWavesPerEU: 51
; NamedBarCnt: 0
; Occupancy: 16
; WaveLimiterHint : 1
; COMPUTE_PGM_RSRC2:SCRATCH_EN: 1
; COMPUTE_PGM_RSRC2:USER_SGPR: 2
; COMPUTE_PGM_RSRC2:TRAP_HANDLER: 0
; COMPUTE_PGM_RSRC2:TGID_X_EN: 1
; COMPUTE_PGM_RSRC2:TGID_Y_EN: 0
; COMPUTE_PGM_RSRC2:TGID_Z_EN: 0
; COMPUTE_PGM_RSRC2:TIDIG_COMP_CNT: 0
	.section	.text._Z39paged_attention_ll4mi_QKV_mfma16_kernelIDF16_DF16_LN4vllm18Fp8KVCacheDataTypeE0EDF16_Li32ELi128ELi256ELb1ELi14EEvPKT_PKT0_S7_ifPKiS9_S9_iPKfiiiPfSC_PS2_PT2_iSB_SB_,"axG",@progbits,_Z39paged_attention_ll4mi_QKV_mfma16_kernelIDF16_DF16_LN4vllm18Fp8KVCacheDataTypeE0EDF16_Li32ELi128ELi256ELb1ELi14EEvPKT_PKT0_S7_ifPKiS9_S9_iPKfiiiPfSC_PS2_PT2_iSB_SB_,comdat
	.protected	_Z39paged_attention_ll4mi_QKV_mfma16_kernelIDF16_DF16_LN4vllm18Fp8KVCacheDataTypeE0EDF16_Li32ELi128ELi256ELb1ELi14EEvPKT_PKT0_S7_ifPKiS9_S9_iPKfiiiPfSC_PS2_PT2_iSB_SB_ ; -- Begin function _Z39paged_attention_ll4mi_QKV_mfma16_kernelIDF16_DF16_LN4vllm18Fp8KVCacheDataTypeE0EDF16_Li32ELi128ELi256ELb1ELi14EEvPKT_PKT0_S7_ifPKiS9_S9_iPKfiiiPfSC_PS2_PT2_iSB_SB_
	.globl	_Z39paged_attention_ll4mi_QKV_mfma16_kernelIDF16_DF16_LN4vllm18Fp8KVCacheDataTypeE0EDF16_Li32ELi128ELi256ELb1ELi14EEvPKT_PKT0_S7_ifPKiS9_S9_iPKfiiiPfSC_PS2_PT2_iSB_SB_
	.p2align	8
	.type	_Z39paged_attention_ll4mi_QKV_mfma16_kernelIDF16_DF16_LN4vllm18Fp8KVCacheDataTypeE0EDF16_Li32ELi128ELi256ELb1ELi14EEvPKT_PKT0_S7_ifPKiS9_S9_iPKfiiiPfSC_PS2_PT2_iSB_SB_,@function
_Z39paged_attention_ll4mi_QKV_mfma16_kernelIDF16_DF16_LN4vllm18Fp8KVCacheDataTypeE0EDF16_Li32ELi128ELi256ELb1ELi14EEvPKT_PKT0_S7_ifPKiS9_S9_iPKfiiiPfSC_PS2_PT2_iSB_SB_: ; @_Z39paged_attention_ll4mi_QKV_mfma16_kernelIDF16_DF16_LN4vllm18Fp8KVCacheDataTypeE0EDF16_Li32ELi128ELi256ELb1ELi14EEvPKT_PKT0_S7_ifPKiS9_S9_iPKfiiiPfSC_PS2_PT2_iSB_SB_
; %bb.0:
	s_get_pc_i64 s[2:3]
	s_add_nc_u64 s[2:3], s[2:3], __PRETTY_FUNCTION__._Z39paged_attention_ll4mi_QKV_mfma16_kernelIDF16_DF16_LN4vllm18Fp8KVCacheDataTypeE0EDF16_Li32ELi128ELi256ELb1ELi14EEvPKT_PKT0_S7_ifPKiS9_S9_iPKfiiiPfSC_PS2_PT2_iSB_SB_@rel64+4
	s_delay_alu instid0(SALU_CYCLE_1)
	v_dual_mov_b32 v0, 0xbb3 :: v_dual_mov_b32 v1, s2
	v_mov_b32_e32 v2, s3
	s_add_nc_u64 s[8:9], s[0:1], 0x90
	s_get_pc_i64 s[0:1]
	s_add_nc_u64 s[0:1], s[0:1], __assert_fail@rel64+4
	s_mov_b32 s32, 0
	s_swap_pc_i64 s[30:31], s[0:1]
	.section	.rodata,"a",@progbits
	.p2align	6, 0x0
	.amdhsa_kernel _Z39paged_attention_ll4mi_QKV_mfma16_kernelIDF16_DF16_LN4vllm18Fp8KVCacheDataTypeE0EDF16_Li32ELi128ELi256ELb1ELi14EEvPKT_PKT0_S7_ifPKiS9_S9_iPKfiiiPfSC_PS2_PT2_iSB_SB_
		.amdhsa_group_segment_fixed_size 0
		.amdhsa_private_segment_fixed_size 64
		.amdhsa_kernarg_size 400
		.amdhsa_user_sgpr_count 2
		.amdhsa_user_sgpr_dispatch_ptr 0
		.amdhsa_user_sgpr_queue_ptr 0
		.amdhsa_user_sgpr_kernarg_segment_ptr 1
		.amdhsa_user_sgpr_dispatch_id 0
		.amdhsa_user_sgpr_kernarg_preload_length 0
		.amdhsa_user_sgpr_kernarg_preload_offset 0
		.amdhsa_user_sgpr_private_segment_size 0
		.amdhsa_wavefront_size32 1
		.amdhsa_uses_dynamic_stack 0
		.amdhsa_enable_private_segment 1
		.amdhsa_system_sgpr_workgroup_id_x 1
		.amdhsa_system_sgpr_workgroup_id_y 0
		.amdhsa_system_sgpr_workgroup_id_z 0
		.amdhsa_system_sgpr_workgroup_info 0
		.amdhsa_system_vgpr_workitem_id 0
		.amdhsa_next_free_vgpr 51
		.amdhsa_next_free_sgpr 34
		.amdhsa_named_barrier_count 0
		.amdhsa_reserve_vcc 1
		.amdhsa_float_round_mode_32 0
		.amdhsa_float_round_mode_16_64 0
		.amdhsa_float_denorm_mode_32 3
		.amdhsa_float_denorm_mode_16_64 3
		.amdhsa_fp16_overflow 0
		.amdhsa_memory_ordered 1
		.amdhsa_forward_progress 1
		.amdhsa_inst_pref_size 1
		.amdhsa_round_robin_scheduling 0
		.amdhsa_exception_fp_ieee_invalid_op 0
		.amdhsa_exception_fp_denorm_src 0
		.amdhsa_exception_fp_ieee_div_zero 0
		.amdhsa_exception_fp_ieee_overflow 0
		.amdhsa_exception_fp_ieee_underflow 0
		.amdhsa_exception_fp_ieee_inexact 0
		.amdhsa_exception_int_div_zero 0
	.end_amdhsa_kernel
	.section	.text._Z39paged_attention_ll4mi_QKV_mfma16_kernelIDF16_DF16_LN4vllm18Fp8KVCacheDataTypeE0EDF16_Li32ELi128ELi256ELb1ELi14EEvPKT_PKT0_S7_ifPKiS9_S9_iPKfiiiPfSC_PS2_PT2_iSB_SB_,"axG",@progbits,_Z39paged_attention_ll4mi_QKV_mfma16_kernelIDF16_DF16_LN4vllm18Fp8KVCacheDataTypeE0EDF16_Li32ELi128ELi256ELb1ELi14EEvPKT_PKT0_S7_ifPKiS9_S9_iPKfiiiPfSC_PS2_PT2_iSB_SB_,comdat
.Lfunc_end359:
	.size	_Z39paged_attention_ll4mi_QKV_mfma16_kernelIDF16_DF16_LN4vllm18Fp8KVCacheDataTypeE0EDF16_Li32ELi128ELi256ELb1ELi14EEvPKT_PKT0_S7_ifPKiS9_S9_iPKfiiiPfSC_PS2_PT2_iSB_SB_, .Lfunc_end359-_Z39paged_attention_ll4mi_QKV_mfma16_kernelIDF16_DF16_LN4vllm18Fp8KVCacheDataTypeE0EDF16_Li32ELi128ELi256ELb1ELi14EEvPKT_PKT0_S7_ifPKiS9_S9_iPKfiiiPfSC_PS2_PT2_iSB_SB_
                                        ; -- End function
	.set _Z39paged_attention_ll4mi_QKV_mfma16_kernelIDF16_DF16_LN4vllm18Fp8KVCacheDataTypeE0EDF16_Li32ELi128ELi256ELb1ELi14EEvPKT_PKT0_S7_ifPKiS9_S9_iPKfiiiPfSC_PS2_PT2_iSB_SB_.num_vgpr, max(3, .L__assert_fail.num_vgpr)
	.set _Z39paged_attention_ll4mi_QKV_mfma16_kernelIDF16_DF16_LN4vllm18Fp8KVCacheDataTypeE0EDF16_Li32ELi128ELi256ELb1ELi14EEvPKT_PKT0_S7_ifPKiS9_S9_iPKfiiiPfSC_PS2_PT2_iSB_SB_.num_agpr, max(0, .L__assert_fail.num_agpr)
	.set _Z39paged_attention_ll4mi_QKV_mfma16_kernelIDF16_DF16_LN4vllm18Fp8KVCacheDataTypeE0EDF16_Li32ELi128ELi256ELb1ELi14EEvPKT_PKT0_S7_ifPKiS9_S9_iPKfiiiPfSC_PS2_PT2_iSB_SB_.numbered_sgpr, max(33, .L__assert_fail.numbered_sgpr)
	.set _Z39paged_attention_ll4mi_QKV_mfma16_kernelIDF16_DF16_LN4vllm18Fp8KVCacheDataTypeE0EDF16_Li32ELi128ELi256ELb1ELi14EEvPKT_PKT0_S7_ifPKiS9_S9_iPKfiiiPfSC_PS2_PT2_iSB_SB_.num_named_barrier, max(0, .L__assert_fail.num_named_barrier)
	.set _Z39paged_attention_ll4mi_QKV_mfma16_kernelIDF16_DF16_LN4vllm18Fp8KVCacheDataTypeE0EDF16_Li32ELi128ELi256ELb1ELi14EEvPKT_PKT0_S7_ifPKiS9_S9_iPKfiiiPfSC_PS2_PT2_iSB_SB_.private_seg_size, 0+max(.L__assert_fail.private_seg_size)
	.set _Z39paged_attention_ll4mi_QKV_mfma16_kernelIDF16_DF16_LN4vllm18Fp8KVCacheDataTypeE0EDF16_Li32ELi128ELi256ELb1ELi14EEvPKT_PKT0_S7_ifPKiS9_S9_iPKfiiiPfSC_PS2_PT2_iSB_SB_.uses_vcc, or(1, .L__assert_fail.uses_vcc)
	.set _Z39paged_attention_ll4mi_QKV_mfma16_kernelIDF16_DF16_LN4vllm18Fp8KVCacheDataTypeE0EDF16_Li32ELi128ELi256ELb1ELi14EEvPKT_PKT0_S7_ifPKiS9_S9_iPKfiiiPfSC_PS2_PT2_iSB_SB_.uses_flat_scratch, or(0, .L__assert_fail.uses_flat_scratch)
	.set _Z39paged_attention_ll4mi_QKV_mfma16_kernelIDF16_DF16_LN4vllm18Fp8KVCacheDataTypeE0EDF16_Li32ELi128ELi256ELb1ELi14EEvPKT_PKT0_S7_ifPKiS9_S9_iPKfiiiPfSC_PS2_PT2_iSB_SB_.has_dyn_sized_stack, or(0, .L__assert_fail.has_dyn_sized_stack)
	.set _Z39paged_attention_ll4mi_QKV_mfma16_kernelIDF16_DF16_LN4vllm18Fp8KVCacheDataTypeE0EDF16_Li32ELi128ELi256ELb1ELi14EEvPKT_PKT0_S7_ifPKiS9_S9_iPKfiiiPfSC_PS2_PT2_iSB_SB_.has_recursion, or(0, .L__assert_fail.has_recursion)
	.set _Z39paged_attention_ll4mi_QKV_mfma16_kernelIDF16_DF16_LN4vllm18Fp8KVCacheDataTypeE0EDF16_Li32ELi128ELi256ELb1ELi14EEvPKT_PKT0_S7_ifPKiS9_S9_iPKfiiiPfSC_PS2_PT2_iSB_SB_.has_indirect_call, or(0, .L__assert_fail.has_indirect_call)
	.section	.AMDGPU.csdata,"",@progbits
; Kernel info:
; codeLenInByte = 68
; TotalNumSgprs: 36
; NumVgprs: 51
; ScratchSize: 64
; MemoryBound: 0
; FloatMode: 240
; IeeeMode: 1
; LDSByteSize: 0 bytes/workgroup (compile time only)
; SGPRBlocks: 0
; VGPRBlocks: 3
; NumSGPRsForWavesPerEU: 36
; NumVGPRsForWavesPerEU: 51
; NamedBarCnt: 0
; Occupancy: 16
; WaveLimiterHint : 1
; COMPUTE_PGM_RSRC2:SCRATCH_EN: 1
; COMPUTE_PGM_RSRC2:USER_SGPR: 2
; COMPUTE_PGM_RSRC2:TRAP_HANDLER: 0
; COMPUTE_PGM_RSRC2:TGID_X_EN: 1
; COMPUTE_PGM_RSRC2:TGID_Y_EN: 0
; COMPUTE_PGM_RSRC2:TGID_Z_EN: 0
; COMPUTE_PGM_RSRC2:TIDIG_COMP_CNT: 0
	.section	.text._Z39paged_attention_ll4mi_QKV_mfma16_kernelIDF16_DF16_LN4vllm18Fp8KVCacheDataTypeE0EDF16_Li32ELi128ELi256ELb1ELi15EEvPKT_PKT0_S7_ifPKiS9_S9_iPKfiiiPfSC_PS2_PT2_iSB_SB_,"axG",@progbits,_Z39paged_attention_ll4mi_QKV_mfma16_kernelIDF16_DF16_LN4vllm18Fp8KVCacheDataTypeE0EDF16_Li32ELi128ELi256ELb1ELi15EEvPKT_PKT0_S7_ifPKiS9_S9_iPKfiiiPfSC_PS2_PT2_iSB_SB_,comdat
	.protected	_Z39paged_attention_ll4mi_QKV_mfma16_kernelIDF16_DF16_LN4vllm18Fp8KVCacheDataTypeE0EDF16_Li32ELi128ELi256ELb1ELi15EEvPKT_PKT0_S7_ifPKiS9_S9_iPKfiiiPfSC_PS2_PT2_iSB_SB_ ; -- Begin function _Z39paged_attention_ll4mi_QKV_mfma16_kernelIDF16_DF16_LN4vllm18Fp8KVCacheDataTypeE0EDF16_Li32ELi128ELi256ELb1ELi15EEvPKT_PKT0_S7_ifPKiS9_S9_iPKfiiiPfSC_PS2_PT2_iSB_SB_
	.globl	_Z39paged_attention_ll4mi_QKV_mfma16_kernelIDF16_DF16_LN4vllm18Fp8KVCacheDataTypeE0EDF16_Li32ELi128ELi256ELb1ELi15EEvPKT_PKT0_S7_ifPKiS9_S9_iPKfiiiPfSC_PS2_PT2_iSB_SB_
	.p2align	8
	.type	_Z39paged_attention_ll4mi_QKV_mfma16_kernelIDF16_DF16_LN4vllm18Fp8KVCacheDataTypeE0EDF16_Li32ELi128ELi256ELb1ELi15EEvPKT_PKT0_S7_ifPKiS9_S9_iPKfiiiPfSC_PS2_PT2_iSB_SB_,@function
_Z39paged_attention_ll4mi_QKV_mfma16_kernelIDF16_DF16_LN4vllm18Fp8KVCacheDataTypeE0EDF16_Li32ELi128ELi256ELb1ELi15EEvPKT_PKT0_S7_ifPKiS9_S9_iPKfiiiPfSC_PS2_PT2_iSB_SB_: ; @_Z39paged_attention_ll4mi_QKV_mfma16_kernelIDF16_DF16_LN4vllm18Fp8KVCacheDataTypeE0EDF16_Li32ELi128ELi256ELb1ELi15EEvPKT_PKT0_S7_ifPKiS9_S9_iPKfiiiPfSC_PS2_PT2_iSB_SB_
; %bb.0:
	s_get_pc_i64 s[2:3]
	s_add_nc_u64 s[2:3], s[2:3], __PRETTY_FUNCTION__._Z39paged_attention_ll4mi_QKV_mfma16_kernelIDF16_DF16_LN4vllm18Fp8KVCacheDataTypeE0EDF16_Li32ELi128ELi256ELb1ELi15EEvPKT_PKT0_S7_ifPKiS9_S9_iPKfiiiPfSC_PS2_PT2_iSB_SB_@rel64+4
	s_delay_alu instid0(SALU_CYCLE_1)
	v_dual_mov_b32 v0, 0xbb3 :: v_dual_mov_b32 v1, s2
	v_mov_b32_e32 v2, s3
	s_add_nc_u64 s[8:9], s[0:1], 0x90
	s_get_pc_i64 s[0:1]
	s_add_nc_u64 s[0:1], s[0:1], __assert_fail@rel64+4
	s_mov_b32 s32, 0
	s_swap_pc_i64 s[30:31], s[0:1]
	.section	.rodata,"a",@progbits
	.p2align	6, 0x0
	.amdhsa_kernel _Z39paged_attention_ll4mi_QKV_mfma16_kernelIDF16_DF16_LN4vllm18Fp8KVCacheDataTypeE0EDF16_Li32ELi128ELi256ELb1ELi15EEvPKT_PKT0_S7_ifPKiS9_S9_iPKfiiiPfSC_PS2_PT2_iSB_SB_
		.amdhsa_group_segment_fixed_size 0
		.amdhsa_private_segment_fixed_size 64
		.amdhsa_kernarg_size 400
		.amdhsa_user_sgpr_count 2
		.amdhsa_user_sgpr_dispatch_ptr 0
		.amdhsa_user_sgpr_queue_ptr 0
		.amdhsa_user_sgpr_kernarg_segment_ptr 1
		.amdhsa_user_sgpr_dispatch_id 0
		.amdhsa_user_sgpr_kernarg_preload_length 0
		.amdhsa_user_sgpr_kernarg_preload_offset 0
		.amdhsa_user_sgpr_private_segment_size 0
		.amdhsa_wavefront_size32 1
		.amdhsa_uses_dynamic_stack 0
		.amdhsa_enable_private_segment 1
		.amdhsa_system_sgpr_workgroup_id_x 1
		.amdhsa_system_sgpr_workgroup_id_y 0
		.amdhsa_system_sgpr_workgroup_id_z 0
		.amdhsa_system_sgpr_workgroup_info 0
		.amdhsa_system_vgpr_workitem_id 0
		.amdhsa_next_free_vgpr 51
		.amdhsa_next_free_sgpr 34
		.amdhsa_named_barrier_count 0
		.amdhsa_reserve_vcc 1
		.amdhsa_float_round_mode_32 0
		.amdhsa_float_round_mode_16_64 0
		.amdhsa_float_denorm_mode_32 3
		.amdhsa_float_denorm_mode_16_64 3
		.amdhsa_fp16_overflow 0
		.amdhsa_memory_ordered 1
		.amdhsa_forward_progress 1
		.amdhsa_inst_pref_size 1
		.amdhsa_round_robin_scheduling 0
		.amdhsa_exception_fp_ieee_invalid_op 0
		.amdhsa_exception_fp_denorm_src 0
		.amdhsa_exception_fp_ieee_div_zero 0
		.amdhsa_exception_fp_ieee_overflow 0
		.amdhsa_exception_fp_ieee_underflow 0
		.amdhsa_exception_fp_ieee_inexact 0
		.amdhsa_exception_int_div_zero 0
	.end_amdhsa_kernel
	.section	.text._Z39paged_attention_ll4mi_QKV_mfma16_kernelIDF16_DF16_LN4vllm18Fp8KVCacheDataTypeE0EDF16_Li32ELi128ELi256ELb1ELi15EEvPKT_PKT0_S7_ifPKiS9_S9_iPKfiiiPfSC_PS2_PT2_iSB_SB_,"axG",@progbits,_Z39paged_attention_ll4mi_QKV_mfma16_kernelIDF16_DF16_LN4vllm18Fp8KVCacheDataTypeE0EDF16_Li32ELi128ELi256ELb1ELi15EEvPKT_PKT0_S7_ifPKiS9_S9_iPKfiiiPfSC_PS2_PT2_iSB_SB_,comdat
.Lfunc_end360:
	.size	_Z39paged_attention_ll4mi_QKV_mfma16_kernelIDF16_DF16_LN4vllm18Fp8KVCacheDataTypeE0EDF16_Li32ELi128ELi256ELb1ELi15EEvPKT_PKT0_S7_ifPKiS9_S9_iPKfiiiPfSC_PS2_PT2_iSB_SB_, .Lfunc_end360-_Z39paged_attention_ll4mi_QKV_mfma16_kernelIDF16_DF16_LN4vllm18Fp8KVCacheDataTypeE0EDF16_Li32ELi128ELi256ELb1ELi15EEvPKT_PKT0_S7_ifPKiS9_S9_iPKfiiiPfSC_PS2_PT2_iSB_SB_
                                        ; -- End function
	.set _Z39paged_attention_ll4mi_QKV_mfma16_kernelIDF16_DF16_LN4vllm18Fp8KVCacheDataTypeE0EDF16_Li32ELi128ELi256ELb1ELi15EEvPKT_PKT0_S7_ifPKiS9_S9_iPKfiiiPfSC_PS2_PT2_iSB_SB_.num_vgpr, max(3, .L__assert_fail.num_vgpr)
	.set _Z39paged_attention_ll4mi_QKV_mfma16_kernelIDF16_DF16_LN4vllm18Fp8KVCacheDataTypeE0EDF16_Li32ELi128ELi256ELb1ELi15EEvPKT_PKT0_S7_ifPKiS9_S9_iPKfiiiPfSC_PS2_PT2_iSB_SB_.num_agpr, max(0, .L__assert_fail.num_agpr)
	.set _Z39paged_attention_ll4mi_QKV_mfma16_kernelIDF16_DF16_LN4vllm18Fp8KVCacheDataTypeE0EDF16_Li32ELi128ELi256ELb1ELi15EEvPKT_PKT0_S7_ifPKiS9_S9_iPKfiiiPfSC_PS2_PT2_iSB_SB_.numbered_sgpr, max(33, .L__assert_fail.numbered_sgpr)
	.set _Z39paged_attention_ll4mi_QKV_mfma16_kernelIDF16_DF16_LN4vllm18Fp8KVCacheDataTypeE0EDF16_Li32ELi128ELi256ELb1ELi15EEvPKT_PKT0_S7_ifPKiS9_S9_iPKfiiiPfSC_PS2_PT2_iSB_SB_.num_named_barrier, max(0, .L__assert_fail.num_named_barrier)
	.set _Z39paged_attention_ll4mi_QKV_mfma16_kernelIDF16_DF16_LN4vllm18Fp8KVCacheDataTypeE0EDF16_Li32ELi128ELi256ELb1ELi15EEvPKT_PKT0_S7_ifPKiS9_S9_iPKfiiiPfSC_PS2_PT2_iSB_SB_.private_seg_size, 0+max(.L__assert_fail.private_seg_size)
	.set _Z39paged_attention_ll4mi_QKV_mfma16_kernelIDF16_DF16_LN4vllm18Fp8KVCacheDataTypeE0EDF16_Li32ELi128ELi256ELb1ELi15EEvPKT_PKT0_S7_ifPKiS9_S9_iPKfiiiPfSC_PS2_PT2_iSB_SB_.uses_vcc, or(1, .L__assert_fail.uses_vcc)
	.set _Z39paged_attention_ll4mi_QKV_mfma16_kernelIDF16_DF16_LN4vllm18Fp8KVCacheDataTypeE0EDF16_Li32ELi128ELi256ELb1ELi15EEvPKT_PKT0_S7_ifPKiS9_S9_iPKfiiiPfSC_PS2_PT2_iSB_SB_.uses_flat_scratch, or(0, .L__assert_fail.uses_flat_scratch)
	.set _Z39paged_attention_ll4mi_QKV_mfma16_kernelIDF16_DF16_LN4vllm18Fp8KVCacheDataTypeE0EDF16_Li32ELi128ELi256ELb1ELi15EEvPKT_PKT0_S7_ifPKiS9_S9_iPKfiiiPfSC_PS2_PT2_iSB_SB_.has_dyn_sized_stack, or(0, .L__assert_fail.has_dyn_sized_stack)
	.set _Z39paged_attention_ll4mi_QKV_mfma16_kernelIDF16_DF16_LN4vllm18Fp8KVCacheDataTypeE0EDF16_Li32ELi128ELi256ELb1ELi15EEvPKT_PKT0_S7_ifPKiS9_S9_iPKfiiiPfSC_PS2_PT2_iSB_SB_.has_recursion, or(0, .L__assert_fail.has_recursion)
	.set _Z39paged_attention_ll4mi_QKV_mfma16_kernelIDF16_DF16_LN4vllm18Fp8KVCacheDataTypeE0EDF16_Li32ELi128ELi256ELb1ELi15EEvPKT_PKT0_S7_ifPKiS9_S9_iPKfiiiPfSC_PS2_PT2_iSB_SB_.has_indirect_call, or(0, .L__assert_fail.has_indirect_call)
	.section	.AMDGPU.csdata,"",@progbits
; Kernel info:
; codeLenInByte = 68
; TotalNumSgprs: 36
; NumVgprs: 51
; ScratchSize: 64
; MemoryBound: 0
; FloatMode: 240
; IeeeMode: 1
; LDSByteSize: 0 bytes/workgroup (compile time only)
; SGPRBlocks: 0
; VGPRBlocks: 3
; NumSGPRsForWavesPerEU: 36
; NumVGPRsForWavesPerEU: 51
; NamedBarCnt: 0
; Occupancy: 16
; WaveLimiterHint : 1
; COMPUTE_PGM_RSRC2:SCRATCH_EN: 1
; COMPUTE_PGM_RSRC2:USER_SGPR: 2
; COMPUTE_PGM_RSRC2:TRAP_HANDLER: 0
; COMPUTE_PGM_RSRC2:TGID_X_EN: 1
; COMPUTE_PGM_RSRC2:TGID_Y_EN: 0
; COMPUTE_PGM_RSRC2:TGID_Z_EN: 0
; COMPUTE_PGM_RSRC2:TIDIG_COMP_CNT: 0
	.section	.text._Z39paged_attention_ll4mi_QKV_mfma16_kernelIDF16_DF16_LN4vllm18Fp8KVCacheDataTypeE0EDF16_Li32ELi128ELi256ELb1ELi16EEvPKT_PKT0_S7_ifPKiS9_S9_iPKfiiiPfSC_PS2_PT2_iSB_SB_,"axG",@progbits,_Z39paged_attention_ll4mi_QKV_mfma16_kernelIDF16_DF16_LN4vllm18Fp8KVCacheDataTypeE0EDF16_Li32ELi128ELi256ELb1ELi16EEvPKT_PKT0_S7_ifPKiS9_S9_iPKfiiiPfSC_PS2_PT2_iSB_SB_,comdat
	.protected	_Z39paged_attention_ll4mi_QKV_mfma16_kernelIDF16_DF16_LN4vllm18Fp8KVCacheDataTypeE0EDF16_Li32ELi128ELi256ELb1ELi16EEvPKT_PKT0_S7_ifPKiS9_S9_iPKfiiiPfSC_PS2_PT2_iSB_SB_ ; -- Begin function _Z39paged_attention_ll4mi_QKV_mfma16_kernelIDF16_DF16_LN4vllm18Fp8KVCacheDataTypeE0EDF16_Li32ELi128ELi256ELb1ELi16EEvPKT_PKT0_S7_ifPKiS9_S9_iPKfiiiPfSC_PS2_PT2_iSB_SB_
	.globl	_Z39paged_attention_ll4mi_QKV_mfma16_kernelIDF16_DF16_LN4vllm18Fp8KVCacheDataTypeE0EDF16_Li32ELi128ELi256ELb1ELi16EEvPKT_PKT0_S7_ifPKiS9_S9_iPKfiiiPfSC_PS2_PT2_iSB_SB_
	.p2align	8
	.type	_Z39paged_attention_ll4mi_QKV_mfma16_kernelIDF16_DF16_LN4vllm18Fp8KVCacheDataTypeE0EDF16_Li32ELi128ELi256ELb1ELi16EEvPKT_PKT0_S7_ifPKiS9_S9_iPKfiiiPfSC_PS2_PT2_iSB_SB_,@function
_Z39paged_attention_ll4mi_QKV_mfma16_kernelIDF16_DF16_LN4vllm18Fp8KVCacheDataTypeE0EDF16_Li32ELi128ELi256ELb1ELi16EEvPKT_PKT0_S7_ifPKiS9_S9_iPKfiiiPfSC_PS2_PT2_iSB_SB_: ; @_Z39paged_attention_ll4mi_QKV_mfma16_kernelIDF16_DF16_LN4vllm18Fp8KVCacheDataTypeE0EDF16_Li32ELi128ELi256ELb1ELi16EEvPKT_PKT0_S7_ifPKiS9_S9_iPKfiiiPfSC_PS2_PT2_iSB_SB_
; %bb.0:
	s_get_pc_i64 s[2:3]
	s_add_nc_u64 s[2:3], s[2:3], __PRETTY_FUNCTION__._Z39paged_attention_ll4mi_QKV_mfma16_kernelIDF16_DF16_LN4vllm18Fp8KVCacheDataTypeE0EDF16_Li32ELi128ELi256ELb1ELi16EEvPKT_PKT0_S7_ifPKiS9_S9_iPKfiiiPfSC_PS2_PT2_iSB_SB_@rel64+4
	s_delay_alu instid0(SALU_CYCLE_1)
	v_dual_mov_b32 v0, 0xbb3 :: v_dual_mov_b32 v1, s2
	v_mov_b32_e32 v2, s3
	s_add_nc_u64 s[8:9], s[0:1], 0x90
	s_get_pc_i64 s[0:1]
	s_add_nc_u64 s[0:1], s[0:1], __assert_fail@rel64+4
	s_mov_b32 s32, 0
	s_swap_pc_i64 s[30:31], s[0:1]
	.section	.rodata,"a",@progbits
	.p2align	6, 0x0
	.amdhsa_kernel _Z39paged_attention_ll4mi_QKV_mfma16_kernelIDF16_DF16_LN4vllm18Fp8KVCacheDataTypeE0EDF16_Li32ELi128ELi256ELb1ELi16EEvPKT_PKT0_S7_ifPKiS9_S9_iPKfiiiPfSC_PS2_PT2_iSB_SB_
		.amdhsa_group_segment_fixed_size 0
		.amdhsa_private_segment_fixed_size 64
		.amdhsa_kernarg_size 400
		.amdhsa_user_sgpr_count 2
		.amdhsa_user_sgpr_dispatch_ptr 0
		.amdhsa_user_sgpr_queue_ptr 0
		.amdhsa_user_sgpr_kernarg_segment_ptr 1
		.amdhsa_user_sgpr_dispatch_id 0
		.amdhsa_user_sgpr_kernarg_preload_length 0
		.amdhsa_user_sgpr_kernarg_preload_offset 0
		.amdhsa_user_sgpr_private_segment_size 0
		.amdhsa_wavefront_size32 1
		.amdhsa_uses_dynamic_stack 0
		.amdhsa_enable_private_segment 1
		.amdhsa_system_sgpr_workgroup_id_x 1
		.amdhsa_system_sgpr_workgroup_id_y 0
		.amdhsa_system_sgpr_workgroup_id_z 0
		.amdhsa_system_sgpr_workgroup_info 0
		.amdhsa_system_vgpr_workitem_id 0
		.amdhsa_next_free_vgpr 51
		.amdhsa_next_free_sgpr 34
		.amdhsa_named_barrier_count 0
		.amdhsa_reserve_vcc 1
		.amdhsa_float_round_mode_32 0
		.amdhsa_float_round_mode_16_64 0
		.amdhsa_float_denorm_mode_32 3
		.amdhsa_float_denorm_mode_16_64 3
		.amdhsa_fp16_overflow 0
		.amdhsa_memory_ordered 1
		.amdhsa_forward_progress 1
		.amdhsa_inst_pref_size 1
		.amdhsa_round_robin_scheduling 0
		.amdhsa_exception_fp_ieee_invalid_op 0
		.amdhsa_exception_fp_denorm_src 0
		.amdhsa_exception_fp_ieee_div_zero 0
		.amdhsa_exception_fp_ieee_overflow 0
		.amdhsa_exception_fp_ieee_underflow 0
		.amdhsa_exception_fp_ieee_inexact 0
		.amdhsa_exception_int_div_zero 0
	.end_amdhsa_kernel
	.section	.text._Z39paged_attention_ll4mi_QKV_mfma16_kernelIDF16_DF16_LN4vllm18Fp8KVCacheDataTypeE0EDF16_Li32ELi128ELi256ELb1ELi16EEvPKT_PKT0_S7_ifPKiS9_S9_iPKfiiiPfSC_PS2_PT2_iSB_SB_,"axG",@progbits,_Z39paged_attention_ll4mi_QKV_mfma16_kernelIDF16_DF16_LN4vllm18Fp8KVCacheDataTypeE0EDF16_Li32ELi128ELi256ELb1ELi16EEvPKT_PKT0_S7_ifPKiS9_S9_iPKfiiiPfSC_PS2_PT2_iSB_SB_,comdat
.Lfunc_end361:
	.size	_Z39paged_attention_ll4mi_QKV_mfma16_kernelIDF16_DF16_LN4vllm18Fp8KVCacheDataTypeE0EDF16_Li32ELi128ELi256ELb1ELi16EEvPKT_PKT0_S7_ifPKiS9_S9_iPKfiiiPfSC_PS2_PT2_iSB_SB_, .Lfunc_end361-_Z39paged_attention_ll4mi_QKV_mfma16_kernelIDF16_DF16_LN4vllm18Fp8KVCacheDataTypeE0EDF16_Li32ELi128ELi256ELb1ELi16EEvPKT_PKT0_S7_ifPKiS9_S9_iPKfiiiPfSC_PS2_PT2_iSB_SB_
                                        ; -- End function
	.set _Z39paged_attention_ll4mi_QKV_mfma16_kernelIDF16_DF16_LN4vllm18Fp8KVCacheDataTypeE0EDF16_Li32ELi128ELi256ELb1ELi16EEvPKT_PKT0_S7_ifPKiS9_S9_iPKfiiiPfSC_PS2_PT2_iSB_SB_.num_vgpr, max(3, .L__assert_fail.num_vgpr)
	.set _Z39paged_attention_ll4mi_QKV_mfma16_kernelIDF16_DF16_LN4vllm18Fp8KVCacheDataTypeE0EDF16_Li32ELi128ELi256ELb1ELi16EEvPKT_PKT0_S7_ifPKiS9_S9_iPKfiiiPfSC_PS2_PT2_iSB_SB_.num_agpr, max(0, .L__assert_fail.num_agpr)
	.set _Z39paged_attention_ll4mi_QKV_mfma16_kernelIDF16_DF16_LN4vllm18Fp8KVCacheDataTypeE0EDF16_Li32ELi128ELi256ELb1ELi16EEvPKT_PKT0_S7_ifPKiS9_S9_iPKfiiiPfSC_PS2_PT2_iSB_SB_.numbered_sgpr, max(33, .L__assert_fail.numbered_sgpr)
	.set _Z39paged_attention_ll4mi_QKV_mfma16_kernelIDF16_DF16_LN4vllm18Fp8KVCacheDataTypeE0EDF16_Li32ELi128ELi256ELb1ELi16EEvPKT_PKT0_S7_ifPKiS9_S9_iPKfiiiPfSC_PS2_PT2_iSB_SB_.num_named_barrier, max(0, .L__assert_fail.num_named_barrier)
	.set _Z39paged_attention_ll4mi_QKV_mfma16_kernelIDF16_DF16_LN4vllm18Fp8KVCacheDataTypeE0EDF16_Li32ELi128ELi256ELb1ELi16EEvPKT_PKT0_S7_ifPKiS9_S9_iPKfiiiPfSC_PS2_PT2_iSB_SB_.private_seg_size, 0+max(.L__assert_fail.private_seg_size)
	.set _Z39paged_attention_ll4mi_QKV_mfma16_kernelIDF16_DF16_LN4vllm18Fp8KVCacheDataTypeE0EDF16_Li32ELi128ELi256ELb1ELi16EEvPKT_PKT0_S7_ifPKiS9_S9_iPKfiiiPfSC_PS2_PT2_iSB_SB_.uses_vcc, or(1, .L__assert_fail.uses_vcc)
	.set _Z39paged_attention_ll4mi_QKV_mfma16_kernelIDF16_DF16_LN4vllm18Fp8KVCacheDataTypeE0EDF16_Li32ELi128ELi256ELb1ELi16EEvPKT_PKT0_S7_ifPKiS9_S9_iPKfiiiPfSC_PS2_PT2_iSB_SB_.uses_flat_scratch, or(0, .L__assert_fail.uses_flat_scratch)
	.set _Z39paged_attention_ll4mi_QKV_mfma16_kernelIDF16_DF16_LN4vllm18Fp8KVCacheDataTypeE0EDF16_Li32ELi128ELi256ELb1ELi16EEvPKT_PKT0_S7_ifPKiS9_S9_iPKfiiiPfSC_PS2_PT2_iSB_SB_.has_dyn_sized_stack, or(0, .L__assert_fail.has_dyn_sized_stack)
	.set _Z39paged_attention_ll4mi_QKV_mfma16_kernelIDF16_DF16_LN4vllm18Fp8KVCacheDataTypeE0EDF16_Li32ELi128ELi256ELb1ELi16EEvPKT_PKT0_S7_ifPKiS9_S9_iPKfiiiPfSC_PS2_PT2_iSB_SB_.has_recursion, or(0, .L__assert_fail.has_recursion)
	.set _Z39paged_attention_ll4mi_QKV_mfma16_kernelIDF16_DF16_LN4vllm18Fp8KVCacheDataTypeE0EDF16_Li32ELi128ELi256ELb1ELi16EEvPKT_PKT0_S7_ifPKiS9_S9_iPKfiiiPfSC_PS2_PT2_iSB_SB_.has_indirect_call, or(0, .L__assert_fail.has_indirect_call)
	.section	.AMDGPU.csdata,"",@progbits
; Kernel info:
; codeLenInByte = 68
; TotalNumSgprs: 36
; NumVgprs: 51
; ScratchSize: 64
; MemoryBound: 0
; FloatMode: 240
; IeeeMode: 1
; LDSByteSize: 0 bytes/workgroup (compile time only)
; SGPRBlocks: 0
; VGPRBlocks: 3
; NumSGPRsForWavesPerEU: 36
; NumVGPRsForWavesPerEU: 51
; NamedBarCnt: 0
; Occupancy: 16
; WaveLimiterHint : 1
; COMPUTE_PGM_RSRC2:SCRATCH_EN: 1
; COMPUTE_PGM_RSRC2:USER_SGPR: 2
; COMPUTE_PGM_RSRC2:TRAP_HANDLER: 0
; COMPUTE_PGM_RSRC2:TGID_X_EN: 1
; COMPUTE_PGM_RSRC2:TGID_Y_EN: 0
; COMPUTE_PGM_RSRC2:TGID_Z_EN: 0
; COMPUTE_PGM_RSRC2:TIDIG_COMP_CNT: 0
	.section	.text._Z39paged_attention_ll4mi_QKV_mfma16_kernelIDF16_DF16_LN4vllm18Fp8KVCacheDataTypeE0EDF16_Li32ELi128ELi256ELb1ELi1EEvPKT_PKT0_S7_ifPKiS9_S9_iPKfiiiPfSC_PS2_PT2_iSB_SB_,"axG",@progbits,_Z39paged_attention_ll4mi_QKV_mfma16_kernelIDF16_DF16_LN4vllm18Fp8KVCacheDataTypeE0EDF16_Li32ELi128ELi256ELb1ELi1EEvPKT_PKT0_S7_ifPKiS9_S9_iPKfiiiPfSC_PS2_PT2_iSB_SB_,comdat
	.protected	_Z39paged_attention_ll4mi_QKV_mfma16_kernelIDF16_DF16_LN4vllm18Fp8KVCacheDataTypeE0EDF16_Li32ELi128ELi256ELb1ELi1EEvPKT_PKT0_S7_ifPKiS9_S9_iPKfiiiPfSC_PS2_PT2_iSB_SB_ ; -- Begin function _Z39paged_attention_ll4mi_QKV_mfma16_kernelIDF16_DF16_LN4vllm18Fp8KVCacheDataTypeE0EDF16_Li32ELi128ELi256ELb1ELi1EEvPKT_PKT0_S7_ifPKiS9_S9_iPKfiiiPfSC_PS2_PT2_iSB_SB_
	.globl	_Z39paged_attention_ll4mi_QKV_mfma16_kernelIDF16_DF16_LN4vllm18Fp8KVCacheDataTypeE0EDF16_Li32ELi128ELi256ELb1ELi1EEvPKT_PKT0_S7_ifPKiS9_S9_iPKfiiiPfSC_PS2_PT2_iSB_SB_
	.p2align	8
	.type	_Z39paged_attention_ll4mi_QKV_mfma16_kernelIDF16_DF16_LN4vllm18Fp8KVCacheDataTypeE0EDF16_Li32ELi128ELi256ELb1ELi1EEvPKT_PKT0_S7_ifPKiS9_S9_iPKfiiiPfSC_PS2_PT2_iSB_SB_,@function
_Z39paged_attention_ll4mi_QKV_mfma16_kernelIDF16_DF16_LN4vllm18Fp8KVCacheDataTypeE0EDF16_Li32ELi128ELi256ELb1ELi1EEvPKT_PKT0_S7_ifPKiS9_S9_iPKfiiiPfSC_PS2_PT2_iSB_SB_: ; @_Z39paged_attention_ll4mi_QKV_mfma16_kernelIDF16_DF16_LN4vllm18Fp8KVCacheDataTypeE0EDF16_Li32ELi128ELi256ELb1ELi1EEvPKT_PKT0_S7_ifPKiS9_S9_iPKfiiiPfSC_PS2_PT2_iSB_SB_
; %bb.0:
	s_get_pc_i64 s[2:3]
	s_add_nc_u64 s[2:3], s[2:3], __PRETTY_FUNCTION__._Z39paged_attention_ll4mi_QKV_mfma16_kernelIDF16_DF16_LN4vllm18Fp8KVCacheDataTypeE0EDF16_Li32ELi128ELi256ELb1ELi1EEvPKT_PKT0_S7_ifPKiS9_S9_iPKfiiiPfSC_PS2_PT2_iSB_SB_@rel64+4
	s_delay_alu instid0(SALU_CYCLE_1)
	v_dual_mov_b32 v0, 0xbb3 :: v_dual_mov_b32 v1, s2
	v_mov_b32_e32 v2, s3
	s_add_nc_u64 s[8:9], s[0:1], 0x90
	s_get_pc_i64 s[0:1]
	s_add_nc_u64 s[0:1], s[0:1], __assert_fail@rel64+4
	s_mov_b32 s32, 0
	s_swap_pc_i64 s[30:31], s[0:1]
	.section	.rodata,"a",@progbits
	.p2align	6, 0x0
	.amdhsa_kernel _Z39paged_attention_ll4mi_QKV_mfma16_kernelIDF16_DF16_LN4vllm18Fp8KVCacheDataTypeE0EDF16_Li32ELi128ELi256ELb1ELi1EEvPKT_PKT0_S7_ifPKiS9_S9_iPKfiiiPfSC_PS2_PT2_iSB_SB_
		.amdhsa_group_segment_fixed_size 0
		.amdhsa_private_segment_fixed_size 64
		.amdhsa_kernarg_size 400
		.amdhsa_user_sgpr_count 2
		.amdhsa_user_sgpr_dispatch_ptr 0
		.amdhsa_user_sgpr_queue_ptr 0
		.amdhsa_user_sgpr_kernarg_segment_ptr 1
		.amdhsa_user_sgpr_dispatch_id 0
		.amdhsa_user_sgpr_kernarg_preload_length 0
		.amdhsa_user_sgpr_kernarg_preload_offset 0
		.amdhsa_user_sgpr_private_segment_size 0
		.amdhsa_wavefront_size32 1
		.amdhsa_uses_dynamic_stack 0
		.amdhsa_enable_private_segment 1
		.amdhsa_system_sgpr_workgroup_id_x 1
		.amdhsa_system_sgpr_workgroup_id_y 0
		.amdhsa_system_sgpr_workgroup_id_z 0
		.amdhsa_system_sgpr_workgroup_info 0
		.amdhsa_system_vgpr_workitem_id 0
		.amdhsa_next_free_vgpr 51
		.amdhsa_next_free_sgpr 34
		.amdhsa_named_barrier_count 0
		.amdhsa_reserve_vcc 1
		.amdhsa_float_round_mode_32 0
		.amdhsa_float_round_mode_16_64 0
		.amdhsa_float_denorm_mode_32 3
		.amdhsa_float_denorm_mode_16_64 3
		.amdhsa_fp16_overflow 0
		.amdhsa_memory_ordered 1
		.amdhsa_forward_progress 1
		.amdhsa_inst_pref_size 1
		.amdhsa_round_robin_scheduling 0
		.amdhsa_exception_fp_ieee_invalid_op 0
		.amdhsa_exception_fp_denorm_src 0
		.amdhsa_exception_fp_ieee_div_zero 0
		.amdhsa_exception_fp_ieee_overflow 0
		.amdhsa_exception_fp_ieee_underflow 0
		.amdhsa_exception_fp_ieee_inexact 0
		.amdhsa_exception_int_div_zero 0
	.end_amdhsa_kernel
	.section	.text._Z39paged_attention_ll4mi_QKV_mfma16_kernelIDF16_DF16_LN4vllm18Fp8KVCacheDataTypeE0EDF16_Li32ELi128ELi256ELb1ELi1EEvPKT_PKT0_S7_ifPKiS9_S9_iPKfiiiPfSC_PS2_PT2_iSB_SB_,"axG",@progbits,_Z39paged_attention_ll4mi_QKV_mfma16_kernelIDF16_DF16_LN4vllm18Fp8KVCacheDataTypeE0EDF16_Li32ELi128ELi256ELb1ELi1EEvPKT_PKT0_S7_ifPKiS9_S9_iPKfiiiPfSC_PS2_PT2_iSB_SB_,comdat
.Lfunc_end362:
	.size	_Z39paged_attention_ll4mi_QKV_mfma16_kernelIDF16_DF16_LN4vllm18Fp8KVCacheDataTypeE0EDF16_Li32ELi128ELi256ELb1ELi1EEvPKT_PKT0_S7_ifPKiS9_S9_iPKfiiiPfSC_PS2_PT2_iSB_SB_, .Lfunc_end362-_Z39paged_attention_ll4mi_QKV_mfma16_kernelIDF16_DF16_LN4vllm18Fp8KVCacheDataTypeE0EDF16_Li32ELi128ELi256ELb1ELi1EEvPKT_PKT0_S7_ifPKiS9_S9_iPKfiiiPfSC_PS2_PT2_iSB_SB_
                                        ; -- End function
	.set _Z39paged_attention_ll4mi_QKV_mfma16_kernelIDF16_DF16_LN4vllm18Fp8KVCacheDataTypeE0EDF16_Li32ELi128ELi256ELb1ELi1EEvPKT_PKT0_S7_ifPKiS9_S9_iPKfiiiPfSC_PS2_PT2_iSB_SB_.num_vgpr, max(3, .L__assert_fail.num_vgpr)
	.set _Z39paged_attention_ll4mi_QKV_mfma16_kernelIDF16_DF16_LN4vllm18Fp8KVCacheDataTypeE0EDF16_Li32ELi128ELi256ELb1ELi1EEvPKT_PKT0_S7_ifPKiS9_S9_iPKfiiiPfSC_PS2_PT2_iSB_SB_.num_agpr, max(0, .L__assert_fail.num_agpr)
	.set _Z39paged_attention_ll4mi_QKV_mfma16_kernelIDF16_DF16_LN4vllm18Fp8KVCacheDataTypeE0EDF16_Li32ELi128ELi256ELb1ELi1EEvPKT_PKT0_S7_ifPKiS9_S9_iPKfiiiPfSC_PS2_PT2_iSB_SB_.numbered_sgpr, max(33, .L__assert_fail.numbered_sgpr)
	.set _Z39paged_attention_ll4mi_QKV_mfma16_kernelIDF16_DF16_LN4vllm18Fp8KVCacheDataTypeE0EDF16_Li32ELi128ELi256ELb1ELi1EEvPKT_PKT0_S7_ifPKiS9_S9_iPKfiiiPfSC_PS2_PT2_iSB_SB_.num_named_barrier, max(0, .L__assert_fail.num_named_barrier)
	.set _Z39paged_attention_ll4mi_QKV_mfma16_kernelIDF16_DF16_LN4vllm18Fp8KVCacheDataTypeE0EDF16_Li32ELi128ELi256ELb1ELi1EEvPKT_PKT0_S7_ifPKiS9_S9_iPKfiiiPfSC_PS2_PT2_iSB_SB_.private_seg_size, 0+max(.L__assert_fail.private_seg_size)
	.set _Z39paged_attention_ll4mi_QKV_mfma16_kernelIDF16_DF16_LN4vllm18Fp8KVCacheDataTypeE0EDF16_Li32ELi128ELi256ELb1ELi1EEvPKT_PKT0_S7_ifPKiS9_S9_iPKfiiiPfSC_PS2_PT2_iSB_SB_.uses_vcc, or(1, .L__assert_fail.uses_vcc)
	.set _Z39paged_attention_ll4mi_QKV_mfma16_kernelIDF16_DF16_LN4vllm18Fp8KVCacheDataTypeE0EDF16_Li32ELi128ELi256ELb1ELi1EEvPKT_PKT0_S7_ifPKiS9_S9_iPKfiiiPfSC_PS2_PT2_iSB_SB_.uses_flat_scratch, or(0, .L__assert_fail.uses_flat_scratch)
	.set _Z39paged_attention_ll4mi_QKV_mfma16_kernelIDF16_DF16_LN4vllm18Fp8KVCacheDataTypeE0EDF16_Li32ELi128ELi256ELb1ELi1EEvPKT_PKT0_S7_ifPKiS9_S9_iPKfiiiPfSC_PS2_PT2_iSB_SB_.has_dyn_sized_stack, or(0, .L__assert_fail.has_dyn_sized_stack)
	.set _Z39paged_attention_ll4mi_QKV_mfma16_kernelIDF16_DF16_LN4vllm18Fp8KVCacheDataTypeE0EDF16_Li32ELi128ELi256ELb1ELi1EEvPKT_PKT0_S7_ifPKiS9_S9_iPKfiiiPfSC_PS2_PT2_iSB_SB_.has_recursion, or(0, .L__assert_fail.has_recursion)
	.set _Z39paged_attention_ll4mi_QKV_mfma16_kernelIDF16_DF16_LN4vllm18Fp8KVCacheDataTypeE0EDF16_Li32ELi128ELi256ELb1ELi1EEvPKT_PKT0_S7_ifPKiS9_S9_iPKfiiiPfSC_PS2_PT2_iSB_SB_.has_indirect_call, or(0, .L__assert_fail.has_indirect_call)
	.section	.AMDGPU.csdata,"",@progbits
; Kernel info:
; codeLenInByte = 68
; TotalNumSgprs: 36
; NumVgprs: 51
; ScratchSize: 64
; MemoryBound: 0
; FloatMode: 240
; IeeeMode: 1
; LDSByteSize: 0 bytes/workgroup (compile time only)
; SGPRBlocks: 0
; VGPRBlocks: 3
; NumSGPRsForWavesPerEU: 36
; NumVGPRsForWavesPerEU: 51
; NamedBarCnt: 0
; Occupancy: 16
; WaveLimiterHint : 1
; COMPUTE_PGM_RSRC2:SCRATCH_EN: 1
; COMPUTE_PGM_RSRC2:USER_SGPR: 2
; COMPUTE_PGM_RSRC2:TRAP_HANDLER: 0
; COMPUTE_PGM_RSRC2:TGID_X_EN: 1
; COMPUTE_PGM_RSRC2:TGID_Y_EN: 0
; COMPUTE_PGM_RSRC2:TGID_Z_EN: 0
; COMPUTE_PGM_RSRC2:TIDIG_COMP_CNT: 0
	.section	.text._Z39paged_attention_ll4mi_QKV_mfma16_kernelIDF16_DF16_LN4vllm18Fp8KVCacheDataTypeE0EDF16_Li32ELi128ELi256ELb1ELi2EEvPKT_PKT0_S7_ifPKiS9_S9_iPKfiiiPfSC_PS2_PT2_iSB_SB_,"axG",@progbits,_Z39paged_attention_ll4mi_QKV_mfma16_kernelIDF16_DF16_LN4vllm18Fp8KVCacheDataTypeE0EDF16_Li32ELi128ELi256ELb1ELi2EEvPKT_PKT0_S7_ifPKiS9_S9_iPKfiiiPfSC_PS2_PT2_iSB_SB_,comdat
	.protected	_Z39paged_attention_ll4mi_QKV_mfma16_kernelIDF16_DF16_LN4vllm18Fp8KVCacheDataTypeE0EDF16_Li32ELi128ELi256ELb1ELi2EEvPKT_PKT0_S7_ifPKiS9_S9_iPKfiiiPfSC_PS2_PT2_iSB_SB_ ; -- Begin function _Z39paged_attention_ll4mi_QKV_mfma16_kernelIDF16_DF16_LN4vllm18Fp8KVCacheDataTypeE0EDF16_Li32ELi128ELi256ELb1ELi2EEvPKT_PKT0_S7_ifPKiS9_S9_iPKfiiiPfSC_PS2_PT2_iSB_SB_
	.globl	_Z39paged_attention_ll4mi_QKV_mfma16_kernelIDF16_DF16_LN4vllm18Fp8KVCacheDataTypeE0EDF16_Li32ELi128ELi256ELb1ELi2EEvPKT_PKT0_S7_ifPKiS9_S9_iPKfiiiPfSC_PS2_PT2_iSB_SB_
	.p2align	8
	.type	_Z39paged_attention_ll4mi_QKV_mfma16_kernelIDF16_DF16_LN4vllm18Fp8KVCacheDataTypeE0EDF16_Li32ELi128ELi256ELb1ELi2EEvPKT_PKT0_S7_ifPKiS9_S9_iPKfiiiPfSC_PS2_PT2_iSB_SB_,@function
_Z39paged_attention_ll4mi_QKV_mfma16_kernelIDF16_DF16_LN4vllm18Fp8KVCacheDataTypeE0EDF16_Li32ELi128ELi256ELb1ELi2EEvPKT_PKT0_S7_ifPKiS9_S9_iPKfiiiPfSC_PS2_PT2_iSB_SB_: ; @_Z39paged_attention_ll4mi_QKV_mfma16_kernelIDF16_DF16_LN4vllm18Fp8KVCacheDataTypeE0EDF16_Li32ELi128ELi256ELb1ELi2EEvPKT_PKT0_S7_ifPKiS9_S9_iPKfiiiPfSC_PS2_PT2_iSB_SB_
; %bb.0:
	s_get_pc_i64 s[2:3]
	s_add_nc_u64 s[2:3], s[2:3], __PRETTY_FUNCTION__._Z39paged_attention_ll4mi_QKV_mfma16_kernelIDF16_DF16_LN4vllm18Fp8KVCacheDataTypeE0EDF16_Li32ELi128ELi256ELb1ELi2EEvPKT_PKT0_S7_ifPKiS9_S9_iPKfiiiPfSC_PS2_PT2_iSB_SB_@rel64+4
	s_delay_alu instid0(SALU_CYCLE_1)
	v_dual_mov_b32 v0, 0xbb3 :: v_dual_mov_b32 v1, s2
	v_mov_b32_e32 v2, s3
	s_add_nc_u64 s[8:9], s[0:1], 0x90
	s_get_pc_i64 s[0:1]
	s_add_nc_u64 s[0:1], s[0:1], __assert_fail@rel64+4
	s_mov_b32 s32, 0
	s_swap_pc_i64 s[30:31], s[0:1]
	.section	.rodata,"a",@progbits
	.p2align	6, 0x0
	.amdhsa_kernel _Z39paged_attention_ll4mi_QKV_mfma16_kernelIDF16_DF16_LN4vllm18Fp8KVCacheDataTypeE0EDF16_Li32ELi128ELi256ELb1ELi2EEvPKT_PKT0_S7_ifPKiS9_S9_iPKfiiiPfSC_PS2_PT2_iSB_SB_
		.amdhsa_group_segment_fixed_size 0
		.amdhsa_private_segment_fixed_size 64
		.amdhsa_kernarg_size 400
		.amdhsa_user_sgpr_count 2
		.amdhsa_user_sgpr_dispatch_ptr 0
		.amdhsa_user_sgpr_queue_ptr 0
		.amdhsa_user_sgpr_kernarg_segment_ptr 1
		.amdhsa_user_sgpr_dispatch_id 0
		.amdhsa_user_sgpr_kernarg_preload_length 0
		.amdhsa_user_sgpr_kernarg_preload_offset 0
		.amdhsa_user_sgpr_private_segment_size 0
		.amdhsa_wavefront_size32 1
		.amdhsa_uses_dynamic_stack 0
		.amdhsa_enable_private_segment 1
		.amdhsa_system_sgpr_workgroup_id_x 1
		.amdhsa_system_sgpr_workgroup_id_y 0
		.amdhsa_system_sgpr_workgroup_id_z 0
		.amdhsa_system_sgpr_workgroup_info 0
		.amdhsa_system_vgpr_workitem_id 0
		.amdhsa_next_free_vgpr 51
		.amdhsa_next_free_sgpr 34
		.amdhsa_named_barrier_count 0
		.amdhsa_reserve_vcc 1
		.amdhsa_float_round_mode_32 0
		.amdhsa_float_round_mode_16_64 0
		.amdhsa_float_denorm_mode_32 3
		.amdhsa_float_denorm_mode_16_64 3
		.amdhsa_fp16_overflow 0
		.amdhsa_memory_ordered 1
		.amdhsa_forward_progress 1
		.amdhsa_inst_pref_size 1
		.amdhsa_round_robin_scheduling 0
		.amdhsa_exception_fp_ieee_invalid_op 0
		.amdhsa_exception_fp_denorm_src 0
		.amdhsa_exception_fp_ieee_div_zero 0
		.amdhsa_exception_fp_ieee_overflow 0
		.amdhsa_exception_fp_ieee_underflow 0
		.amdhsa_exception_fp_ieee_inexact 0
		.amdhsa_exception_int_div_zero 0
	.end_amdhsa_kernel
	.section	.text._Z39paged_attention_ll4mi_QKV_mfma16_kernelIDF16_DF16_LN4vllm18Fp8KVCacheDataTypeE0EDF16_Li32ELi128ELi256ELb1ELi2EEvPKT_PKT0_S7_ifPKiS9_S9_iPKfiiiPfSC_PS2_PT2_iSB_SB_,"axG",@progbits,_Z39paged_attention_ll4mi_QKV_mfma16_kernelIDF16_DF16_LN4vllm18Fp8KVCacheDataTypeE0EDF16_Li32ELi128ELi256ELb1ELi2EEvPKT_PKT0_S7_ifPKiS9_S9_iPKfiiiPfSC_PS2_PT2_iSB_SB_,comdat
.Lfunc_end363:
	.size	_Z39paged_attention_ll4mi_QKV_mfma16_kernelIDF16_DF16_LN4vllm18Fp8KVCacheDataTypeE0EDF16_Li32ELi128ELi256ELb1ELi2EEvPKT_PKT0_S7_ifPKiS9_S9_iPKfiiiPfSC_PS2_PT2_iSB_SB_, .Lfunc_end363-_Z39paged_attention_ll4mi_QKV_mfma16_kernelIDF16_DF16_LN4vllm18Fp8KVCacheDataTypeE0EDF16_Li32ELi128ELi256ELb1ELi2EEvPKT_PKT0_S7_ifPKiS9_S9_iPKfiiiPfSC_PS2_PT2_iSB_SB_
                                        ; -- End function
	.set _Z39paged_attention_ll4mi_QKV_mfma16_kernelIDF16_DF16_LN4vllm18Fp8KVCacheDataTypeE0EDF16_Li32ELi128ELi256ELb1ELi2EEvPKT_PKT0_S7_ifPKiS9_S9_iPKfiiiPfSC_PS2_PT2_iSB_SB_.num_vgpr, max(3, .L__assert_fail.num_vgpr)
	.set _Z39paged_attention_ll4mi_QKV_mfma16_kernelIDF16_DF16_LN4vllm18Fp8KVCacheDataTypeE0EDF16_Li32ELi128ELi256ELb1ELi2EEvPKT_PKT0_S7_ifPKiS9_S9_iPKfiiiPfSC_PS2_PT2_iSB_SB_.num_agpr, max(0, .L__assert_fail.num_agpr)
	.set _Z39paged_attention_ll4mi_QKV_mfma16_kernelIDF16_DF16_LN4vllm18Fp8KVCacheDataTypeE0EDF16_Li32ELi128ELi256ELb1ELi2EEvPKT_PKT0_S7_ifPKiS9_S9_iPKfiiiPfSC_PS2_PT2_iSB_SB_.numbered_sgpr, max(33, .L__assert_fail.numbered_sgpr)
	.set _Z39paged_attention_ll4mi_QKV_mfma16_kernelIDF16_DF16_LN4vllm18Fp8KVCacheDataTypeE0EDF16_Li32ELi128ELi256ELb1ELi2EEvPKT_PKT0_S7_ifPKiS9_S9_iPKfiiiPfSC_PS2_PT2_iSB_SB_.num_named_barrier, max(0, .L__assert_fail.num_named_barrier)
	.set _Z39paged_attention_ll4mi_QKV_mfma16_kernelIDF16_DF16_LN4vllm18Fp8KVCacheDataTypeE0EDF16_Li32ELi128ELi256ELb1ELi2EEvPKT_PKT0_S7_ifPKiS9_S9_iPKfiiiPfSC_PS2_PT2_iSB_SB_.private_seg_size, 0+max(.L__assert_fail.private_seg_size)
	.set _Z39paged_attention_ll4mi_QKV_mfma16_kernelIDF16_DF16_LN4vllm18Fp8KVCacheDataTypeE0EDF16_Li32ELi128ELi256ELb1ELi2EEvPKT_PKT0_S7_ifPKiS9_S9_iPKfiiiPfSC_PS2_PT2_iSB_SB_.uses_vcc, or(1, .L__assert_fail.uses_vcc)
	.set _Z39paged_attention_ll4mi_QKV_mfma16_kernelIDF16_DF16_LN4vllm18Fp8KVCacheDataTypeE0EDF16_Li32ELi128ELi256ELb1ELi2EEvPKT_PKT0_S7_ifPKiS9_S9_iPKfiiiPfSC_PS2_PT2_iSB_SB_.uses_flat_scratch, or(0, .L__assert_fail.uses_flat_scratch)
	.set _Z39paged_attention_ll4mi_QKV_mfma16_kernelIDF16_DF16_LN4vllm18Fp8KVCacheDataTypeE0EDF16_Li32ELi128ELi256ELb1ELi2EEvPKT_PKT0_S7_ifPKiS9_S9_iPKfiiiPfSC_PS2_PT2_iSB_SB_.has_dyn_sized_stack, or(0, .L__assert_fail.has_dyn_sized_stack)
	.set _Z39paged_attention_ll4mi_QKV_mfma16_kernelIDF16_DF16_LN4vllm18Fp8KVCacheDataTypeE0EDF16_Li32ELi128ELi256ELb1ELi2EEvPKT_PKT0_S7_ifPKiS9_S9_iPKfiiiPfSC_PS2_PT2_iSB_SB_.has_recursion, or(0, .L__assert_fail.has_recursion)
	.set _Z39paged_attention_ll4mi_QKV_mfma16_kernelIDF16_DF16_LN4vllm18Fp8KVCacheDataTypeE0EDF16_Li32ELi128ELi256ELb1ELi2EEvPKT_PKT0_S7_ifPKiS9_S9_iPKfiiiPfSC_PS2_PT2_iSB_SB_.has_indirect_call, or(0, .L__assert_fail.has_indirect_call)
	.section	.AMDGPU.csdata,"",@progbits
; Kernel info:
; codeLenInByte = 68
; TotalNumSgprs: 36
; NumVgprs: 51
; ScratchSize: 64
; MemoryBound: 0
; FloatMode: 240
; IeeeMode: 1
; LDSByteSize: 0 bytes/workgroup (compile time only)
; SGPRBlocks: 0
; VGPRBlocks: 3
; NumSGPRsForWavesPerEU: 36
; NumVGPRsForWavesPerEU: 51
; NamedBarCnt: 0
; Occupancy: 16
; WaveLimiterHint : 1
; COMPUTE_PGM_RSRC2:SCRATCH_EN: 1
; COMPUTE_PGM_RSRC2:USER_SGPR: 2
; COMPUTE_PGM_RSRC2:TRAP_HANDLER: 0
; COMPUTE_PGM_RSRC2:TGID_X_EN: 1
; COMPUTE_PGM_RSRC2:TGID_Y_EN: 0
; COMPUTE_PGM_RSRC2:TGID_Z_EN: 0
; COMPUTE_PGM_RSRC2:TIDIG_COMP_CNT: 0
	.section	.text._Z39paged_attention_ll4mi_QKV_mfma16_kernelIDF16_DF16_LN4vllm18Fp8KVCacheDataTypeE0EDF16_Li32ELi128ELi256ELb1ELi3EEvPKT_PKT0_S7_ifPKiS9_S9_iPKfiiiPfSC_PS2_PT2_iSB_SB_,"axG",@progbits,_Z39paged_attention_ll4mi_QKV_mfma16_kernelIDF16_DF16_LN4vllm18Fp8KVCacheDataTypeE0EDF16_Li32ELi128ELi256ELb1ELi3EEvPKT_PKT0_S7_ifPKiS9_S9_iPKfiiiPfSC_PS2_PT2_iSB_SB_,comdat
	.protected	_Z39paged_attention_ll4mi_QKV_mfma16_kernelIDF16_DF16_LN4vllm18Fp8KVCacheDataTypeE0EDF16_Li32ELi128ELi256ELb1ELi3EEvPKT_PKT0_S7_ifPKiS9_S9_iPKfiiiPfSC_PS2_PT2_iSB_SB_ ; -- Begin function _Z39paged_attention_ll4mi_QKV_mfma16_kernelIDF16_DF16_LN4vllm18Fp8KVCacheDataTypeE0EDF16_Li32ELi128ELi256ELb1ELi3EEvPKT_PKT0_S7_ifPKiS9_S9_iPKfiiiPfSC_PS2_PT2_iSB_SB_
	.globl	_Z39paged_attention_ll4mi_QKV_mfma16_kernelIDF16_DF16_LN4vllm18Fp8KVCacheDataTypeE0EDF16_Li32ELi128ELi256ELb1ELi3EEvPKT_PKT0_S7_ifPKiS9_S9_iPKfiiiPfSC_PS2_PT2_iSB_SB_
	.p2align	8
	.type	_Z39paged_attention_ll4mi_QKV_mfma16_kernelIDF16_DF16_LN4vllm18Fp8KVCacheDataTypeE0EDF16_Li32ELi128ELi256ELb1ELi3EEvPKT_PKT0_S7_ifPKiS9_S9_iPKfiiiPfSC_PS2_PT2_iSB_SB_,@function
_Z39paged_attention_ll4mi_QKV_mfma16_kernelIDF16_DF16_LN4vllm18Fp8KVCacheDataTypeE0EDF16_Li32ELi128ELi256ELb1ELi3EEvPKT_PKT0_S7_ifPKiS9_S9_iPKfiiiPfSC_PS2_PT2_iSB_SB_: ; @_Z39paged_attention_ll4mi_QKV_mfma16_kernelIDF16_DF16_LN4vllm18Fp8KVCacheDataTypeE0EDF16_Li32ELi128ELi256ELb1ELi3EEvPKT_PKT0_S7_ifPKiS9_S9_iPKfiiiPfSC_PS2_PT2_iSB_SB_
; %bb.0:
	s_get_pc_i64 s[2:3]
	s_add_nc_u64 s[2:3], s[2:3], __PRETTY_FUNCTION__._Z39paged_attention_ll4mi_QKV_mfma16_kernelIDF16_DF16_LN4vllm18Fp8KVCacheDataTypeE0EDF16_Li32ELi128ELi256ELb1ELi3EEvPKT_PKT0_S7_ifPKiS9_S9_iPKfiiiPfSC_PS2_PT2_iSB_SB_@rel64+4
	s_delay_alu instid0(SALU_CYCLE_1)
	v_dual_mov_b32 v0, 0xbb3 :: v_dual_mov_b32 v1, s2
	v_mov_b32_e32 v2, s3
	s_add_nc_u64 s[8:9], s[0:1], 0x90
	s_get_pc_i64 s[0:1]
	s_add_nc_u64 s[0:1], s[0:1], __assert_fail@rel64+4
	s_mov_b32 s32, 0
	s_swap_pc_i64 s[30:31], s[0:1]
	.section	.rodata,"a",@progbits
	.p2align	6, 0x0
	.amdhsa_kernel _Z39paged_attention_ll4mi_QKV_mfma16_kernelIDF16_DF16_LN4vllm18Fp8KVCacheDataTypeE0EDF16_Li32ELi128ELi256ELb1ELi3EEvPKT_PKT0_S7_ifPKiS9_S9_iPKfiiiPfSC_PS2_PT2_iSB_SB_
		.amdhsa_group_segment_fixed_size 0
		.amdhsa_private_segment_fixed_size 64
		.amdhsa_kernarg_size 400
		.amdhsa_user_sgpr_count 2
		.amdhsa_user_sgpr_dispatch_ptr 0
		.amdhsa_user_sgpr_queue_ptr 0
		.amdhsa_user_sgpr_kernarg_segment_ptr 1
		.amdhsa_user_sgpr_dispatch_id 0
		.amdhsa_user_sgpr_kernarg_preload_length 0
		.amdhsa_user_sgpr_kernarg_preload_offset 0
		.amdhsa_user_sgpr_private_segment_size 0
		.amdhsa_wavefront_size32 1
		.amdhsa_uses_dynamic_stack 0
		.amdhsa_enable_private_segment 1
		.amdhsa_system_sgpr_workgroup_id_x 1
		.amdhsa_system_sgpr_workgroup_id_y 0
		.amdhsa_system_sgpr_workgroup_id_z 0
		.amdhsa_system_sgpr_workgroup_info 0
		.amdhsa_system_vgpr_workitem_id 0
		.amdhsa_next_free_vgpr 51
		.amdhsa_next_free_sgpr 34
		.amdhsa_named_barrier_count 0
		.amdhsa_reserve_vcc 1
		.amdhsa_float_round_mode_32 0
		.amdhsa_float_round_mode_16_64 0
		.amdhsa_float_denorm_mode_32 3
		.amdhsa_float_denorm_mode_16_64 3
		.amdhsa_fp16_overflow 0
		.amdhsa_memory_ordered 1
		.amdhsa_forward_progress 1
		.amdhsa_inst_pref_size 1
		.amdhsa_round_robin_scheduling 0
		.amdhsa_exception_fp_ieee_invalid_op 0
		.amdhsa_exception_fp_denorm_src 0
		.amdhsa_exception_fp_ieee_div_zero 0
		.amdhsa_exception_fp_ieee_overflow 0
		.amdhsa_exception_fp_ieee_underflow 0
		.amdhsa_exception_fp_ieee_inexact 0
		.amdhsa_exception_int_div_zero 0
	.end_amdhsa_kernel
	.section	.text._Z39paged_attention_ll4mi_QKV_mfma16_kernelIDF16_DF16_LN4vllm18Fp8KVCacheDataTypeE0EDF16_Li32ELi128ELi256ELb1ELi3EEvPKT_PKT0_S7_ifPKiS9_S9_iPKfiiiPfSC_PS2_PT2_iSB_SB_,"axG",@progbits,_Z39paged_attention_ll4mi_QKV_mfma16_kernelIDF16_DF16_LN4vllm18Fp8KVCacheDataTypeE0EDF16_Li32ELi128ELi256ELb1ELi3EEvPKT_PKT0_S7_ifPKiS9_S9_iPKfiiiPfSC_PS2_PT2_iSB_SB_,comdat
.Lfunc_end364:
	.size	_Z39paged_attention_ll4mi_QKV_mfma16_kernelIDF16_DF16_LN4vllm18Fp8KVCacheDataTypeE0EDF16_Li32ELi128ELi256ELb1ELi3EEvPKT_PKT0_S7_ifPKiS9_S9_iPKfiiiPfSC_PS2_PT2_iSB_SB_, .Lfunc_end364-_Z39paged_attention_ll4mi_QKV_mfma16_kernelIDF16_DF16_LN4vllm18Fp8KVCacheDataTypeE0EDF16_Li32ELi128ELi256ELb1ELi3EEvPKT_PKT0_S7_ifPKiS9_S9_iPKfiiiPfSC_PS2_PT2_iSB_SB_
                                        ; -- End function
	.set _Z39paged_attention_ll4mi_QKV_mfma16_kernelIDF16_DF16_LN4vllm18Fp8KVCacheDataTypeE0EDF16_Li32ELi128ELi256ELb1ELi3EEvPKT_PKT0_S7_ifPKiS9_S9_iPKfiiiPfSC_PS2_PT2_iSB_SB_.num_vgpr, max(3, .L__assert_fail.num_vgpr)
	.set _Z39paged_attention_ll4mi_QKV_mfma16_kernelIDF16_DF16_LN4vllm18Fp8KVCacheDataTypeE0EDF16_Li32ELi128ELi256ELb1ELi3EEvPKT_PKT0_S7_ifPKiS9_S9_iPKfiiiPfSC_PS2_PT2_iSB_SB_.num_agpr, max(0, .L__assert_fail.num_agpr)
	.set _Z39paged_attention_ll4mi_QKV_mfma16_kernelIDF16_DF16_LN4vllm18Fp8KVCacheDataTypeE0EDF16_Li32ELi128ELi256ELb1ELi3EEvPKT_PKT0_S7_ifPKiS9_S9_iPKfiiiPfSC_PS2_PT2_iSB_SB_.numbered_sgpr, max(33, .L__assert_fail.numbered_sgpr)
	.set _Z39paged_attention_ll4mi_QKV_mfma16_kernelIDF16_DF16_LN4vllm18Fp8KVCacheDataTypeE0EDF16_Li32ELi128ELi256ELb1ELi3EEvPKT_PKT0_S7_ifPKiS9_S9_iPKfiiiPfSC_PS2_PT2_iSB_SB_.num_named_barrier, max(0, .L__assert_fail.num_named_barrier)
	.set _Z39paged_attention_ll4mi_QKV_mfma16_kernelIDF16_DF16_LN4vllm18Fp8KVCacheDataTypeE0EDF16_Li32ELi128ELi256ELb1ELi3EEvPKT_PKT0_S7_ifPKiS9_S9_iPKfiiiPfSC_PS2_PT2_iSB_SB_.private_seg_size, 0+max(.L__assert_fail.private_seg_size)
	.set _Z39paged_attention_ll4mi_QKV_mfma16_kernelIDF16_DF16_LN4vllm18Fp8KVCacheDataTypeE0EDF16_Li32ELi128ELi256ELb1ELi3EEvPKT_PKT0_S7_ifPKiS9_S9_iPKfiiiPfSC_PS2_PT2_iSB_SB_.uses_vcc, or(1, .L__assert_fail.uses_vcc)
	.set _Z39paged_attention_ll4mi_QKV_mfma16_kernelIDF16_DF16_LN4vllm18Fp8KVCacheDataTypeE0EDF16_Li32ELi128ELi256ELb1ELi3EEvPKT_PKT0_S7_ifPKiS9_S9_iPKfiiiPfSC_PS2_PT2_iSB_SB_.uses_flat_scratch, or(0, .L__assert_fail.uses_flat_scratch)
	.set _Z39paged_attention_ll4mi_QKV_mfma16_kernelIDF16_DF16_LN4vllm18Fp8KVCacheDataTypeE0EDF16_Li32ELi128ELi256ELb1ELi3EEvPKT_PKT0_S7_ifPKiS9_S9_iPKfiiiPfSC_PS2_PT2_iSB_SB_.has_dyn_sized_stack, or(0, .L__assert_fail.has_dyn_sized_stack)
	.set _Z39paged_attention_ll4mi_QKV_mfma16_kernelIDF16_DF16_LN4vllm18Fp8KVCacheDataTypeE0EDF16_Li32ELi128ELi256ELb1ELi3EEvPKT_PKT0_S7_ifPKiS9_S9_iPKfiiiPfSC_PS2_PT2_iSB_SB_.has_recursion, or(0, .L__assert_fail.has_recursion)
	.set _Z39paged_attention_ll4mi_QKV_mfma16_kernelIDF16_DF16_LN4vllm18Fp8KVCacheDataTypeE0EDF16_Li32ELi128ELi256ELb1ELi3EEvPKT_PKT0_S7_ifPKiS9_S9_iPKfiiiPfSC_PS2_PT2_iSB_SB_.has_indirect_call, or(0, .L__assert_fail.has_indirect_call)
	.section	.AMDGPU.csdata,"",@progbits
; Kernel info:
; codeLenInByte = 68
; TotalNumSgprs: 36
; NumVgprs: 51
; ScratchSize: 64
; MemoryBound: 0
; FloatMode: 240
; IeeeMode: 1
; LDSByteSize: 0 bytes/workgroup (compile time only)
; SGPRBlocks: 0
; VGPRBlocks: 3
; NumSGPRsForWavesPerEU: 36
; NumVGPRsForWavesPerEU: 51
; NamedBarCnt: 0
; Occupancy: 16
; WaveLimiterHint : 1
; COMPUTE_PGM_RSRC2:SCRATCH_EN: 1
; COMPUTE_PGM_RSRC2:USER_SGPR: 2
; COMPUTE_PGM_RSRC2:TRAP_HANDLER: 0
; COMPUTE_PGM_RSRC2:TGID_X_EN: 1
; COMPUTE_PGM_RSRC2:TGID_Y_EN: 0
; COMPUTE_PGM_RSRC2:TGID_Z_EN: 0
; COMPUTE_PGM_RSRC2:TIDIG_COMP_CNT: 0
	.section	.text._Z39paged_attention_ll4mi_QKV_mfma16_kernelIDF16_DF16_LN4vllm18Fp8KVCacheDataTypeE0EDF16_Li32ELi128ELi256ELb1ELi4EEvPKT_PKT0_S7_ifPKiS9_S9_iPKfiiiPfSC_PS2_PT2_iSB_SB_,"axG",@progbits,_Z39paged_attention_ll4mi_QKV_mfma16_kernelIDF16_DF16_LN4vllm18Fp8KVCacheDataTypeE0EDF16_Li32ELi128ELi256ELb1ELi4EEvPKT_PKT0_S7_ifPKiS9_S9_iPKfiiiPfSC_PS2_PT2_iSB_SB_,comdat
	.protected	_Z39paged_attention_ll4mi_QKV_mfma16_kernelIDF16_DF16_LN4vllm18Fp8KVCacheDataTypeE0EDF16_Li32ELi128ELi256ELb1ELi4EEvPKT_PKT0_S7_ifPKiS9_S9_iPKfiiiPfSC_PS2_PT2_iSB_SB_ ; -- Begin function _Z39paged_attention_ll4mi_QKV_mfma16_kernelIDF16_DF16_LN4vllm18Fp8KVCacheDataTypeE0EDF16_Li32ELi128ELi256ELb1ELi4EEvPKT_PKT0_S7_ifPKiS9_S9_iPKfiiiPfSC_PS2_PT2_iSB_SB_
	.globl	_Z39paged_attention_ll4mi_QKV_mfma16_kernelIDF16_DF16_LN4vllm18Fp8KVCacheDataTypeE0EDF16_Li32ELi128ELi256ELb1ELi4EEvPKT_PKT0_S7_ifPKiS9_S9_iPKfiiiPfSC_PS2_PT2_iSB_SB_
	.p2align	8
	.type	_Z39paged_attention_ll4mi_QKV_mfma16_kernelIDF16_DF16_LN4vllm18Fp8KVCacheDataTypeE0EDF16_Li32ELi128ELi256ELb1ELi4EEvPKT_PKT0_S7_ifPKiS9_S9_iPKfiiiPfSC_PS2_PT2_iSB_SB_,@function
_Z39paged_attention_ll4mi_QKV_mfma16_kernelIDF16_DF16_LN4vllm18Fp8KVCacheDataTypeE0EDF16_Li32ELi128ELi256ELb1ELi4EEvPKT_PKT0_S7_ifPKiS9_S9_iPKfiiiPfSC_PS2_PT2_iSB_SB_: ; @_Z39paged_attention_ll4mi_QKV_mfma16_kernelIDF16_DF16_LN4vllm18Fp8KVCacheDataTypeE0EDF16_Li32ELi128ELi256ELb1ELi4EEvPKT_PKT0_S7_ifPKiS9_S9_iPKfiiiPfSC_PS2_PT2_iSB_SB_
; %bb.0:
	s_get_pc_i64 s[2:3]
	s_add_nc_u64 s[2:3], s[2:3], __PRETTY_FUNCTION__._Z39paged_attention_ll4mi_QKV_mfma16_kernelIDF16_DF16_LN4vllm18Fp8KVCacheDataTypeE0EDF16_Li32ELi128ELi256ELb1ELi4EEvPKT_PKT0_S7_ifPKiS9_S9_iPKfiiiPfSC_PS2_PT2_iSB_SB_@rel64+4
	s_delay_alu instid0(SALU_CYCLE_1)
	v_dual_mov_b32 v0, 0xbb3 :: v_dual_mov_b32 v1, s2
	v_mov_b32_e32 v2, s3
	s_add_nc_u64 s[8:9], s[0:1], 0x90
	s_get_pc_i64 s[0:1]
	s_add_nc_u64 s[0:1], s[0:1], __assert_fail@rel64+4
	s_mov_b32 s32, 0
	s_swap_pc_i64 s[30:31], s[0:1]
	.section	.rodata,"a",@progbits
	.p2align	6, 0x0
	.amdhsa_kernel _Z39paged_attention_ll4mi_QKV_mfma16_kernelIDF16_DF16_LN4vllm18Fp8KVCacheDataTypeE0EDF16_Li32ELi128ELi256ELb1ELi4EEvPKT_PKT0_S7_ifPKiS9_S9_iPKfiiiPfSC_PS2_PT2_iSB_SB_
		.amdhsa_group_segment_fixed_size 0
		.amdhsa_private_segment_fixed_size 64
		.amdhsa_kernarg_size 400
		.amdhsa_user_sgpr_count 2
		.amdhsa_user_sgpr_dispatch_ptr 0
		.amdhsa_user_sgpr_queue_ptr 0
		.amdhsa_user_sgpr_kernarg_segment_ptr 1
		.amdhsa_user_sgpr_dispatch_id 0
		.amdhsa_user_sgpr_kernarg_preload_length 0
		.amdhsa_user_sgpr_kernarg_preload_offset 0
		.amdhsa_user_sgpr_private_segment_size 0
		.amdhsa_wavefront_size32 1
		.amdhsa_uses_dynamic_stack 0
		.amdhsa_enable_private_segment 1
		.amdhsa_system_sgpr_workgroup_id_x 1
		.amdhsa_system_sgpr_workgroup_id_y 0
		.amdhsa_system_sgpr_workgroup_id_z 0
		.amdhsa_system_sgpr_workgroup_info 0
		.amdhsa_system_vgpr_workitem_id 0
		.amdhsa_next_free_vgpr 51
		.amdhsa_next_free_sgpr 34
		.amdhsa_named_barrier_count 0
		.amdhsa_reserve_vcc 1
		.amdhsa_float_round_mode_32 0
		.amdhsa_float_round_mode_16_64 0
		.amdhsa_float_denorm_mode_32 3
		.amdhsa_float_denorm_mode_16_64 3
		.amdhsa_fp16_overflow 0
		.amdhsa_memory_ordered 1
		.amdhsa_forward_progress 1
		.amdhsa_inst_pref_size 1
		.amdhsa_round_robin_scheduling 0
		.amdhsa_exception_fp_ieee_invalid_op 0
		.amdhsa_exception_fp_denorm_src 0
		.amdhsa_exception_fp_ieee_div_zero 0
		.amdhsa_exception_fp_ieee_overflow 0
		.amdhsa_exception_fp_ieee_underflow 0
		.amdhsa_exception_fp_ieee_inexact 0
		.amdhsa_exception_int_div_zero 0
	.end_amdhsa_kernel
	.section	.text._Z39paged_attention_ll4mi_QKV_mfma16_kernelIDF16_DF16_LN4vllm18Fp8KVCacheDataTypeE0EDF16_Li32ELi128ELi256ELb1ELi4EEvPKT_PKT0_S7_ifPKiS9_S9_iPKfiiiPfSC_PS2_PT2_iSB_SB_,"axG",@progbits,_Z39paged_attention_ll4mi_QKV_mfma16_kernelIDF16_DF16_LN4vllm18Fp8KVCacheDataTypeE0EDF16_Li32ELi128ELi256ELb1ELi4EEvPKT_PKT0_S7_ifPKiS9_S9_iPKfiiiPfSC_PS2_PT2_iSB_SB_,comdat
.Lfunc_end365:
	.size	_Z39paged_attention_ll4mi_QKV_mfma16_kernelIDF16_DF16_LN4vllm18Fp8KVCacheDataTypeE0EDF16_Li32ELi128ELi256ELb1ELi4EEvPKT_PKT0_S7_ifPKiS9_S9_iPKfiiiPfSC_PS2_PT2_iSB_SB_, .Lfunc_end365-_Z39paged_attention_ll4mi_QKV_mfma16_kernelIDF16_DF16_LN4vllm18Fp8KVCacheDataTypeE0EDF16_Li32ELi128ELi256ELb1ELi4EEvPKT_PKT0_S7_ifPKiS9_S9_iPKfiiiPfSC_PS2_PT2_iSB_SB_
                                        ; -- End function
	.set _Z39paged_attention_ll4mi_QKV_mfma16_kernelIDF16_DF16_LN4vllm18Fp8KVCacheDataTypeE0EDF16_Li32ELi128ELi256ELb1ELi4EEvPKT_PKT0_S7_ifPKiS9_S9_iPKfiiiPfSC_PS2_PT2_iSB_SB_.num_vgpr, max(3, .L__assert_fail.num_vgpr)
	.set _Z39paged_attention_ll4mi_QKV_mfma16_kernelIDF16_DF16_LN4vllm18Fp8KVCacheDataTypeE0EDF16_Li32ELi128ELi256ELb1ELi4EEvPKT_PKT0_S7_ifPKiS9_S9_iPKfiiiPfSC_PS2_PT2_iSB_SB_.num_agpr, max(0, .L__assert_fail.num_agpr)
	.set _Z39paged_attention_ll4mi_QKV_mfma16_kernelIDF16_DF16_LN4vllm18Fp8KVCacheDataTypeE0EDF16_Li32ELi128ELi256ELb1ELi4EEvPKT_PKT0_S7_ifPKiS9_S9_iPKfiiiPfSC_PS2_PT2_iSB_SB_.numbered_sgpr, max(33, .L__assert_fail.numbered_sgpr)
	.set _Z39paged_attention_ll4mi_QKV_mfma16_kernelIDF16_DF16_LN4vllm18Fp8KVCacheDataTypeE0EDF16_Li32ELi128ELi256ELb1ELi4EEvPKT_PKT0_S7_ifPKiS9_S9_iPKfiiiPfSC_PS2_PT2_iSB_SB_.num_named_barrier, max(0, .L__assert_fail.num_named_barrier)
	.set _Z39paged_attention_ll4mi_QKV_mfma16_kernelIDF16_DF16_LN4vllm18Fp8KVCacheDataTypeE0EDF16_Li32ELi128ELi256ELb1ELi4EEvPKT_PKT0_S7_ifPKiS9_S9_iPKfiiiPfSC_PS2_PT2_iSB_SB_.private_seg_size, 0+max(.L__assert_fail.private_seg_size)
	.set _Z39paged_attention_ll4mi_QKV_mfma16_kernelIDF16_DF16_LN4vllm18Fp8KVCacheDataTypeE0EDF16_Li32ELi128ELi256ELb1ELi4EEvPKT_PKT0_S7_ifPKiS9_S9_iPKfiiiPfSC_PS2_PT2_iSB_SB_.uses_vcc, or(1, .L__assert_fail.uses_vcc)
	.set _Z39paged_attention_ll4mi_QKV_mfma16_kernelIDF16_DF16_LN4vllm18Fp8KVCacheDataTypeE0EDF16_Li32ELi128ELi256ELb1ELi4EEvPKT_PKT0_S7_ifPKiS9_S9_iPKfiiiPfSC_PS2_PT2_iSB_SB_.uses_flat_scratch, or(0, .L__assert_fail.uses_flat_scratch)
	.set _Z39paged_attention_ll4mi_QKV_mfma16_kernelIDF16_DF16_LN4vllm18Fp8KVCacheDataTypeE0EDF16_Li32ELi128ELi256ELb1ELi4EEvPKT_PKT0_S7_ifPKiS9_S9_iPKfiiiPfSC_PS2_PT2_iSB_SB_.has_dyn_sized_stack, or(0, .L__assert_fail.has_dyn_sized_stack)
	.set _Z39paged_attention_ll4mi_QKV_mfma16_kernelIDF16_DF16_LN4vllm18Fp8KVCacheDataTypeE0EDF16_Li32ELi128ELi256ELb1ELi4EEvPKT_PKT0_S7_ifPKiS9_S9_iPKfiiiPfSC_PS2_PT2_iSB_SB_.has_recursion, or(0, .L__assert_fail.has_recursion)
	.set _Z39paged_attention_ll4mi_QKV_mfma16_kernelIDF16_DF16_LN4vllm18Fp8KVCacheDataTypeE0EDF16_Li32ELi128ELi256ELb1ELi4EEvPKT_PKT0_S7_ifPKiS9_S9_iPKfiiiPfSC_PS2_PT2_iSB_SB_.has_indirect_call, or(0, .L__assert_fail.has_indirect_call)
	.section	.AMDGPU.csdata,"",@progbits
; Kernel info:
; codeLenInByte = 68
; TotalNumSgprs: 36
; NumVgprs: 51
; ScratchSize: 64
; MemoryBound: 0
; FloatMode: 240
; IeeeMode: 1
; LDSByteSize: 0 bytes/workgroup (compile time only)
; SGPRBlocks: 0
; VGPRBlocks: 3
; NumSGPRsForWavesPerEU: 36
; NumVGPRsForWavesPerEU: 51
; NamedBarCnt: 0
; Occupancy: 16
; WaveLimiterHint : 1
; COMPUTE_PGM_RSRC2:SCRATCH_EN: 1
; COMPUTE_PGM_RSRC2:USER_SGPR: 2
; COMPUTE_PGM_RSRC2:TRAP_HANDLER: 0
; COMPUTE_PGM_RSRC2:TGID_X_EN: 1
; COMPUTE_PGM_RSRC2:TGID_Y_EN: 0
; COMPUTE_PGM_RSRC2:TGID_Z_EN: 0
; COMPUTE_PGM_RSRC2:TIDIG_COMP_CNT: 0
	.section	.text._Z38paged_attention_ll4mi_QKV_mfma4_kernelIDF16_DF16_LN4vllm18Fp8KVCacheDataTypeE0EDF16_Li32ELi128ELi256ELb0ELi1EEvPKT_PKT0_S7_ifPKiS9_S9_iPKfiiiPfSC_PS2_PT2_iSB_SB_,"axG",@progbits,_Z38paged_attention_ll4mi_QKV_mfma4_kernelIDF16_DF16_LN4vllm18Fp8KVCacheDataTypeE0EDF16_Li32ELi128ELi256ELb0ELi1EEvPKT_PKT0_S7_ifPKiS9_S9_iPKfiiiPfSC_PS2_PT2_iSB_SB_,comdat
	.protected	_Z38paged_attention_ll4mi_QKV_mfma4_kernelIDF16_DF16_LN4vllm18Fp8KVCacheDataTypeE0EDF16_Li32ELi128ELi256ELb0ELi1EEvPKT_PKT0_S7_ifPKiS9_S9_iPKfiiiPfSC_PS2_PT2_iSB_SB_ ; -- Begin function _Z38paged_attention_ll4mi_QKV_mfma4_kernelIDF16_DF16_LN4vllm18Fp8KVCacheDataTypeE0EDF16_Li32ELi128ELi256ELb0ELi1EEvPKT_PKT0_S7_ifPKiS9_S9_iPKfiiiPfSC_PS2_PT2_iSB_SB_
	.globl	_Z38paged_attention_ll4mi_QKV_mfma4_kernelIDF16_DF16_LN4vllm18Fp8KVCacheDataTypeE0EDF16_Li32ELi128ELi256ELb0ELi1EEvPKT_PKT0_S7_ifPKiS9_S9_iPKfiiiPfSC_PS2_PT2_iSB_SB_
	.p2align	8
	.type	_Z38paged_attention_ll4mi_QKV_mfma4_kernelIDF16_DF16_LN4vllm18Fp8KVCacheDataTypeE0EDF16_Li32ELi128ELi256ELb0ELi1EEvPKT_PKT0_S7_ifPKiS9_S9_iPKfiiiPfSC_PS2_PT2_iSB_SB_,@function
_Z38paged_attention_ll4mi_QKV_mfma4_kernelIDF16_DF16_LN4vllm18Fp8KVCacheDataTypeE0EDF16_Li32ELi128ELi256ELb0ELi1EEvPKT_PKT0_S7_ifPKiS9_S9_iPKfiiiPfSC_PS2_PT2_iSB_SB_: ; @_Z38paged_attention_ll4mi_QKV_mfma4_kernelIDF16_DF16_LN4vllm18Fp8KVCacheDataTypeE0EDF16_Li32ELi128ELi256ELb0ELi1EEvPKT_PKT0_S7_ifPKiS9_S9_iPKfiiiPfSC_PS2_PT2_iSB_SB_
; %bb.0:
	s_get_pc_i64 s[2:3]
	s_add_nc_u64 s[2:3], s[2:3], __PRETTY_FUNCTION__._Z38paged_attention_ll4mi_QKV_mfma4_kernelIDF16_DF16_LN4vllm18Fp8KVCacheDataTypeE0EDF16_Li32ELi128ELi256ELb0ELi1EEvPKT_PKT0_S7_ifPKiS9_S9_iPKfiiiPfSC_PS2_PT2_iSB_SB_@rel64+4
	s_delay_alu instid0(SALU_CYCLE_1)
	v_dual_mov_b32 v0, 0xbce :: v_dual_mov_b32 v1, s2
	v_mov_b32_e32 v2, s3
	s_add_nc_u64 s[8:9], s[0:1], 0x90
	s_get_pc_i64 s[0:1]
	s_add_nc_u64 s[0:1], s[0:1], __assert_fail@rel64+4
	s_mov_b32 s32, 0
	s_swap_pc_i64 s[30:31], s[0:1]
	.section	.rodata,"a",@progbits
	.p2align	6, 0x0
	.amdhsa_kernel _Z38paged_attention_ll4mi_QKV_mfma4_kernelIDF16_DF16_LN4vllm18Fp8KVCacheDataTypeE0EDF16_Li32ELi128ELi256ELb0ELi1EEvPKT_PKT0_S7_ifPKiS9_S9_iPKfiiiPfSC_PS2_PT2_iSB_SB_
		.amdhsa_group_segment_fixed_size 0
		.amdhsa_private_segment_fixed_size 64
		.amdhsa_kernarg_size 400
		.amdhsa_user_sgpr_count 2
		.amdhsa_user_sgpr_dispatch_ptr 0
		.amdhsa_user_sgpr_queue_ptr 0
		.amdhsa_user_sgpr_kernarg_segment_ptr 1
		.amdhsa_user_sgpr_dispatch_id 0
		.amdhsa_user_sgpr_kernarg_preload_length 0
		.amdhsa_user_sgpr_kernarg_preload_offset 0
		.amdhsa_user_sgpr_private_segment_size 0
		.amdhsa_wavefront_size32 1
		.amdhsa_uses_dynamic_stack 0
		.amdhsa_enable_private_segment 1
		.amdhsa_system_sgpr_workgroup_id_x 1
		.amdhsa_system_sgpr_workgroup_id_y 0
		.amdhsa_system_sgpr_workgroup_id_z 0
		.amdhsa_system_sgpr_workgroup_info 0
		.amdhsa_system_vgpr_workitem_id 0
		.amdhsa_next_free_vgpr 51
		.amdhsa_next_free_sgpr 34
		.amdhsa_named_barrier_count 0
		.amdhsa_reserve_vcc 1
		.amdhsa_float_round_mode_32 0
		.amdhsa_float_round_mode_16_64 0
		.amdhsa_float_denorm_mode_32 3
		.amdhsa_float_denorm_mode_16_64 3
		.amdhsa_fp16_overflow 0
		.amdhsa_memory_ordered 1
		.amdhsa_forward_progress 1
		.amdhsa_inst_pref_size 1
		.amdhsa_round_robin_scheduling 0
		.amdhsa_exception_fp_ieee_invalid_op 0
		.amdhsa_exception_fp_denorm_src 0
		.amdhsa_exception_fp_ieee_div_zero 0
		.amdhsa_exception_fp_ieee_overflow 0
		.amdhsa_exception_fp_ieee_underflow 0
		.amdhsa_exception_fp_ieee_inexact 0
		.amdhsa_exception_int_div_zero 0
	.end_amdhsa_kernel
	.section	.text._Z38paged_attention_ll4mi_QKV_mfma4_kernelIDF16_DF16_LN4vllm18Fp8KVCacheDataTypeE0EDF16_Li32ELi128ELi256ELb0ELi1EEvPKT_PKT0_S7_ifPKiS9_S9_iPKfiiiPfSC_PS2_PT2_iSB_SB_,"axG",@progbits,_Z38paged_attention_ll4mi_QKV_mfma4_kernelIDF16_DF16_LN4vllm18Fp8KVCacheDataTypeE0EDF16_Li32ELi128ELi256ELb0ELi1EEvPKT_PKT0_S7_ifPKiS9_S9_iPKfiiiPfSC_PS2_PT2_iSB_SB_,comdat
.Lfunc_end366:
	.size	_Z38paged_attention_ll4mi_QKV_mfma4_kernelIDF16_DF16_LN4vllm18Fp8KVCacheDataTypeE0EDF16_Li32ELi128ELi256ELb0ELi1EEvPKT_PKT0_S7_ifPKiS9_S9_iPKfiiiPfSC_PS2_PT2_iSB_SB_, .Lfunc_end366-_Z38paged_attention_ll4mi_QKV_mfma4_kernelIDF16_DF16_LN4vllm18Fp8KVCacheDataTypeE0EDF16_Li32ELi128ELi256ELb0ELi1EEvPKT_PKT0_S7_ifPKiS9_S9_iPKfiiiPfSC_PS2_PT2_iSB_SB_
                                        ; -- End function
	.set _Z38paged_attention_ll4mi_QKV_mfma4_kernelIDF16_DF16_LN4vllm18Fp8KVCacheDataTypeE0EDF16_Li32ELi128ELi256ELb0ELi1EEvPKT_PKT0_S7_ifPKiS9_S9_iPKfiiiPfSC_PS2_PT2_iSB_SB_.num_vgpr, max(3, .L__assert_fail.num_vgpr)
	.set _Z38paged_attention_ll4mi_QKV_mfma4_kernelIDF16_DF16_LN4vllm18Fp8KVCacheDataTypeE0EDF16_Li32ELi128ELi256ELb0ELi1EEvPKT_PKT0_S7_ifPKiS9_S9_iPKfiiiPfSC_PS2_PT2_iSB_SB_.num_agpr, max(0, .L__assert_fail.num_agpr)
	.set _Z38paged_attention_ll4mi_QKV_mfma4_kernelIDF16_DF16_LN4vllm18Fp8KVCacheDataTypeE0EDF16_Li32ELi128ELi256ELb0ELi1EEvPKT_PKT0_S7_ifPKiS9_S9_iPKfiiiPfSC_PS2_PT2_iSB_SB_.numbered_sgpr, max(33, .L__assert_fail.numbered_sgpr)
	.set _Z38paged_attention_ll4mi_QKV_mfma4_kernelIDF16_DF16_LN4vllm18Fp8KVCacheDataTypeE0EDF16_Li32ELi128ELi256ELb0ELi1EEvPKT_PKT0_S7_ifPKiS9_S9_iPKfiiiPfSC_PS2_PT2_iSB_SB_.num_named_barrier, max(0, .L__assert_fail.num_named_barrier)
	.set _Z38paged_attention_ll4mi_QKV_mfma4_kernelIDF16_DF16_LN4vllm18Fp8KVCacheDataTypeE0EDF16_Li32ELi128ELi256ELb0ELi1EEvPKT_PKT0_S7_ifPKiS9_S9_iPKfiiiPfSC_PS2_PT2_iSB_SB_.private_seg_size, 0+max(.L__assert_fail.private_seg_size)
	.set _Z38paged_attention_ll4mi_QKV_mfma4_kernelIDF16_DF16_LN4vllm18Fp8KVCacheDataTypeE0EDF16_Li32ELi128ELi256ELb0ELi1EEvPKT_PKT0_S7_ifPKiS9_S9_iPKfiiiPfSC_PS2_PT2_iSB_SB_.uses_vcc, or(1, .L__assert_fail.uses_vcc)
	.set _Z38paged_attention_ll4mi_QKV_mfma4_kernelIDF16_DF16_LN4vllm18Fp8KVCacheDataTypeE0EDF16_Li32ELi128ELi256ELb0ELi1EEvPKT_PKT0_S7_ifPKiS9_S9_iPKfiiiPfSC_PS2_PT2_iSB_SB_.uses_flat_scratch, or(0, .L__assert_fail.uses_flat_scratch)
	.set _Z38paged_attention_ll4mi_QKV_mfma4_kernelIDF16_DF16_LN4vllm18Fp8KVCacheDataTypeE0EDF16_Li32ELi128ELi256ELb0ELi1EEvPKT_PKT0_S7_ifPKiS9_S9_iPKfiiiPfSC_PS2_PT2_iSB_SB_.has_dyn_sized_stack, or(0, .L__assert_fail.has_dyn_sized_stack)
	.set _Z38paged_attention_ll4mi_QKV_mfma4_kernelIDF16_DF16_LN4vllm18Fp8KVCacheDataTypeE0EDF16_Li32ELi128ELi256ELb0ELi1EEvPKT_PKT0_S7_ifPKiS9_S9_iPKfiiiPfSC_PS2_PT2_iSB_SB_.has_recursion, or(0, .L__assert_fail.has_recursion)
	.set _Z38paged_attention_ll4mi_QKV_mfma4_kernelIDF16_DF16_LN4vllm18Fp8KVCacheDataTypeE0EDF16_Li32ELi128ELi256ELb0ELi1EEvPKT_PKT0_S7_ifPKiS9_S9_iPKfiiiPfSC_PS2_PT2_iSB_SB_.has_indirect_call, or(0, .L__assert_fail.has_indirect_call)
	.section	.AMDGPU.csdata,"",@progbits
; Kernel info:
; codeLenInByte = 68
; TotalNumSgprs: 36
; NumVgprs: 51
; ScratchSize: 64
; MemoryBound: 0
; FloatMode: 240
; IeeeMode: 1
; LDSByteSize: 0 bytes/workgroup (compile time only)
; SGPRBlocks: 0
; VGPRBlocks: 3
; NumSGPRsForWavesPerEU: 36
; NumVGPRsForWavesPerEU: 51
; NamedBarCnt: 0
; Occupancy: 16
; WaveLimiterHint : 1
; COMPUTE_PGM_RSRC2:SCRATCH_EN: 1
; COMPUTE_PGM_RSRC2:USER_SGPR: 2
; COMPUTE_PGM_RSRC2:TRAP_HANDLER: 0
; COMPUTE_PGM_RSRC2:TGID_X_EN: 1
; COMPUTE_PGM_RSRC2:TGID_Y_EN: 0
; COMPUTE_PGM_RSRC2:TGID_Z_EN: 0
; COMPUTE_PGM_RSRC2:TIDIG_COMP_CNT: 0
	.section	.text._Z38paged_attention_ll4mi_QKV_mfma4_kernelIDF16_DF16_LN4vllm18Fp8KVCacheDataTypeE0EDF16_Li32ELi128ELi256ELb0ELi2EEvPKT_PKT0_S7_ifPKiS9_S9_iPKfiiiPfSC_PS2_PT2_iSB_SB_,"axG",@progbits,_Z38paged_attention_ll4mi_QKV_mfma4_kernelIDF16_DF16_LN4vllm18Fp8KVCacheDataTypeE0EDF16_Li32ELi128ELi256ELb0ELi2EEvPKT_PKT0_S7_ifPKiS9_S9_iPKfiiiPfSC_PS2_PT2_iSB_SB_,comdat
	.protected	_Z38paged_attention_ll4mi_QKV_mfma4_kernelIDF16_DF16_LN4vllm18Fp8KVCacheDataTypeE0EDF16_Li32ELi128ELi256ELb0ELi2EEvPKT_PKT0_S7_ifPKiS9_S9_iPKfiiiPfSC_PS2_PT2_iSB_SB_ ; -- Begin function _Z38paged_attention_ll4mi_QKV_mfma4_kernelIDF16_DF16_LN4vllm18Fp8KVCacheDataTypeE0EDF16_Li32ELi128ELi256ELb0ELi2EEvPKT_PKT0_S7_ifPKiS9_S9_iPKfiiiPfSC_PS2_PT2_iSB_SB_
	.globl	_Z38paged_attention_ll4mi_QKV_mfma4_kernelIDF16_DF16_LN4vllm18Fp8KVCacheDataTypeE0EDF16_Li32ELi128ELi256ELb0ELi2EEvPKT_PKT0_S7_ifPKiS9_S9_iPKfiiiPfSC_PS2_PT2_iSB_SB_
	.p2align	8
	.type	_Z38paged_attention_ll4mi_QKV_mfma4_kernelIDF16_DF16_LN4vllm18Fp8KVCacheDataTypeE0EDF16_Li32ELi128ELi256ELb0ELi2EEvPKT_PKT0_S7_ifPKiS9_S9_iPKfiiiPfSC_PS2_PT2_iSB_SB_,@function
_Z38paged_attention_ll4mi_QKV_mfma4_kernelIDF16_DF16_LN4vllm18Fp8KVCacheDataTypeE0EDF16_Li32ELi128ELi256ELb0ELi2EEvPKT_PKT0_S7_ifPKiS9_S9_iPKfiiiPfSC_PS2_PT2_iSB_SB_: ; @_Z38paged_attention_ll4mi_QKV_mfma4_kernelIDF16_DF16_LN4vllm18Fp8KVCacheDataTypeE0EDF16_Li32ELi128ELi256ELb0ELi2EEvPKT_PKT0_S7_ifPKiS9_S9_iPKfiiiPfSC_PS2_PT2_iSB_SB_
; %bb.0:
	s_get_pc_i64 s[2:3]
	s_add_nc_u64 s[2:3], s[2:3], __PRETTY_FUNCTION__._Z38paged_attention_ll4mi_QKV_mfma4_kernelIDF16_DF16_LN4vllm18Fp8KVCacheDataTypeE0EDF16_Li32ELi128ELi256ELb0ELi2EEvPKT_PKT0_S7_ifPKiS9_S9_iPKfiiiPfSC_PS2_PT2_iSB_SB_@rel64+4
	s_delay_alu instid0(SALU_CYCLE_1)
	v_dual_mov_b32 v0, 0xbce :: v_dual_mov_b32 v1, s2
	v_mov_b32_e32 v2, s3
	s_add_nc_u64 s[8:9], s[0:1], 0x90
	s_get_pc_i64 s[0:1]
	s_add_nc_u64 s[0:1], s[0:1], __assert_fail@rel64+4
	s_mov_b32 s32, 0
	s_swap_pc_i64 s[30:31], s[0:1]
	.section	.rodata,"a",@progbits
	.p2align	6, 0x0
	.amdhsa_kernel _Z38paged_attention_ll4mi_QKV_mfma4_kernelIDF16_DF16_LN4vllm18Fp8KVCacheDataTypeE0EDF16_Li32ELi128ELi256ELb0ELi2EEvPKT_PKT0_S7_ifPKiS9_S9_iPKfiiiPfSC_PS2_PT2_iSB_SB_
		.amdhsa_group_segment_fixed_size 0
		.amdhsa_private_segment_fixed_size 64
		.amdhsa_kernarg_size 400
		.amdhsa_user_sgpr_count 2
		.amdhsa_user_sgpr_dispatch_ptr 0
		.amdhsa_user_sgpr_queue_ptr 0
		.amdhsa_user_sgpr_kernarg_segment_ptr 1
		.amdhsa_user_sgpr_dispatch_id 0
		.amdhsa_user_sgpr_kernarg_preload_length 0
		.amdhsa_user_sgpr_kernarg_preload_offset 0
		.amdhsa_user_sgpr_private_segment_size 0
		.amdhsa_wavefront_size32 1
		.amdhsa_uses_dynamic_stack 0
		.amdhsa_enable_private_segment 1
		.amdhsa_system_sgpr_workgroup_id_x 1
		.amdhsa_system_sgpr_workgroup_id_y 0
		.amdhsa_system_sgpr_workgroup_id_z 0
		.amdhsa_system_sgpr_workgroup_info 0
		.amdhsa_system_vgpr_workitem_id 0
		.amdhsa_next_free_vgpr 51
		.amdhsa_next_free_sgpr 34
		.amdhsa_named_barrier_count 0
		.amdhsa_reserve_vcc 1
		.amdhsa_float_round_mode_32 0
		.amdhsa_float_round_mode_16_64 0
		.amdhsa_float_denorm_mode_32 3
		.amdhsa_float_denorm_mode_16_64 3
		.amdhsa_fp16_overflow 0
		.amdhsa_memory_ordered 1
		.amdhsa_forward_progress 1
		.amdhsa_inst_pref_size 1
		.amdhsa_round_robin_scheduling 0
		.amdhsa_exception_fp_ieee_invalid_op 0
		.amdhsa_exception_fp_denorm_src 0
		.amdhsa_exception_fp_ieee_div_zero 0
		.amdhsa_exception_fp_ieee_overflow 0
		.amdhsa_exception_fp_ieee_underflow 0
		.amdhsa_exception_fp_ieee_inexact 0
		.amdhsa_exception_int_div_zero 0
	.end_amdhsa_kernel
	.section	.text._Z38paged_attention_ll4mi_QKV_mfma4_kernelIDF16_DF16_LN4vllm18Fp8KVCacheDataTypeE0EDF16_Li32ELi128ELi256ELb0ELi2EEvPKT_PKT0_S7_ifPKiS9_S9_iPKfiiiPfSC_PS2_PT2_iSB_SB_,"axG",@progbits,_Z38paged_attention_ll4mi_QKV_mfma4_kernelIDF16_DF16_LN4vllm18Fp8KVCacheDataTypeE0EDF16_Li32ELi128ELi256ELb0ELi2EEvPKT_PKT0_S7_ifPKiS9_S9_iPKfiiiPfSC_PS2_PT2_iSB_SB_,comdat
.Lfunc_end367:
	.size	_Z38paged_attention_ll4mi_QKV_mfma4_kernelIDF16_DF16_LN4vllm18Fp8KVCacheDataTypeE0EDF16_Li32ELi128ELi256ELb0ELi2EEvPKT_PKT0_S7_ifPKiS9_S9_iPKfiiiPfSC_PS2_PT2_iSB_SB_, .Lfunc_end367-_Z38paged_attention_ll4mi_QKV_mfma4_kernelIDF16_DF16_LN4vllm18Fp8KVCacheDataTypeE0EDF16_Li32ELi128ELi256ELb0ELi2EEvPKT_PKT0_S7_ifPKiS9_S9_iPKfiiiPfSC_PS2_PT2_iSB_SB_
                                        ; -- End function
	.set _Z38paged_attention_ll4mi_QKV_mfma4_kernelIDF16_DF16_LN4vllm18Fp8KVCacheDataTypeE0EDF16_Li32ELi128ELi256ELb0ELi2EEvPKT_PKT0_S7_ifPKiS9_S9_iPKfiiiPfSC_PS2_PT2_iSB_SB_.num_vgpr, max(3, .L__assert_fail.num_vgpr)
	.set _Z38paged_attention_ll4mi_QKV_mfma4_kernelIDF16_DF16_LN4vllm18Fp8KVCacheDataTypeE0EDF16_Li32ELi128ELi256ELb0ELi2EEvPKT_PKT0_S7_ifPKiS9_S9_iPKfiiiPfSC_PS2_PT2_iSB_SB_.num_agpr, max(0, .L__assert_fail.num_agpr)
	.set _Z38paged_attention_ll4mi_QKV_mfma4_kernelIDF16_DF16_LN4vllm18Fp8KVCacheDataTypeE0EDF16_Li32ELi128ELi256ELb0ELi2EEvPKT_PKT0_S7_ifPKiS9_S9_iPKfiiiPfSC_PS2_PT2_iSB_SB_.numbered_sgpr, max(33, .L__assert_fail.numbered_sgpr)
	.set _Z38paged_attention_ll4mi_QKV_mfma4_kernelIDF16_DF16_LN4vllm18Fp8KVCacheDataTypeE0EDF16_Li32ELi128ELi256ELb0ELi2EEvPKT_PKT0_S7_ifPKiS9_S9_iPKfiiiPfSC_PS2_PT2_iSB_SB_.num_named_barrier, max(0, .L__assert_fail.num_named_barrier)
	.set _Z38paged_attention_ll4mi_QKV_mfma4_kernelIDF16_DF16_LN4vllm18Fp8KVCacheDataTypeE0EDF16_Li32ELi128ELi256ELb0ELi2EEvPKT_PKT0_S7_ifPKiS9_S9_iPKfiiiPfSC_PS2_PT2_iSB_SB_.private_seg_size, 0+max(.L__assert_fail.private_seg_size)
	.set _Z38paged_attention_ll4mi_QKV_mfma4_kernelIDF16_DF16_LN4vllm18Fp8KVCacheDataTypeE0EDF16_Li32ELi128ELi256ELb0ELi2EEvPKT_PKT0_S7_ifPKiS9_S9_iPKfiiiPfSC_PS2_PT2_iSB_SB_.uses_vcc, or(1, .L__assert_fail.uses_vcc)
	.set _Z38paged_attention_ll4mi_QKV_mfma4_kernelIDF16_DF16_LN4vllm18Fp8KVCacheDataTypeE0EDF16_Li32ELi128ELi256ELb0ELi2EEvPKT_PKT0_S7_ifPKiS9_S9_iPKfiiiPfSC_PS2_PT2_iSB_SB_.uses_flat_scratch, or(0, .L__assert_fail.uses_flat_scratch)
	.set _Z38paged_attention_ll4mi_QKV_mfma4_kernelIDF16_DF16_LN4vllm18Fp8KVCacheDataTypeE0EDF16_Li32ELi128ELi256ELb0ELi2EEvPKT_PKT0_S7_ifPKiS9_S9_iPKfiiiPfSC_PS2_PT2_iSB_SB_.has_dyn_sized_stack, or(0, .L__assert_fail.has_dyn_sized_stack)
	.set _Z38paged_attention_ll4mi_QKV_mfma4_kernelIDF16_DF16_LN4vllm18Fp8KVCacheDataTypeE0EDF16_Li32ELi128ELi256ELb0ELi2EEvPKT_PKT0_S7_ifPKiS9_S9_iPKfiiiPfSC_PS2_PT2_iSB_SB_.has_recursion, or(0, .L__assert_fail.has_recursion)
	.set _Z38paged_attention_ll4mi_QKV_mfma4_kernelIDF16_DF16_LN4vllm18Fp8KVCacheDataTypeE0EDF16_Li32ELi128ELi256ELb0ELi2EEvPKT_PKT0_S7_ifPKiS9_S9_iPKfiiiPfSC_PS2_PT2_iSB_SB_.has_indirect_call, or(0, .L__assert_fail.has_indirect_call)
	.section	.AMDGPU.csdata,"",@progbits
; Kernel info:
; codeLenInByte = 68
; TotalNumSgprs: 36
; NumVgprs: 51
; ScratchSize: 64
; MemoryBound: 0
; FloatMode: 240
; IeeeMode: 1
; LDSByteSize: 0 bytes/workgroup (compile time only)
; SGPRBlocks: 0
; VGPRBlocks: 3
; NumSGPRsForWavesPerEU: 36
; NumVGPRsForWavesPerEU: 51
; NamedBarCnt: 0
; Occupancy: 16
; WaveLimiterHint : 1
; COMPUTE_PGM_RSRC2:SCRATCH_EN: 1
; COMPUTE_PGM_RSRC2:USER_SGPR: 2
; COMPUTE_PGM_RSRC2:TRAP_HANDLER: 0
; COMPUTE_PGM_RSRC2:TGID_X_EN: 1
; COMPUTE_PGM_RSRC2:TGID_Y_EN: 0
; COMPUTE_PGM_RSRC2:TGID_Z_EN: 0
; COMPUTE_PGM_RSRC2:TIDIG_COMP_CNT: 0
	.section	.text._Z38paged_attention_ll4mi_QKV_mfma4_kernelIDF16_DF16_LN4vllm18Fp8KVCacheDataTypeE0EDF16_Li32ELi128ELi256ELb0ELi3EEvPKT_PKT0_S7_ifPKiS9_S9_iPKfiiiPfSC_PS2_PT2_iSB_SB_,"axG",@progbits,_Z38paged_attention_ll4mi_QKV_mfma4_kernelIDF16_DF16_LN4vllm18Fp8KVCacheDataTypeE0EDF16_Li32ELi128ELi256ELb0ELi3EEvPKT_PKT0_S7_ifPKiS9_S9_iPKfiiiPfSC_PS2_PT2_iSB_SB_,comdat
	.protected	_Z38paged_attention_ll4mi_QKV_mfma4_kernelIDF16_DF16_LN4vllm18Fp8KVCacheDataTypeE0EDF16_Li32ELi128ELi256ELb0ELi3EEvPKT_PKT0_S7_ifPKiS9_S9_iPKfiiiPfSC_PS2_PT2_iSB_SB_ ; -- Begin function _Z38paged_attention_ll4mi_QKV_mfma4_kernelIDF16_DF16_LN4vllm18Fp8KVCacheDataTypeE0EDF16_Li32ELi128ELi256ELb0ELi3EEvPKT_PKT0_S7_ifPKiS9_S9_iPKfiiiPfSC_PS2_PT2_iSB_SB_
	.globl	_Z38paged_attention_ll4mi_QKV_mfma4_kernelIDF16_DF16_LN4vllm18Fp8KVCacheDataTypeE0EDF16_Li32ELi128ELi256ELb0ELi3EEvPKT_PKT0_S7_ifPKiS9_S9_iPKfiiiPfSC_PS2_PT2_iSB_SB_
	.p2align	8
	.type	_Z38paged_attention_ll4mi_QKV_mfma4_kernelIDF16_DF16_LN4vllm18Fp8KVCacheDataTypeE0EDF16_Li32ELi128ELi256ELb0ELi3EEvPKT_PKT0_S7_ifPKiS9_S9_iPKfiiiPfSC_PS2_PT2_iSB_SB_,@function
_Z38paged_attention_ll4mi_QKV_mfma4_kernelIDF16_DF16_LN4vllm18Fp8KVCacheDataTypeE0EDF16_Li32ELi128ELi256ELb0ELi3EEvPKT_PKT0_S7_ifPKiS9_S9_iPKfiiiPfSC_PS2_PT2_iSB_SB_: ; @_Z38paged_attention_ll4mi_QKV_mfma4_kernelIDF16_DF16_LN4vllm18Fp8KVCacheDataTypeE0EDF16_Li32ELi128ELi256ELb0ELi3EEvPKT_PKT0_S7_ifPKiS9_S9_iPKfiiiPfSC_PS2_PT2_iSB_SB_
; %bb.0:
	s_get_pc_i64 s[2:3]
	s_add_nc_u64 s[2:3], s[2:3], __PRETTY_FUNCTION__._Z38paged_attention_ll4mi_QKV_mfma4_kernelIDF16_DF16_LN4vllm18Fp8KVCacheDataTypeE0EDF16_Li32ELi128ELi256ELb0ELi3EEvPKT_PKT0_S7_ifPKiS9_S9_iPKfiiiPfSC_PS2_PT2_iSB_SB_@rel64+4
	s_delay_alu instid0(SALU_CYCLE_1)
	v_dual_mov_b32 v0, 0xbce :: v_dual_mov_b32 v1, s2
	v_mov_b32_e32 v2, s3
	s_add_nc_u64 s[8:9], s[0:1], 0x90
	s_get_pc_i64 s[0:1]
	s_add_nc_u64 s[0:1], s[0:1], __assert_fail@rel64+4
	s_mov_b32 s32, 0
	s_swap_pc_i64 s[30:31], s[0:1]
	.section	.rodata,"a",@progbits
	.p2align	6, 0x0
	.amdhsa_kernel _Z38paged_attention_ll4mi_QKV_mfma4_kernelIDF16_DF16_LN4vllm18Fp8KVCacheDataTypeE0EDF16_Li32ELi128ELi256ELb0ELi3EEvPKT_PKT0_S7_ifPKiS9_S9_iPKfiiiPfSC_PS2_PT2_iSB_SB_
		.amdhsa_group_segment_fixed_size 0
		.amdhsa_private_segment_fixed_size 64
		.amdhsa_kernarg_size 400
		.amdhsa_user_sgpr_count 2
		.amdhsa_user_sgpr_dispatch_ptr 0
		.amdhsa_user_sgpr_queue_ptr 0
		.amdhsa_user_sgpr_kernarg_segment_ptr 1
		.amdhsa_user_sgpr_dispatch_id 0
		.amdhsa_user_sgpr_kernarg_preload_length 0
		.amdhsa_user_sgpr_kernarg_preload_offset 0
		.amdhsa_user_sgpr_private_segment_size 0
		.amdhsa_wavefront_size32 1
		.amdhsa_uses_dynamic_stack 0
		.amdhsa_enable_private_segment 1
		.amdhsa_system_sgpr_workgroup_id_x 1
		.amdhsa_system_sgpr_workgroup_id_y 0
		.amdhsa_system_sgpr_workgroup_id_z 0
		.amdhsa_system_sgpr_workgroup_info 0
		.amdhsa_system_vgpr_workitem_id 0
		.amdhsa_next_free_vgpr 51
		.amdhsa_next_free_sgpr 34
		.amdhsa_named_barrier_count 0
		.amdhsa_reserve_vcc 1
		.amdhsa_float_round_mode_32 0
		.amdhsa_float_round_mode_16_64 0
		.amdhsa_float_denorm_mode_32 3
		.amdhsa_float_denorm_mode_16_64 3
		.amdhsa_fp16_overflow 0
		.amdhsa_memory_ordered 1
		.amdhsa_forward_progress 1
		.amdhsa_inst_pref_size 1
		.amdhsa_round_robin_scheduling 0
		.amdhsa_exception_fp_ieee_invalid_op 0
		.amdhsa_exception_fp_denorm_src 0
		.amdhsa_exception_fp_ieee_div_zero 0
		.amdhsa_exception_fp_ieee_overflow 0
		.amdhsa_exception_fp_ieee_underflow 0
		.amdhsa_exception_fp_ieee_inexact 0
		.amdhsa_exception_int_div_zero 0
	.end_amdhsa_kernel
	.section	.text._Z38paged_attention_ll4mi_QKV_mfma4_kernelIDF16_DF16_LN4vllm18Fp8KVCacheDataTypeE0EDF16_Li32ELi128ELi256ELb0ELi3EEvPKT_PKT0_S7_ifPKiS9_S9_iPKfiiiPfSC_PS2_PT2_iSB_SB_,"axG",@progbits,_Z38paged_attention_ll4mi_QKV_mfma4_kernelIDF16_DF16_LN4vllm18Fp8KVCacheDataTypeE0EDF16_Li32ELi128ELi256ELb0ELi3EEvPKT_PKT0_S7_ifPKiS9_S9_iPKfiiiPfSC_PS2_PT2_iSB_SB_,comdat
.Lfunc_end368:
	.size	_Z38paged_attention_ll4mi_QKV_mfma4_kernelIDF16_DF16_LN4vllm18Fp8KVCacheDataTypeE0EDF16_Li32ELi128ELi256ELb0ELi3EEvPKT_PKT0_S7_ifPKiS9_S9_iPKfiiiPfSC_PS2_PT2_iSB_SB_, .Lfunc_end368-_Z38paged_attention_ll4mi_QKV_mfma4_kernelIDF16_DF16_LN4vllm18Fp8KVCacheDataTypeE0EDF16_Li32ELi128ELi256ELb0ELi3EEvPKT_PKT0_S7_ifPKiS9_S9_iPKfiiiPfSC_PS2_PT2_iSB_SB_
                                        ; -- End function
	.set _Z38paged_attention_ll4mi_QKV_mfma4_kernelIDF16_DF16_LN4vllm18Fp8KVCacheDataTypeE0EDF16_Li32ELi128ELi256ELb0ELi3EEvPKT_PKT0_S7_ifPKiS9_S9_iPKfiiiPfSC_PS2_PT2_iSB_SB_.num_vgpr, max(3, .L__assert_fail.num_vgpr)
	.set _Z38paged_attention_ll4mi_QKV_mfma4_kernelIDF16_DF16_LN4vllm18Fp8KVCacheDataTypeE0EDF16_Li32ELi128ELi256ELb0ELi3EEvPKT_PKT0_S7_ifPKiS9_S9_iPKfiiiPfSC_PS2_PT2_iSB_SB_.num_agpr, max(0, .L__assert_fail.num_agpr)
	.set _Z38paged_attention_ll4mi_QKV_mfma4_kernelIDF16_DF16_LN4vllm18Fp8KVCacheDataTypeE0EDF16_Li32ELi128ELi256ELb0ELi3EEvPKT_PKT0_S7_ifPKiS9_S9_iPKfiiiPfSC_PS2_PT2_iSB_SB_.numbered_sgpr, max(33, .L__assert_fail.numbered_sgpr)
	.set _Z38paged_attention_ll4mi_QKV_mfma4_kernelIDF16_DF16_LN4vllm18Fp8KVCacheDataTypeE0EDF16_Li32ELi128ELi256ELb0ELi3EEvPKT_PKT0_S7_ifPKiS9_S9_iPKfiiiPfSC_PS2_PT2_iSB_SB_.num_named_barrier, max(0, .L__assert_fail.num_named_barrier)
	.set _Z38paged_attention_ll4mi_QKV_mfma4_kernelIDF16_DF16_LN4vllm18Fp8KVCacheDataTypeE0EDF16_Li32ELi128ELi256ELb0ELi3EEvPKT_PKT0_S7_ifPKiS9_S9_iPKfiiiPfSC_PS2_PT2_iSB_SB_.private_seg_size, 0+max(.L__assert_fail.private_seg_size)
	.set _Z38paged_attention_ll4mi_QKV_mfma4_kernelIDF16_DF16_LN4vllm18Fp8KVCacheDataTypeE0EDF16_Li32ELi128ELi256ELb0ELi3EEvPKT_PKT0_S7_ifPKiS9_S9_iPKfiiiPfSC_PS2_PT2_iSB_SB_.uses_vcc, or(1, .L__assert_fail.uses_vcc)
	.set _Z38paged_attention_ll4mi_QKV_mfma4_kernelIDF16_DF16_LN4vllm18Fp8KVCacheDataTypeE0EDF16_Li32ELi128ELi256ELb0ELi3EEvPKT_PKT0_S7_ifPKiS9_S9_iPKfiiiPfSC_PS2_PT2_iSB_SB_.uses_flat_scratch, or(0, .L__assert_fail.uses_flat_scratch)
	.set _Z38paged_attention_ll4mi_QKV_mfma4_kernelIDF16_DF16_LN4vllm18Fp8KVCacheDataTypeE0EDF16_Li32ELi128ELi256ELb0ELi3EEvPKT_PKT0_S7_ifPKiS9_S9_iPKfiiiPfSC_PS2_PT2_iSB_SB_.has_dyn_sized_stack, or(0, .L__assert_fail.has_dyn_sized_stack)
	.set _Z38paged_attention_ll4mi_QKV_mfma4_kernelIDF16_DF16_LN4vllm18Fp8KVCacheDataTypeE0EDF16_Li32ELi128ELi256ELb0ELi3EEvPKT_PKT0_S7_ifPKiS9_S9_iPKfiiiPfSC_PS2_PT2_iSB_SB_.has_recursion, or(0, .L__assert_fail.has_recursion)
	.set _Z38paged_attention_ll4mi_QKV_mfma4_kernelIDF16_DF16_LN4vllm18Fp8KVCacheDataTypeE0EDF16_Li32ELi128ELi256ELb0ELi3EEvPKT_PKT0_S7_ifPKiS9_S9_iPKfiiiPfSC_PS2_PT2_iSB_SB_.has_indirect_call, or(0, .L__assert_fail.has_indirect_call)
	.section	.AMDGPU.csdata,"",@progbits
; Kernel info:
; codeLenInByte = 68
; TotalNumSgprs: 36
; NumVgprs: 51
; ScratchSize: 64
; MemoryBound: 0
; FloatMode: 240
; IeeeMode: 1
; LDSByteSize: 0 bytes/workgroup (compile time only)
; SGPRBlocks: 0
; VGPRBlocks: 3
; NumSGPRsForWavesPerEU: 36
; NumVGPRsForWavesPerEU: 51
; NamedBarCnt: 0
; Occupancy: 16
; WaveLimiterHint : 1
; COMPUTE_PGM_RSRC2:SCRATCH_EN: 1
; COMPUTE_PGM_RSRC2:USER_SGPR: 2
; COMPUTE_PGM_RSRC2:TRAP_HANDLER: 0
; COMPUTE_PGM_RSRC2:TGID_X_EN: 1
; COMPUTE_PGM_RSRC2:TGID_Y_EN: 0
; COMPUTE_PGM_RSRC2:TGID_Z_EN: 0
; COMPUTE_PGM_RSRC2:TIDIG_COMP_CNT: 0
	.section	.text._Z38paged_attention_ll4mi_QKV_mfma4_kernelIDF16_DF16_LN4vllm18Fp8KVCacheDataTypeE0EDF16_Li32ELi128ELi256ELb0ELi4EEvPKT_PKT0_S7_ifPKiS9_S9_iPKfiiiPfSC_PS2_PT2_iSB_SB_,"axG",@progbits,_Z38paged_attention_ll4mi_QKV_mfma4_kernelIDF16_DF16_LN4vllm18Fp8KVCacheDataTypeE0EDF16_Li32ELi128ELi256ELb0ELi4EEvPKT_PKT0_S7_ifPKiS9_S9_iPKfiiiPfSC_PS2_PT2_iSB_SB_,comdat
	.protected	_Z38paged_attention_ll4mi_QKV_mfma4_kernelIDF16_DF16_LN4vllm18Fp8KVCacheDataTypeE0EDF16_Li32ELi128ELi256ELb0ELi4EEvPKT_PKT0_S7_ifPKiS9_S9_iPKfiiiPfSC_PS2_PT2_iSB_SB_ ; -- Begin function _Z38paged_attention_ll4mi_QKV_mfma4_kernelIDF16_DF16_LN4vllm18Fp8KVCacheDataTypeE0EDF16_Li32ELi128ELi256ELb0ELi4EEvPKT_PKT0_S7_ifPKiS9_S9_iPKfiiiPfSC_PS2_PT2_iSB_SB_
	.globl	_Z38paged_attention_ll4mi_QKV_mfma4_kernelIDF16_DF16_LN4vllm18Fp8KVCacheDataTypeE0EDF16_Li32ELi128ELi256ELb0ELi4EEvPKT_PKT0_S7_ifPKiS9_S9_iPKfiiiPfSC_PS2_PT2_iSB_SB_
	.p2align	8
	.type	_Z38paged_attention_ll4mi_QKV_mfma4_kernelIDF16_DF16_LN4vllm18Fp8KVCacheDataTypeE0EDF16_Li32ELi128ELi256ELb0ELi4EEvPKT_PKT0_S7_ifPKiS9_S9_iPKfiiiPfSC_PS2_PT2_iSB_SB_,@function
_Z38paged_attention_ll4mi_QKV_mfma4_kernelIDF16_DF16_LN4vllm18Fp8KVCacheDataTypeE0EDF16_Li32ELi128ELi256ELb0ELi4EEvPKT_PKT0_S7_ifPKiS9_S9_iPKfiiiPfSC_PS2_PT2_iSB_SB_: ; @_Z38paged_attention_ll4mi_QKV_mfma4_kernelIDF16_DF16_LN4vllm18Fp8KVCacheDataTypeE0EDF16_Li32ELi128ELi256ELb0ELi4EEvPKT_PKT0_S7_ifPKiS9_S9_iPKfiiiPfSC_PS2_PT2_iSB_SB_
; %bb.0:
	s_get_pc_i64 s[2:3]
	s_add_nc_u64 s[2:3], s[2:3], __PRETTY_FUNCTION__._Z38paged_attention_ll4mi_QKV_mfma4_kernelIDF16_DF16_LN4vllm18Fp8KVCacheDataTypeE0EDF16_Li32ELi128ELi256ELb0ELi4EEvPKT_PKT0_S7_ifPKiS9_S9_iPKfiiiPfSC_PS2_PT2_iSB_SB_@rel64+4
	s_delay_alu instid0(SALU_CYCLE_1)
	v_dual_mov_b32 v0, 0xbce :: v_dual_mov_b32 v1, s2
	v_mov_b32_e32 v2, s3
	s_add_nc_u64 s[8:9], s[0:1], 0x90
	s_get_pc_i64 s[0:1]
	s_add_nc_u64 s[0:1], s[0:1], __assert_fail@rel64+4
	s_mov_b32 s32, 0
	s_swap_pc_i64 s[30:31], s[0:1]
	.section	.rodata,"a",@progbits
	.p2align	6, 0x0
	.amdhsa_kernel _Z38paged_attention_ll4mi_QKV_mfma4_kernelIDF16_DF16_LN4vllm18Fp8KVCacheDataTypeE0EDF16_Li32ELi128ELi256ELb0ELi4EEvPKT_PKT0_S7_ifPKiS9_S9_iPKfiiiPfSC_PS2_PT2_iSB_SB_
		.amdhsa_group_segment_fixed_size 0
		.amdhsa_private_segment_fixed_size 64
		.amdhsa_kernarg_size 400
		.amdhsa_user_sgpr_count 2
		.amdhsa_user_sgpr_dispatch_ptr 0
		.amdhsa_user_sgpr_queue_ptr 0
		.amdhsa_user_sgpr_kernarg_segment_ptr 1
		.amdhsa_user_sgpr_dispatch_id 0
		.amdhsa_user_sgpr_kernarg_preload_length 0
		.amdhsa_user_sgpr_kernarg_preload_offset 0
		.amdhsa_user_sgpr_private_segment_size 0
		.amdhsa_wavefront_size32 1
		.amdhsa_uses_dynamic_stack 0
		.amdhsa_enable_private_segment 1
		.amdhsa_system_sgpr_workgroup_id_x 1
		.amdhsa_system_sgpr_workgroup_id_y 0
		.amdhsa_system_sgpr_workgroup_id_z 0
		.amdhsa_system_sgpr_workgroup_info 0
		.amdhsa_system_vgpr_workitem_id 0
		.amdhsa_next_free_vgpr 51
		.amdhsa_next_free_sgpr 34
		.amdhsa_named_barrier_count 0
		.amdhsa_reserve_vcc 1
		.amdhsa_float_round_mode_32 0
		.amdhsa_float_round_mode_16_64 0
		.amdhsa_float_denorm_mode_32 3
		.amdhsa_float_denorm_mode_16_64 3
		.amdhsa_fp16_overflow 0
		.amdhsa_memory_ordered 1
		.amdhsa_forward_progress 1
		.amdhsa_inst_pref_size 1
		.amdhsa_round_robin_scheduling 0
		.amdhsa_exception_fp_ieee_invalid_op 0
		.amdhsa_exception_fp_denorm_src 0
		.amdhsa_exception_fp_ieee_div_zero 0
		.amdhsa_exception_fp_ieee_overflow 0
		.amdhsa_exception_fp_ieee_underflow 0
		.amdhsa_exception_fp_ieee_inexact 0
		.amdhsa_exception_int_div_zero 0
	.end_amdhsa_kernel
	.section	.text._Z38paged_attention_ll4mi_QKV_mfma4_kernelIDF16_DF16_LN4vllm18Fp8KVCacheDataTypeE0EDF16_Li32ELi128ELi256ELb0ELi4EEvPKT_PKT0_S7_ifPKiS9_S9_iPKfiiiPfSC_PS2_PT2_iSB_SB_,"axG",@progbits,_Z38paged_attention_ll4mi_QKV_mfma4_kernelIDF16_DF16_LN4vllm18Fp8KVCacheDataTypeE0EDF16_Li32ELi128ELi256ELb0ELi4EEvPKT_PKT0_S7_ifPKiS9_S9_iPKfiiiPfSC_PS2_PT2_iSB_SB_,comdat
.Lfunc_end369:
	.size	_Z38paged_attention_ll4mi_QKV_mfma4_kernelIDF16_DF16_LN4vllm18Fp8KVCacheDataTypeE0EDF16_Li32ELi128ELi256ELb0ELi4EEvPKT_PKT0_S7_ifPKiS9_S9_iPKfiiiPfSC_PS2_PT2_iSB_SB_, .Lfunc_end369-_Z38paged_attention_ll4mi_QKV_mfma4_kernelIDF16_DF16_LN4vllm18Fp8KVCacheDataTypeE0EDF16_Li32ELi128ELi256ELb0ELi4EEvPKT_PKT0_S7_ifPKiS9_S9_iPKfiiiPfSC_PS2_PT2_iSB_SB_
                                        ; -- End function
	.set _Z38paged_attention_ll4mi_QKV_mfma4_kernelIDF16_DF16_LN4vllm18Fp8KVCacheDataTypeE0EDF16_Li32ELi128ELi256ELb0ELi4EEvPKT_PKT0_S7_ifPKiS9_S9_iPKfiiiPfSC_PS2_PT2_iSB_SB_.num_vgpr, max(3, .L__assert_fail.num_vgpr)
	.set _Z38paged_attention_ll4mi_QKV_mfma4_kernelIDF16_DF16_LN4vllm18Fp8KVCacheDataTypeE0EDF16_Li32ELi128ELi256ELb0ELi4EEvPKT_PKT0_S7_ifPKiS9_S9_iPKfiiiPfSC_PS2_PT2_iSB_SB_.num_agpr, max(0, .L__assert_fail.num_agpr)
	.set _Z38paged_attention_ll4mi_QKV_mfma4_kernelIDF16_DF16_LN4vllm18Fp8KVCacheDataTypeE0EDF16_Li32ELi128ELi256ELb0ELi4EEvPKT_PKT0_S7_ifPKiS9_S9_iPKfiiiPfSC_PS2_PT2_iSB_SB_.numbered_sgpr, max(33, .L__assert_fail.numbered_sgpr)
	.set _Z38paged_attention_ll4mi_QKV_mfma4_kernelIDF16_DF16_LN4vllm18Fp8KVCacheDataTypeE0EDF16_Li32ELi128ELi256ELb0ELi4EEvPKT_PKT0_S7_ifPKiS9_S9_iPKfiiiPfSC_PS2_PT2_iSB_SB_.num_named_barrier, max(0, .L__assert_fail.num_named_barrier)
	.set _Z38paged_attention_ll4mi_QKV_mfma4_kernelIDF16_DF16_LN4vllm18Fp8KVCacheDataTypeE0EDF16_Li32ELi128ELi256ELb0ELi4EEvPKT_PKT0_S7_ifPKiS9_S9_iPKfiiiPfSC_PS2_PT2_iSB_SB_.private_seg_size, 0+max(.L__assert_fail.private_seg_size)
	.set _Z38paged_attention_ll4mi_QKV_mfma4_kernelIDF16_DF16_LN4vllm18Fp8KVCacheDataTypeE0EDF16_Li32ELi128ELi256ELb0ELi4EEvPKT_PKT0_S7_ifPKiS9_S9_iPKfiiiPfSC_PS2_PT2_iSB_SB_.uses_vcc, or(1, .L__assert_fail.uses_vcc)
	.set _Z38paged_attention_ll4mi_QKV_mfma4_kernelIDF16_DF16_LN4vllm18Fp8KVCacheDataTypeE0EDF16_Li32ELi128ELi256ELb0ELi4EEvPKT_PKT0_S7_ifPKiS9_S9_iPKfiiiPfSC_PS2_PT2_iSB_SB_.uses_flat_scratch, or(0, .L__assert_fail.uses_flat_scratch)
	.set _Z38paged_attention_ll4mi_QKV_mfma4_kernelIDF16_DF16_LN4vllm18Fp8KVCacheDataTypeE0EDF16_Li32ELi128ELi256ELb0ELi4EEvPKT_PKT0_S7_ifPKiS9_S9_iPKfiiiPfSC_PS2_PT2_iSB_SB_.has_dyn_sized_stack, or(0, .L__assert_fail.has_dyn_sized_stack)
	.set _Z38paged_attention_ll4mi_QKV_mfma4_kernelIDF16_DF16_LN4vllm18Fp8KVCacheDataTypeE0EDF16_Li32ELi128ELi256ELb0ELi4EEvPKT_PKT0_S7_ifPKiS9_S9_iPKfiiiPfSC_PS2_PT2_iSB_SB_.has_recursion, or(0, .L__assert_fail.has_recursion)
	.set _Z38paged_attention_ll4mi_QKV_mfma4_kernelIDF16_DF16_LN4vllm18Fp8KVCacheDataTypeE0EDF16_Li32ELi128ELi256ELb0ELi4EEvPKT_PKT0_S7_ifPKiS9_S9_iPKfiiiPfSC_PS2_PT2_iSB_SB_.has_indirect_call, or(0, .L__assert_fail.has_indirect_call)
	.section	.AMDGPU.csdata,"",@progbits
; Kernel info:
; codeLenInByte = 68
; TotalNumSgprs: 36
; NumVgprs: 51
; ScratchSize: 64
; MemoryBound: 0
; FloatMode: 240
; IeeeMode: 1
; LDSByteSize: 0 bytes/workgroup (compile time only)
; SGPRBlocks: 0
; VGPRBlocks: 3
; NumSGPRsForWavesPerEU: 36
; NumVGPRsForWavesPerEU: 51
; NamedBarCnt: 0
; Occupancy: 16
; WaveLimiterHint : 1
; COMPUTE_PGM_RSRC2:SCRATCH_EN: 1
; COMPUTE_PGM_RSRC2:USER_SGPR: 2
; COMPUTE_PGM_RSRC2:TRAP_HANDLER: 0
; COMPUTE_PGM_RSRC2:TGID_X_EN: 1
; COMPUTE_PGM_RSRC2:TGID_Y_EN: 0
; COMPUTE_PGM_RSRC2:TGID_Z_EN: 0
; COMPUTE_PGM_RSRC2:TIDIG_COMP_CNT: 0
	.section	.text._Z39paged_attention_ll4mi_QKV_mfma16_kernelIDF16_DF16_LN4vllm18Fp8KVCacheDataTypeE0EDF16_Li32ELi128ELi256ELb0ELi5EEvPKT_PKT0_S7_ifPKiS9_S9_iPKfiiiPfSC_PS2_PT2_iSB_SB_,"axG",@progbits,_Z39paged_attention_ll4mi_QKV_mfma16_kernelIDF16_DF16_LN4vllm18Fp8KVCacheDataTypeE0EDF16_Li32ELi128ELi256ELb0ELi5EEvPKT_PKT0_S7_ifPKiS9_S9_iPKfiiiPfSC_PS2_PT2_iSB_SB_,comdat
	.protected	_Z39paged_attention_ll4mi_QKV_mfma16_kernelIDF16_DF16_LN4vllm18Fp8KVCacheDataTypeE0EDF16_Li32ELi128ELi256ELb0ELi5EEvPKT_PKT0_S7_ifPKiS9_S9_iPKfiiiPfSC_PS2_PT2_iSB_SB_ ; -- Begin function _Z39paged_attention_ll4mi_QKV_mfma16_kernelIDF16_DF16_LN4vllm18Fp8KVCacheDataTypeE0EDF16_Li32ELi128ELi256ELb0ELi5EEvPKT_PKT0_S7_ifPKiS9_S9_iPKfiiiPfSC_PS2_PT2_iSB_SB_
	.globl	_Z39paged_attention_ll4mi_QKV_mfma16_kernelIDF16_DF16_LN4vllm18Fp8KVCacheDataTypeE0EDF16_Li32ELi128ELi256ELb0ELi5EEvPKT_PKT0_S7_ifPKiS9_S9_iPKfiiiPfSC_PS2_PT2_iSB_SB_
	.p2align	8
	.type	_Z39paged_attention_ll4mi_QKV_mfma16_kernelIDF16_DF16_LN4vllm18Fp8KVCacheDataTypeE0EDF16_Li32ELi128ELi256ELb0ELi5EEvPKT_PKT0_S7_ifPKiS9_S9_iPKfiiiPfSC_PS2_PT2_iSB_SB_,@function
_Z39paged_attention_ll4mi_QKV_mfma16_kernelIDF16_DF16_LN4vllm18Fp8KVCacheDataTypeE0EDF16_Li32ELi128ELi256ELb0ELi5EEvPKT_PKT0_S7_ifPKiS9_S9_iPKfiiiPfSC_PS2_PT2_iSB_SB_: ; @_Z39paged_attention_ll4mi_QKV_mfma16_kernelIDF16_DF16_LN4vllm18Fp8KVCacheDataTypeE0EDF16_Li32ELi128ELi256ELb0ELi5EEvPKT_PKT0_S7_ifPKiS9_S9_iPKfiiiPfSC_PS2_PT2_iSB_SB_
; %bb.0:
	s_get_pc_i64 s[2:3]
	s_add_nc_u64 s[2:3], s[2:3], __PRETTY_FUNCTION__._Z39paged_attention_ll4mi_QKV_mfma16_kernelIDF16_DF16_LN4vllm18Fp8KVCacheDataTypeE0EDF16_Li32ELi128ELi256ELb0ELi5EEvPKT_PKT0_S7_ifPKiS9_S9_iPKfiiiPfSC_PS2_PT2_iSB_SB_@rel64+4
	s_delay_alu instid0(SALU_CYCLE_1)
	v_dual_mov_b32 v0, 0xbb3 :: v_dual_mov_b32 v1, s2
	v_mov_b32_e32 v2, s3
	s_add_nc_u64 s[8:9], s[0:1], 0x90
	s_get_pc_i64 s[0:1]
	s_add_nc_u64 s[0:1], s[0:1], __assert_fail@rel64+4
	s_mov_b32 s32, 0
	s_swap_pc_i64 s[30:31], s[0:1]
	.section	.rodata,"a",@progbits
	.p2align	6, 0x0
	.amdhsa_kernel _Z39paged_attention_ll4mi_QKV_mfma16_kernelIDF16_DF16_LN4vllm18Fp8KVCacheDataTypeE0EDF16_Li32ELi128ELi256ELb0ELi5EEvPKT_PKT0_S7_ifPKiS9_S9_iPKfiiiPfSC_PS2_PT2_iSB_SB_
		.amdhsa_group_segment_fixed_size 0
		.amdhsa_private_segment_fixed_size 64
		.amdhsa_kernarg_size 400
		.amdhsa_user_sgpr_count 2
		.amdhsa_user_sgpr_dispatch_ptr 0
		.amdhsa_user_sgpr_queue_ptr 0
		.amdhsa_user_sgpr_kernarg_segment_ptr 1
		.amdhsa_user_sgpr_dispatch_id 0
		.amdhsa_user_sgpr_kernarg_preload_length 0
		.amdhsa_user_sgpr_kernarg_preload_offset 0
		.amdhsa_user_sgpr_private_segment_size 0
		.amdhsa_wavefront_size32 1
		.amdhsa_uses_dynamic_stack 0
		.amdhsa_enable_private_segment 1
		.amdhsa_system_sgpr_workgroup_id_x 1
		.amdhsa_system_sgpr_workgroup_id_y 0
		.amdhsa_system_sgpr_workgroup_id_z 0
		.amdhsa_system_sgpr_workgroup_info 0
		.amdhsa_system_vgpr_workitem_id 0
		.amdhsa_next_free_vgpr 51
		.amdhsa_next_free_sgpr 34
		.amdhsa_named_barrier_count 0
		.amdhsa_reserve_vcc 1
		.amdhsa_float_round_mode_32 0
		.amdhsa_float_round_mode_16_64 0
		.amdhsa_float_denorm_mode_32 3
		.amdhsa_float_denorm_mode_16_64 3
		.amdhsa_fp16_overflow 0
		.amdhsa_memory_ordered 1
		.amdhsa_forward_progress 1
		.amdhsa_inst_pref_size 1
		.amdhsa_round_robin_scheduling 0
		.amdhsa_exception_fp_ieee_invalid_op 0
		.amdhsa_exception_fp_denorm_src 0
		.amdhsa_exception_fp_ieee_div_zero 0
		.amdhsa_exception_fp_ieee_overflow 0
		.amdhsa_exception_fp_ieee_underflow 0
		.amdhsa_exception_fp_ieee_inexact 0
		.amdhsa_exception_int_div_zero 0
	.end_amdhsa_kernel
	.section	.text._Z39paged_attention_ll4mi_QKV_mfma16_kernelIDF16_DF16_LN4vllm18Fp8KVCacheDataTypeE0EDF16_Li32ELi128ELi256ELb0ELi5EEvPKT_PKT0_S7_ifPKiS9_S9_iPKfiiiPfSC_PS2_PT2_iSB_SB_,"axG",@progbits,_Z39paged_attention_ll4mi_QKV_mfma16_kernelIDF16_DF16_LN4vllm18Fp8KVCacheDataTypeE0EDF16_Li32ELi128ELi256ELb0ELi5EEvPKT_PKT0_S7_ifPKiS9_S9_iPKfiiiPfSC_PS2_PT2_iSB_SB_,comdat
.Lfunc_end370:
	.size	_Z39paged_attention_ll4mi_QKV_mfma16_kernelIDF16_DF16_LN4vllm18Fp8KVCacheDataTypeE0EDF16_Li32ELi128ELi256ELb0ELi5EEvPKT_PKT0_S7_ifPKiS9_S9_iPKfiiiPfSC_PS2_PT2_iSB_SB_, .Lfunc_end370-_Z39paged_attention_ll4mi_QKV_mfma16_kernelIDF16_DF16_LN4vllm18Fp8KVCacheDataTypeE0EDF16_Li32ELi128ELi256ELb0ELi5EEvPKT_PKT0_S7_ifPKiS9_S9_iPKfiiiPfSC_PS2_PT2_iSB_SB_
                                        ; -- End function
	.set _Z39paged_attention_ll4mi_QKV_mfma16_kernelIDF16_DF16_LN4vllm18Fp8KVCacheDataTypeE0EDF16_Li32ELi128ELi256ELb0ELi5EEvPKT_PKT0_S7_ifPKiS9_S9_iPKfiiiPfSC_PS2_PT2_iSB_SB_.num_vgpr, max(3, .L__assert_fail.num_vgpr)
	.set _Z39paged_attention_ll4mi_QKV_mfma16_kernelIDF16_DF16_LN4vllm18Fp8KVCacheDataTypeE0EDF16_Li32ELi128ELi256ELb0ELi5EEvPKT_PKT0_S7_ifPKiS9_S9_iPKfiiiPfSC_PS2_PT2_iSB_SB_.num_agpr, max(0, .L__assert_fail.num_agpr)
	.set _Z39paged_attention_ll4mi_QKV_mfma16_kernelIDF16_DF16_LN4vllm18Fp8KVCacheDataTypeE0EDF16_Li32ELi128ELi256ELb0ELi5EEvPKT_PKT0_S7_ifPKiS9_S9_iPKfiiiPfSC_PS2_PT2_iSB_SB_.numbered_sgpr, max(33, .L__assert_fail.numbered_sgpr)
	.set _Z39paged_attention_ll4mi_QKV_mfma16_kernelIDF16_DF16_LN4vllm18Fp8KVCacheDataTypeE0EDF16_Li32ELi128ELi256ELb0ELi5EEvPKT_PKT0_S7_ifPKiS9_S9_iPKfiiiPfSC_PS2_PT2_iSB_SB_.num_named_barrier, max(0, .L__assert_fail.num_named_barrier)
	.set _Z39paged_attention_ll4mi_QKV_mfma16_kernelIDF16_DF16_LN4vllm18Fp8KVCacheDataTypeE0EDF16_Li32ELi128ELi256ELb0ELi5EEvPKT_PKT0_S7_ifPKiS9_S9_iPKfiiiPfSC_PS2_PT2_iSB_SB_.private_seg_size, 0+max(.L__assert_fail.private_seg_size)
	.set _Z39paged_attention_ll4mi_QKV_mfma16_kernelIDF16_DF16_LN4vllm18Fp8KVCacheDataTypeE0EDF16_Li32ELi128ELi256ELb0ELi5EEvPKT_PKT0_S7_ifPKiS9_S9_iPKfiiiPfSC_PS2_PT2_iSB_SB_.uses_vcc, or(1, .L__assert_fail.uses_vcc)
	.set _Z39paged_attention_ll4mi_QKV_mfma16_kernelIDF16_DF16_LN4vllm18Fp8KVCacheDataTypeE0EDF16_Li32ELi128ELi256ELb0ELi5EEvPKT_PKT0_S7_ifPKiS9_S9_iPKfiiiPfSC_PS2_PT2_iSB_SB_.uses_flat_scratch, or(0, .L__assert_fail.uses_flat_scratch)
	.set _Z39paged_attention_ll4mi_QKV_mfma16_kernelIDF16_DF16_LN4vllm18Fp8KVCacheDataTypeE0EDF16_Li32ELi128ELi256ELb0ELi5EEvPKT_PKT0_S7_ifPKiS9_S9_iPKfiiiPfSC_PS2_PT2_iSB_SB_.has_dyn_sized_stack, or(0, .L__assert_fail.has_dyn_sized_stack)
	.set _Z39paged_attention_ll4mi_QKV_mfma16_kernelIDF16_DF16_LN4vllm18Fp8KVCacheDataTypeE0EDF16_Li32ELi128ELi256ELb0ELi5EEvPKT_PKT0_S7_ifPKiS9_S9_iPKfiiiPfSC_PS2_PT2_iSB_SB_.has_recursion, or(0, .L__assert_fail.has_recursion)
	.set _Z39paged_attention_ll4mi_QKV_mfma16_kernelIDF16_DF16_LN4vllm18Fp8KVCacheDataTypeE0EDF16_Li32ELi128ELi256ELb0ELi5EEvPKT_PKT0_S7_ifPKiS9_S9_iPKfiiiPfSC_PS2_PT2_iSB_SB_.has_indirect_call, or(0, .L__assert_fail.has_indirect_call)
	.section	.AMDGPU.csdata,"",@progbits
; Kernel info:
; codeLenInByte = 68
; TotalNumSgprs: 36
; NumVgprs: 51
; ScratchSize: 64
; MemoryBound: 0
; FloatMode: 240
; IeeeMode: 1
; LDSByteSize: 0 bytes/workgroup (compile time only)
; SGPRBlocks: 0
; VGPRBlocks: 3
; NumSGPRsForWavesPerEU: 36
; NumVGPRsForWavesPerEU: 51
; NamedBarCnt: 0
; Occupancy: 16
; WaveLimiterHint : 1
; COMPUTE_PGM_RSRC2:SCRATCH_EN: 1
; COMPUTE_PGM_RSRC2:USER_SGPR: 2
; COMPUTE_PGM_RSRC2:TRAP_HANDLER: 0
; COMPUTE_PGM_RSRC2:TGID_X_EN: 1
; COMPUTE_PGM_RSRC2:TGID_Y_EN: 0
; COMPUTE_PGM_RSRC2:TGID_Z_EN: 0
; COMPUTE_PGM_RSRC2:TIDIG_COMP_CNT: 0
	.section	.text._Z39paged_attention_ll4mi_QKV_mfma16_kernelIDF16_DF16_LN4vllm18Fp8KVCacheDataTypeE0EDF16_Li32ELi128ELi256ELb0ELi6EEvPKT_PKT0_S7_ifPKiS9_S9_iPKfiiiPfSC_PS2_PT2_iSB_SB_,"axG",@progbits,_Z39paged_attention_ll4mi_QKV_mfma16_kernelIDF16_DF16_LN4vllm18Fp8KVCacheDataTypeE0EDF16_Li32ELi128ELi256ELb0ELi6EEvPKT_PKT0_S7_ifPKiS9_S9_iPKfiiiPfSC_PS2_PT2_iSB_SB_,comdat
	.protected	_Z39paged_attention_ll4mi_QKV_mfma16_kernelIDF16_DF16_LN4vllm18Fp8KVCacheDataTypeE0EDF16_Li32ELi128ELi256ELb0ELi6EEvPKT_PKT0_S7_ifPKiS9_S9_iPKfiiiPfSC_PS2_PT2_iSB_SB_ ; -- Begin function _Z39paged_attention_ll4mi_QKV_mfma16_kernelIDF16_DF16_LN4vllm18Fp8KVCacheDataTypeE0EDF16_Li32ELi128ELi256ELb0ELi6EEvPKT_PKT0_S7_ifPKiS9_S9_iPKfiiiPfSC_PS2_PT2_iSB_SB_
	.globl	_Z39paged_attention_ll4mi_QKV_mfma16_kernelIDF16_DF16_LN4vllm18Fp8KVCacheDataTypeE0EDF16_Li32ELi128ELi256ELb0ELi6EEvPKT_PKT0_S7_ifPKiS9_S9_iPKfiiiPfSC_PS2_PT2_iSB_SB_
	.p2align	8
	.type	_Z39paged_attention_ll4mi_QKV_mfma16_kernelIDF16_DF16_LN4vllm18Fp8KVCacheDataTypeE0EDF16_Li32ELi128ELi256ELb0ELi6EEvPKT_PKT0_S7_ifPKiS9_S9_iPKfiiiPfSC_PS2_PT2_iSB_SB_,@function
_Z39paged_attention_ll4mi_QKV_mfma16_kernelIDF16_DF16_LN4vllm18Fp8KVCacheDataTypeE0EDF16_Li32ELi128ELi256ELb0ELi6EEvPKT_PKT0_S7_ifPKiS9_S9_iPKfiiiPfSC_PS2_PT2_iSB_SB_: ; @_Z39paged_attention_ll4mi_QKV_mfma16_kernelIDF16_DF16_LN4vllm18Fp8KVCacheDataTypeE0EDF16_Li32ELi128ELi256ELb0ELi6EEvPKT_PKT0_S7_ifPKiS9_S9_iPKfiiiPfSC_PS2_PT2_iSB_SB_
; %bb.0:
	s_get_pc_i64 s[2:3]
	s_add_nc_u64 s[2:3], s[2:3], __PRETTY_FUNCTION__._Z39paged_attention_ll4mi_QKV_mfma16_kernelIDF16_DF16_LN4vllm18Fp8KVCacheDataTypeE0EDF16_Li32ELi128ELi256ELb0ELi6EEvPKT_PKT0_S7_ifPKiS9_S9_iPKfiiiPfSC_PS2_PT2_iSB_SB_@rel64+4
	s_delay_alu instid0(SALU_CYCLE_1)
	v_dual_mov_b32 v0, 0xbb3 :: v_dual_mov_b32 v1, s2
	v_mov_b32_e32 v2, s3
	s_add_nc_u64 s[8:9], s[0:1], 0x90
	s_get_pc_i64 s[0:1]
	s_add_nc_u64 s[0:1], s[0:1], __assert_fail@rel64+4
	s_mov_b32 s32, 0
	s_swap_pc_i64 s[30:31], s[0:1]
	.section	.rodata,"a",@progbits
	.p2align	6, 0x0
	.amdhsa_kernel _Z39paged_attention_ll4mi_QKV_mfma16_kernelIDF16_DF16_LN4vllm18Fp8KVCacheDataTypeE0EDF16_Li32ELi128ELi256ELb0ELi6EEvPKT_PKT0_S7_ifPKiS9_S9_iPKfiiiPfSC_PS2_PT2_iSB_SB_
		.amdhsa_group_segment_fixed_size 0
		.amdhsa_private_segment_fixed_size 64
		.amdhsa_kernarg_size 400
		.amdhsa_user_sgpr_count 2
		.amdhsa_user_sgpr_dispatch_ptr 0
		.amdhsa_user_sgpr_queue_ptr 0
		.amdhsa_user_sgpr_kernarg_segment_ptr 1
		.amdhsa_user_sgpr_dispatch_id 0
		.amdhsa_user_sgpr_kernarg_preload_length 0
		.amdhsa_user_sgpr_kernarg_preload_offset 0
		.amdhsa_user_sgpr_private_segment_size 0
		.amdhsa_wavefront_size32 1
		.amdhsa_uses_dynamic_stack 0
		.amdhsa_enable_private_segment 1
		.amdhsa_system_sgpr_workgroup_id_x 1
		.amdhsa_system_sgpr_workgroup_id_y 0
		.amdhsa_system_sgpr_workgroup_id_z 0
		.amdhsa_system_sgpr_workgroup_info 0
		.amdhsa_system_vgpr_workitem_id 0
		.amdhsa_next_free_vgpr 51
		.amdhsa_next_free_sgpr 34
		.amdhsa_named_barrier_count 0
		.amdhsa_reserve_vcc 1
		.amdhsa_float_round_mode_32 0
		.amdhsa_float_round_mode_16_64 0
		.amdhsa_float_denorm_mode_32 3
		.amdhsa_float_denorm_mode_16_64 3
		.amdhsa_fp16_overflow 0
		.amdhsa_memory_ordered 1
		.amdhsa_forward_progress 1
		.amdhsa_inst_pref_size 1
		.amdhsa_round_robin_scheduling 0
		.amdhsa_exception_fp_ieee_invalid_op 0
		.amdhsa_exception_fp_denorm_src 0
		.amdhsa_exception_fp_ieee_div_zero 0
		.amdhsa_exception_fp_ieee_overflow 0
		.amdhsa_exception_fp_ieee_underflow 0
		.amdhsa_exception_fp_ieee_inexact 0
		.amdhsa_exception_int_div_zero 0
	.end_amdhsa_kernel
	.section	.text._Z39paged_attention_ll4mi_QKV_mfma16_kernelIDF16_DF16_LN4vllm18Fp8KVCacheDataTypeE0EDF16_Li32ELi128ELi256ELb0ELi6EEvPKT_PKT0_S7_ifPKiS9_S9_iPKfiiiPfSC_PS2_PT2_iSB_SB_,"axG",@progbits,_Z39paged_attention_ll4mi_QKV_mfma16_kernelIDF16_DF16_LN4vllm18Fp8KVCacheDataTypeE0EDF16_Li32ELi128ELi256ELb0ELi6EEvPKT_PKT0_S7_ifPKiS9_S9_iPKfiiiPfSC_PS2_PT2_iSB_SB_,comdat
.Lfunc_end371:
	.size	_Z39paged_attention_ll4mi_QKV_mfma16_kernelIDF16_DF16_LN4vllm18Fp8KVCacheDataTypeE0EDF16_Li32ELi128ELi256ELb0ELi6EEvPKT_PKT0_S7_ifPKiS9_S9_iPKfiiiPfSC_PS2_PT2_iSB_SB_, .Lfunc_end371-_Z39paged_attention_ll4mi_QKV_mfma16_kernelIDF16_DF16_LN4vllm18Fp8KVCacheDataTypeE0EDF16_Li32ELi128ELi256ELb0ELi6EEvPKT_PKT0_S7_ifPKiS9_S9_iPKfiiiPfSC_PS2_PT2_iSB_SB_
                                        ; -- End function
	.set _Z39paged_attention_ll4mi_QKV_mfma16_kernelIDF16_DF16_LN4vllm18Fp8KVCacheDataTypeE0EDF16_Li32ELi128ELi256ELb0ELi6EEvPKT_PKT0_S7_ifPKiS9_S9_iPKfiiiPfSC_PS2_PT2_iSB_SB_.num_vgpr, max(3, .L__assert_fail.num_vgpr)
	.set _Z39paged_attention_ll4mi_QKV_mfma16_kernelIDF16_DF16_LN4vllm18Fp8KVCacheDataTypeE0EDF16_Li32ELi128ELi256ELb0ELi6EEvPKT_PKT0_S7_ifPKiS9_S9_iPKfiiiPfSC_PS2_PT2_iSB_SB_.num_agpr, max(0, .L__assert_fail.num_agpr)
	.set _Z39paged_attention_ll4mi_QKV_mfma16_kernelIDF16_DF16_LN4vllm18Fp8KVCacheDataTypeE0EDF16_Li32ELi128ELi256ELb0ELi6EEvPKT_PKT0_S7_ifPKiS9_S9_iPKfiiiPfSC_PS2_PT2_iSB_SB_.numbered_sgpr, max(33, .L__assert_fail.numbered_sgpr)
	.set _Z39paged_attention_ll4mi_QKV_mfma16_kernelIDF16_DF16_LN4vllm18Fp8KVCacheDataTypeE0EDF16_Li32ELi128ELi256ELb0ELi6EEvPKT_PKT0_S7_ifPKiS9_S9_iPKfiiiPfSC_PS2_PT2_iSB_SB_.num_named_barrier, max(0, .L__assert_fail.num_named_barrier)
	.set _Z39paged_attention_ll4mi_QKV_mfma16_kernelIDF16_DF16_LN4vllm18Fp8KVCacheDataTypeE0EDF16_Li32ELi128ELi256ELb0ELi6EEvPKT_PKT0_S7_ifPKiS9_S9_iPKfiiiPfSC_PS2_PT2_iSB_SB_.private_seg_size, 0+max(.L__assert_fail.private_seg_size)
	.set _Z39paged_attention_ll4mi_QKV_mfma16_kernelIDF16_DF16_LN4vllm18Fp8KVCacheDataTypeE0EDF16_Li32ELi128ELi256ELb0ELi6EEvPKT_PKT0_S7_ifPKiS9_S9_iPKfiiiPfSC_PS2_PT2_iSB_SB_.uses_vcc, or(1, .L__assert_fail.uses_vcc)
	.set _Z39paged_attention_ll4mi_QKV_mfma16_kernelIDF16_DF16_LN4vllm18Fp8KVCacheDataTypeE0EDF16_Li32ELi128ELi256ELb0ELi6EEvPKT_PKT0_S7_ifPKiS9_S9_iPKfiiiPfSC_PS2_PT2_iSB_SB_.uses_flat_scratch, or(0, .L__assert_fail.uses_flat_scratch)
	.set _Z39paged_attention_ll4mi_QKV_mfma16_kernelIDF16_DF16_LN4vllm18Fp8KVCacheDataTypeE0EDF16_Li32ELi128ELi256ELb0ELi6EEvPKT_PKT0_S7_ifPKiS9_S9_iPKfiiiPfSC_PS2_PT2_iSB_SB_.has_dyn_sized_stack, or(0, .L__assert_fail.has_dyn_sized_stack)
	.set _Z39paged_attention_ll4mi_QKV_mfma16_kernelIDF16_DF16_LN4vllm18Fp8KVCacheDataTypeE0EDF16_Li32ELi128ELi256ELb0ELi6EEvPKT_PKT0_S7_ifPKiS9_S9_iPKfiiiPfSC_PS2_PT2_iSB_SB_.has_recursion, or(0, .L__assert_fail.has_recursion)
	.set _Z39paged_attention_ll4mi_QKV_mfma16_kernelIDF16_DF16_LN4vllm18Fp8KVCacheDataTypeE0EDF16_Li32ELi128ELi256ELb0ELi6EEvPKT_PKT0_S7_ifPKiS9_S9_iPKfiiiPfSC_PS2_PT2_iSB_SB_.has_indirect_call, or(0, .L__assert_fail.has_indirect_call)
	.section	.AMDGPU.csdata,"",@progbits
; Kernel info:
; codeLenInByte = 68
; TotalNumSgprs: 36
; NumVgprs: 51
; ScratchSize: 64
; MemoryBound: 0
; FloatMode: 240
; IeeeMode: 1
; LDSByteSize: 0 bytes/workgroup (compile time only)
; SGPRBlocks: 0
; VGPRBlocks: 3
; NumSGPRsForWavesPerEU: 36
; NumVGPRsForWavesPerEU: 51
; NamedBarCnt: 0
; Occupancy: 16
; WaveLimiterHint : 1
; COMPUTE_PGM_RSRC2:SCRATCH_EN: 1
; COMPUTE_PGM_RSRC2:USER_SGPR: 2
; COMPUTE_PGM_RSRC2:TRAP_HANDLER: 0
; COMPUTE_PGM_RSRC2:TGID_X_EN: 1
; COMPUTE_PGM_RSRC2:TGID_Y_EN: 0
; COMPUTE_PGM_RSRC2:TGID_Z_EN: 0
; COMPUTE_PGM_RSRC2:TIDIG_COMP_CNT: 0
	.section	.text._Z39paged_attention_ll4mi_QKV_mfma16_kernelIDF16_DF16_LN4vllm18Fp8KVCacheDataTypeE0EDF16_Li32ELi128ELi256ELb0ELi7EEvPKT_PKT0_S7_ifPKiS9_S9_iPKfiiiPfSC_PS2_PT2_iSB_SB_,"axG",@progbits,_Z39paged_attention_ll4mi_QKV_mfma16_kernelIDF16_DF16_LN4vllm18Fp8KVCacheDataTypeE0EDF16_Li32ELi128ELi256ELb0ELi7EEvPKT_PKT0_S7_ifPKiS9_S9_iPKfiiiPfSC_PS2_PT2_iSB_SB_,comdat
	.protected	_Z39paged_attention_ll4mi_QKV_mfma16_kernelIDF16_DF16_LN4vllm18Fp8KVCacheDataTypeE0EDF16_Li32ELi128ELi256ELb0ELi7EEvPKT_PKT0_S7_ifPKiS9_S9_iPKfiiiPfSC_PS2_PT2_iSB_SB_ ; -- Begin function _Z39paged_attention_ll4mi_QKV_mfma16_kernelIDF16_DF16_LN4vllm18Fp8KVCacheDataTypeE0EDF16_Li32ELi128ELi256ELb0ELi7EEvPKT_PKT0_S7_ifPKiS9_S9_iPKfiiiPfSC_PS2_PT2_iSB_SB_
	.globl	_Z39paged_attention_ll4mi_QKV_mfma16_kernelIDF16_DF16_LN4vllm18Fp8KVCacheDataTypeE0EDF16_Li32ELi128ELi256ELb0ELi7EEvPKT_PKT0_S7_ifPKiS9_S9_iPKfiiiPfSC_PS2_PT2_iSB_SB_
	.p2align	8
	.type	_Z39paged_attention_ll4mi_QKV_mfma16_kernelIDF16_DF16_LN4vllm18Fp8KVCacheDataTypeE0EDF16_Li32ELi128ELi256ELb0ELi7EEvPKT_PKT0_S7_ifPKiS9_S9_iPKfiiiPfSC_PS2_PT2_iSB_SB_,@function
_Z39paged_attention_ll4mi_QKV_mfma16_kernelIDF16_DF16_LN4vllm18Fp8KVCacheDataTypeE0EDF16_Li32ELi128ELi256ELb0ELi7EEvPKT_PKT0_S7_ifPKiS9_S9_iPKfiiiPfSC_PS2_PT2_iSB_SB_: ; @_Z39paged_attention_ll4mi_QKV_mfma16_kernelIDF16_DF16_LN4vllm18Fp8KVCacheDataTypeE0EDF16_Li32ELi128ELi256ELb0ELi7EEvPKT_PKT0_S7_ifPKiS9_S9_iPKfiiiPfSC_PS2_PT2_iSB_SB_
; %bb.0:
	s_get_pc_i64 s[2:3]
	s_add_nc_u64 s[2:3], s[2:3], __PRETTY_FUNCTION__._Z39paged_attention_ll4mi_QKV_mfma16_kernelIDF16_DF16_LN4vllm18Fp8KVCacheDataTypeE0EDF16_Li32ELi128ELi256ELb0ELi7EEvPKT_PKT0_S7_ifPKiS9_S9_iPKfiiiPfSC_PS2_PT2_iSB_SB_@rel64+4
	s_delay_alu instid0(SALU_CYCLE_1)
	v_dual_mov_b32 v0, 0xbb3 :: v_dual_mov_b32 v1, s2
	v_mov_b32_e32 v2, s3
	s_add_nc_u64 s[8:9], s[0:1], 0x90
	s_get_pc_i64 s[0:1]
	s_add_nc_u64 s[0:1], s[0:1], __assert_fail@rel64+4
	s_mov_b32 s32, 0
	s_swap_pc_i64 s[30:31], s[0:1]
	.section	.rodata,"a",@progbits
	.p2align	6, 0x0
	.amdhsa_kernel _Z39paged_attention_ll4mi_QKV_mfma16_kernelIDF16_DF16_LN4vllm18Fp8KVCacheDataTypeE0EDF16_Li32ELi128ELi256ELb0ELi7EEvPKT_PKT0_S7_ifPKiS9_S9_iPKfiiiPfSC_PS2_PT2_iSB_SB_
		.amdhsa_group_segment_fixed_size 0
		.amdhsa_private_segment_fixed_size 64
		.amdhsa_kernarg_size 400
		.amdhsa_user_sgpr_count 2
		.amdhsa_user_sgpr_dispatch_ptr 0
		.amdhsa_user_sgpr_queue_ptr 0
		.amdhsa_user_sgpr_kernarg_segment_ptr 1
		.amdhsa_user_sgpr_dispatch_id 0
		.amdhsa_user_sgpr_kernarg_preload_length 0
		.amdhsa_user_sgpr_kernarg_preload_offset 0
		.amdhsa_user_sgpr_private_segment_size 0
		.amdhsa_wavefront_size32 1
		.amdhsa_uses_dynamic_stack 0
		.amdhsa_enable_private_segment 1
		.amdhsa_system_sgpr_workgroup_id_x 1
		.amdhsa_system_sgpr_workgroup_id_y 0
		.amdhsa_system_sgpr_workgroup_id_z 0
		.amdhsa_system_sgpr_workgroup_info 0
		.amdhsa_system_vgpr_workitem_id 0
		.amdhsa_next_free_vgpr 51
		.amdhsa_next_free_sgpr 34
		.amdhsa_named_barrier_count 0
		.amdhsa_reserve_vcc 1
		.amdhsa_float_round_mode_32 0
		.amdhsa_float_round_mode_16_64 0
		.amdhsa_float_denorm_mode_32 3
		.amdhsa_float_denorm_mode_16_64 3
		.amdhsa_fp16_overflow 0
		.amdhsa_memory_ordered 1
		.amdhsa_forward_progress 1
		.amdhsa_inst_pref_size 1
		.amdhsa_round_robin_scheduling 0
		.amdhsa_exception_fp_ieee_invalid_op 0
		.amdhsa_exception_fp_denorm_src 0
		.amdhsa_exception_fp_ieee_div_zero 0
		.amdhsa_exception_fp_ieee_overflow 0
		.amdhsa_exception_fp_ieee_underflow 0
		.amdhsa_exception_fp_ieee_inexact 0
		.amdhsa_exception_int_div_zero 0
	.end_amdhsa_kernel
	.section	.text._Z39paged_attention_ll4mi_QKV_mfma16_kernelIDF16_DF16_LN4vllm18Fp8KVCacheDataTypeE0EDF16_Li32ELi128ELi256ELb0ELi7EEvPKT_PKT0_S7_ifPKiS9_S9_iPKfiiiPfSC_PS2_PT2_iSB_SB_,"axG",@progbits,_Z39paged_attention_ll4mi_QKV_mfma16_kernelIDF16_DF16_LN4vllm18Fp8KVCacheDataTypeE0EDF16_Li32ELi128ELi256ELb0ELi7EEvPKT_PKT0_S7_ifPKiS9_S9_iPKfiiiPfSC_PS2_PT2_iSB_SB_,comdat
.Lfunc_end372:
	.size	_Z39paged_attention_ll4mi_QKV_mfma16_kernelIDF16_DF16_LN4vllm18Fp8KVCacheDataTypeE0EDF16_Li32ELi128ELi256ELb0ELi7EEvPKT_PKT0_S7_ifPKiS9_S9_iPKfiiiPfSC_PS2_PT2_iSB_SB_, .Lfunc_end372-_Z39paged_attention_ll4mi_QKV_mfma16_kernelIDF16_DF16_LN4vllm18Fp8KVCacheDataTypeE0EDF16_Li32ELi128ELi256ELb0ELi7EEvPKT_PKT0_S7_ifPKiS9_S9_iPKfiiiPfSC_PS2_PT2_iSB_SB_
                                        ; -- End function
	.set _Z39paged_attention_ll4mi_QKV_mfma16_kernelIDF16_DF16_LN4vllm18Fp8KVCacheDataTypeE0EDF16_Li32ELi128ELi256ELb0ELi7EEvPKT_PKT0_S7_ifPKiS9_S9_iPKfiiiPfSC_PS2_PT2_iSB_SB_.num_vgpr, max(3, .L__assert_fail.num_vgpr)
	.set _Z39paged_attention_ll4mi_QKV_mfma16_kernelIDF16_DF16_LN4vllm18Fp8KVCacheDataTypeE0EDF16_Li32ELi128ELi256ELb0ELi7EEvPKT_PKT0_S7_ifPKiS9_S9_iPKfiiiPfSC_PS2_PT2_iSB_SB_.num_agpr, max(0, .L__assert_fail.num_agpr)
	.set _Z39paged_attention_ll4mi_QKV_mfma16_kernelIDF16_DF16_LN4vllm18Fp8KVCacheDataTypeE0EDF16_Li32ELi128ELi256ELb0ELi7EEvPKT_PKT0_S7_ifPKiS9_S9_iPKfiiiPfSC_PS2_PT2_iSB_SB_.numbered_sgpr, max(33, .L__assert_fail.numbered_sgpr)
	.set _Z39paged_attention_ll4mi_QKV_mfma16_kernelIDF16_DF16_LN4vllm18Fp8KVCacheDataTypeE0EDF16_Li32ELi128ELi256ELb0ELi7EEvPKT_PKT0_S7_ifPKiS9_S9_iPKfiiiPfSC_PS2_PT2_iSB_SB_.num_named_barrier, max(0, .L__assert_fail.num_named_barrier)
	.set _Z39paged_attention_ll4mi_QKV_mfma16_kernelIDF16_DF16_LN4vllm18Fp8KVCacheDataTypeE0EDF16_Li32ELi128ELi256ELb0ELi7EEvPKT_PKT0_S7_ifPKiS9_S9_iPKfiiiPfSC_PS2_PT2_iSB_SB_.private_seg_size, 0+max(.L__assert_fail.private_seg_size)
	.set _Z39paged_attention_ll4mi_QKV_mfma16_kernelIDF16_DF16_LN4vllm18Fp8KVCacheDataTypeE0EDF16_Li32ELi128ELi256ELb0ELi7EEvPKT_PKT0_S7_ifPKiS9_S9_iPKfiiiPfSC_PS2_PT2_iSB_SB_.uses_vcc, or(1, .L__assert_fail.uses_vcc)
	.set _Z39paged_attention_ll4mi_QKV_mfma16_kernelIDF16_DF16_LN4vllm18Fp8KVCacheDataTypeE0EDF16_Li32ELi128ELi256ELb0ELi7EEvPKT_PKT0_S7_ifPKiS9_S9_iPKfiiiPfSC_PS2_PT2_iSB_SB_.uses_flat_scratch, or(0, .L__assert_fail.uses_flat_scratch)
	.set _Z39paged_attention_ll4mi_QKV_mfma16_kernelIDF16_DF16_LN4vllm18Fp8KVCacheDataTypeE0EDF16_Li32ELi128ELi256ELb0ELi7EEvPKT_PKT0_S7_ifPKiS9_S9_iPKfiiiPfSC_PS2_PT2_iSB_SB_.has_dyn_sized_stack, or(0, .L__assert_fail.has_dyn_sized_stack)
	.set _Z39paged_attention_ll4mi_QKV_mfma16_kernelIDF16_DF16_LN4vllm18Fp8KVCacheDataTypeE0EDF16_Li32ELi128ELi256ELb0ELi7EEvPKT_PKT0_S7_ifPKiS9_S9_iPKfiiiPfSC_PS2_PT2_iSB_SB_.has_recursion, or(0, .L__assert_fail.has_recursion)
	.set _Z39paged_attention_ll4mi_QKV_mfma16_kernelIDF16_DF16_LN4vllm18Fp8KVCacheDataTypeE0EDF16_Li32ELi128ELi256ELb0ELi7EEvPKT_PKT0_S7_ifPKiS9_S9_iPKfiiiPfSC_PS2_PT2_iSB_SB_.has_indirect_call, or(0, .L__assert_fail.has_indirect_call)
	.section	.AMDGPU.csdata,"",@progbits
; Kernel info:
; codeLenInByte = 68
; TotalNumSgprs: 36
; NumVgprs: 51
; ScratchSize: 64
; MemoryBound: 0
; FloatMode: 240
; IeeeMode: 1
; LDSByteSize: 0 bytes/workgroup (compile time only)
; SGPRBlocks: 0
; VGPRBlocks: 3
; NumSGPRsForWavesPerEU: 36
; NumVGPRsForWavesPerEU: 51
; NamedBarCnt: 0
; Occupancy: 16
; WaveLimiterHint : 1
; COMPUTE_PGM_RSRC2:SCRATCH_EN: 1
; COMPUTE_PGM_RSRC2:USER_SGPR: 2
; COMPUTE_PGM_RSRC2:TRAP_HANDLER: 0
; COMPUTE_PGM_RSRC2:TGID_X_EN: 1
; COMPUTE_PGM_RSRC2:TGID_Y_EN: 0
; COMPUTE_PGM_RSRC2:TGID_Z_EN: 0
; COMPUTE_PGM_RSRC2:TIDIG_COMP_CNT: 0
	.section	.text._Z39paged_attention_ll4mi_QKV_mfma16_kernelIDF16_DF16_LN4vllm18Fp8KVCacheDataTypeE0EDF16_Li32ELi128ELi256ELb0ELi8EEvPKT_PKT0_S7_ifPKiS9_S9_iPKfiiiPfSC_PS2_PT2_iSB_SB_,"axG",@progbits,_Z39paged_attention_ll4mi_QKV_mfma16_kernelIDF16_DF16_LN4vllm18Fp8KVCacheDataTypeE0EDF16_Li32ELi128ELi256ELb0ELi8EEvPKT_PKT0_S7_ifPKiS9_S9_iPKfiiiPfSC_PS2_PT2_iSB_SB_,comdat
	.protected	_Z39paged_attention_ll4mi_QKV_mfma16_kernelIDF16_DF16_LN4vllm18Fp8KVCacheDataTypeE0EDF16_Li32ELi128ELi256ELb0ELi8EEvPKT_PKT0_S7_ifPKiS9_S9_iPKfiiiPfSC_PS2_PT2_iSB_SB_ ; -- Begin function _Z39paged_attention_ll4mi_QKV_mfma16_kernelIDF16_DF16_LN4vllm18Fp8KVCacheDataTypeE0EDF16_Li32ELi128ELi256ELb0ELi8EEvPKT_PKT0_S7_ifPKiS9_S9_iPKfiiiPfSC_PS2_PT2_iSB_SB_
	.globl	_Z39paged_attention_ll4mi_QKV_mfma16_kernelIDF16_DF16_LN4vllm18Fp8KVCacheDataTypeE0EDF16_Li32ELi128ELi256ELb0ELi8EEvPKT_PKT0_S7_ifPKiS9_S9_iPKfiiiPfSC_PS2_PT2_iSB_SB_
	.p2align	8
	.type	_Z39paged_attention_ll4mi_QKV_mfma16_kernelIDF16_DF16_LN4vllm18Fp8KVCacheDataTypeE0EDF16_Li32ELi128ELi256ELb0ELi8EEvPKT_PKT0_S7_ifPKiS9_S9_iPKfiiiPfSC_PS2_PT2_iSB_SB_,@function
_Z39paged_attention_ll4mi_QKV_mfma16_kernelIDF16_DF16_LN4vllm18Fp8KVCacheDataTypeE0EDF16_Li32ELi128ELi256ELb0ELi8EEvPKT_PKT0_S7_ifPKiS9_S9_iPKfiiiPfSC_PS2_PT2_iSB_SB_: ; @_Z39paged_attention_ll4mi_QKV_mfma16_kernelIDF16_DF16_LN4vllm18Fp8KVCacheDataTypeE0EDF16_Li32ELi128ELi256ELb0ELi8EEvPKT_PKT0_S7_ifPKiS9_S9_iPKfiiiPfSC_PS2_PT2_iSB_SB_
; %bb.0:
	s_get_pc_i64 s[2:3]
	s_add_nc_u64 s[2:3], s[2:3], __PRETTY_FUNCTION__._Z39paged_attention_ll4mi_QKV_mfma16_kernelIDF16_DF16_LN4vllm18Fp8KVCacheDataTypeE0EDF16_Li32ELi128ELi256ELb0ELi8EEvPKT_PKT0_S7_ifPKiS9_S9_iPKfiiiPfSC_PS2_PT2_iSB_SB_@rel64+4
	s_delay_alu instid0(SALU_CYCLE_1)
	v_dual_mov_b32 v0, 0xbb3 :: v_dual_mov_b32 v1, s2
	v_mov_b32_e32 v2, s3
	s_add_nc_u64 s[8:9], s[0:1], 0x90
	s_get_pc_i64 s[0:1]
	s_add_nc_u64 s[0:1], s[0:1], __assert_fail@rel64+4
	s_mov_b32 s32, 0
	s_swap_pc_i64 s[30:31], s[0:1]
	.section	.rodata,"a",@progbits
	.p2align	6, 0x0
	.amdhsa_kernel _Z39paged_attention_ll4mi_QKV_mfma16_kernelIDF16_DF16_LN4vllm18Fp8KVCacheDataTypeE0EDF16_Li32ELi128ELi256ELb0ELi8EEvPKT_PKT0_S7_ifPKiS9_S9_iPKfiiiPfSC_PS2_PT2_iSB_SB_
		.amdhsa_group_segment_fixed_size 0
		.amdhsa_private_segment_fixed_size 64
		.amdhsa_kernarg_size 400
		.amdhsa_user_sgpr_count 2
		.amdhsa_user_sgpr_dispatch_ptr 0
		.amdhsa_user_sgpr_queue_ptr 0
		.amdhsa_user_sgpr_kernarg_segment_ptr 1
		.amdhsa_user_sgpr_dispatch_id 0
		.amdhsa_user_sgpr_kernarg_preload_length 0
		.amdhsa_user_sgpr_kernarg_preload_offset 0
		.amdhsa_user_sgpr_private_segment_size 0
		.amdhsa_wavefront_size32 1
		.amdhsa_uses_dynamic_stack 0
		.amdhsa_enable_private_segment 1
		.amdhsa_system_sgpr_workgroup_id_x 1
		.amdhsa_system_sgpr_workgroup_id_y 0
		.amdhsa_system_sgpr_workgroup_id_z 0
		.amdhsa_system_sgpr_workgroup_info 0
		.amdhsa_system_vgpr_workitem_id 0
		.amdhsa_next_free_vgpr 51
		.amdhsa_next_free_sgpr 34
		.amdhsa_named_barrier_count 0
		.amdhsa_reserve_vcc 1
		.amdhsa_float_round_mode_32 0
		.amdhsa_float_round_mode_16_64 0
		.amdhsa_float_denorm_mode_32 3
		.amdhsa_float_denorm_mode_16_64 3
		.amdhsa_fp16_overflow 0
		.amdhsa_memory_ordered 1
		.amdhsa_forward_progress 1
		.amdhsa_inst_pref_size 1
		.amdhsa_round_robin_scheduling 0
		.amdhsa_exception_fp_ieee_invalid_op 0
		.amdhsa_exception_fp_denorm_src 0
		.amdhsa_exception_fp_ieee_div_zero 0
		.amdhsa_exception_fp_ieee_overflow 0
		.amdhsa_exception_fp_ieee_underflow 0
		.amdhsa_exception_fp_ieee_inexact 0
		.amdhsa_exception_int_div_zero 0
	.end_amdhsa_kernel
	.section	.text._Z39paged_attention_ll4mi_QKV_mfma16_kernelIDF16_DF16_LN4vllm18Fp8KVCacheDataTypeE0EDF16_Li32ELi128ELi256ELb0ELi8EEvPKT_PKT0_S7_ifPKiS9_S9_iPKfiiiPfSC_PS2_PT2_iSB_SB_,"axG",@progbits,_Z39paged_attention_ll4mi_QKV_mfma16_kernelIDF16_DF16_LN4vllm18Fp8KVCacheDataTypeE0EDF16_Li32ELi128ELi256ELb0ELi8EEvPKT_PKT0_S7_ifPKiS9_S9_iPKfiiiPfSC_PS2_PT2_iSB_SB_,comdat
.Lfunc_end373:
	.size	_Z39paged_attention_ll4mi_QKV_mfma16_kernelIDF16_DF16_LN4vllm18Fp8KVCacheDataTypeE0EDF16_Li32ELi128ELi256ELb0ELi8EEvPKT_PKT0_S7_ifPKiS9_S9_iPKfiiiPfSC_PS2_PT2_iSB_SB_, .Lfunc_end373-_Z39paged_attention_ll4mi_QKV_mfma16_kernelIDF16_DF16_LN4vllm18Fp8KVCacheDataTypeE0EDF16_Li32ELi128ELi256ELb0ELi8EEvPKT_PKT0_S7_ifPKiS9_S9_iPKfiiiPfSC_PS2_PT2_iSB_SB_
                                        ; -- End function
	.set _Z39paged_attention_ll4mi_QKV_mfma16_kernelIDF16_DF16_LN4vllm18Fp8KVCacheDataTypeE0EDF16_Li32ELi128ELi256ELb0ELi8EEvPKT_PKT0_S7_ifPKiS9_S9_iPKfiiiPfSC_PS2_PT2_iSB_SB_.num_vgpr, max(3, .L__assert_fail.num_vgpr)
	.set _Z39paged_attention_ll4mi_QKV_mfma16_kernelIDF16_DF16_LN4vllm18Fp8KVCacheDataTypeE0EDF16_Li32ELi128ELi256ELb0ELi8EEvPKT_PKT0_S7_ifPKiS9_S9_iPKfiiiPfSC_PS2_PT2_iSB_SB_.num_agpr, max(0, .L__assert_fail.num_agpr)
	.set _Z39paged_attention_ll4mi_QKV_mfma16_kernelIDF16_DF16_LN4vllm18Fp8KVCacheDataTypeE0EDF16_Li32ELi128ELi256ELb0ELi8EEvPKT_PKT0_S7_ifPKiS9_S9_iPKfiiiPfSC_PS2_PT2_iSB_SB_.numbered_sgpr, max(33, .L__assert_fail.numbered_sgpr)
	.set _Z39paged_attention_ll4mi_QKV_mfma16_kernelIDF16_DF16_LN4vllm18Fp8KVCacheDataTypeE0EDF16_Li32ELi128ELi256ELb0ELi8EEvPKT_PKT0_S7_ifPKiS9_S9_iPKfiiiPfSC_PS2_PT2_iSB_SB_.num_named_barrier, max(0, .L__assert_fail.num_named_barrier)
	.set _Z39paged_attention_ll4mi_QKV_mfma16_kernelIDF16_DF16_LN4vllm18Fp8KVCacheDataTypeE0EDF16_Li32ELi128ELi256ELb0ELi8EEvPKT_PKT0_S7_ifPKiS9_S9_iPKfiiiPfSC_PS2_PT2_iSB_SB_.private_seg_size, 0+max(.L__assert_fail.private_seg_size)
	.set _Z39paged_attention_ll4mi_QKV_mfma16_kernelIDF16_DF16_LN4vllm18Fp8KVCacheDataTypeE0EDF16_Li32ELi128ELi256ELb0ELi8EEvPKT_PKT0_S7_ifPKiS9_S9_iPKfiiiPfSC_PS2_PT2_iSB_SB_.uses_vcc, or(1, .L__assert_fail.uses_vcc)
	.set _Z39paged_attention_ll4mi_QKV_mfma16_kernelIDF16_DF16_LN4vllm18Fp8KVCacheDataTypeE0EDF16_Li32ELi128ELi256ELb0ELi8EEvPKT_PKT0_S7_ifPKiS9_S9_iPKfiiiPfSC_PS2_PT2_iSB_SB_.uses_flat_scratch, or(0, .L__assert_fail.uses_flat_scratch)
	.set _Z39paged_attention_ll4mi_QKV_mfma16_kernelIDF16_DF16_LN4vllm18Fp8KVCacheDataTypeE0EDF16_Li32ELi128ELi256ELb0ELi8EEvPKT_PKT0_S7_ifPKiS9_S9_iPKfiiiPfSC_PS2_PT2_iSB_SB_.has_dyn_sized_stack, or(0, .L__assert_fail.has_dyn_sized_stack)
	.set _Z39paged_attention_ll4mi_QKV_mfma16_kernelIDF16_DF16_LN4vllm18Fp8KVCacheDataTypeE0EDF16_Li32ELi128ELi256ELb0ELi8EEvPKT_PKT0_S7_ifPKiS9_S9_iPKfiiiPfSC_PS2_PT2_iSB_SB_.has_recursion, or(0, .L__assert_fail.has_recursion)
	.set _Z39paged_attention_ll4mi_QKV_mfma16_kernelIDF16_DF16_LN4vllm18Fp8KVCacheDataTypeE0EDF16_Li32ELi128ELi256ELb0ELi8EEvPKT_PKT0_S7_ifPKiS9_S9_iPKfiiiPfSC_PS2_PT2_iSB_SB_.has_indirect_call, or(0, .L__assert_fail.has_indirect_call)
	.section	.AMDGPU.csdata,"",@progbits
; Kernel info:
; codeLenInByte = 68
; TotalNumSgprs: 36
; NumVgprs: 51
; ScratchSize: 64
; MemoryBound: 0
; FloatMode: 240
; IeeeMode: 1
; LDSByteSize: 0 bytes/workgroup (compile time only)
; SGPRBlocks: 0
; VGPRBlocks: 3
; NumSGPRsForWavesPerEU: 36
; NumVGPRsForWavesPerEU: 51
; NamedBarCnt: 0
; Occupancy: 16
; WaveLimiterHint : 1
; COMPUTE_PGM_RSRC2:SCRATCH_EN: 1
; COMPUTE_PGM_RSRC2:USER_SGPR: 2
; COMPUTE_PGM_RSRC2:TRAP_HANDLER: 0
; COMPUTE_PGM_RSRC2:TGID_X_EN: 1
; COMPUTE_PGM_RSRC2:TGID_Y_EN: 0
; COMPUTE_PGM_RSRC2:TGID_Z_EN: 0
; COMPUTE_PGM_RSRC2:TIDIG_COMP_CNT: 0
	.section	.text._Z39paged_attention_ll4mi_QKV_mfma16_kernelIDF16_DF16_LN4vllm18Fp8KVCacheDataTypeE0EDF16_Li32ELi128ELi256ELb0ELi9EEvPKT_PKT0_S7_ifPKiS9_S9_iPKfiiiPfSC_PS2_PT2_iSB_SB_,"axG",@progbits,_Z39paged_attention_ll4mi_QKV_mfma16_kernelIDF16_DF16_LN4vllm18Fp8KVCacheDataTypeE0EDF16_Li32ELi128ELi256ELb0ELi9EEvPKT_PKT0_S7_ifPKiS9_S9_iPKfiiiPfSC_PS2_PT2_iSB_SB_,comdat
	.protected	_Z39paged_attention_ll4mi_QKV_mfma16_kernelIDF16_DF16_LN4vllm18Fp8KVCacheDataTypeE0EDF16_Li32ELi128ELi256ELb0ELi9EEvPKT_PKT0_S7_ifPKiS9_S9_iPKfiiiPfSC_PS2_PT2_iSB_SB_ ; -- Begin function _Z39paged_attention_ll4mi_QKV_mfma16_kernelIDF16_DF16_LN4vllm18Fp8KVCacheDataTypeE0EDF16_Li32ELi128ELi256ELb0ELi9EEvPKT_PKT0_S7_ifPKiS9_S9_iPKfiiiPfSC_PS2_PT2_iSB_SB_
	.globl	_Z39paged_attention_ll4mi_QKV_mfma16_kernelIDF16_DF16_LN4vllm18Fp8KVCacheDataTypeE0EDF16_Li32ELi128ELi256ELb0ELi9EEvPKT_PKT0_S7_ifPKiS9_S9_iPKfiiiPfSC_PS2_PT2_iSB_SB_
	.p2align	8
	.type	_Z39paged_attention_ll4mi_QKV_mfma16_kernelIDF16_DF16_LN4vllm18Fp8KVCacheDataTypeE0EDF16_Li32ELi128ELi256ELb0ELi9EEvPKT_PKT0_S7_ifPKiS9_S9_iPKfiiiPfSC_PS2_PT2_iSB_SB_,@function
_Z39paged_attention_ll4mi_QKV_mfma16_kernelIDF16_DF16_LN4vllm18Fp8KVCacheDataTypeE0EDF16_Li32ELi128ELi256ELb0ELi9EEvPKT_PKT0_S7_ifPKiS9_S9_iPKfiiiPfSC_PS2_PT2_iSB_SB_: ; @_Z39paged_attention_ll4mi_QKV_mfma16_kernelIDF16_DF16_LN4vllm18Fp8KVCacheDataTypeE0EDF16_Li32ELi128ELi256ELb0ELi9EEvPKT_PKT0_S7_ifPKiS9_S9_iPKfiiiPfSC_PS2_PT2_iSB_SB_
; %bb.0:
	s_get_pc_i64 s[2:3]
	s_add_nc_u64 s[2:3], s[2:3], __PRETTY_FUNCTION__._Z39paged_attention_ll4mi_QKV_mfma16_kernelIDF16_DF16_LN4vllm18Fp8KVCacheDataTypeE0EDF16_Li32ELi128ELi256ELb0ELi9EEvPKT_PKT0_S7_ifPKiS9_S9_iPKfiiiPfSC_PS2_PT2_iSB_SB_@rel64+4
	s_delay_alu instid0(SALU_CYCLE_1)
	v_dual_mov_b32 v0, 0xbb3 :: v_dual_mov_b32 v1, s2
	v_mov_b32_e32 v2, s3
	s_add_nc_u64 s[8:9], s[0:1], 0x90
	s_get_pc_i64 s[0:1]
	s_add_nc_u64 s[0:1], s[0:1], __assert_fail@rel64+4
	s_mov_b32 s32, 0
	s_swap_pc_i64 s[30:31], s[0:1]
	.section	.rodata,"a",@progbits
	.p2align	6, 0x0
	.amdhsa_kernel _Z39paged_attention_ll4mi_QKV_mfma16_kernelIDF16_DF16_LN4vllm18Fp8KVCacheDataTypeE0EDF16_Li32ELi128ELi256ELb0ELi9EEvPKT_PKT0_S7_ifPKiS9_S9_iPKfiiiPfSC_PS2_PT2_iSB_SB_
		.amdhsa_group_segment_fixed_size 0
		.amdhsa_private_segment_fixed_size 64
		.amdhsa_kernarg_size 400
		.amdhsa_user_sgpr_count 2
		.amdhsa_user_sgpr_dispatch_ptr 0
		.amdhsa_user_sgpr_queue_ptr 0
		.amdhsa_user_sgpr_kernarg_segment_ptr 1
		.amdhsa_user_sgpr_dispatch_id 0
		.amdhsa_user_sgpr_kernarg_preload_length 0
		.amdhsa_user_sgpr_kernarg_preload_offset 0
		.amdhsa_user_sgpr_private_segment_size 0
		.amdhsa_wavefront_size32 1
		.amdhsa_uses_dynamic_stack 0
		.amdhsa_enable_private_segment 1
		.amdhsa_system_sgpr_workgroup_id_x 1
		.amdhsa_system_sgpr_workgroup_id_y 0
		.amdhsa_system_sgpr_workgroup_id_z 0
		.amdhsa_system_sgpr_workgroup_info 0
		.amdhsa_system_vgpr_workitem_id 0
		.amdhsa_next_free_vgpr 51
		.amdhsa_next_free_sgpr 34
		.amdhsa_named_barrier_count 0
		.amdhsa_reserve_vcc 1
		.amdhsa_float_round_mode_32 0
		.amdhsa_float_round_mode_16_64 0
		.amdhsa_float_denorm_mode_32 3
		.amdhsa_float_denorm_mode_16_64 3
		.amdhsa_fp16_overflow 0
		.amdhsa_memory_ordered 1
		.amdhsa_forward_progress 1
		.amdhsa_inst_pref_size 1
		.amdhsa_round_robin_scheduling 0
		.amdhsa_exception_fp_ieee_invalid_op 0
		.amdhsa_exception_fp_denorm_src 0
		.amdhsa_exception_fp_ieee_div_zero 0
		.amdhsa_exception_fp_ieee_overflow 0
		.amdhsa_exception_fp_ieee_underflow 0
		.amdhsa_exception_fp_ieee_inexact 0
		.amdhsa_exception_int_div_zero 0
	.end_amdhsa_kernel
	.section	.text._Z39paged_attention_ll4mi_QKV_mfma16_kernelIDF16_DF16_LN4vllm18Fp8KVCacheDataTypeE0EDF16_Li32ELi128ELi256ELb0ELi9EEvPKT_PKT0_S7_ifPKiS9_S9_iPKfiiiPfSC_PS2_PT2_iSB_SB_,"axG",@progbits,_Z39paged_attention_ll4mi_QKV_mfma16_kernelIDF16_DF16_LN4vllm18Fp8KVCacheDataTypeE0EDF16_Li32ELi128ELi256ELb0ELi9EEvPKT_PKT0_S7_ifPKiS9_S9_iPKfiiiPfSC_PS2_PT2_iSB_SB_,comdat
.Lfunc_end374:
	.size	_Z39paged_attention_ll4mi_QKV_mfma16_kernelIDF16_DF16_LN4vllm18Fp8KVCacheDataTypeE0EDF16_Li32ELi128ELi256ELb0ELi9EEvPKT_PKT0_S7_ifPKiS9_S9_iPKfiiiPfSC_PS2_PT2_iSB_SB_, .Lfunc_end374-_Z39paged_attention_ll4mi_QKV_mfma16_kernelIDF16_DF16_LN4vllm18Fp8KVCacheDataTypeE0EDF16_Li32ELi128ELi256ELb0ELi9EEvPKT_PKT0_S7_ifPKiS9_S9_iPKfiiiPfSC_PS2_PT2_iSB_SB_
                                        ; -- End function
	.set _Z39paged_attention_ll4mi_QKV_mfma16_kernelIDF16_DF16_LN4vllm18Fp8KVCacheDataTypeE0EDF16_Li32ELi128ELi256ELb0ELi9EEvPKT_PKT0_S7_ifPKiS9_S9_iPKfiiiPfSC_PS2_PT2_iSB_SB_.num_vgpr, max(3, .L__assert_fail.num_vgpr)
	.set _Z39paged_attention_ll4mi_QKV_mfma16_kernelIDF16_DF16_LN4vllm18Fp8KVCacheDataTypeE0EDF16_Li32ELi128ELi256ELb0ELi9EEvPKT_PKT0_S7_ifPKiS9_S9_iPKfiiiPfSC_PS2_PT2_iSB_SB_.num_agpr, max(0, .L__assert_fail.num_agpr)
	.set _Z39paged_attention_ll4mi_QKV_mfma16_kernelIDF16_DF16_LN4vllm18Fp8KVCacheDataTypeE0EDF16_Li32ELi128ELi256ELb0ELi9EEvPKT_PKT0_S7_ifPKiS9_S9_iPKfiiiPfSC_PS2_PT2_iSB_SB_.numbered_sgpr, max(33, .L__assert_fail.numbered_sgpr)
	.set _Z39paged_attention_ll4mi_QKV_mfma16_kernelIDF16_DF16_LN4vllm18Fp8KVCacheDataTypeE0EDF16_Li32ELi128ELi256ELb0ELi9EEvPKT_PKT0_S7_ifPKiS9_S9_iPKfiiiPfSC_PS2_PT2_iSB_SB_.num_named_barrier, max(0, .L__assert_fail.num_named_barrier)
	.set _Z39paged_attention_ll4mi_QKV_mfma16_kernelIDF16_DF16_LN4vllm18Fp8KVCacheDataTypeE0EDF16_Li32ELi128ELi256ELb0ELi9EEvPKT_PKT0_S7_ifPKiS9_S9_iPKfiiiPfSC_PS2_PT2_iSB_SB_.private_seg_size, 0+max(.L__assert_fail.private_seg_size)
	.set _Z39paged_attention_ll4mi_QKV_mfma16_kernelIDF16_DF16_LN4vllm18Fp8KVCacheDataTypeE0EDF16_Li32ELi128ELi256ELb0ELi9EEvPKT_PKT0_S7_ifPKiS9_S9_iPKfiiiPfSC_PS2_PT2_iSB_SB_.uses_vcc, or(1, .L__assert_fail.uses_vcc)
	.set _Z39paged_attention_ll4mi_QKV_mfma16_kernelIDF16_DF16_LN4vllm18Fp8KVCacheDataTypeE0EDF16_Li32ELi128ELi256ELb0ELi9EEvPKT_PKT0_S7_ifPKiS9_S9_iPKfiiiPfSC_PS2_PT2_iSB_SB_.uses_flat_scratch, or(0, .L__assert_fail.uses_flat_scratch)
	.set _Z39paged_attention_ll4mi_QKV_mfma16_kernelIDF16_DF16_LN4vllm18Fp8KVCacheDataTypeE0EDF16_Li32ELi128ELi256ELb0ELi9EEvPKT_PKT0_S7_ifPKiS9_S9_iPKfiiiPfSC_PS2_PT2_iSB_SB_.has_dyn_sized_stack, or(0, .L__assert_fail.has_dyn_sized_stack)
	.set _Z39paged_attention_ll4mi_QKV_mfma16_kernelIDF16_DF16_LN4vllm18Fp8KVCacheDataTypeE0EDF16_Li32ELi128ELi256ELb0ELi9EEvPKT_PKT0_S7_ifPKiS9_S9_iPKfiiiPfSC_PS2_PT2_iSB_SB_.has_recursion, or(0, .L__assert_fail.has_recursion)
	.set _Z39paged_attention_ll4mi_QKV_mfma16_kernelIDF16_DF16_LN4vllm18Fp8KVCacheDataTypeE0EDF16_Li32ELi128ELi256ELb0ELi9EEvPKT_PKT0_S7_ifPKiS9_S9_iPKfiiiPfSC_PS2_PT2_iSB_SB_.has_indirect_call, or(0, .L__assert_fail.has_indirect_call)
	.section	.AMDGPU.csdata,"",@progbits
; Kernel info:
; codeLenInByte = 68
; TotalNumSgprs: 36
; NumVgprs: 51
; ScratchSize: 64
; MemoryBound: 0
; FloatMode: 240
; IeeeMode: 1
; LDSByteSize: 0 bytes/workgroup (compile time only)
; SGPRBlocks: 0
; VGPRBlocks: 3
; NumSGPRsForWavesPerEU: 36
; NumVGPRsForWavesPerEU: 51
; NamedBarCnt: 0
; Occupancy: 16
; WaveLimiterHint : 1
; COMPUTE_PGM_RSRC2:SCRATCH_EN: 1
; COMPUTE_PGM_RSRC2:USER_SGPR: 2
; COMPUTE_PGM_RSRC2:TRAP_HANDLER: 0
; COMPUTE_PGM_RSRC2:TGID_X_EN: 1
; COMPUTE_PGM_RSRC2:TGID_Y_EN: 0
; COMPUTE_PGM_RSRC2:TGID_Z_EN: 0
; COMPUTE_PGM_RSRC2:TIDIG_COMP_CNT: 0
	.section	.text._Z39paged_attention_ll4mi_QKV_mfma16_kernelIDF16_DF16_LN4vllm18Fp8KVCacheDataTypeE0EDF16_Li32ELi128ELi256ELb0ELi10EEvPKT_PKT0_S7_ifPKiS9_S9_iPKfiiiPfSC_PS2_PT2_iSB_SB_,"axG",@progbits,_Z39paged_attention_ll4mi_QKV_mfma16_kernelIDF16_DF16_LN4vllm18Fp8KVCacheDataTypeE0EDF16_Li32ELi128ELi256ELb0ELi10EEvPKT_PKT0_S7_ifPKiS9_S9_iPKfiiiPfSC_PS2_PT2_iSB_SB_,comdat
	.protected	_Z39paged_attention_ll4mi_QKV_mfma16_kernelIDF16_DF16_LN4vllm18Fp8KVCacheDataTypeE0EDF16_Li32ELi128ELi256ELb0ELi10EEvPKT_PKT0_S7_ifPKiS9_S9_iPKfiiiPfSC_PS2_PT2_iSB_SB_ ; -- Begin function _Z39paged_attention_ll4mi_QKV_mfma16_kernelIDF16_DF16_LN4vllm18Fp8KVCacheDataTypeE0EDF16_Li32ELi128ELi256ELb0ELi10EEvPKT_PKT0_S7_ifPKiS9_S9_iPKfiiiPfSC_PS2_PT2_iSB_SB_
	.globl	_Z39paged_attention_ll4mi_QKV_mfma16_kernelIDF16_DF16_LN4vllm18Fp8KVCacheDataTypeE0EDF16_Li32ELi128ELi256ELb0ELi10EEvPKT_PKT0_S7_ifPKiS9_S9_iPKfiiiPfSC_PS2_PT2_iSB_SB_
	.p2align	8
	.type	_Z39paged_attention_ll4mi_QKV_mfma16_kernelIDF16_DF16_LN4vllm18Fp8KVCacheDataTypeE0EDF16_Li32ELi128ELi256ELb0ELi10EEvPKT_PKT0_S7_ifPKiS9_S9_iPKfiiiPfSC_PS2_PT2_iSB_SB_,@function
_Z39paged_attention_ll4mi_QKV_mfma16_kernelIDF16_DF16_LN4vllm18Fp8KVCacheDataTypeE0EDF16_Li32ELi128ELi256ELb0ELi10EEvPKT_PKT0_S7_ifPKiS9_S9_iPKfiiiPfSC_PS2_PT2_iSB_SB_: ; @_Z39paged_attention_ll4mi_QKV_mfma16_kernelIDF16_DF16_LN4vllm18Fp8KVCacheDataTypeE0EDF16_Li32ELi128ELi256ELb0ELi10EEvPKT_PKT0_S7_ifPKiS9_S9_iPKfiiiPfSC_PS2_PT2_iSB_SB_
; %bb.0:
	s_get_pc_i64 s[2:3]
	s_add_nc_u64 s[2:3], s[2:3], __PRETTY_FUNCTION__._Z39paged_attention_ll4mi_QKV_mfma16_kernelIDF16_DF16_LN4vllm18Fp8KVCacheDataTypeE0EDF16_Li32ELi128ELi256ELb0ELi10EEvPKT_PKT0_S7_ifPKiS9_S9_iPKfiiiPfSC_PS2_PT2_iSB_SB_@rel64+4
	s_delay_alu instid0(SALU_CYCLE_1)
	v_dual_mov_b32 v0, 0xbb3 :: v_dual_mov_b32 v1, s2
	v_mov_b32_e32 v2, s3
	s_add_nc_u64 s[8:9], s[0:1], 0x90
	s_get_pc_i64 s[0:1]
	s_add_nc_u64 s[0:1], s[0:1], __assert_fail@rel64+4
	s_mov_b32 s32, 0
	s_swap_pc_i64 s[30:31], s[0:1]
	.section	.rodata,"a",@progbits
	.p2align	6, 0x0
	.amdhsa_kernel _Z39paged_attention_ll4mi_QKV_mfma16_kernelIDF16_DF16_LN4vllm18Fp8KVCacheDataTypeE0EDF16_Li32ELi128ELi256ELb0ELi10EEvPKT_PKT0_S7_ifPKiS9_S9_iPKfiiiPfSC_PS2_PT2_iSB_SB_
		.amdhsa_group_segment_fixed_size 0
		.amdhsa_private_segment_fixed_size 64
		.amdhsa_kernarg_size 400
		.amdhsa_user_sgpr_count 2
		.amdhsa_user_sgpr_dispatch_ptr 0
		.amdhsa_user_sgpr_queue_ptr 0
		.amdhsa_user_sgpr_kernarg_segment_ptr 1
		.amdhsa_user_sgpr_dispatch_id 0
		.amdhsa_user_sgpr_kernarg_preload_length 0
		.amdhsa_user_sgpr_kernarg_preload_offset 0
		.amdhsa_user_sgpr_private_segment_size 0
		.amdhsa_wavefront_size32 1
		.amdhsa_uses_dynamic_stack 0
		.amdhsa_enable_private_segment 1
		.amdhsa_system_sgpr_workgroup_id_x 1
		.amdhsa_system_sgpr_workgroup_id_y 0
		.amdhsa_system_sgpr_workgroup_id_z 0
		.amdhsa_system_sgpr_workgroup_info 0
		.amdhsa_system_vgpr_workitem_id 0
		.amdhsa_next_free_vgpr 51
		.amdhsa_next_free_sgpr 34
		.amdhsa_named_barrier_count 0
		.amdhsa_reserve_vcc 1
		.amdhsa_float_round_mode_32 0
		.amdhsa_float_round_mode_16_64 0
		.amdhsa_float_denorm_mode_32 3
		.amdhsa_float_denorm_mode_16_64 3
		.amdhsa_fp16_overflow 0
		.amdhsa_memory_ordered 1
		.amdhsa_forward_progress 1
		.amdhsa_inst_pref_size 1
		.amdhsa_round_robin_scheduling 0
		.amdhsa_exception_fp_ieee_invalid_op 0
		.amdhsa_exception_fp_denorm_src 0
		.amdhsa_exception_fp_ieee_div_zero 0
		.amdhsa_exception_fp_ieee_overflow 0
		.amdhsa_exception_fp_ieee_underflow 0
		.amdhsa_exception_fp_ieee_inexact 0
		.amdhsa_exception_int_div_zero 0
	.end_amdhsa_kernel
	.section	.text._Z39paged_attention_ll4mi_QKV_mfma16_kernelIDF16_DF16_LN4vllm18Fp8KVCacheDataTypeE0EDF16_Li32ELi128ELi256ELb0ELi10EEvPKT_PKT0_S7_ifPKiS9_S9_iPKfiiiPfSC_PS2_PT2_iSB_SB_,"axG",@progbits,_Z39paged_attention_ll4mi_QKV_mfma16_kernelIDF16_DF16_LN4vllm18Fp8KVCacheDataTypeE0EDF16_Li32ELi128ELi256ELb0ELi10EEvPKT_PKT0_S7_ifPKiS9_S9_iPKfiiiPfSC_PS2_PT2_iSB_SB_,comdat
.Lfunc_end375:
	.size	_Z39paged_attention_ll4mi_QKV_mfma16_kernelIDF16_DF16_LN4vllm18Fp8KVCacheDataTypeE0EDF16_Li32ELi128ELi256ELb0ELi10EEvPKT_PKT0_S7_ifPKiS9_S9_iPKfiiiPfSC_PS2_PT2_iSB_SB_, .Lfunc_end375-_Z39paged_attention_ll4mi_QKV_mfma16_kernelIDF16_DF16_LN4vllm18Fp8KVCacheDataTypeE0EDF16_Li32ELi128ELi256ELb0ELi10EEvPKT_PKT0_S7_ifPKiS9_S9_iPKfiiiPfSC_PS2_PT2_iSB_SB_
                                        ; -- End function
	.set _Z39paged_attention_ll4mi_QKV_mfma16_kernelIDF16_DF16_LN4vllm18Fp8KVCacheDataTypeE0EDF16_Li32ELi128ELi256ELb0ELi10EEvPKT_PKT0_S7_ifPKiS9_S9_iPKfiiiPfSC_PS2_PT2_iSB_SB_.num_vgpr, max(3, .L__assert_fail.num_vgpr)
	.set _Z39paged_attention_ll4mi_QKV_mfma16_kernelIDF16_DF16_LN4vllm18Fp8KVCacheDataTypeE0EDF16_Li32ELi128ELi256ELb0ELi10EEvPKT_PKT0_S7_ifPKiS9_S9_iPKfiiiPfSC_PS2_PT2_iSB_SB_.num_agpr, max(0, .L__assert_fail.num_agpr)
	.set _Z39paged_attention_ll4mi_QKV_mfma16_kernelIDF16_DF16_LN4vllm18Fp8KVCacheDataTypeE0EDF16_Li32ELi128ELi256ELb0ELi10EEvPKT_PKT0_S7_ifPKiS9_S9_iPKfiiiPfSC_PS2_PT2_iSB_SB_.numbered_sgpr, max(33, .L__assert_fail.numbered_sgpr)
	.set _Z39paged_attention_ll4mi_QKV_mfma16_kernelIDF16_DF16_LN4vllm18Fp8KVCacheDataTypeE0EDF16_Li32ELi128ELi256ELb0ELi10EEvPKT_PKT0_S7_ifPKiS9_S9_iPKfiiiPfSC_PS2_PT2_iSB_SB_.num_named_barrier, max(0, .L__assert_fail.num_named_barrier)
	.set _Z39paged_attention_ll4mi_QKV_mfma16_kernelIDF16_DF16_LN4vllm18Fp8KVCacheDataTypeE0EDF16_Li32ELi128ELi256ELb0ELi10EEvPKT_PKT0_S7_ifPKiS9_S9_iPKfiiiPfSC_PS2_PT2_iSB_SB_.private_seg_size, 0+max(.L__assert_fail.private_seg_size)
	.set _Z39paged_attention_ll4mi_QKV_mfma16_kernelIDF16_DF16_LN4vllm18Fp8KVCacheDataTypeE0EDF16_Li32ELi128ELi256ELb0ELi10EEvPKT_PKT0_S7_ifPKiS9_S9_iPKfiiiPfSC_PS2_PT2_iSB_SB_.uses_vcc, or(1, .L__assert_fail.uses_vcc)
	.set _Z39paged_attention_ll4mi_QKV_mfma16_kernelIDF16_DF16_LN4vllm18Fp8KVCacheDataTypeE0EDF16_Li32ELi128ELi256ELb0ELi10EEvPKT_PKT0_S7_ifPKiS9_S9_iPKfiiiPfSC_PS2_PT2_iSB_SB_.uses_flat_scratch, or(0, .L__assert_fail.uses_flat_scratch)
	.set _Z39paged_attention_ll4mi_QKV_mfma16_kernelIDF16_DF16_LN4vllm18Fp8KVCacheDataTypeE0EDF16_Li32ELi128ELi256ELb0ELi10EEvPKT_PKT0_S7_ifPKiS9_S9_iPKfiiiPfSC_PS2_PT2_iSB_SB_.has_dyn_sized_stack, or(0, .L__assert_fail.has_dyn_sized_stack)
	.set _Z39paged_attention_ll4mi_QKV_mfma16_kernelIDF16_DF16_LN4vllm18Fp8KVCacheDataTypeE0EDF16_Li32ELi128ELi256ELb0ELi10EEvPKT_PKT0_S7_ifPKiS9_S9_iPKfiiiPfSC_PS2_PT2_iSB_SB_.has_recursion, or(0, .L__assert_fail.has_recursion)
	.set _Z39paged_attention_ll4mi_QKV_mfma16_kernelIDF16_DF16_LN4vllm18Fp8KVCacheDataTypeE0EDF16_Li32ELi128ELi256ELb0ELi10EEvPKT_PKT0_S7_ifPKiS9_S9_iPKfiiiPfSC_PS2_PT2_iSB_SB_.has_indirect_call, or(0, .L__assert_fail.has_indirect_call)
	.section	.AMDGPU.csdata,"",@progbits
; Kernel info:
; codeLenInByte = 68
; TotalNumSgprs: 36
; NumVgprs: 51
; ScratchSize: 64
; MemoryBound: 0
; FloatMode: 240
; IeeeMode: 1
; LDSByteSize: 0 bytes/workgroup (compile time only)
; SGPRBlocks: 0
; VGPRBlocks: 3
; NumSGPRsForWavesPerEU: 36
; NumVGPRsForWavesPerEU: 51
; NamedBarCnt: 0
; Occupancy: 16
; WaveLimiterHint : 1
; COMPUTE_PGM_RSRC2:SCRATCH_EN: 1
; COMPUTE_PGM_RSRC2:USER_SGPR: 2
; COMPUTE_PGM_RSRC2:TRAP_HANDLER: 0
; COMPUTE_PGM_RSRC2:TGID_X_EN: 1
; COMPUTE_PGM_RSRC2:TGID_Y_EN: 0
; COMPUTE_PGM_RSRC2:TGID_Z_EN: 0
; COMPUTE_PGM_RSRC2:TIDIG_COMP_CNT: 0
	.section	.text._Z39paged_attention_ll4mi_QKV_mfma16_kernelIDF16_DF16_LN4vllm18Fp8KVCacheDataTypeE0EDF16_Li32ELi128ELi256ELb0ELi11EEvPKT_PKT0_S7_ifPKiS9_S9_iPKfiiiPfSC_PS2_PT2_iSB_SB_,"axG",@progbits,_Z39paged_attention_ll4mi_QKV_mfma16_kernelIDF16_DF16_LN4vllm18Fp8KVCacheDataTypeE0EDF16_Li32ELi128ELi256ELb0ELi11EEvPKT_PKT0_S7_ifPKiS9_S9_iPKfiiiPfSC_PS2_PT2_iSB_SB_,comdat
	.protected	_Z39paged_attention_ll4mi_QKV_mfma16_kernelIDF16_DF16_LN4vllm18Fp8KVCacheDataTypeE0EDF16_Li32ELi128ELi256ELb0ELi11EEvPKT_PKT0_S7_ifPKiS9_S9_iPKfiiiPfSC_PS2_PT2_iSB_SB_ ; -- Begin function _Z39paged_attention_ll4mi_QKV_mfma16_kernelIDF16_DF16_LN4vllm18Fp8KVCacheDataTypeE0EDF16_Li32ELi128ELi256ELb0ELi11EEvPKT_PKT0_S7_ifPKiS9_S9_iPKfiiiPfSC_PS2_PT2_iSB_SB_
	.globl	_Z39paged_attention_ll4mi_QKV_mfma16_kernelIDF16_DF16_LN4vllm18Fp8KVCacheDataTypeE0EDF16_Li32ELi128ELi256ELb0ELi11EEvPKT_PKT0_S7_ifPKiS9_S9_iPKfiiiPfSC_PS2_PT2_iSB_SB_
	.p2align	8
	.type	_Z39paged_attention_ll4mi_QKV_mfma16_kernelIDF16_DF16_LN4vllm18Fp8KVCacheDataTypeE0EDF16_Li32ELi128ELi256ELb0ELi11EEvPKT_PKT0_S7_ifPKiS9_S9_iPKfiiiPfSC_PS2_PT2_iSB_SB_,@function
_Z39paged_attention_ll4mi_QKV_mfma16_kernelIDF16_DF16_LN4vllm18Fp8KVCacheDataTypeE0EDF16_Li32ELi128ELi256ELb0ELi11EEvPKT_PKT0_S7_ifPKiS9_S9_iPKfiiiPfSC_PS2_PT2_iSB_SB_: ; @_Z39paged_attention_ll4mi_QKV_mfma16_kernelIDF16_DF16_LN4vllm18Fp8KVCacheDataTypeE0EDF16_Li32ELi128ELi256ELb0ELi11EEvPKT_PKT0_S7_ifPKiS9_S9_iPKfiiiPfSC_PS2_PT2_iSB_SB_
; %bb.0:
	s_get_pc_i64 s[2:3]
	s_add_nc_u64 s[2:3], s[2:3], __PRETTY_FUNCTION__._Z39paged_attention_ll4mi_QKV_mfma16_kernelIDF16_DF16_LN4vllm18Fp8KVCacheDataTypeE0EDF16_Li32ELi128ELi256ELb0ELi11EEvPKT_PKT0_S7_ifPKiS9_S9_iPKfiiiPfSC_PS2_PT2_iSB_SB_@rel64+4
	s_delay_alu instid0(SALU_CYCLE_1)
	v_dual_mov_b32 v0, 0xbb3 :: v_dual_mov_b32 v1, s2
	v_mov_b32_e32 v2, s3
	s_add_nc_u64 s[8:9], s[0:1], 0x90
	s_get_pc_i64 s[0:1]
	s_add_nc_u64 s[0:1], s[0:1], __assert_fail@rel64+4
	s_mov_b32 s32, 0
	s_swap_pc_i64 s[30:31], s[0:1]
	.section	.rodata,"a",@progbits
	.p2align	6, 0x0
	.amdhsa_kernel _Z39paged_attention_ll4mi_QKV_mfma16_kernelIDF16_DF16_LN4vllm18Fp8KVCacheDataTypeE0EDF16_Li32ELi128ELi256ELb0ELi11EEvPKT_PKT0_S7_ifPKiS9_S9_iPKfiiiPfSC_PS2_PT2_iSB_SB_
		.amdhsa_group_segment_fixed_size 0
		.amdhsa_private_segment_fixed_size 64
		.amdhsa_kernarg_size 400
		.amdhsa_user_sgpr_count 2
		.amdhsa_user_sgpr_dispatch_ptr 0
		.amdhsa_user_sgpr_queue_ptr 0
		.amdhsa_user_sgpr_kernarg_segment_ptr 1
		.amdhsa_user_sgpr_dispatch_id 0
		.amdhsa_user_sgpr_kernarg_preload_length 0
		.amdhsa_user_sgpr_kernarg_preload_offset 0
		.amdhsa_user_sgpr_private_segment_size 0
		.amdhsa_wavefront_size32 1
		.amdhsa_uses_dynamic_stack 0
		.amdhsa_enable_private_segment 1
		.amdhsa_system_sgpr_workgroup_id_x 1
		.amdhsa_system_sgpr_workgroup_id_y 0
		.amdhsa_system_sgpr_workgroup_id_z 0
		.amdhsa_system_sgpr_workgroup_info 0
		.amdhsa_system_vgpr_workitem_id 0
		.amdhsa_next_free_vgpr 51
		.amdhsa_next_free_sgpr 34
		.amdhsa_named_barrier_count 0
		.amdhsa_reserve_vcc 1
		.amdhsa_float_round_mode_32 0
		.amdhsa_float_round_mode_16_64 0
		.amdhsa_float_denorm_mode_32 3
		.amdhsa_float_denorm_mode_16_64 3
		.amdhsa_fp16_overflow 0
		.amdhsa_memory_ordered 1
		.amdhsa_forward_progress 1
		.amdhsa_inst_pref_size 1
		.amdhsa_round_robin_scheduling 0
		.amdhsa_exception_fp_ieee_invalid_op 0
		.amdhsa_exception_fp_denorm_src 0
		.amdhsa_exception_fp_ieee_div_zero 0
		.amdhsa_exception_fp_ieee_overflow 0
		.amdhsa_exception_fp_ieee_underflow 0
		.amdhsa_exception_fp_ieee_inexact 0
		.amdhsa_exception_int_div_zero 0
	.end_amdhsa_kernel
	.section	.text._Z39paged_attention_ll4mi_QKV_mfma16_kernelIDF16_DF16_LN4vllm18Fp8KVCacheDataTypeE0EDF16_Li32ELi128ELi256ELb0ELi11EEvPKT_PKT0_S7_ifPKiS9_S9_iPKfiiiPfSC_PS2_PT2_iSB_SB_,"axG",@progbits,_Z39paged_attention_ll4mi_QKV_mfma16_kernelIDF16_DF16_LN4vllm18Fp8KVCacheDataTypeE0EDF16_Li32ELi128ELi256ELb0ELi11EEvPKT_PKT0_S7_ifPKiS9_S9_iPKfiiiPfSC_PS2_PT2_iSB_SB_,comdat
.Lfunc_end376:
	.size	_Z39paged_attention_ll4mi_QKV_mfma16_kernelIDF16_DF16_LN4vllm18Fp8KVCacheDataTypeE0EDF16_Li32ELi128ELi256ELb0ELi11EEvPKT_PKT0_S7_ifPKiS9_S9_iPKfiiiPfSC_PS2_PT2_iSB_SB_, .Lfunc_end376-_Z39paged_attention_ll4mi_QKV_mfma16_kernelIDF16_DF16_LN4vllm18Fp8KVCacheDataTypeE0EDF16_Li32ELi128ELi256ELb0ELi11EEvPKT_PKT0_S7_ifPKiS9_S9_iPKfiiiPfSC_PS2_PT2_iSB_SB_
                                        ; -- End function
	.set _Z39paged_attention_ll4mi_QKV_mfma16_kernelIDF16_DF16_LN4vllm18Fp8KVCacheDataTypeE0EDF16_Li32ELi128ELi256ELb0ELi11EEvPKT_PKT0_S7_ifPKiS9_S9_iPKfiiiPfSC_PS2_PT2_iSB_SB_.num_vgpr, max(3, .L__assert_fail.num_vgpr)
	.set _Z39paged_attention_ll4mi_QKV_mfma16_kernelIDF16_DF16_LN4vllm18Fp8KVCacheDataTypeE0EDF16_Li32ELi128ELi256ELb0ELi11EEvPKT_PKT0_S7_ifPKiS9_S9_iPKfiiiPfSC_PS2_PT2_iSB_SB_.num_agpr, max(0, .L__assert_fail.num_agpr)
	.set _Z39paged_attention_ll4mi_QKV_mfma16_kernelIDF16_DF16_LN4vllm18Fp8KVCacheDataTypeE0EDF16_Li32ELi128ELi256ELb0ELi11EEvPKT_PKT0_S7_ifPKiS9_S9_iPKfiiiPfSC_PS2_PT2_iSB_SB_.numbered_sgpr, max(33, .L__assert_fail.numbered_sgpr)
	.set _Z39paged_attention_ll4mi_QKV_mfma16_kernelIDF16_DF16_LN4vllm18Fp8KVCacheDataTypeE0EDF16_Li32ELi128ELi256ELb0ELi11EEvPKT_PKT0_S7_ifPKiS9_S9_iPKfiiiPfSC_PS2_PT2_iSB_SB_.num_named_barrier, max(0, .L__assert_fail.num_named_barrier)
	.set _Z39paged_attention_ll4mi_QKV_mfma16_kernelIDF16_DF16_LN4vllm18Fp8KVCacheDataTypeE0EDF16_Li32ELi128ELi256ELb0ELi11EEvPKT_PKT0_S7_ifPKiS9_S9_iPKfiiiPfSC_PS2_PT2_iSB_SB_.private_seg_size, 0+max(.L__assert_fail.private_seg_size)
	.set _Z39paged_attention_ll4mi_QKV_mfma16_kernelIDF16_DF16_LN4vllm18Fp8KVCacheDataTypeE0EDF16_Li32ELi128ELi256ELb0ELi11EEvPKT_PKT0_S7_ifPKiS9_S9_iPKfiiiPfSC_PS2_PT2_iSB_SB_.uses_vcc, or(1, .L__assert_fail.uses_vcc)
	.set _Z39paged_attention_ll4mi_QKV_mfma16_kernelIDF16_DF16_LN4vllm18Fp8KVCacheDataTypeE0EDF16_Li32ELi128ELi256ELb0ELi11EEvPKT_PKT0_S7_ifPKiS9_S9_iPKfiiiPfSC_PS2_PT2_iSB_SB_.uses_flat_scratch, or(0, .L__assert_fail.uses_flat_scratch)
	.set _Z39paged_attention_ll4mi_QKV_mfma16_kernelIDF16_DF16_LN4vllm18Fp8KVCacheDataTypeE0EDF16_Li32ELi128ELi256ELb0ELi11EEvPKT_PKT0_S7_ifPKiS9_S9_iPKfiiiPfSC_PS2_PT2_iSB_SB_.has_dyn_sized_stack, or(0, .L__assert_fail.has_dyn_sized_stack)
	.set _Z39paged_attention_ll4mi_QKV_mfma16_kernelIDF16_DF16_LN4vllm18Fp8KVCacheDataTypeE0EDF16_Li32ELi128ELi256ELb0ELi11EEvPKT_PKT0_S7_ifPKiS9_S9_iPKfiiiPfSC_PS2_PT2_iSB_SB_.has_recursion, or(0, .L__assert_fail.has_recursion)
	.set _Z39paged_attention_ll4mi_QKV_mfma16_kernelIDF16_DF16_LN4vllm18Fp8KVCacheDataTypeE0EDF16_Li32ELi128ELi256ELb0ELi11EEvPKT_PKT0_S7_ifPKiS9_S9_iPKfiiiPfSC_PS2_PT2_iSB_SB_.has_indirect_call, or(0, .L__assert_fail.has_indirect_call)
	.section	.AMDGPU.csdata,"",@progbits
; Kernel info:
; codeLenInByte = 68
; TotalNumSgprs: 36
; NumVgprs: 51
; ScratchSize: 64
; MemoryBound: 0
; FloatMode: 240
; IeeeMode: 1
; LDSByteSize: 0 bytes/workgroup (compile time only)
; SGPRBlocks: 0
; VGPRBlocks: 3
; NumSGPRsForWavesPerEU: 36
; NumVGPRsForWavesPerEU: 51
; NamedBarCnt: 0
; Occupancy: 16
; WaveLimiterHint : 1
; COMPUTE_PGM_RSRC2:SCRATCH_EN: 1
; COMPUTE_PGM_RSRC2:USER_SGPR: 2
; COMPUTE_PGM_RSRC2:TRAP_HANDLER: 0
; COMPUTE_PGM_RSRC2:TGID_X_EN: 1
; COMPUTE_PGM_RSRC2:TGID_Y_EN: 0
; COMPUTE_PGM_RSRC2:TGID_Z_EN: 0
; COMPUTE_PGM_RSRC2:TIDIG_COMP_CNT: 0
	.section	.text._Z39paged_attention_ll4mi_QKV_mfma16_kernelIDF16_DF16_LN4vllm18Fp8KVCacheDataTypeE0EDF16_Li32ELi128ELi256ELb0ELi12EEvPKT_PKT0_S7_ifPKiS9_S9_iPKfiiiPfSC_PS2_PT2_iSB_SB_,"axG",@progbits,_Z39paged_attention_ll4mi_QKV_mfma16_kernelIDF16_DF16_LN4vllm18Fp8KVCacheDataTypeE0EDF16_Li32ELi128ELi256ELb0ELi12EEvPKT_PKT0_S7_ifPKiS9_S9_iPKfiiiPfSC_PS2_PT2_iSB_SB_,comdat
	.protected	_Z39paged_attention_ll4mi_QKV_mfma16_kernelIDF16_DF16_LN4vllm18Fp8KVCacheDataTypeE0EDF16_Li32ELi128ELi256ELb0ELi12EEvPKT_PKT0_S7_ifPKiS9_S9_iPKfiiiPfSC_PS2_PT2_iSB_SB_ ; -- Begin function _Z39paged_attention_ll4mi_QKV_mfma16_kernelIDF16_DF16_LN4vllm18Fp8KVCacheDataTypeE0EDF16_Li32ELi128ELi256ELb0ELi12EEvPKT_PKT0_S7_ifPKiS9_S9_iPKfiiiPfSC_PS2_PT2_iSB_SB_
	.globl	_Z39paged_attention_ll4mi_QKV_mfma16_kernelIDF16_DF16_LN4vllm18Fp8KVCacheDataTypeE0EDF16_Li32ELi128ELi256ELb0ELi12EEvPKT_PKT0_S7_ifPKiS9_S9_iPKfiiiPfSC_PS2_PT2_iSB_SB_
	.p2align	8
	.type	_Z39paged_attention_ll4mi_QKV_mfma16_kernelIDF16_DF16_LN4vllm18Fp8KVCacheDataTypeE0EDF16_Li32ELi128ELi256ELb0ELi12EEvPKT_PKT0_S7_ifPKiS9_S9_iPKfiiiPfSC_PS2_PT2_iSB_SB_,@function
_Z39paged_attention_ll4mi_QKV_mfma16_kernelIDF16_DF16_LN4vllm18Fp8KVCacheDataTypeE0EDF16_Li32ELi128ELi256ELb0ELi12EEvPKT_PKT0_S7_ifPKiS9_S9_iPKfiiiPfSC_PS2_PT2_iSB_SB_: ; @_Z39paged_attention_ll4mi_QKV_mfma16_kernelIDF16_DF16_LN4vllm18Fp8KVCacheDataTypeE0EDF16_Li32ELi128ELi256ELb0ELi12EEvPKT_PKT0_S7_ifPKiS9_S9_iPKfiiiPfSC_PS2_PT2_iSB_SB_
; %bb.0:
	s_get_pc_i64 s[2:3]
	s_add_nc_u64 s[2:3], s[2:3], __PRETTY_FUNCTION__._Z39paged_attention_ll4mi_QKV_mfma16_kernelIDF16_DF16_LN4vllm18Fp8KVCacheDataTypeE0EDF16_Li32ELi128ELi256ELb0ELi12EEvPKT_PKT0_S7_ifPKiS9_S9_iPKfiiiPfSC_PS2_PT2_iSB_SB_@rel64+4
	s_delay_alu instid0(SALU_CYCLE_1)
	v_dual_mov_b32 v0, 0xbb3 :: v_dual_mov_b32 v1, s2
	v_mov_b32_e32 v2, s3
	s_add_nc_u64 s[8:9], s[0:1], 0x90
	s_get_pc_i64 s[0:1]
	s_add_nc_u64 s[0:1], s[0:1], __assert_fail@rel64+4
	s_mov_b32 s32, 0
	s_swap_pc_i64 s[30:31], s[0:1]
	.section	.rodata,"a",@progbits
	.p2align	6, 0x0
	.amdhsa_kernel _Z39paged_attention_ll4mi_QKV_mfma16_kernelIDF16_DF16_LN4vllm18Fp8KVCacheDataTypeE0EDF16_Li32ELi128ELi256ELb0ELi12EEvPKT_PKT0_S7_ifPKiS9_S9_iPKfiiiPfSC_PS2_PT2_iSB_SB_
		.amdhsa_group_segment_fixed_size 0
		.amdhsa_private_segment_fixed_size 64
		.amdhsa_kernarg_size 400
		.amdhsa_user_sgpr_count 2
		.amdhsa_user_sgpr_dispatch_ptr 0
		.amdhsa_user_sgpr_queue_ptr 0
		.amdhsa_user_sgpr_kernarg_segment_ptr 1
		.amdhsa_user_sgpr_dispatch_id 0
		.amdhsa_user_sgpr_kernarg_preload_length 0
		.amdhsa_user_sgpr_kernarg_preload_offset 0
		.amdhsa_user_sgpr_private_segment_size 0
		.amdhsa_wavefront_size32 1
		.amdhsa_uses_dynamic_stack 0
		.amdhsa_enable_private_segment 1
		.amdhsa_system_sgpr_workgroup_id_x 1
		.amdhsa_system_sgpr_workgroup_id_y 0
		.amdhsa_system_sgpr_workgroup_id_z 0
		.amdhsa_system_sgpr_workgroup_info 0
		.amdhsa_system_vgpr_workitem_id 0
		.amdhsa_next_free_vgpr 51
		.amdhsa_next_free_sgpr 34
		.amdhsa_named_barrier_count 0
		.amdhsa_reserve_vcc 1
		.amdhsa_float_round_mode_32 0
		.amdhsa_float_round_mode_16_64 0
		.amdhsa_float_denorm_mode_32 3
		.amdhsa_float_denorm_mode_16_64 3
		.amdhsa_fp16_overflow 0
		.amdhsa_memory_ordered 1
		.amdhsa_forward_progress 1
		.amdhsa_inst_pref_size 1
		.amdhsa_round_robin_scheduling 0
		.amdhsa_exception_fp_ieee_invalid_op 0
		.amdhsa_exception_fp_denorm_src 0
		.amdhsa_exception_fp_ieee_div_zero 0
		.amdhsa_exception_fp_ieee_overflow 0
		.amdhsa_exception_fp_ieee_underflow 0
		.amdhsa_exception_fp_ieee_inexact 0
		.amdhsa_exception_int_div_zero 0
	.end_amdhsa_kernel
	.section	.text._Z39paged_attention_ll4mi_QKV_mfma16_kernelIDF16_DF16_LN4vllm18Fp8KVCacheDataTypeE0EDF16_Li32ELi128ELi256ELb0ELi12EEvPKT_PKT0_S7_ifPKiS9_S9_iPKfiiiPfSC_PS2_PT2_iSB_SB_,"axG",@progbits,_Z39paged_attention_ll4mi_QKV_mfma16_kernelIDF16_DF16_LN4vllm18Fp8KVCacheDataTypeE0EDF16_Li32ELi128ELi256ELb0ELi12EEvPKT_PKT0_S7_ifPKiS9_S9_iPKfiiiPfSC_PS2_PT2_iSB_SB_,comdat
.Lfunc_end377:
	.size	_Z39paged_attention_ll4mi_QKV_mfma16_kernelIDF16_DF16_LN4vllm18Fp8KVCacheDataTypeE0EDF16_Li32ELi128ELi256ELb0ELi12EEvPKT_PKT0_S7_ifPKiS9_S9_iPKfiiiPfSC_PS2_PT2_iSB_SB_, .Lfunc_end377-_Z39paged_attention_ll4mi_QKV_mfma16_kernelIDF16_DF16_LN4vllm18Fp8KVCacheDataTypeE0EDF16_Li32ELi128ELi256ELb0ELi12EEvPKT_PKT0_S7_ifPKiS9_S9_iPKfiiiPfSC_PS2_PT2_iSB_SB_
                                        ; -- End function
	.set _Z39paged_attention_ll4mi_QKV_mfma16_kernelIDF16_DF16_LN4vllm18Fp8KVCacheDataTypeE0EDF16_Li32ELi128ELi256ELb0ELi12EEvPKT_PKT0_S7_ifPKiS9_S9_iPKfiiiPfSC_PS2_PT2_iSB_SB_.num_vgpr, max(3, .L__assert_fail.num_vgpr)
	.set _Z39paged_attention_ll4mi_QKV_mfma16_kernelIDF16_DF16_LN4vllm18Fp8KVCacheDataTypeE0EDF16_Li32ELi128ELi256ELb0ELi12EEvPKT_PKT0_S7_ifPKiS9_S9_iPKfiiiPfSC_PS2_PT2_iSB_SB_.num_agpr, max(0, .L__assert_fail.num_agpr)
	.set _Z39paged_attention_ll4mi_QKV_mfma16_kernelIDF16_DF16_LN4vllm18Fp8KVCacheDataTypeE0EDF16_Li32ELi128ELi256ELb0ELi12EEvPKT_PKT0_S7_ifPKiS9_S9_iPKfiiiPfSC_PS2_PT2_iSB_SB_.numbered_sgpr, max(33, .L__assert_fail.numbered_sgpr)
	.set _Z39paged_attention_ll4mi_QKV_mfma16_kernelIDF16_DF16_LN4vllm18Fp8KVCacheDataTypeE0EDF16_Li32ELi128ELi256ELb0ELi12EEvPKT_PKT0_S7_ifPKiS9_S9_iPKfiiiPfSC_PS2_PT2_iSB_SB_.num_named_barrier, max(0, .L__assert_fail.num_named_barrier)
	.set _Z39paged_attention_ll4mi_QKV_mfma16_kernelIDF16_DF16_LN4vllm18Fp8KVCacheDataTypeE0EDF16_Li32ELi128ELi256ELb0ELi12EEvPKT_PKT0_S7_ifPKiS9_S9_iPKfiiiPfSC_PS2_PT2_iSB_SB_.private_seg_size, 0+max(.L__assert_fail.private_seg_size)
	.set _Z39paged_attention_ll4mi_QKV_mfma16_kernelIDF16_DF16_LN4vllm18Fp8KVCacheDataTypeE0EDF16_Li32ELi128ELi256ELb0ELi12EEvPKT_PKT0_S7_ifPKiS9_S9_iPKfiiiPfSC_PS2_PT2_iSB_SB_.uses_vcc, or(1, .L__assert_fail.uses_vcc)
	.set _Z39paged_attention_ll4mi_QKV_mfma16_kernelIDF16_DF16_LN4vllm18Fp8KVCacheDataTypeE0EDF16_Li32ELi128ELi256ELb0ELi12EEvPKT_PKT0_S7_ifPKiS9_S9_iPKfiiiPfSC_PS2_PT2_iSB_SB_.uses_flat_scratch, or(0, .L__assert_fail.uses_flat_scratch)
	.set _Z39paged_attention_ll4mi_QKV_mfma16_kernelIDF16_DF16_LN4vllm18Fp8KVCacheDataTypeE0EDF16_Li32ELi128ELi256ELb0ELi12EEvPKT_PKT0_S7_ifPKiS9_S9_iPKfiiiPfSC_PS2_PT2_iSB_SB_.has_dyn_sized_stack, or(0, .L__assert_fail.has_dyn_sized_stack)
	.set _Z39paged_attention_ll4mi_QKV_mfma16_kernelIDF16_DF16_LN4vllm18Fp8KVCacheDataTypeE0EDF16_Li32ELi128ELi256ELb0ELi12EEvPKT_PKT0_S7_ifPKiS9_S9_iPKfiiiPfSC_PS2_PT2_iSB_SB_.has_recursion, or(0, .L__assert_fail.has_recursion)
	.set _Z39paged_attention_ll4mi_QKV_mfma16_kernelIDF16_DF16_LN4vllm18Fp8KVCacheDataTypeE0EDF16_Li32ELi128ELi256ELb0ELi12EEvPKT_PKT0_S7_ifPKiS9_S9_iPKfiiiPfSC_PS2_PT2_iSB_SB_.has_indirect_call, or(0, .L__assert_fail.has_indirect_call)
	.section	.AMDGPU.csdata,"",@progbits
; Kernel info:
; codeLenInByte = 68
; TotalNumSgprs: 36
; NumVgprs: 51
; ScratchSize: 64
; MemoryBound: 0
; FloatMode: 240
; IeeeMode: 1
; LDSByteSize: 0 bytes/workgroup (compile time only)
; SGPRBlocks: 0
; VGPRBlocks: 3
; NumSGPRsForWavesPerEU: 36
; NumVGPRsForWavesPerEU: 51
; NamedBarCnt: 0
; Occupancy: 16
; WaveLimiterHint : 1
; COMPUTE_PGM_RSRC2:SCRATCH_EN: 1
; COMPUTE_PGM_RSRC2:USER_SGPR: 2
; COMPUTE_PGM_RSRC2:TRAP_HANDLER: 0
; COMPUTE_PGM_RSRC2:TGID_X_EN: 1
; COMPUTE_PGM_RSRC2:TGID_Y_EN: 0
; COMPUTE_PGM_RSRC2:TGID_Z_EN: 0
; COMPUTE_PGM_RSRC2:TIDIG_COMP_CNT: 0
	.section	.text._Z39paged_attention_ll4mi_QKV_mfma16_kernelIDF16_DF16_LN4vllm18Fp8KVCacheDataTypeE0EDF16_Li32ELi128ELi256ELb0ELi13EEvPKT_PKT0_S7_ifPKiS9_S9_iPKfiiiPfSC_PS2_PT2_iSB_SB_,"axG",@progbits,_Z39paged_attention_ll4mi_QKV_mfma16_kernelIDF16_DF16_LN4vllm18Fp8KVCacheDataTypeE0EDF16_Li32ELi128ELi256ELb0ELi13EEvPKT_PKT0_S7_ifPKiS9_S9_iPKfiiiPfSC_PS2_PT2_iSB_SB_,comdat
	.protected	_Z39paged_attention_ll4mi_QKV_mfma16_kernelIDF16_DF16_LN4vllm18Fp8KVCacheDataTypeE0EDF16_Li32ELi128ELi256ELb0ELi13EEvPKT_PKT0_S7_ifPKiS9_S9_iPKfiiiPfSC_PS2_PT2_iSB_SB_ ; -- Begin function _Z39paged_attention_ll4mi_QKV_mfma16_kernelIDF16_DF16_LN4vllm18Fp8KVCacheDataTypeE0EDF16_Li32ELi128ELi256ELb0ELi13EEvPKT_PKT0_S7_ifPKiS9_S9_iPKfiiiPfSC_PS2_PT2_iSB_SB_
	.globl	_Z39paged_attention_ll4mi_QKV_mfma16_kernelIDF16_DF16_LN4vllm18Fp8KVCacheDataTypeE0EDF16_Li32ELi128ELi256ELb0ELi13EEvPKT_PKT0_S7_ifPKiS9_S9_iPKfiiiPfSC_PS2_PT2_iSB_SB_
	.p2align	8
	.type	_Z39paged_attention_ll4mi_QKV_mfma16_kernelIDF16_DF16_LN4vllm18Fp8KVCacheDataTypeE0EDF16_Li32ELi128ELi256ELb0ELi13EEvPKT_PKT0_S7_ifPKiS9_S9_iPKfiiiPfSC_PS2_PT2_iSB_SB_,@function
_Z39paged_attention_ll4mi_QKV_mfma16_kernelIDF16_DF16_LN4vllm18Fp8KVCacheDataTypeE0EDF16_Li32ELi128ELi256ELb0ELi13EEvPKT_PKT0_S7_ifPKiS9_S9_iPKfiiiPfSC_PS2_PT2_iSB_SB_: ; @_Z39paged_attention_ll4mi_QKV_mfma16_kernelIDF16_DF16_LN4vllm18Fp8KVCacheDataTypeE0EDF16_Li32ELi128ELi256ELb0ELi13EEvPKT_PKT0_S7_ifPKiS9_S9_iPKfiiiPfSC_PS2_PT2_iSB_SB_
; %bb.0:
	s_get_pc_i64 s[2:3]
	s_add_nc_u64 s[2:3], s[2:3], __PRETTY_FUNCTION__._Z39paged_attention_ll4mi_QKV_mfma16_kernelIDF16_DF16_LN4vllm18Fp8KVCacheDataTypeE0EDF16_Li32ELi128ELi256ELb0ELi13EEvPKT_PKT0_S7_ifPKiS9_S9_iPKfiiiPfSC_PS2_PT2_iSB_SB_@rel64+4
	s_delay_alu instid0(SALU_CYCLE_1)
	v_dual_mov_b32 v0, 0xbb3 :: v_dual_mov_b32 v1, s2
	v_mov_b32_e32 v2, s3
	s_add_nc_u64 s[8:9], s[0:1], 0x90
	s_get_pc_i64 s[0:1]
	s_add_nc_u64 s[0:1], s[0:1], __assert_fail@rel64+4
	s_mov_b32 s32, 0
	s_swap_pc_i64 s[30:31], s[0:1]
	.section	.rodata,"a",@progbits
	.p2align	6, 0x0
	.amdhsa_kernel _Z39paged_attention_ll4mi_QKV_mfma16_kernelIDF16_DF16_LN4vllm18Fp8KVCacheDataTypeE0EDF16_Li32ELi128ELi256ELb0ELi13EEvPKT_PKT0_S7_ifPKiS9_S9_iPKfiiiPfSC_PS2_PT2_iSB_SB_
		.amdhsa_group_segment_fixed_size 0
		.amdhsa_private_segment_fixed_size 64
		.amdhsa_kernarg_size 400
		.amdhsa_user_sgpr_count 2
		.amdhsa_user_sgpr_dispatch_ptr 0
		.amdhsa_user_sgpr_queue_ptr 0
		.amdhsa_user_sgpr_kernarg_segment_ptr 1
		.amdhsa_user_sgpr_dispatch_id 0
		.amdhsa_user_sgpr_kernarg_preload_length 0
		.amdhsa_user_sgpr_kernarg_preload_offset 0
		.amdhsa_user_sgpr_private_segment_size 0
		.amdhsa_wavefront_size32 1
		.amdhsa_uses_dynamic_stack 0
		.amdhsa_enable_private_segment 1
		.amdhsa_system_sgpr_workgroup_id_x 1
		.amdhsa_system_sgpr_workgroup_id_y 0
		.amdhsa_system_sgpr_workgroup_id_z 0
		.amdhsa_system_sgpr_workgroup_info 0
		.amdhsa_system_vgpr_workitem_id 0
		.amdhsa_next_free_vgpr 51
		.amdhsa_next_free_sgpr 34
		.amdhsa_named_barrier_count 0
		.amdhsa_reserve_vcc 1
		.amdhsa_float_round_mode_32 0
		.amdhsa_float_round_mode_16_64 0
		.amdhsa_float_denorm_mode_32 3
		.amdhsa_float_denorm_mode_16_64 3
		.amdhsa_fp16_overflow 0
		.amdhsa_memory_ordered 1
		.amdhsa_forward_progress 1
		.amdhsa_inst_pref_size 1
		.amdhsa_round_robin_scheduling 0
		.amdhsa_exception_fp_ieee_invalid_op 0
		.amdhsa_exception_fp_denorm_src 0
		.amdhsa_exception_fp_ieee_div_zero 0
		.amdhsa_exception_fp_ieee_overflow 0
		.amdhsa_exception_fp_ieee_underflow 0
		.amdhsa_exception_fp_ieee_inexact 0
		.amdhsa_exception_int_div_zero 0
	.end_amdhsa_kernel
	.section	.text._Z39paged_attention_ll4mi_QKV_mfma16_kernelIDF16_DF16_LN4vllm18Fp8KVCacheDataTypeE0EDF16_Li32ELi128ELi256ELb0ELi13EEvPKT_PKT0_S7_ifPKiS9_S9_iPKfiiiPfSC_PS2_PT2_iSB_SB_,"axG",@progbits,_Z39paged_attention_ll4mi_QKV_mfma16_kernelIDF16_DF16_LN4vllm18Fp8KVCacheDataTypeE0EDF16_Li32ELi128ELi256ELb0ELi13EEvPKT_PKT0_S7_ifPKiS9_S9_iPKfiiiPfSC_PS2_PT2_iSB_SB_,comdat
.Lfunc_end378:
	.size	_Z39paged_attention_ll4mi_QKV_mfma16_kernelIDF16_DF16_LN4vllm18Fp8KVCacheDataTypeE0EDF16_Li32ELi128ELi256ELb0ELi13EEvPKT_PKT0_S7_ifPKiS9_S9_iPKfiiiPfSC_PS2_PT2_iSB_SB_, .Lfunc_end378-_Z39paged_attention_ll4mi_QKV_mfma16_kernelIDF16_DF16_LN4vllm18Fp8KVCacheDataTypeE0EDF16_Li32ELi128ELi256ELb0ELi13EEvPKT_PKT0_S7_ifPKiS9_S9_iPKfiiiPfSC_PS2_PT2_iSB_SB_
                                        ; -- End function
	.set _Z39paged_attention_ll4mi_QKV_mfma16_kernelIDF16_DF16_LN4vllm18Fp8KVCacheDataTypeE0EDF16_Li32ELi128ELi256ELb0ELi13EEvPKT_PKT0_S7_ifPKiS9_S9_iPKfiiiPfSC_PS2_PT2_iSB_SB_.num_vgpr, max(3, .L__assert_fail.num_vgpr)
	.set _Z39paged_attention_ll4mi_QKV_mfma16_kernelIDF16_DF16_LN4vllm18Fp8KVCacheDataTypeE0EDF16_Li32ELi128ELi256ELb0ELi13EEvPKT_PKT0_S7_ifPKiS9_S9_iPKfiiiPfSC_PS2_PT2_iSB_SB_.num_agpr, max(0, .L__assert_fail.num_agpr)
	.set _Z39paged_attention_ll4mi_QKV_mfma16_kernelIDF16_DF16_LN4vllm18Fp8KVCacheDataTypeE0EDF16_Li32ELi128ELi256ELb0ELi13EEvPKT_PKT0_S7_ifPKiS9_S9_iPKfiiiPfSC_PS2_PT2_iSB_SB_.numbered_sgpr, max(33, .L__assert_fail.numbered_sgpr)
	.set _Z39paged_attention_ll4mi_QKV_mfma16_kernelIDF16_DF16_LN4vllm18Fp8KVCacheDataTypeE0EDF16_Li32ELi128ELi256ELb0ELi13EEvPKT_PKT0_S7_ifPKiS9_S9_iPKfiiiPfSC_PS2_PT2_iSB_SB_.num_named_barrier, max(0, .L__assert_fail.num_named_barrier)
	.set _Z39paged_attention_ll4mi_QKV_mfma16_kernelIDF16_DF16_LN4vllm18Fp8KVCacheDataTypeE0EDF16_Li32ELi128ELi256ELb0ELi13EEvPKT_PKT0_S7_ifPKiS9_S9_iPKfiiiPfSC_PS2_PT2_iSB_SB_.private_seg_size, 0+max(.L__assert_fail.private_seg_size)
	.set _Z39paged_attention_ll4mi_QKV_mfma16_kernelIDF16_DF16_LN4vllm18Fp8KVCacheDataTypeE0EDF16_Li32ELi128ELi256ELb0ELi13EEvPKT_PKT0_S7_ifPKiS9_S9_iPKfiiiPfSC_PS2_PT2_iSB_SB_.uses_vcc, or(1, .L__assert_fail.uses_vcc)
	.set _Z39paged_attention_ll4mi_QKV_mfma16_kernelIDF16_DF16_LN4vllm18Fp8KVCacheDataTypeE0EDF16_Li32ELi128ELi256ELb0ELi13EEvPKT_PKT0_S7_ifPKiS9_S9_iPKfiiiPfSC_PS2_PT2_iSB_SB_.uses_flat_scratch, or(0, .L__assert_fail.uses_flat_scratch)
	.set _Z39paged_attention_ll4mi_QKV_mfma16_kernelIDF16_DF16_LN4vllm18Fp8KVCacheDataTypeE0EDF16_Li32ELi128ELi256ELb0ELi13EEvPKT_PKT0_S7_ifPKiS9_S9_iPKfiiiPfSC_PS2_PT2_iSB_SB_.has_dyn_sized_stack, or(0, .L__assert_fail.has_dyn_sized_stack)
	.set _Z39paged_attention_ll4mi_QKV_mfma16_kernelIDF16_DF16_LN4vllm18Fp8KVCacheDataTypeE0EDF16_Li32ELi128ELi256ELb0ELi13EEvPKT_PKT0_S7_ifPKiS9_S9_iPKfiiiPfSC_PS2_PT2_iSB_SB_.has_recursion, or(0, .L__assert_fail.has_recursion)
	.set _Z39paged_attention_ll4mi_QKV_mfma16_kernelIDF16_DF16_LN4vllm18Fp8KVCacheDataTypeE0EDF16_Li32ELi128ELi256ELb0ELi13EEvPKT_PKT0_S7_ifPKiS9_S9_iPKfiiiPfSC_PS2_PT2_iSB_SB_.has_indirect_call, or(0, .L__assert_fail.has_indirect_call)
	.section	.AMDGPU.csdata,"",@progbits
; Kernel info:
; codeLenInByte = 68
; TotalNumSgprs: 36
; NumVgprs: 51
; ScratchSize: 64
; MemoryBound: 0
; FloatMode: 240
; IeeeMode: 1
; LDSByteSize: 0 bytes/workgroup (compile time only)
; SGPRBlocks: 0
; VGPRBlocks: 3
; NumSGPRsForWavesPerEU: 36
; NumVGPRsForWavesPerEU: 51
; NamedBarCnt: 0
; Occupancy: 16
; WaveLimiterHint : 1
; COMPUTE_PGM_RSRC2:SCRATCH_EN: 1
; COMPUTE_PGM_RSRC2:USER_SGPR: 2
; COMPUTE_PGM_RSRC2:TRAP_HANDLER: 0
; COMPUTE_PGM_RSRC2:TGID_X_EN: 1
; COMPUTE_PGM_RSRC2:TGID_Y_EN: 0
; COMPUTE_PGM_RSRC2:TGID_Z_EN: 0
; COMPUTE_PGM_RSRC2:TIDIG_COMP_CNT: 0
	.section	.text._Z39paged_attention_ll4mi_QKV_mfma16_kernelIDF16_DF16_LN4vllm18Fp8KVCacheDataTypeE0EDF16_Li32ELi128ELi256ELb0ELi14EEvPKT_PKT0_S7_ifPKiS9_S9_iPKfiiiPfSC_PS2_PT2_iSB_SB_,"axG",@progbits,_Z39paged_attention_ll4mi_QKV_mfma16_kernelIDF16_DF16_LN4vllm18Fp8KVCacheDataTypeE0EDF16_Li32ELi128ELi256ELb0ELi14EEvPKT_PKT0_S7_ifPKiS9_S9_iPKfiiiPfSC_PS2_PT2_iSB_SB_,comdat
	.protected	_Z39paged_attention_ll4mi_QKV_mfma16_kernelIDF16_DF16_LN4vllm18Fp8KVCacheDataTypeE0EDF16_Li32ELi128ELi256ELb0ELi14EEvPKT_PKT0_S7_ifPKiS9_S9_iPKfiiiPfSC_PS2_PT2_iSB_SB_ ; -- Begin function _Z39paged_attention_ll4mi_QKV_mfma16_kernelIDF16_DF16_LN4vllm18Fp8KVCacheDataTypeE0EDF16_Li32ELi128ELi256ELb0ELi14EEvPKT_PKT0_S7_ifPKiS9_S9_iPKfiiiPfSC_PS2_PT2_iSB_SB_
	.globl	_Z39paged_attention_ll4mi_QKV_mfma16_kernelIDF16_DF16_LN4vllm18Fp8KVCacheDataTypeE0EDF16_Li32ELi128ELi256ELb0ELi14EEvPKT_PKT0_S7_ifPKiS9_S9_iPKfiiiPfSC_PS2_PT2_iSB_SB_
	.p2align	8
	.type	_Z39paged_attention_ll4mi_QKV_mfma16_kernelIDF16_DF16_LN4vllm18Fp8KVCacheDataTypeE0EDF16_Li32ELi128ELi256ELb0ELi14EEvPKT_PKT0_S7_ifPKiS9_S9_iPKfiiiPfSC_PS2_PT2_iSB_SB_,@function
_Z39paged_attention_ll4mi_QKV_mfma16_kernelIDF16_DF16_LN4vllm18Fp8KVCacheDataTypeE0EDF16_Li32ELi128ELi256ELb0ELi14EEvPKT_PKT0_S7_ifPKiS9_S9_iPKfiiiPfSC_PS2_PT2_iSB_SB_: ; @_Z39paged_attention_ll4mi_QKV_mfma16_kernelIDF16_DF16_LN4vllm18Fp8KVCacheDataTypeE0EDF16_Li32ELi128ELi256ELb0ELi14EEvPKT_PKT0_S7_ifPKiS9_S9_iPKfiiiPfSC_PS2_PT2_iSB_SB_
; %bb.0:
	s_get_pc_i64 s[2:3]
	s_add_nc_u64 s[2:3], s[2:3], __PRETTY_FUNCTION__._Z39paged_attention_ll4mi_QKV_mfma16_kernelIDF16_DF16_LN4vllm18Fp8KVCacheDataTypeE0EDF16_Li32ELi128ELi256ELb0ELi14EEvPKT_PKT0_S7_ifPKiS9_S9_iPKfiiiPfSC_PS2_PT2_iSB_SB_@rel64+4
	s_delay_alu instid0(SALU_CYCLE_1)
	v_dual_mov_b32 v0, 0xbb3 :: v_dual_mov_b32 v1, s2
	v_mov_b32_e32 v2, s3
	s_add_nc_u64 s[8:9], s[0:1], 0x90
	s_get_pc_i64 s[0:1]
	s_add_nc_u64 s[0:1], s[0:1], __assert_fail@rel64+4
	s_mov_b32 s32, 0
	s_swap_pc_i64 s[30:31], s[0:1]
	.section	.rodata,"a",@progbits
	.p2align	6, 0x0
	.amdhsa_kernel _Z39paged_attention_ll4mi_QKV_mfma16_kernelIDF16_DF16_LN4vllm18Fp8KVCacheDataTypeE0EDF16_Li32ELi128ELi256ELb0ELi14EEvPKT_PKT0_S7_ifPKiS9_S9_iPKfiiiPfSC_PS2_PT2_iSB_SB_
		.amdhsa_group_segment_fixed_size 0
		.amdhsa_private_segment_fixed_size 64
		.amdhsa_kernarg_size 400
		.amdhsa_user_sgpr_count 2
		.amdhsa_user_sgpr_dispatch_ptr 0
		.amdhsa_user_sgpr_queue_ptr 0
		.amdhsa_user_sgpr_kernarg_segment_ptr 1
		.amdhsa_user_sgpr_dispatch_id 0
		.amdhsa_user_sgpr_kernarg_preload_length 0
		.amdhsa_user_sgpr_kernarg_preload_offset 0
		.amdhsa_user_sgpr_private_segment_size 0
		.amdhsa_wavefront_size32 1
		.amdhsa_uses_dynamic_stack 0
		.amdhsa_enable_private_segment 1
		.amdhsa_system_sgpr_workgroup_id_x 1
		.amdhsa_system_sgpr_workgroup_id_y 0
		.amdhsa_system_sgpr_workgroup_id_z 0
		.amdhsa_system_sgpr_workgroup_info 0
		.amdhsa_system_vgpr_workitem_id 0
		.amdhsa_next_free_vgpr 51
		.amdhsa_next_free_sgpr 34
		.amdhsa_named_barrier_count 0
		.amdhsa_reserve_vcc 1
		.amdhsa_float_round_mode_32 0
		.amdhsa_float_round_mode_16_64 0
		.amdhsa_float_denorm_mode_32 3
		.amdhsa_float_denorm_mode_16_64 3
		.amdhsa_fp16_overflow 0
		.amdhsa_memory_ordered 1
		.amdhsa_forward_progress 1
		.amdhsa_inst_pref_size 1
		.amdhsa_round_robin_scheduling 0
		.amdhsa_exception_fp_ieee_invalid_op 0
		.amdhsa_exception_fp_denorm_src 0
		.amdhsa_exception_fp_ieee_div_zero 0
		.amdhsa_exception_fp_ieee_overflow 0
		.amdhsa_exception_fp_ieee_underflow 0
		.amdhsa_exception_fp_ieee_inexact 0
		.amdhsa_exception_int_div_zero 0
	.end_amdhsa_kernel
	.section	.text._Z39paged_attention_ll4mi_QKV_mfma16_kernelIDF16_DF16_LN4vllm18Fp8KVCacheDataTypeE0EDF16_Li32ELi128ELi256ELb0ELi14EEvPKT_PKT0_S7_ifPKiS9_S9_iPKfiiiPfSC_PS2_PT2_iSB_SB_,"axG",@progbits,_Z39paged_attention_ll4mi_QKV_mfma16_kernelIDF16_DF16_LN4vllm18Fp8KVCacheDataTypeE0EDF16_Li32ELi128ELi256ELb0ELi14EEvPKT_PKT0_S7_ifPKiS9_S9_iPKfiiiPfSC_PS2_PT2_iSB_SB_,comdat
.Lfunc_end379:
	.size	_Z39paged_attention_ll4mi_QKV_mfma16_kernelIDF16_DF16_LN4vllm18Fp8KVCacheDataTypeE0EDF16_Li32ELi128ELi256ELb0ELi14EEvPKT_PKT0_S7_ifPKiS9_S9_iPKfiiiPfSC_PS2_PT2_iSB_SB_, .Lfunc_end379-_Z39paged_attention_ll4mi_QKV_mfma16_kernelIDF16_DF16_LN4vllm18Fp8KVCacheDataTypeE0EDF16_Li32ELi128ELi256ELb0ELi14EEvPKT_PKT0_S7_ifPKiS9_S9_iPKfiiiPfSC_PS2_PT2_iSB_SB_
                                        ; -- End function
	.set _Z39paged_attention_ll4mi_QKV_mfma16_kernelIDF16_DF16_LN4vllm18Fp8KVCacheDataTypeE0EDF16_Li32ELi128ELi256ELb0ELi14EEvPKT_PKT0_S7_ifPKiS9_S9_iPKfiiiPfSC_PS2_PT2_iSB_SB_.num_vgpr, max(3, .L__assert_fail.num_vgpr)
	.set _Z39paged_attention_ll4mi_QKV_mfma16_kernelIDF16_DF16_LN4vllm18Fp8KVCacheDataTypeE0EDF16_Li32ELi128ELi256ELb0ELi14EEvPKT_PKT0_S7_ifPKiS9_S9_iPKfiiiPfSC_PS2_PT2_iSB_SB_.num_agpr, max(0, .L__assert_fail.num_agpr)
	.set _Z39paged_attention_ll4mi_QKV_mfma16_kernelIDF16_DF16_LN4vllm18Fp8KVCacheDataTypeE0EDF16_Li32ELi128ELi256ELb0ELi14EEvPKT_PKT0_S7_ifPKiS9_S9_iPKfiiiPfSC_PS2_PT2_iSB_SB_.numbered_sgpr, max(33, .L__assert_fail.numbered_sgpr)
	.set _Z39paged_attention_ll4mi_QKV_mfma16_kernelIDF16_DF16_LN4vllm18Fp8KVCacheDataTypeE0EDF16_Li32ELi128ELi256ELb0ELi14EEvPKT_PKT0_S7_ifPKiS9_S9_iPKfiiiPfSC_PS2_PT2_iSB_SB_.num_named_barrier, max(0, .L__assert_fail.num_named_barrier)
	.set _Z39paged_attention_ll4mi_QKV_mfma16_kernelIDF16_DF16_LN4vllm18Fp8KVCacheDataTypeE0EDF16_Li32ELi128ELi256ELb0ELi14EEvPKT_PKT0_S7_ifPKiS9_S9_iPKfiiiPfSC_PS2_PT2_iSB_SB_.private_seg_size, 0+max(.L__assert_fail.private_seg_size)
	.set _Z39paged_attention_ll4mi_QKV_mfma16_kernelIDF16_DF16_LN4vllm18Fp8KVCacheDataTypeE0EDF16_Li32ELi128ELi256ELb0ELi14EEvPKT_PKT0_S7_ifPKiS9_S9_iPKfiiiPfSC_PS2_PT2_iSB_SB_.uses_vcc, or(1, .L__assert_fail.uses_vcc)
	.set _Z39paged_attention_ll4mi_QKV_mfma16_kernelIDF16_DF16_LN4vllm18Fp8KVCacheDataTypeE0EDF16_Li32ELi128ELi256ELb0ELi14EEvPKT_PKT0_S7_ifPKiS9_S9_iPKfiiiPfSC_PS2_PT2_iSB_SB_.uses_flat_scratch, or(0, .L__assert_fail.uses_flat_scratch)
	.set _Z39paged_attention_ll4mi_QKV_mfma16_kernelIDF16_DF16_LN4vllm18Fp8KVCacheDataTypeE0EDF16_Li32ELi128ELi256ELb0ELi14EEvPKT_PKT0_S7_ifPKiS9_S9_iPKfiiiPfSC_PS2_PT2_iSB_SB_.has_dyn_sized_stack, or(0, .L__assert_fail.has_dyn_sized_stack)
	.set _Z39paged_attention_ll4mi_QKV_mfma16_kernelIDF16_DF16_LN4vllm18Fp8KVCacheDataTypeE0EDF16_Li32ELi128ELi256ELb0ELi14EEvPKT_PKT0_S7_ifPKiS9_S9_iPKfiiiPfSC_PS2_PT2_iSB_SB_.has_recursion, or(0, .L__assert_fail.has_recursion)
	.set _Z39paged_attention_ll4mi_QKV_mfma16_kernelIDF16_DF16_LN4vllm18Fp8KVCacheDataTypeE0EDF16_Li32ELi128ELi256ELb0ELi14EEvPKT_PKT0_S7_ifPKiS9_S9_iPKfiiiPfSC_PS2_PT2_iSB_SB_.has_indirect_call, or(0, .L__assert_fail.has_indirect_call)
	.section	.AMDGPU.csdata,"",@progbits
; Kernel info:
; codeLenInByte = 68
; TotalNumSgprs: 36
; NumVgprs: 51
; ScratchSize: 64
; MemoryBound: 0
; FloatMode: 240
; IeeeMode: 1
; LDSByteSize: 0 bytes/workgroup (compile time only)
; SGPRBlocks: 0
; VGPRBlocks: 3
; NumSGPRsForWavesPerEU: 36
; NumVGPRsForWavesPerEU: 51
; NamedBarCnt: 0
; Occupancy: 16
; WaveLimiterHint : 1
; COMPUTE_PGM_RSRC2:SCRATCH_EN: 1
; COMPUTE_PGM_RSRC2:USER_SGPR: 2
; COMPUTE_PGM_RSRC2:TRAP_HANDLER: 0
; COMPUTE_PGM_RSRC2:TGID_X_EN: 1
; COMPUTE_PGM_RSRC2:TGID_Y_EN: 0
; COMPUTE_PGM_RSRC2:TGID_Z_EN: 0
; COMPUTE_PGM_RSRC2:TIDIG_COMP_CNT: 0
	.section	.text._Z39paged_attention_ll4mi_QKV_mfma16_kernelIDF16_DF16_LN4vllm18Fp8KVCacheDataTypeE0EDF16_Li32ELi128ELi256ELb0ELi15EEvPKT_PKT0_S7_ifPKiS9_S9_iPKfiiiPfSC_PS2_PT2_iSB_SB_,"axG",@progbits,_Z39paged_attention_ll4mi_QKV_mfma16_kernelIDF16_DF16_LN4vllm18Fp8KVCacheDataTypeE0EDF16_Li32ELi128ELi256ELb0ELi15EEvPKT_PKT0_S7_ifPKiS9_S9_iPKfiiiPfSC_PS2_PT2_iSB_SB_,comdat
	.protected	_Z39paged_attention_ll4mi_QKV_mfma16_kernelIDF16_DF16_LN4vllm18Fp8KVCacheDataTypeE0EDF16_Li32ELi128ELi256ELb0ELi15EEvPKT_PKT0_S7_ifPKiS9_S9_iPKfiiiPfSC_PS2_PT2_iSB_SB_ ; -- Begin function _Z39paged_attention_ll4mi_QKV_mfma16_kernelIDF16_DF16_LN4vllm18Fp8KVCacheDataTypeE0EDF16_Li32ELi128ELi256ELb0ELi15EEvPKT_PKT0_S7_ifPKiS9_S9_iPKfiiiPfSC_PS2_PT2_iSB_SB_
	.globl	_Z39paged_attention_ll4mi_QKV_mfma16_kernelIDF16_DF16_LN4vllm18Fp8KVCacheDataTypeE0EDF16_Li32ELi128ELi256ELb0ELi15EEvPKT_PKT0_S7_ifPKiS9_S9_iPKfiiiPfSC_PS2_PT2_iSB_SB_
	.p2align	8
	.type	_Z39paged_attention_ll4mi_QKV_mfma16_kernelIDF16_DF16_LN4vllm18Fp8KVCacheDataTypeE0EDF16_Li32ELi128ELi256ELb0ELi15EEvPKT_PKT0_S7_ifPKiS9_S9_iPKfiiiPfSC_PS2_PT2_iSB_SB_,@function
_Z39paged_attention_ll4mi_QKV_mfma16_kernelIDF16_DF16_LN4vllm18Fp8KVCacheDataTypeE0EDF16_Li32ELi128ELi256ELb0ELi15EEvPKT_PKT0_S7_ifPKiS9_S9_iPKfiiiPfSC_PS2_PT2_iSB_SB_: ; @_Z39paged_attention_ll4mi_QKV_mfma16_kernelIDF16_DF16_LN4vllm18Fp8KVCacheDataTypeE0EDF16_Li32ELi128ELi256ELb0ELi15EEvPKT_PKT0_S7_ifPKiS9_S9_iPKfiiiPfSC_PS2_PT2_iSB_SB_
; %bb.0:
	s_get_pc_i64 s[2:3]
	s_add_nc_u64 s[2:3], s[2:3], __PRETTY_FUNCTION__._Z39paged_attention_ll4mi_QKV_mfma16_kernelIDF16_DF16_LN4vllm18Fp8KVCacheDataTypeE0EDF16_Li32ELi128ELi256ELb0ELi15EEvPKT_PKT0_S7_ifPKiS9_S9_iPKfiiiPfSC_PS2_PT2_iSB_SB_@rel64+4
	s_delay_alu instid0(SALU_CYCLE_1)
	v_dual_mov_b32 v0, 0xbb3 :: v_dual_mov_b32 v1, s2
	v_mov_b32_e32 v2, s3
	s_add_nc_u64 s[8:9], s[0:1], 0x90
	s_get_pc_i64 s[0:1]
	s_add_nc_u64 s[0:1], s[0:1], __assert_fail@rel64+4
	s_mov_b32 s32, 0
	s_swap_pc_i64 s[30:31], s[0:1]
	.section	.rodata,"a",@progbits
	.p2align	6, 0x0
	.amdhsa_kernel _Z39paged_attention_ll4mi_QKV_mfma16_kernelIDF16_DF16_LN4vllm18Fp8KVCacheDataTypeE0EDF16_Li32ELi128ELi256ELb0ELi15EEvPKT_PKT0_S7_ifPKiS9_S9_iPKfiiiPfSC_PS2_PT2_iSB_SB_
		.amdhsa_group_segment_fixed_size 0
		.amdhsa_private_segment_fixed_size 64
		.amdhsa_kernarg_size 400
		.amdhsa_user_sgpr_count 2
		.amdhsa_user_sgpr_dispatch_ptr 0
		.amdhsa_user_sgpr_queue_ptr 0
		.amdhsa_user_sgpr_kernarg_segment_ptr 1
		.amdhsa_user_sgpr_dispatch_id 0
		.amdhsa_user_sgpr_kernarg_preload_length 0
		.amdhsa_user_sgpr_kernarg_preload_offset 0
		.amdhsa_user_sgpr_private_segment_size 0
		.amdhsa_wavefront_size32 1
		.amdhsa_uses_dynamic_stack 0
		.amdhsa_enable_private_segment 1
		.amdhsa_system_sgpr_workgroup_id_x 1
		.amdhsa_system_sgpr_workgroup_id_y 0
		.amdhsa_system_sgpr_workgroup_id_z 0
		.amdhsa_system_sgpr_workgroup_info 0
		.amdhsa_system_vgpr_workitem_id 0
		.amdhsa_next_free_vgpr 51
		.amdhsa_next_free_sgpr 34
		.amdhsa_named_barrier_count 0
		.amdhsa_reserve_vcc 1
		.amdhsa_float_round_mode_32 0
		.amdhsa_float_round_mode_16_64 0
		.amdhsa_float_denorm_mode_32 3
		.amdhsa_float_denorm_mode_16_64 3
		.amdhsa_fp16_overflow 0
		.amdhsa_memory_ordered 1
		.amdhsa_forward_progress 1
		.amdhsa_inst_pref_size 1
		.amdhsa_round_robin_scheduling 0
		.amdhsa_exception_fp_ieee_invalid_op 0
		.amdhsa_exception_fp_denorm_src 0
		.amdhsa_exception_fp_ieee_div_zero 0
		.amdhsa_exception_fp_ieee_overflow 0
		.amdhsa_exception_fp_ieee_underflow 0
		.amdhsa_exception_fp_ieee_inexact 0
		.amdhsa_exception_int_div_zero 0
	.end_amdhsa_kernel
	.section	.text._Z39paged_attention_ll4mi_QKV_mfma16_kernelIDF16_DF16_LN4vllm18Fp8KVCacheDataTypeE0EDF16_Li32ELi128ELi256ELb0ELi15EEvPKT_PKT0_S7_ifPKiS9_S9_iPKfiiiPfSC_PS2_PT2_iSB_SB_,"axG",@progbits,_Z39paged_attention_ll4mi_QKV_mfma16_kernelIDF16_DF16_LN4vllm18Fp8KVCacheDataTypeE0EDF16_Li32ELi128ELi256ELb0ELi15EEvPKT_PKT0_S7_ifPKiS9_S9_iPKfiiiPfSC_PS2_PT2_iSB_SB_,comdat
.Lfunc_end380:
	.size	_Z39paged_attention_ll4mi_QKV_mfma16_kernelIDF16_DF16_LN4vllm18Fp8KVCacheDataTypeE0EDF16_Li32ELi128ELi256ELb0ELi15EEvPKT_PKT0_S7_ifPKiS9_S9_iPKfiiiPfSC_PS2_PT2_iSB_SB_, .Lfunc_end380-_Z39paged_attention_ll4mi_QKV_mfma16_kernelIDF16_DF16_LN4vllm18Fp8KVCacheDataTypeE0EDF16_Li32ELi128ELi256ELb0ELi15EEvPKT_PKT0_S7_ifPKiS9_S9_iPKfiiiPfSC_PS2_PT2_iSB_SB_
                                        ; -- End function
	.set _Z39paged_attention_ll4mi_QKV_mfma16_kernelIDF16_DF16_LN4vllm18Fp8KVCacheDataTypeE0EDF16_Li32ELi128ELi256ELb0ELi15EEvPKT_PKT0_S7_ifPKiS9_S9_iPKfiiiPfSC_PS2_PT2_iSB_SB_.num_vgpr, max(3, .L__assert_fail.num_vgpr)
	.set _Z39paged_attention_ll4mi_QKV_mfma16_kernelIDF16_DF16_LN4vllm18Fp8KVCacheDataTypeE0EDF16_Li32ELi128ELi256ELb0ELi15EEvPKT_PKT0_S7_ifPKiS9_S9_iPKfiiiPfSC_PS2_PT2_iSB_SB_.num_agpr, max(0, .L__assert_fail.num_agpr)
	.set _Z39paged_attention_ll4mi_QKV_mfma16_kernelIDF16_DF16_LN4vllm18Fp8KVCacheDataTypeE0EDF16_Li32ELi128ELi256ELb0ELi15EEvPKT_PKT0_S7_ifPKiS9_S9_iPKfiiiPfSC_PS2_PT2_iSB_SB_.numbered_sgpr, max(33, .L__assert_fail.numbered_sgpr)
	.set _Z39paged_attention_ll4mi_QKV_mfma16_kernelIDF16_DF16_LN4vllm18Fp8KVCacheDataTypeE0EDF16_Li32ELi128ELi256ELb0ELi15EEvPKT_PKT0_S7_ifPKiS9_S9_iPKfiiiPfSC_PS2_PT2_iSB_SB_.num_named_barrier, max(0, .L__assert_fail.num_named_barrier)
	.set _Z39paged_attention_ll4mi_QKV_mfma16_kernelIDF16_DF16_LN4vllm18Fp8KVCacheDataTypeE0EDF16_Li32ELi128ELi256ELb0ELi15EEvPKT_PKT0_S7_ifPKiS9_S9_iPKfiiiPfSC_PS2_PT2_iSB_SB_.private_seg_size, 0+max(.L__assert_fail.private_seg_size)
	.set _Z39paged_attention_ll4mi_QKV_mfma16_kernelIDF16_DF16_LN4vllm18Fp8KVCacheDataTypeE0EDF16_Li32ELi128ELi256ELb0ELi15EEvPKT_PKT0_S7_ifPKiS9_S9_iPKfiiiPfSC_PS2_PT2_iSB_SB_.uses_vcc, or(1, .L__assert_fail.uses_vcc)
	.set _Z39paged_attention_ll4mi_QKV_mfma16_kernelIDF16_DF16_LN4vllm18Fp8KVCacheDataTypeE0EDF16_Li32ELi128ELi256ELb0ELi15EEvPKT_PKT0_S7_ifPKiS9_S9_iPKfiiiPfSC_PS2_PT2_iSB_SB_.uses_flat_scratch, or(0, .L__assert_fail.uses_flat_scratch)
	.set _Z39paged_attention_ll4mi_QKV_mfma16_kernelIDF16_DF16_LN4vllm18Fp8KVCacheDataTypeE0EDF16_Li32ELi128ELi256ELb0ELi15EEvPKT_PKT0_S7_ifPKiS9_S9_iPKfiiiPfSC_PS2_PT2_iSB_SB_.has_dyn_sized_stack, or(0, .L__assert_fail.has_dyn_sized_stack)
	.set _Z39paged_attention_ll4mi_QKV_mfma16_kernelIDF16_DF16_LN4vllm18Fp8KVCacheDataTypeE0EDF16_Li32ELi128ELi256ELb0ELi15EEvPKT_PKT0_S7_ifPKiS9_S9_iPKfiiiPfSC_PS2_PT2_iSB_SB_.has_recursion, or(0, .L__assert_fail.has_recursion)
	.set _Z39paged_attention_ll4mi_QKV_mfma16_kernelIDF16_DF16_LN4vllm18Fp8KVCacheDataTypeE0EDF16_Li32ELi128ELi256ELb0ELi15EEvPKT_PKT0_S7_ifPKiS9_S9_iPKfiiiPfSC_PS2_PT2_iSB_SB_.has_indirect_call, or(0, .L__assert_fail.has_indirect_call)
	.section	.AMDGPU.csdata,"",@progbits
; Kernel info:
; codeLenInByte = 68
; TotalNumSgprs: 36
; NumVgprs: 51
; ScratchSize: 64
; MemoryBound: 0
; FloatMode: 240
; IeeeMode: 1
; LDSByteSize: 0 bytes/workgroup (compile time only)
; SGPRBlocks: 0
; VGPRBlocks: 3
; NumSGPRsForWavesPerEU: 36
; NumVGPRsForWavesPerEU: 51
; NamedBarCnt: 0
; Occupancy: 16
; WaveLimiterHint : 1
; COMPUTE_PGM_RSRC2:SCRATCH_EN: 1
; COMPUTE_PGM_RSRC2:USER_SGPR: 2
; COMPUTE_PGM_RSRC2:TRAP_HANDLER: 0
; COMPUTE_PGM_RSRC2:TGID_X_EN: 1
; COMPUTE_PGM_RSRC2:TGID_Y_EN: 0
; COMPUTE_PGM_RSRC2:TGID_Z_EN: 0
; COMPUTE_PGM_RSRC2:TIDIG_COMP_CNT: 0
	.section	.text._Z39paged_attention_ll4mi_QKV_mfma16_kernelIDF16_DF16_LN4vllm18Fp8KVCacheDataTypeE0EDF16_Li32ELi128ELi256ELb0ELi16EEvPKT_PKT0_S7_ifPKiS9_S9_iPKfiiiPfSC_PS2_PT2_iSB_SB_,"axG",@progbits,_Z39paged_attention_ll4mi_QKV_mfma16_kernelIDF16_DF16_LN4vllm18Fp8KVCacheDataTypeE0EDF16_Li32ELi128ELi256ELb0ELi16EEvPKT_PKT0_S7_ifPKiS9_S9_iPKfiiiPfSC_PS2_PT2_iSB_SB_,comdat
	.protected	_Z39paged_attention_ll4mi_QKV_mfma16_kernelIDF16_DF16_LN4vllm18Fp8KVCacheDataTypeE0EDF16_Li32ELi128ELi256ELb0ELi16EEvPKT_PKT0_S7_ifPKiS9_S9_iPKfiiiPfSC_PS2_PT2_iSB_SB_ ; -- Begin function _Z39paged_attention_ll4mi_QKV_mfma16_kernelIDF16_DF16_LN4vllm18Fp8KVCacheDataTypeE0EDF16_Li32ELi128ELi256ELb0ELi16EEvPKT_PKT0_S7_ifPKiS9_S9_iPKfiiiPfSC_PS2_PT2_iSB_SB_
	.globl	_Z39paged_attention_ll4mi_QKV_mfma16_kernelIDF16_DF16_LN4vllm18Fp8KVCacheDataTypeE0EDF16_Li32ELi128ELi256ELb0ELi16EEvPKT_PKT0_S7_ifPKiS9_S9_iPKfiiiPfSC_PS2_PT2_iSB_SB_
	.p2align	8
	.type	_Z39paged_attention_ll4mi_QKV_mfma16_kernelIDF16_DF16_LN4vllm18Fp8KVCacheDataTypeE0EDF16_Li32ELi128ELi256ELb0ELi16EEvPKT_PKT0_S7_ifPKiS9_S9_iPKfiiiPfSC_PS2_PT2_iSB_SB_,@function
_Z39paged_attention_ll4mi_QKV_mfma16_kernelIDF16_DF16_LN4vllm18Fp8KVCacheDataTypeE0EDF16_Li32ELi128ELi256ELb0ELi16EEvPKT_PKT0_S7_ifPKiS9_S9_iPKfiiiPfSC_PS2_PT2_iSB_SB_: ; @_Z39paged_attention_ll4mi_QKV_mfma16_kernelIDF16_DF16_LN4vllm18Fp8KVCacheDataTypeE0EDF16_Li32ELi128ELi256ELb0ELi16EEvPKT_PKT0_S7_ifPKiS9_S9_iPKfiiiPfSC_PS2_PT2_iSB_SB_
; %bb.0:
	s_get_pc_i64 s[2:3]
	s_add_nc_u64 s[2:3], s[2:3], __PRETTY_FUNCTION__._Z39paged_attention_ll4mi_QKV_mfma16_kernelIDF16_DF16_LN4vllm18Fp8KVCacheDataTypeE0EDF16_Li32ELi128ELi256ELb0ELi16EEvPKT_PKT0_S7_ifPKiS9_S9_iPKfiiiPfSC_PS2_PT2_iSB_SB_@rel64+4
	s_delay_alu instid0(SALU_CYCLE_1)
	v_dual_mov_b32 v0, 0xbb3 :: v_dual_mov_b32 v1, s2
	v_mov_b32_e32 v2, s3
	s_add_nc_u64 s[8:9], s[0:1], 0x90
	s_get_pc_i64 s[0:1]
	s_add_nc_u64 s[0:1], s[0:1], __assert_fail@rel64+4
	s_mov_b32 s32, 0
	s_swap_pc_i64 s[30:31], s[0:1]
	.section	.rodata,"a",@progbits
	.p2align	6, 0x0
	.amdhsa_kernel _Z39paged_attention_ll4mi_QKV_mfma16_kernelIDF16_DF16_LN4vllm18Fp8KVCacheDataTypeE0EDF16_Li32ELi128ELi256ELb0ELi16EEvPKT_PKT0_S7_ifPKiS9_S9_iPKfiiiPfSC_PS2_PT2_iSB_SB_
		.amdhsa_group_segment_fixed_size 0
		.amdhsa_private_segment_fixed_size 64
		.amdhsa_kernarg_size 400
		.amdhsa_user_sgpr_count 2
		.amdhsa_user_sgpr_dispatch_ptr 0
		.amdhsa_user_sgpr_queue_ptr 0
		.amdhsa_user_sgpr_kernarg_segment_ptr 1
		.amdhsa_user_sgpr_dispatch_id 0
		.amdhsa_user_sgpr_kernarg_preload_length 0
		.amdhsa_user_sgpr_kernarg_preload_offset 0
		.amdhsa_user_sgpr_private_segment_size 0
		.amdhsa_wavefront_size32 1
		.amdhsa_uses_dynamic_stack 0
		.amdhsa_enable_private_segment 1
		.amdhsa_system_sgpr_workgroup_id_x 1
		.amdhsa_system_sgpr_workgroup_id_y 0
		.amdhsa_system_sgpr_workgroup_id_z 0
		.amdhsa_system_sgpr_workgroup_info 0
		.amdhsa_system_vgpr_workitem_id 0
		.amdhsa_next_free_vgpr 51
		.amdhsa_next_free_sgpr 34
		.amdhsa_named_barrier_count 0
		.amdhsa_reserve_vcc 1
		.amdhsa_float_round_mode_32 0
		.amdhsa_float_round_mode_16_64 0
		.amdhsa_float_denorm_mode_32 3
		.amdhsa_float_denorm_mode_16_64 3
		.amdhsa_fp16_overflow 0
		.amdhsa_memory_ordered 1
		.amdhsa_forward_progress 1
		.amdhsa_inst_pref_size 1
		.amdhsa_round_robin_scheduling 0
		.amdhsa_exception_fp_ieee_invalid_op 0
		.amdhsa_exception_fp_denorm_src 0
		.amdhsa_exception_fp_ieee_div_zero 0
		.amdhsa_exception_fp_ieee_overflow 0
		.amdhsa_exception_fp_ieee_underflow 0
		.amdhsa_exception_fp_ieee_inexact 0
		.amdhsa_exception_int_div_zero 0
	.end_amdhsa_kernel
	.section	.text._Z39paged_attention_ll4mi_QKV_mfma16_kernelIDF16_DF16_LN4vllm18Fp8KVCacheDataTypeE0EDF16_Li32ELi128ELi256ELb0ELi16EEvPKT_PKT0_S7_ifPKiS9_S9_iPKfiiiPfSC_PS2_PT2_iSB_SB_,"axG",@progbits,_Z39paged_attention_ll4mi_QKV_mfma16_kernelIDF16_DF16_LN4vllm18Fp8KVCacheDataTypeE0EDF16_Li32ELi128ELi256ELb0ELi16EEvPKT_PKT0_S7_ifPKiS9_S9_iPKfiiiPfSC_PS2_PT2_iSB_SB_,comdat
.Lfunc_end381:
	.size	_Z39paged_attention_ll4mi_QKV_mfma16_kernelIDF16_DF16_LN4vllm18Fp8KVCacheDataTypeE0EDF16_Li32ELi128ELi256ELb0ELi16EEvPKT_PKT0_S7_ifPKiS9_S9_iPKfiiiPfSC_PS2_PT2_iSB_SB_, .Lfunc_end381-_Z39paged_attention_ll4mi_QKV_mfma16_kernelIDF16_DF16_LN4vllm18Fp8KVCacheDataTypeE0EDF16_Li32ELi128ELi256ELb0ELi16EEvPKT_PKT0_S7_ifPKiS9_S9_iPKfiiiPfSC_PS2_PT2_iSB_SB_
                                        ; -- End function
	.set _Z39paged_attention_ll4mi_QKV_mfma16_kernelIDF16_DF16_LN4vllm18Fp8KVCacheDataTypeE0EDF16_Li32ELi128ELi256ELb0ELi16EEvPKT_PKT0_S7_ifPKiS9_S9_iPKfiiiPfSC_PS2_PT2_iSB_SB_.num_vgpr, max(3, .L__assert_fail.num_vgpr)
	.set _Z39paged_attention_ll4mi_QKV_mfma16_kernelIDF16_DF16_LN4vllm18Fp8KVCacheDataTypeE0EDF16_Li32ELi128ELi256ELb0ELi16EEvPKT_PKT0_S7_ifPKiS9_S9_iPKfiiiPfSC_PS2_PT2_iSB_SB_.num_agpr, max(0, .L__assert_fail.num_agpr)
	.set _Z39paged_attention_ll4mi_QKV_mfma16_kernelIDF16_DF16_LN4vllm18Fp8KVCacheDataTypeE0EDF16_Li32ELi128ELi256ELb0ELi16EEvPKT_PKT0_S7_ifPKiS9_S9_iPKfiiiPfSC_PS2_PT2_iSB_SB_.numbered_sgpr, max(33, .L__assert_fail.numbered_sgpr)
	.set _Z39paged_attention_ll4mi_QKV_mfma16_kernelIDF16_DF16_LN4vllm18Fp8KVCacheDataTypeE0EDF16_Li32ELi128ELi256ELb0ELi16EEvPKT_PKT0_S7_ifPKiS9_S9_iPKfiiiPfSC_PS2_PT2_iSB_SB_.num_named_barrier, max(0, .L__assert_fail.num_named_barrier)
	.set _Z39paged_attention_ll4mi_QKV_mfma16_kernelIDF16_DF16_LN4vllm18Fp8KVCacheDataTypeE0EDF16_Li32ELi128ELi256ELb0ELi16EEvPKT_PKT0_S7_ifPKiS9_S9_iPKfiiiPfSC_PS2_PT2_iSB_SB_.private_seg_size, 0+max(.L__assert_fail.private_seg_size)
	.set _Z39paged_attention_ll4mi_QKV_mfma16_kernelIDF16_DF16_LN4vllm18Fp8KVCacheDataTypeE0EDF16_Li32ELi128ELi256ELb0ELi16EEvPKT_PKT0_S7_ifPKiS9_S9_iPKfiiiPfSC_PS2_PT2_iSB_SB_.uses_vcc, or(1, .L__assert_fail.uses_vcc)
	.set _Z39paged_attention_ll4mi_QKV_mfma16_kernelIDF16_DF16_LN4vllm18Fp8KVCacheDataTypeE0EDF16_Li32ELi128ELi256ELb0ELi16EEvPKT_PKT0_S7_ifPKiS9_S9_iPKfiiiPfSC_PS2_PT2_iSB_SB_.uses_flat_scratch, or(0, .L__assert_fail.uses_flat_scratch)
	.set _Z39paged_attention_ll4mi_QKV_mfma16_kernelIDF16_DF16_LN4vllm18Fp8KVCacheDataTypeE0EDF16_Li32ELi128ELi256ELb0ELi16EEvPKT_PKT0_S7_ifPKiS9_S9_iPKfiiiPfSC_PS2_PT2_iSB_SB_.has_dyn_sized_stack, or(0, .L__assert_fail.has_dyn_sized_stack)
	.set _Z39paged_attention_ll4mi_QKV_mfma16_kernelIDF16_DF16_LN4vllm18Fp8KVCacheDataTypeE0EDF16_Li32ELi128ELi256ELb0ELi16EEvPKT_PKT0_S7_ifPKiS9_S9_iPKfiiiPfSC_PS2_PT2_iSB_SB_.has_recursion, or(0, .L__assert_fail.has_recursion)
	.set _Z39paged_attention_ll4mi_QKV_mfma16_kernelIDF16_DF16_LN4vllm18Fp8KVCacheDataTypeE0EDF16_Li32ELi128ELi256ELb0ELi16EEvPKT_PKT0_S7_ifPKiS9_S9_iPKfiiiPfSC_PS2_PT2_iSB_SB_.has_indirect_call, or(0, .L__assert_fail.has_indirect_call)
	.section	.AMDGPU.csdata,"",@progbits
; Kernel info:
; codeLenInByte = 68
; TotalNumSgprs: 36
; NumVgprs: 51
; ScratchSize: 64
; MemoryBound: 0
; FloatMode: 240
; IeeeMode: 1
; LDSByteSize: 0 bytes/workgroup (compile time only)
; SGPRBlocks: 0
; VGPRBlocks: 3
; NumSGPRsForWavesPerEU: 36
; NumVGPRsForWavesPerEU: 51
; NamedBarCnt: 0
; Occupancy: 16
; WaveLimiterHint : 1
; COMPUTE_PGM_RSRC2:SCRATCH_EN: 1
; COMPUTE_PGM_RSRC2:USER_SGPR: 2
; COMPUTE_PGM_RSRC2:TRAP_HANDLER: 0
; COMPUTE_PGM_RSRC2:TGID_X_EN: 1
; COMPUTE_PGM_RSRC2:TGID_Y_EN: 0
; COMPUTE_PGM_RSRC2:TGID_Z_EN: 0
; COMPUTE_PGM_RSRC2:TIDIG_COMP_CNT: 0
	.section	.text._Z39paged_attention_ll4mi_QKV_mfma16_kernelIDF16_DF16_LN4vllm18Fp8KVCacheDataTypeE0EDF16_Li32ELi128ELi256ELb0ELi1EEvPKT_PKT0_S7_ifPKiS9_S9_iPKfiiiPfSC_PS2_PT2_iSB_SB_,"axG",@progbits,_Z39paged_attention_ll4mi_QKV_mfma16_kernelIDF16_DF16_LN4vllm18Fp8KVCacheDataTypeE0EDF16_Li32ELi128ELi256ELb0ELi1EEvPKT_PKT0_S7_ifPKiS9_S9_iPKfiiiPfSC_PS2_PT2_iSB_SB_,comdat
	.protected	_Z39paged_attention_ll4mi_QKV_mfma16_kernelIDF16_DF16_LN4vllm18Fp8KVCacheDataTypeE0EDF16_Li32ELi128ELi256ELb0ELi1EEvPKT_PKT0_S7_ifPKiS9_S9_iPKfiiiPfSC_PS2_PT2_iSB_SB_ ; -- Begin function _Z39paged_attention_ll4mi_QKV_mfma16_kernelIDF16_DF16_LN4vllm18Fp8KVCacheDataTypeE0EDF16_Li32ELi128ELi256ELb0ELi1EEvPKT_PKT0_S7_ifPKiS9_S9_iPKfiiiPfSC_PS2_PT2_iSB_SB_
	.globl	_Z39paged_attention_ll4mi_QKV_mfma16_kernelIDF16_DF16_LN4vllm18Fp8KVCacheDataTypeE0EDF16_Li32ELi128ELi256ELb0ELi1EEvPKT_PKT0_S7_ifPKiS9_S9_iPKfiiiPfSC_PS2_PT2_iSB_SB_
	.p2align	8
	.type	_Z39paged_attention_ll4mi_QKV_mfma16_kernelIDF16_DF16_LN4vllm18Fp8KVCacheDataTypeE0EDF16_Li32ELi128ELi256ELb0ELi1EEvPKT_PKT0_S7_ifPKiS9_S9_iPKfiiiPfSC_PS2_PT2_iSB_SB_,@function
_Z39paged_attention_ll4mi_QKV_mfma16_kernelIDF16_DF16_LN4vllm18Fp8KVCacheDataTypeE0EDF16_Li32ELi128ELi256ELb0ELi1EEvPKT_PKT0_S7_ifPKiS9_S9_iPKfiiiPfSC_PS2_PT2_iSB_SB_: ; @_Z39paged_attention_ll4mi_QKV_mfma16_kernelIDF16_DF16_LN4vllm18Fp8KVCacheDataTypeE0EDF16_Li32ELi128ELi256ELb0ELi1EEvPKT_PKT0_S7_ifPKiS9_S9_iPKfiiiPfSC_PS2_PT2_iSB_SB_
; %bb.0:
	s_get_pc_i64 s[2:3]
	s_add_nc_u64 s[2:3], s[2:3], __PRETTY_FUNCTION__._Z39paged_attention_ll4mi_QKV_mfma16_kernelIDF16_DF16_LN4vllm18Fp8KVCacheDataTypeE0EDF16_Li32ELi128ELi256ELb0ELi1EEvPKT_PKT0_S7_ifPKiS9_S9_iPKfiiiPfSC_PS2_PT2_iSB_SB_@rel64+4
	s_delay_alu instid0(SALU_CYCLE_1)
	v_dual_mov_b32 v0, 0xbb3 :: v_dual_mov_b32 v1, s2
	v_mov_b32_e32 v2, s3
	s_add_nc_u64 s[8:9], s[0:1], 0x90
	s_get_pc_i64 s[0:1]
	s_add_nc_u64 s[0:1], s[0:1], __assert_fail@rel64+4
	s_mov_b32 s32, 0
	s_swap_pc_i64 s[30:31], s[0:1]
	.section	.rodata,"a",@progbits
	.p2align	6, 0x0
	.amdhsa_kernel _Z39paged_attention_ll4mi_QKV_mfma16_kernelIDF16_DF16_LN4vllm18Fp8KVCacheDataTypeE0EDF16_Li32ELi128ELi256ELb0ELi1EEvPKT_PKT0_S7_ifPKiS9_S9_iPKfiiiPfSC_PS2_PT2_iSB_SB_
		.amdhsa_group_segment_fixed_size 0
		.amdhsa_private_segment_fixed_size 64
		.amdhsa_kernarg_size 400
		.amdhsa_user_sgpr_count 2
		.amdhsa_user_sgpr_dispatch_ptr 0
		.amdhsa_user_sgpr_queue_ptr 0
		.amdhsa_user_sgpr_kernarg_segment_ptr 1
		.amdhsa_user_sgpr_dispatch_id 0
		.amdhsa_user_sgpr_kernarg_preload_length 0
		.amdhsa_user_sgpr_kernarg_preload_offset 0
		.amdhsa_user_sgpr_private_segment_size 0
		.amdhsa_wavefront_size32 1
		.amdhsa_uses_dynamic_stack 0
		.amdhsa_enable_private_segment 1
		.amdhsa_system_sgpr_workgroup_id_x 1
		.amdhsa_system_sgpr_workgroup_id_y 0
		.amdhsa_system_sgpr_workgroup_id_z 0
		.amdhsa_system_sgpr_workgroup_info 0
		.amdhsa_system_vgpr_workitem_id 0
		.amdhsa_next_free_vgpr 51
		.amdhsa_next_free_sgpr 34
		.amdhsa_named_barrier_count 0
		.amdhsa_reserve_vcc 1
		.amdhsa_float_round_mode_32 0
		.amdhsa_float_round_mode_16_64 0
		.amdhsa_float_denorm_mode_32 3
		.amdhsa_float_denorm_mode_16_64 3
		.amdhsa_fp16_overflow 0
		.amdhsa_memory_ordered 1
		.amdhsa_forward_progress 1
		.amdhsa_inst_pref_size 1
		.amdhsa_round_robin_scheduling 0
		.amdhsa_exception_fp_ieee_invalid_op 0
		.amdhsa_exception_fp_denorm_src 0
		.amdhsa_exception_fp_ieee_div_zero 0
		.amdhsa_exception_fp_ieee_overflow 0
		.amdhsa_exception_fp_ieee_underflow 0
		.amdhsa_exception_fp_ieee_inexact 0
		.amdhsa_exception_int_div_zero 0
	.end_amdhsa_kernel
	.section	.text._Z39paged_attention_ll4mi_QKV_mfma16_kernelIDF16_DF16_LN4vllm18Fp8KVCacheDataTypeE0EDF16_Li32ELi128ELi256ELb0ELi1EEvPKT_PKT0_S7_ifPKiS9_S9_iPKfiiiPfSC_PS2_PT2_iSB_SB_,"axG",@progbits,_Z39paged_attention_ll4mi_QKV_mfma16_kernelIDF16_DF16_LN4vllm18Fp8KVCacheDataTypeE0EDF16_Li32ELi128ELi256ELb0ELi1EEvPKT_PKT0_S7_ifPKiS9_S9_iPKfiiiPfSC_PS2_PT2_iSB_SB_,comdat
.Lfunc_end382:
	.size	_Z39paged_attention_ll4mi_QKV_mfma16_kernelIDF16_DF16_LN4vllm18Fp8KVCacheDataTypeE0EDF16_Li32ELi128ELi256ELb0ELi1EEvPKT_PKT0_S7_ifPKiS9_S9_iPKfiiiPfSC_PS2_PT2_iSB_SB_, .Lfunc_end382-_Z39paged_attention_ll4mi_QKV_mfma16_kernelIDF16_DF16_LN4vllm18Fp8KVCacheDataTypeE0EDF16_Li32ELi128ELi256ELb0ELi1EEvPKT_PKT0_S7_ifPKiS9_S9_iPKfiiiPfSC_PS2_PT2_iSB_SB_
                                        ; -- End function
	.set _Z39paged_attention_ll4mi_QKV_mfma16_kernelIDF16_DF16_LN4vllm18Fp8KVCacheDataTypeE0EDF16_Li32ELi128ELi256ELb0ELi1EEvPKT_PKT0_S7_ifPKiS9_S9_iPKfiiiPfSC_PS2_PT2_iSB_SB_.num_vgpr, max(3, .L__assert_fail.num_vgpr)
	.set _Z39paged_attention_ll4mi_QKV_mfma16_kernelIDF16_DF16_LN4vllm18Fp8KVCacheDataTypeE0EDF16_Li32ELi128ELi256ELb0ELi1EEvPKT_PKT0_S7_ifPKiS9_S9_iPKfiiiPfSC_PS2_PT2_iSB_SB_.num_agpr, max(0, .L__assert_fail.num_agpr)
	.set _Z39paged_attention_ll4mi_QKV_mfma16_kernelIDF16_DF16_LN4vllm18Fp8KVCacheDataTypeE0EDF16_Li32ELi128ELi256ELb0ELi1EEvPKT_PKT0_S7_ifPKiS9_S9_iPKfiiiPfSC_PS2_PT2_iSB_SB_.numbered_sgpr, max(33, .L__assert_fail.numbered_sgpr)
	.set _Z39paged_attention_ll4mi_QKV_mfma16_kernelIDF16_DF16_LN4vllm18Fp8KVCacheDataTypeE0EDF16_Li32ELi128ELi256ELb0ELi1EEvPKT_PKT0_S7_ifPKiS9_S9_iPKfiiiPfSC_PS2_PT2_iSB_SB_.num_named_barrier, max(0, .L__assert_fail.num_named_barrier)
	.set _Z39paged_attention_ll4mi_QKV_mfma16_kernelIDF16_DF16_LN4vllm18Fp8KVCacheDataTypeE0EDF16_Li32ELi128ELi256ELb0ELi1EEvPKT_PKT0_S7_ifPKiS9_S9_iPKfiiiPfSC_PS2_PT2_iSB_SB_.private_seg_size, 0+max(.L__assert_fail.private_seg_size)
	.set _Z39paged_attention_ll4mi_QKV_mfma16_kernelIDF16_DF16_LN4vllm18Fp8KVCacheDataTypeE0EDF16_Li32ELi128ELi256ELb0ELi1EEvPKT_PKT0_S7_ifPKiS9_S9_iPKfiiiPfSC_PS2_PT2_iSB_SB_.uses_vcc, or(1, .L__assert_fail.uses_vcc)
	.set _Z39paged_attention_ll4mi_QKV_mfma16_kernelIDF16_DF16_LN4vllm18Fp8KVCacheDataTypeE0EDF16_Li32ELi128ELi256ELb0ELi1EEvPKT_PKT0_S7_ifPKiS9_S9_iPKfiiiPfSC_PS2_PT2_iSB_SB_.uses_flat_scratch, or(0, .L__assert_fail.uses_flat_scratch)
	.set _Z39paged_attention_ll4mi_QKV_mfma16_kernelIDF16_DF16_LN4vllm18Fp8KVCacheDataTypeE0EDF16_Li32ELi128ELi256ELb0ELi1EEvPKT_PKT0_S7_ifPKiS9_S9_iPKfiiiPfSC_PS2_PT2_iSB_SB_.has_dyn_sized_stack, or(0, .L__assert_fail.has_dyn_sized_stack)
	.set _Z39paged_attention_ll4mi_QKV_mfma16_kernelIDF16_DF16_LN4vllm18Fp8KVCacheDataTypeE0EDF16_Li32ELi128ELi256ELb0ELi1EEvPKT_PKT0_S7_ifPKiS9_S9_iPKfiiiPfSC_PS2_PT2_iSB_SB_.has_recursion, or(0, .L__assert_fail.has_recursion)
	.set _Z39paged_attention_ll4mi_QKV_mfma16_kernelIDF16_DF16_LN4vllm18Fp8KVCacheDataTypeE0EDF16_Li32ELi128ELi256ELb0ELi1EEvPKT_PKT0_S7_ifPKiS9_S9_iPKfiiiPfSC_PS2_PT2_iSB_SB_.has_indirect_call, or(0, .L__assert_fail.has_indirect_call)
	.section	.AMDGPU.csdata,"",@progbits
; Kernel info:
; codeLenInByte = 68
; TotalNumSgprs: 36
; NumVgprs: 51
; ScratchSize: 64
; MemoryBound: 0
; FloatMode: 240
; IeeeMode: 1
; LDSByteSize: 0 bytes/workgroup (compile time only)
; SGPRBlocks: 0
; VGPRBlocks: 3
; NumSGPRsForWavesPerEU: 36
; NumVGPRsForWavesPerEU: 51
; NamedBarCnt: 0
; Occupancy: 16
; WaveLimiterHint : 1
; COMPUTE_PGM_RSRC2:SCRATCH_EN: 1
; COMPUTE_PGM_RSRC2:USER_SGPR: 2
; COMPUTE_PGM_RSRC2:TRAP_HANDLER: 0
; COMPUTE_PGM_RSRC2:TGID_X_EN: 1
; COMPUTE_PGM_RSRC2:TGID_Y_EN: 0
; COMPUTE_PGM_RSRC2:TGID_Z_EN: 0
; COMPUTE_PGM_RSRC2:TIDIG_COMP_CNT: 0
	.section	.text._Z39paged_attention_ll4mi_QKV_mfma16_kernelIDF16_DF16_LN4vllm18Fp8KVCacheDataTypeE0EDF16_Li32ELi128ELi256ELb0ELi2EEvPKT_PKT0_S7_ifPKiS9_S9_iPKfiiiPfSC_PS2_PT2_iSB_SB_,"axG",@progbits,_Z39paged_attention_ll4mi_QKV_mfma16_kernelIDF16_DF16_LN4vllm18Fp8KVCacheDataTypeE0EDF16_Li32ELi128ELi256ELb0ELi2EEvPKT_PKT0_S7_ifPKiS9_S9_iPKfiiiPfSC_PS2_PT2_iSB_SB_,comdat
	.protected	_Z39paged_attention_ll4mi_QKV_mfma16_kernelIDF16_DF16_LN4vllm18Fp8KVCacheDataTypeE0EDF16_Li32ELi128ELi256ELb0ELi2EEvPKT_PKT0_S7_ifPKiS9_S9_iPKfiiiPfSC_PS2_PT2_iSB_SB_ ; -- Begin function _Z39paged_attention_ll4mi_QKV_mfma16_kernelIDF16_DF16_LN4vllm18Fp8KVCacheDataTypeE0EDF16_Li32ELi128ELi256ELb0ELi2EEvPKT_PKT0_S7_ifPKiS9_S9_iPKfiiiPfSC_PS2_PT2_iSB_SB_
	.globl	_Z39paged_attention_ll4mi_QKV_mfma16_kernelIDF16_DF16_LN4vllm18Fp8KVCacheDataTypeE0EDF16_Li32ELi128ELi256ELb0ELi2EEvPKT_PKT0_S7_ifPKiS9_S9_iPKfiiiPfSC_PS2_PT2_iSB_SB_
	.p2align	8
	.type	_Z39paged_attention_ll4mi_QKV_mfma16_kernelIDF16_DF16_LN4vllm18Fp8KVCacheDataTypeE0EDF16_Li32ELi128ELi256ELb0ELi2EEvPKT_PKT0_S7_ifPKiS9_S9_iPKfiiiPfSC_PS2_PT2_iSB_SB_,@function
_Z39paged_attention_ll4mi_QKV_mfma16_kernelIDF16_DF16_LN4vllm18Fp8KVCacheDataTypeE0EDF16_Li32ELi128ELi256ELb0ELi2EEvPKT_PKT0_S7_ifPKiS9_S9_iPKfiiiPfSC_PS2_PT2_iSB_SB_: ; @_Z39paged_attention_ll4mi_QKV_mfma16_kernelIDF16_DF16_LN4vllm18Fp8KVCacheDataTypeE0EDF16_Li32ELi128ELi256ELb0ELi2EEvPKT_PKT0_S7_ifPKiS9_S9_iPKfiiiPfSC_PS2_PT2_iSB_SB_
; %bb.0:
	s_get_pc_i64 s[2:3]
	s_add_nc_u64 s[2:3], s[2:3], __PRETTY_FUNCTION__._Z39paged_attention_ll4mi_QKV_mfma16_kernelIDF16_DF16_LN4vllm18Fp8KVCacheDataTypeE0EDF16_Li32ELi128ELi256ELb0ELi2EEvPKT_PKT0_S7_ifPKiS9_S9_iPKfiiiPfSC_PS2_PT2_iSB_SB_@rel64+4
	s_delay_alu instid0(SALU_CYCLE_1)
	v_dual_mov_b32 v0, 0xbb3 :: v_dual_mov_b32 v1, s2
	v_mov_b32_e32 v2, s3
	s_add_nc_u64 s[8:9], s[0:1], 0x90
	s_get_pc_i64 s[0:1]
	s_add_nc_u64 s[0:1], s[0:1], __assert_fail@rel64+4
	s_mov_b32 s32, 0
	s_swap_pc_i64 s[30:31], s[0:1]
	.section	.rodata,"a",@progbits
	.p2align	6, 0x0
	.amdhsa_kernel _Z39paged_attention_ll4mi_QKV_mfma16_kernelIDF16_DF16_LN4vllm18Fp8KVCacheDataTypeE0EDF16_Li32ELi128ELi256ELb0ELi2EEvPKT_PKT0_S7_ifPKiS9_S9_iPKfiiiPfSC_PS2_PT2_iSB_SB_
		.amdhsa_group_segment_fixed_size 0
		.amdhsa_private_segment_fixed_size 64
		.amdhsa_kernarg_size 400
		.amdhsa_user_sgpr_count 2
		.amdhsa_user_sgpr_dispatch_ptr 0
		.amdhsa_user_sgpr_queue_ptr 0
		.amdhsa_user_sgpr_kernarg_segment_ptr 1
		.amdhsa_user_sgpr_dispatch_id 0
		.amdhsa_user_sgpr_kernarg_preload_length 0
		.amdhsa_user_sgpr_kernarg_preload_offset 0
		.amdhsa_user_sgpr_private_segment_size 0
		.amdhsa_wavefront_size32 1
		.amdhsa_uses_dynamic_stack 0
		.amdhsa_enable_private_segment 1
		.amdhsa_system_sgpr_workgroup_id_x 1
		.amdhsa_system_sgpr_workgroup_id_y 0
		.amdhsa_system_sgpr_workgroup_id_z 0
		.amdhsa_system_sgpr_workgroup_info 0
		.amdhsa_system_vgpr_workitem_id 0
		.amdhsa_next_free_vgpr 51
		.amdhsa_next_free_sgpr 34
		.amdhsa_named_barrier_count 0
		.amdhsa_reserve_vcc 1
		.amdhsa_float_round_mode_32 0
		.amdhsa_float_round_mode_16_64 0
		.amdhsa_float_denorm_mode_32 3
		.amdhsa_float_denorm_mode_16_64 3
		.amdhsa_fp16_overflow 0
		.amdhsa_memory_ordered 1
		.amdhsa_forward_progress 1
		.amdhsa_inst_pref_size 1
		.amdhsa_round_robin_scheduling 0
		.amdhsa_exception_fp_ieee_invalid_op 0
		.amdhsa_exception_fp_denorm_src 0
		.amdhsa_exception_fp_ieee_div_zero 0
		.amdhsa_exception_fp_ieee_overflow 0
		.amdhsa_exception_fp_ieee_underflow 0
		.amdhsa_exception_fp_ieee_inexact 0
		.amdhsa_exception_int_div_zero 0
	.end_amdhsa_kernel
	.section	.text._Z39paged_attention_ll4mi_QKV_mfma16_kernelIDF16_DF16_LN4vllm18Fp8KVCacheDataTypeE0EDF16_Li32ELi128ELi256ELb0ELi2EEvPKT_PKT0_S7_ifPKiS9_S9_iPKfiiiPfSC_PS2_PT2_iSB_SB_,"axG",@progbits,_Z39paged_attention_ll4mi_QKV_mfma16_kernelIDF16_DF16_LN4vllm18Fp8KVCacheDataTypeE0EDF16_Li32ELi128ELi256ELb0ELi2EEvPKT_PKT0_S7_ifPKiS9_S9_iPKfiiiPfSC_PS2_PT2_iSB_SB_,comdat
.Lfunc_end383:
	.size	_Z39paged_attention_ll4mi_QKV_mfma16_kernelIDF16_DF16_LN4vllm18Fp8KVCacheDataTypeE0EDF16_Li32ELi128ELi256ELb0ELi2EEvPKT_PKT0_S7_ifPKiS9_S9_iPKfiiiPfSC_PS2_PT2_iSB_SB_, .Lfunc_end383-_Z39paged_attention_ll4mi_QKV_mfma16_kernelIDF16_DF16_LN4vllm18Fp8KVCacheDataTypeE0EDF16_Li32ELi128ELi256ELb0ELi2EEvPKT_PKT0_S7_ifPKiS9_S9_iPKfiiiPfSC_PS2_PT2_iSB_SB_
                                        ; -- End function
	.set _Z39paged_attention_ll4mi_QKV_mfma16_kernelIDF16_DF16_LN4vllm18Fp8KVCacheDataTypeE0EDF16_Li32ELi128ELi256ELb0ELi2EEvPKT_PKT0_S7_ifPKiS9_S9_iPKfiiiPfSC_PS2_PT2_iSB_SB_.num_vgpr, max(3, .L__assert_fail.num_vgpr)
	.set _Z39paged_attention_ll4mi_QKV_mfma16_kernelIDF16_DF16_LN4vllm18Fp8KVCacheDataTypeE0EDF16_Li32ELi128ELi256ELb0ELi2EEvPKT_PKT0_S7_ifPKiS9_S9_iPKfiiiPfSC_PS2_PT2_iSB_SB_.num_agpr, max(0, .L__assert_fail.num_agpr)
	.set _Z39paged_attention_ll4mi_QKV_mfma16_kernelIDF16_DF16_LN4vllm18Fp8KVCacheDataTypeE0EDF16_Li32ELi128ELi256ELb0ELi2EEvPKT_PKT0_S7_ifPKiS9_S9_iPKfiiiPfSC_PS2_PT2_iSB_SB_.numbered_sgpr, max(33, .L__assert_fail.numbered_sgpr)
	.set _Z39paged_attention_ll4mi_QKV_mfma16_kernelIDF16_DF16_LN4vllm18Fp8KVCacheDataTypeE0EDF16_Li32ELi128ELi256ELb0ELi2EEvPKT_PKT0_S7_ifPKiS9_S9_iPKfiiiPfSC_PS2_PT2_iSB_SB_.num_named_barrier, max(0, .L__assert_fail.num_named_barrier)
	.set _Z39paged_attention_ll4mi_QKV_mfma16_kernelIDF16_DF16_LN4vllm18Fp8KVCacheDataTypeE0EDF16_Li32ELi128ELi256ELb0ELi2EEvPKT_PKT0_S7_ifPKiS9_S9_iPKfiiiPfSC_PS2_PT2_iSB_SB_.private_seg_size, 0+max(.L__assert_fail.private_seg_size)
	.set _Z39paged_attention_ll4mi_QKV_mfma16_kernelIDF16_DF16_LN4vllm18Fp8KVCacheDataTypeE0EDF16_Li32ELi128ELi256ELb0ELi2EEvPKT_PKT0_S7_ifPKiS9_S9_iPKfiiiPfSC_PS2_PT2_iSB_SB_.uses_vcc, or(1, .L__assert_fail.uses_vcc)
	.set _Z39paged_attention_ll4mi_QKV_mfma16_kernelIDF16_DF16_LN4vllm18Fp8KVCacheDataTypeE0EDF16_Li32ELi128ELi256ELb0ELi2EEvPKT_PKT0_S7_ifPKiS9_S9_iPKfiiiPfSC_PS2_PT2_iSB_SB_.uses_flat_scratch, or(0, .L__assert_fail.uses_flat_scratch)
	.set _Z39paged_attention_ll4mi_QKV_mfma16_kernelIDF16_DF16_LN4vllm18Fp8KVCacheDataTypeE0EDF16_Li32ELi128ELi256ELb0ELi2EEvPKT_PKT0_S7_ifPKiS9_S9_iPKfiiiPfSC_PS2_PT2_iSB_SB_.has_dyn_sized_stack, or(0, .L__assert_fail.has_dyn_sized_stack)
	.set _Z39paged_attention_ll4mi_QKV_mfma16_kernelIDF16_DF16_LN4vllm18Fp8KVCacheDataTypeE0EDF16_Li32ELi128ELi256ELb0ELi2EEvPKT_PKT0_S7_ifPKiS9_S9_iPKfiiiPfSC_PS2_PT2_iSB_SB_.has_recursion, or(0, .L__assert_fail.has_recursion)
	.set _Z39paged_attention_ll4mi_QKV_mfma16_kernelIDF16_DF16_LN4vllm18Fp8KVCacheDataTypeE0EDF16_Li32ELi128ELi256ELb0ELi2EEvPKT_PKT0_S7_ifPKiS9_S9_iPKfiiiPfSC_PS2_PT2_iSB_SB_.has_indirect_call, or(0, .L__assert_fail.has_indirect_call)
	.section	.AMDGPU.csdata,"",@progbits
; Kernel info:
; codeLenInByte = 68
; TotalNumSgprs: 36
; NumVgprs: 51
; ScratchSize: 64
; MemoryBound: 0
; FloatMode: 240
; IeeeMode: 1
; LDSByteSize: 0 bytes/workgroup (compile time only)
; SGPRBlocks: 0
; VGPRBlocks: 3
; NumSGPRsForWavesPerEU: 36
; NumVGPRsForWavesPerEU: 51
; NamedBarCnt: 0
; Occupancy: 16
; WaveLimiterHint : 1
; COMPUTE_PGM_RSRC2:SCRATCH_EN: 1
; COMPUTE_PGM_RSRC2:USER_SGPR: 2
; COMPUTE_PGM_RSRC2:TRAP_HANDLER: 0
; COMPUTE_PGM_RSRC2:TGID_X_EN: 1
; COMPUTE_PGM_RSRC2:TGID_Y_EN: 0
; COMPUTE_PGM_RSRC2:TGID_Z_EN: 0
; COMPUTE_PGM_RSRC2:TIDIG_COMP_CNT: 0
	.section	.text._Z39paged_attention_ll4mi_QKV_mfma16_kernelIDF16_DF16_LN4vllm18Fp8KVCacheDataTypeE0EDF16_Li32ELi128ELi256ELb0ELi3EEvPKT_PKT0_S7_ifPKiS9_S9_iPKfiiiPfSC_PS2_PT2_iSB_SB_,"axG",@progbits,_Z39paged_attention_ll4mi_QKV_mfma16_kernelIDF16_DF16_LN4vllm18Fp8KVCacheDataTypeE0EDF16_Li32ELi128ELi256ELb0ELi3EEvPKT_PKT0_S7_ifPKiS9_S9_iPKfiiiPfSC_PS2_PT2_iSB_SB_,comdat
	.protected	_Z39paged_attention_ll4mi_QKV_mfma16_kernelIDF16_DF16_LN4vllm18Fp8KVCacheDataTypeE0EDF16_Li32ELi128ELi256ELb0ELi3EEvPKT_PKT0_S7_ifPKiS9_S9_iPKfiiiPfSC_PS2_PT2_iSB_SB_ ; -- Begin function _Z39paged_attention_ll4mi_QKV_mfma16_kernelIDF16_DF16_LN4vllm18Fp8KVCacheDataTypeE0EDF16_Li32ELi128ELi256ELb0ELi3EEvPKT_PKT0_S7_ifPKiS9_S9_iPKfiiiPfSC_PS2_PT2_iSB_SB_
	.globl	_Z39paged_attention_ll4mi_QKV_mfma16_kernelIDF16_DF16_LN4vllm18Fp8KVCacheDataTypeE0EDF16_Li32ELi128ELi256ELb0ELi3EEvPKT_PKT0_S7_ifPKiS9_S9_iPKfiiiPfSC_PS2_PT2_iSB_SB_
	.p2align	8
	.type	_Z39paged_attention_ll4mi_QKV_mfma16_kernelIDF16_DF16_LN4vllm18Fp8KVCacheDataTypeE0EDF16_Li32ELi128ELi256ELb0ELi3EEvPKT_PKT0_S7_ifPKiS9_S9_iPKfiiiPfSC_PS2_PT2_iSB_SB_,@function
_Z39paged_attention_ll4mi_QKV_mfma16_kernelIDF16_DF16_LN4vllm18Fp8KVCacheDataTypeE0EDF16_Li32ELi128ELi256ELb0ELi3EEvPKT_PKT0_S7_ifPKiS9_S9_iPKfiiiPfSC_PS2_PT2_iSB_SB_: ; @_Z39paged_attention_ll4mi_QKV_mfma16_kernelIDF16_DF16_LN4vllm18Fp8KVCacheDataTypeE0EDF16_Li32ELi128ELi256ELb0ELi3EEvPKT_PKT0_S7_ifPKiS9_S9_iPKfiiiPfSC_PS2_PT2_iSB_SB_
; %bb.0:
	s_get_pc_i64 s[2:3]
	s_add_nc_u64 s[2:3], s[2:3], __PRETTY_FUNCTION__._Z39paged_attention_ll4mi_QKV_mfma16_kernelIDF16_DF16_LN4vllm18Fp8KVCacheDataTypeE0EDF16_Li32ELi128ELi256ELb0ELi3EEvPKT_PKT0_S7_ifPKiS9_S9_iPKfiiiPfSC_PS2_PT2_iSB_SB_@rel64+4
	s_delay_alu instid0(SALU_CYCLE_1)
	v_dual_mov_b32 v0, 0xbb3 :: v_dual_mov_b32 v1, s2
	v_mov_b32_e32 v2, s3
	s_add_nc_u64 s[8:9], s[0:1], 0x90
	s_get_pc_i64 s[0:1]
	s_add_nc_u64 s[0:1], s[0:1], __assert_fail@rel64+4
	s_mov_b32 s32, 0
	s_swap_pc_i64 s[30:31], s[0:1]
	.section	.rodata,"a",@progbits
	.p2align	6, 0x0
	.amdhsa_kernel _Z39paged_attention_ll4mi_QKV_mfma16_kernelIDF16_DF16_LN4vllm18Fp8KVCacheDataTypeE0EDF16_Li32ELi128ELi256ELb0ELi3EEvPKT_PKT0_S7_ifPKiS9_S9_iPKfiiiPfSC_PS2_PT2_iSB_SB_
		.amdhsa_group_segment_fixed_size 0
		.amdhsa_private_segment_fixed_size 64
		.amdhsa_kernarg_size 400
		.amdhsa_user_sgpr_count 2
		.amdhsa_user_sgpr_dispatch_ptr 0
		.amdhsa_user_sgpr_queue_ptr 0
		.amdhsa_user_sgpr_kernarg_segment_ptr 1
		.amdhsa_user_sgpr_dispatch_id 0
		.amdhsa_user_sgpr_kernarg_preload_length 0
		.amdhsa_user_sgpr_kernarg_preload_offset 0
		.amdhsa_user_sgpr_private_segment_size 0
		.amdhsa_wavefront_size32 1
		.amdhsa_uses_dynamic_stack 0
		.amdhsa_enable_private_segment 1
		.amdhsa_system_sgpr_workgroup_id_x 1
		.amdhsa_system_sgpr_workgroup_id_y 0
		.amdhsa_system_sgpr_workgroup_id_z 0
		.amdhsa_system_sgpr_workgroup_info 0
		.amdhsa_system_vgpr_workitem_id 0
		.amdhsa_next_free_vgpr 51
		.amdhsa_next_free_sgpr 34
		.amdhsa_named_barrier_count 0
		.amdhsa_reserve_vcc 1
		.amdhsa_float_round_mode_32 0
		.amdhsa_float_round_mode_16_64 0
		.amdhsa_float_denorm_mode_32 3
		.amdhsa_float_denorm_mode_16_64 3
		.amdhsa_fp16_overflow 0
		.amdhsa_memory_ordered 1
		.amdhsa_forward_progress 1
		.amdhsa_inst_pref_size 1
		.amdhsa_round_robin_scheduling 0
		.amdhsa_exception_fp_ieee_invalid_op 0
		.amdhsa_exception_fp_denorm_src 0
		.amdhsa_exception_fp_ieee_div_zero 0
		.amdhsa_exception_fp_ieee_overflow 0
		.amdhsa_exception_fp_ieee_underflow 0
		.amdhsa_exception_fp_ieee_inexact 0
		.amdhsa_exception_int_div_zero 0
	.end_amdhsa_kernel
	.section	.text._Z39paged_attention_ll4mi_QKV_mfma16_kernelIDF16_DF16_LN4vllm18Fp8KVCacheDataTypeE0EDF16_Li32ELi128ELi256ELb0ELi3EEvPKT_PKT0_S7_ifPKiS9_S9_iPKfiiiPfSC_PS2_PT2_iSB_SB_,"axG",@progbits,_Z39paged_attention_ll4mi_QKV_mfma16_kernelIDF16_DF16_LN4vllm18Fp8KVCacheDataTypeE0EDF16_Li32ELi128ELi256ELb0ELi3EEvPKT_PKT0_S7_ifPKiS9_S9_iPKfiiiPfSC_PS2_PT2_iSB_SB_,comdat
.Lfunc_end384:
	.size	_Z39paged_attention_ll4mi_QKV_mfma16_kernelIDF16_DF16_LN4vllm18Fp8KVCacheDataTypeE0EDF16_Li32ELi128ELi256ELb0ELi3EEvPKT_PKT0_S7_ifPKiS9_S9_iPKfiiiPfSC_PS2_PT2_iSB_SB_, .Lfunc_end384-_Z39paged_attention_ll4mi_QKV_mfma16_kernelIDF16_DF16_LN4vllm18Fp8KVCacheDataTypeE0EDF16_Li32ELi128ELi256ELb0ELi3EEvPKT_PKT0_S7_ifPKiS9_S9_iPKfiiiPfSC_PS2_PT2_iSB_SB_
                                        ; -- End function
	.set _Z39paged_attention_ll4mi_QKV_mfma16_kernelIDF16_DF16_LN4vllm18Fp8KVCacheDataTypeE0EDF16_Li32ELi128ELi256ELb0ELi3EEvPKT_PKT0_S7_ifPKiS9_S9_iPKfiiiPfSC_PS2_PT2_iSB_SB_.num_vgpr, max(3, .L__assert_fail.num_vgpr)
	.set _Z39paged_attention_ll4mi_QKV_mfma16_kernelIDF16_DF16_LN4vllm18Fp8KVCacheDataTypeE0EDF16_Li32ELi128ELi256ELb0ELi3EEvPKT_PKT0_S7_ifPKiS9_S9_iPKfiiiPfSC_PS2_PT2_iSB_SB_.num_agpr, max(0, .L__assert_fail.num_agpr)
	.set _Z39paged_attention_ll4mi_QKV_mfma16_kernelIDF16_DF16_LN4vllm18Fp8KVCacheDataTypeE0EDF16_Li32ELi128ELi256ELb0ELi3EEvPKT_PKT0_S7_ifPKiS9_S9_iPKfiiiPfSC_PS2_PT2_iSB_SB_.numbered_sgpr, max(33, .L__assert_fail.numbered_sgpr)
	.set _Z39paged_attention_ll4mi_QKV_mfma16_kernelIDF16_DF16_LN4vllm18Fp8KVCacheDataTypeE0EDF16_Li32ELi128ELi256ELb0ELi3EEvPKT_PKT0_S7_ifPKiS9_S9_iPKfiiiPfSC_PS2_PT2_iSB_SB_.num_named_barrier, max(0, .L__assert_fail.num_named_barrier)
	.set _Z39paged_attention_ll4mi_QKV_mfma16_kernelIDF16_DF16_LN4vllm18Fp8KVCacheDataTypeE0EDF16_Li32ELi128ELi256ELb0ELi3EEvPKT_PKT0_S7_ifPKiS9_S9_iPKfiiiPfSC_PS2_PT2_iSB_SB_.private_seg_size, 0+max(.L__assert_fail.private_seg_size)
	.set _Z39paged_attention_ll4mi_QKV_mfma16_kernelIDF16_DF16_LN4vllm18Fp8KVCacheDataTypeE0EDF16_Li32ELi128ELi256ELb0ELi3EEvPKT_PKT0_S7_ifPKiS9_S9_iPKfiiiPfSC_PS2_PT2_iSB_SB_.uses_vcc, or(1, .L__assert_fail.uses_vcc)
	.set _Z39paged_attention_ll4mi_QKV_mfma16_kernelIDF16_DF16_LN4vllm18Fp8KVCacheDataTypeE0EDF16_Li32ELi128ELi256ELb0ELi3EEvPKT_PKT0_S7_ifPKiS9_S9_iPKfiiiPfSC_PS2_PT2_iSB_SB_.uses_flat_scratch, or(0, .L__assert_fail.uses_flat_scratch)
	.set _Z39paged_attention_ll4mi_QKV_mfma16_kernelIDF16_DF16_LN4vllm18Fp8KVCacheDataTypeE0EDF16_Li32ELi128ELi256ELb0ELi3EEvPKT_PKT0_S7_ifPKiS9_S9_iPKfiiiPfSC_PS2_PT2_iSB_SB_.has_dyn_sized_stack, or(0, .L__assert_fail.has_dyn_sized_stack)
	.set _Z39paged_attention_ll4mi_QKV_mfma16_kernelIDF16_DF16_LN4vllm18Fp8KVCacheDataTypeE0EDF16_Li32ELi128ELi256ELb0ELi3EEvPKT_PKT0_S7_ifPKiS9_S9_iPKfiiiPfSC_PS2_PT2_iSB_SB_.has_recursion, or(0, .L__assert_fail.has_recursion)
	.set _Z39paged_attention_ll4mi_QKV_mfma16_kernelIDF16_DF16_LN4vllm18Fp8KVCacheDataTypeE0EDF16_Li32ELi128ELi256ELb0ELi3EEvPKT_PKT0_S7_ifPKiS9_S9_iPKfiiiPfSC_PS2_PT2_iSB_SB_.has_indirect_call, or(0, .L__assert_fail.has_indirect_call)
	.section	.AMDGPU.csdata,"",@progbits
; Kernel info:
; codeLenInByte = 68
; TotalNumSgprs: 36
; NumVgprs: 51
; ScratchSize: 64
; MemoryBound: 0
; FloatMode: 240
; IeeeMode: 1
; LDSByteSize: 0 bytes/workgroup (compile time only)
; SGPRBlocks: 0
; VGPRBlocks: 3
; NumSGPRsForWavesPerEU: 36
; NumVGPRsForWavesPerEU: 51
; NamedBarCnt: 0
; Occupancy: 16
; WaveLimiterHint : 1
; COMPUTE_PGM_RSRC2:SCRATCH_EN: 1
; COMPUTE_PGM_RSRC2:USER_SGPR: 2
; COMPUTE_PGM_RSRC2:TRAP_HANDLER: 0
; COMPUTE_PGM_RSRC2:TGID_X_EN: 1
; COMPUTE_PGM_RSRC2:TGID_Y_EN: 0
; COMPUTE_PGM_RSRC2:TGID_Z_EN: 0
; COMPUTE_PGM_RSRC2:TIDIG_COMP_CNT: 0
	.section	.text._Z39paged_attention_ll4mi_QKV_mfma16_kernelIDF16_DF16_LN4vllm18Fp8KVCacheDataTypeE0EDF16_Li32ELi128ELi256ELb0ELi4EEvPKT_PKT0_S7_ifPKiS9_S9_iPKfiiiPfSC_PS2_PT2_iSB_SB_,"axG",@progbits,_Z39paged_attention_ll4mi_QKV_mfma16_kernelIDF16_DF16_LN4vllm18Fp8KVCacheDataTypeE0EDF16_Li32ELi128ELi256ELb0ELi4EEvPKT_PKT0_S7_ifPKiS9_S9_iPKfiiiPfSC_PS2_PT2_iSB_SB_,comdat
	.protected	_Z39paged_attention_ll4mi_QKV_mfma16_kernelIDF16_DF16_LN4vllm18Fp8KVCacheDataTypeE0EDF16_Li32ELi128ELi256ELb0ELi4EEvPKT_PKT0_S7_ifPKiS9_S9_iPKfiiiPfSC_PS2_PT2_iSB_SB_ ; -- Begin function _Z39paged_attention_ll4mi_QKV_mfma16_kernelIDF16_DF16_LN4vllm18Fp8KVCacheDataTypeE0EDF16_Li32ELi128ELi256ELb0ELi4EEvPKT_PKT0_S7_ifPKiS9_S9_iPKfiiiPfSC_PS2_PT2_iSB_SB_
	.globl	_Z39paged_attention_ll4mi_QKV_mfma16_kernelIDF16_DF16_LN4vllm18Fp8KVCacheDataTypeE0EDF16_Li32ELi128ELi256ELb0ELi4EEvPKT_PKT0_S7_ifPKiS9_S9_iPKfiiiPfSC_PS2_PT2_iSB_SB_
	.p2align	8
	.type	_Z39paged_attention_ll4mi_QKV_mfma16_kernelIDF16_DF16_LN4vllm18Fp8KVCacheDataTypeE0EDF16_Li32ELi128ELi256ELb0ELi4EEvPKT_PKT0_S7_ifPKiS9_S9_iPKfiiiPfSC_PS2_PT2_iSB_SB_,@function
_Z39paged_attention_ll4mi_QKV_mfma16_kernelIDF16_DF16_LN4vllm18Fp8KVCacheDataTypeE0EDF16_Li32ELi128ELi256ELb0ELi4EEvPKT_PKT0_S7_ifPKiS9_S9_iPKfiiiPfSC_PS2_PT2_iSB_SB_: ; @_Z39paged_attention_ll4mi_QKV_mfma16_kernelIDF16_DF16_LN4vllm18Fp8KVCacheDataTypeE0EDF16_Li32ELi128ELi256ELb0ELi4EEvPKT_PKT0_S7_ifPKiS9_S9_iPKfiiiPfSC_PS2_PT2_iSB_SB_
; %bb.0:
	s_get_pc_i64 s[2:3]
	s_add_nc_u64 s[2:3], s[2:3], __PRETTY_FUNCTION__._Z39paged_attention_ll4mi_QKV_mfma16_kernelIDF16_DF16_LN4vllm18Fp8KVCacheDataTypeE0EDF16_Li32ELi128ELi256ELb0ELi4EEvPKT_PKT0_S7_ifPKiS9_S9_iPKfiiiPfSC_PS2_PT2_iSB_SB_@rel64+4
	s_delay_alu instid0(SALU_CYCLE_1)
	v_dual_mov_b32 v0, 0xbb3 :: v_dual_mov_b32 v1, s2
	v_mov_b32_e32 v2, s3
	s_add_nc_u64 s[8:9], s[0:1], 0x90
	s_get_pc_i64 s[0:1]
	s_add_nc_u64 s[0:1], s[0:1], __assert_fail@rel64+4
	s_mov_b32 s32, 0
	s_swap_pc_i64 s[30:31], s[0:1]
	.section	.rodata,"a",@progbits
	.p2align	6, 0x0
	.amdhsa_kernel _Z39paged_attention_ll4mi_QKV_mfma16_kernelIDF16_DF16_LN4vllm18Fp8KVCacheDataTypeE0EDF16_Li32ELi128ELi256ELb0ELi4EEvPKT_PKT0_S7_ifPKiS9_S9_iPKfiiiPfSC_PS2_PT2_iSB_SB_
		.amdhsa_group_segment_fixed_size 0
		.amdhsa_private_segment_fixed_size 64
		.amdhsa_kernarg_size 400
		.amdhsa_user_sgpr_count 2
		.amdhsa_user_sgpr_dispatch_ptr 0
		.amdhsa_user_sgpr_queue_ptr 0
		.amdhsa_user_sgpr_kernarg_segment_ptr 1
		.amdhsa_user_sgpr_dispatch_id 0
		.amdhsa_user_sgpr_kernarg_preload_length 0
		.amdhsa_user_sgpr_kernarg_preload_offset 0
		.amdhsa_user_sgpr_private_segment_size 0
		.amdhsa_wavefront_size32 1
		.amdhsa_uses_dynamic_stack 0
		.amdhsa_enable_private_segment 1
		.amdhsa_system_sgpr_workgroup_id_x 1
		.amdhsa_system_sgpr_workgroup_id_y 0
		.amdhsa_system_sgpr_workgroup_id_z 0
		.amdhsa_system_sgpr_workgroup_info 0
		.amdhsa_system_vgpr_workitem_id 0
		.amdhsa_next_free_vgpr 51
		.amdhsa_next_free_sgpr 34
		.amdhsa_named_barrier_count 0
		.amdhsa_reserve_vcc 1
		.amdhsa_float_round_mode_32 0
		.amdhsa_float_round_mode_16_64 0
		.amdhsa_float_denorm_mode_32 3
		.amdhsa_float_denorm_mode_16_64 3
		.amdhsa_fp16_overflow 0
		.amdhsa_memory_ordered 1
		.amdhsa_forward_progress 1
		.amdhsa_inst_pref_size 1
		.amdhsa_round_robin_scheduling 0
		.amdhsa_exception_fp_ieee_invalid_op 0
		.amdhsa_exception_fp_denorm_src 0
		.amdhsa_exception_fp_ieee_div_zero 0
		.amdhsa_exception_fp_ieee_overflow 0
		.amdhsa_exception_fp_ieee_underflow 0
		.amdhsa_exception_fp_ieee_inexact 0
		.amdhsa_exception_int_div_zero 0
	.end_amdhsa_kernel
	.section	.text._Z39paged_attention_ll4mi_QKV_mfma16_kernelIDF16_DF16_LN4vllm18Fp8KVCacheDataTypeE0EDF16_Li32ELi128ELi256ELb0ELi4EEvPKT_PKT0_S7_ifPKiS9_S9_iPKfiiiPfSC_PS2_PT2_iSB_SB_,"axG",@progbits,_Z39paged_attention_ll4mi_QKV_mfma16_kernelIDF16_DF16_LN4vllm18Fp8KVCacheDataTypeE0EDF16_Li32ELi128ELi256ELb0ELi4EEvPKT_PKT0_S7_ifPKiS9_S9_iPKfiiiPfSC_PS2_PT2_iSB_SB_,comdat
.Lfunc_end385:
	.size	_Z39paged_attention_ll4mi_QKV_mfma16_kernelIDF16_DF16_LN4vllm18Fp8KVCacheDataTypeE0EDF16_Li32ELi128ELi256ELb0ELi4EEvPKT_PKT0_S7_ifPKiS9_S9_iPKfiiiPfSC_PS2_PT2_iSB_SB_, .Lfunc_end385-_Z39paged_attention_ll4mi_QKV_mfma16_kernelIDF16_DF16_LN4vllm18Fp8KVCacheDataTypeE0EDF16_Li32ELi128ELi256ELb0ELi4EEvPKT_PKT0_S7_ifPKiS9_S9_iPKfiiiPfSC_PS2_PT2_iSB_SB_
                                        ; -- End function
	.set _Z39paged_attention_ll4mi_QKV_mfma16_kernelIDF16_DF16_LN4vllm18Fp8KVCacheDataTypeE0EDF16_Li32ELi128ELi256ELb0ELi4EEvPKT_PKT0_S7_ifPKiS9_S9_iPKfiiiPfSC_PS2_PT2_iSB_SB_.num_vgpr, max(3, .L__assert_fail.num_vgpr)
	.set _Z39paged_attention_ll4mi_QKV_mfma16_kernelIDF16_DF16_LN4vllm18Fp8KVCacheDataTypeE0EDF16_Li32ELi128ELi256ELb0ELi4EEvPKT_PKT0_S7_ifPKiS9_S9_iPKfiiiPfSC_PS2_PT2_iSB_SB_.num_agpr, max(0, .L__assert_fail.num_agpr)
	.set _Z39paged_attention_ll4mi_QKV_mfma16_kernelIDF16_DF16_LN4vllm18Fp8KVCacheDataTypeE0EDF16_Li32ELi128ELi256ELb0ELi4EEvPKT_PKT0_S7_ifPKiS9_S9_iPKfiiiPfSC_PS2_PT2_iSB_SB_.numbered_sgpr, max(33, .L__assert_fail.numbered_sgpr)
	.set _Z39paged_attention_ll4mi_QKV_mfma16_kernelIDF16_DF16_LN4vllm18Fp8KVCacheDataTypeE0EDF16_Li32ELi128ELi256ELb0ELi4EEvPKT_PKT0_S7_ifPKiS9_S9_iPKfiiiPfSC_PS2_PT2_iSB_SB_.num_named_barrier, max(0, .L__assert_fail.num_named_barrier)
	.set _Z39paged_attention_ll4mi_QKV_mfma16_kernelIDF16_DF16_LN4vllm18Fp8KVCacheDataTypeE0EDF16_Li32ELi128ELi256ELb0ELi4EEvPKT_PKT0_S7_ifPKiS9_S9_iPKfiiiPfSC_PS2_PT2_iSB_SB_.private_seg_size, 0+max(.L__assert_fail.private_seg_size)
	.set _Z39paged_attention_ll4mi_QKV_mfma16_kernelIDF16_DF16_LN4vllm18Fp8KVCacheDataTypeE0EDF16_Li32ELi128ELi256ELb0ELi4EEvPKT_PKT0_S7_ifPKiS9_S9_iPKfiiiPfSC_PS2_PT2_iSB_SB_.uses_vcc, or(1, .L__assert_fail.uses_vcc)
	.set _Z39paged_attention_ll4mi_QKV_mfma16_kernelIDF16_DF16_LN4vllm18Fp8KVCacheDataTypeE0EDF16_Li32ELi128ELi256ELb0ELi4EEvPKT_PKT0_S7_ifPKiS9_S9_iPKfiiiPfSC_PS2_PT2_iSB_SB_.uses_flat_scratch, or(0, .L__assert_fail.uses_flat_scratch)
	.set _Z39paged_attention_ll4mi_QKV_mfma16_kernelIDF16_DF16_LN4vllm18Fp8KVCacheDataTypeE0EDF16_Li32ELi128ELi256ELb0ELi4EEvPKT_PKT0_S7_ifPKiS9_S9_iPKfiiiPfSC_PS2_PT2_iSB_SB_.has_dyn_sized_stack, or(0, .L__assert_fail.has_dyn_sized_stack)
	.set _Z39paged_attention_ll4mi_QKV_mfma16_kernelIDF16_DF16_LN4vllm18Fp8KVCacheDataTypeE0EDF16_Li32ELi128ELi256ELb0ELi4EEvPKT_PKT0_S7_ifPKiS9_S9_iPKfiiiPfSC_PS2_PT2_iSB_SB_.has_recursion, or(0, .L__assert_fail.has_recursion)
	.set _Z39paged_attention_ll4mi_QKV_mfma16_kernelIDF16_DF16_LN4vllm18Fp8KVCacheDataTypeE0EDF16_Li32ELi128ELi256ELb0ELi4EEvPKT_PKT0_S7_ifPKiS9_S9_iPKfiiiPfSC_PS2_PT2_iSB_SB_.has_indirect_call, or(0, .L__assert_fail.has_indirect_call)
	.section	.AMDGPU.csdata,"",@progbits
; Kernel info:
; codeLenInByte = 68
; TotalNumSgprs: 36
; NumVgprs: 51
; ScratchSize: 64
; MemoryBound: 0
; FloatMode: 240
; IeeeMode: 1
; LDSByteSize: 0 bytes/workgroup (compile time only)
; SGPRBlocks: 0
; VGPRBlocks: 3
; NumSGPRsForWavesPerEU: 36
; NumVGPRsForWavesPerEU: 51
; NamedBarCnt: 0
; Occupancy: 16
; WaveLimiterHint : 1
; COMPUTE_PGM_RSRC2:SCRATCH_EN: 1
; COMPUTE_PGM_RSRC2:USER_SGPR: 2
; COMPUTE_PGM_RSRC2:TRAP_HANDLER: 0
; COMPUTE_PGM_RSRC2:TGID_X_EN: 1
; COMPUTE_PGM_RSRC2:TGID_Y_EN: 0
; COMPUTE_PGM_RSRC2:TGID_Z_EN: 0
; COMPUTE_PGM_RSRC2:TIDIG_COMP_CNT: 0
	.section	.text._Z38paged_attention_ll4mi_QKV_mfma4_kernelI14__hip_bfloat16S0_LN4vllm18Fp8KVCacheDataTypeE0EhLi16ELi64ELi256ELb1ELi1EEvPKT_PKT0_S8_ifPKiSA_SA_iPKfiiiPfSD_PS3_PT2_iSC_SC_,"axG",@progbits,_Z38paged_attention_ll4mi_QKV_mfma4_kernelI14__hip_bfloat16S0_LN4vllm18Fp8KVCacheDataTypeE0EhLi16ELi64ELi256ELb1ELi1EEvPKT_PKT0_S8_ifPKiSA_SA_iPKfiiiPfSD_PS3_PT2_iSC_SC_,comdat
	.protected	_Z38paged_attention_ll4mi_QKV_mfma4_kernelI14__hip_bfloat16S0_LN4vllm18Fp8KVCacheDataTypeE0EhLi16ELi64ELi256ELb1ELi1EEvPKT_PKT0_S8_ifPKiSA_SA_iPKfiiiPfSD_PS3_PT2_iSC_SC_ ; -- Begin function _Z38paged_attention_ll4mi_QKV_mfma4_kernelI14__hip_bfloat16S0_LN4vllm18Fp8KVCacheDataTypeE0EhLi16ELi64ELi256ELb1ELi1EEvPKT_PKT0_S8_ifPKiSA_SA_iPKfiiiPfSD_PS3_PT2_iSC_SC_
	.globl	_Z38paged_attention_ll4mi_QKV_mfma4_kernelI14__hip_bfloat16S0_LN4vllm18Fp8KVCacheDataTypeE0EhLi16ELi64ELi256ELb1ELi1EEvPKT_PKT0_S8_ifPKiSA_SA_iPKfiiiPfSD_PS3_PT2_iSC_SC_
	.p2align	8
	.type	_Z38paged_attention_ll4mi_QKV_mfma4_kernelI14__hip_bfloat16S0_LN4vllm18Fp8KVCacheDataTypeE0EhLi16ELi64ELi256ELb1ELi1EEvPKT_PKT0_S8_ifPKiSA_SA_iPKfiiiPfSD_PS3_PT2_iSC_SC_,@function
_Z38paged_attention_ll4mi_QKV_mfma4_kernelI14__hip_bfloat16S0_LN4vllm18Fp8KVCacheDataTypeE0EhLi16ELi64ELi256ELb1ELi1EEvPKT_PKT0_S8_ifPKiSA_SA_iPKfiiiPfSD_PS3_PT2_iSC_SC_: ; @_Z38paged_attention_ll4mi_QKV_mfma4_kernelI14__hip_bfloat16S0_LN4vllm18Fp8KVCacheDataTypeE0EhLi16ELi64ELi256ELb1ELi1EEvPKT_PKT0_S8_ifPKiSA_SA_iPKfiiiPfSD_PS3_PT2_iSC_SC_
; %bb.0:
	s_get_pc_i64 s[2:3]
	s_add_nc_u64 s[2:3], s[2:3], __PRETTY_FUNCTION__._Z38paged_attention_ll4mi_QKV_mfma4_kernelI14__hip_bfloat16S0_LN4vllm18Fp8KVCacheDataTypeE0EhLi16ELi64ELi256ELb1ELi1EEvPKT_PKT0_S8_ifPKiSA_SA_iPKfiiiPfSD_PS3_PT2_iSC_SC_@rel64+4
	s_delay_alu instid0(SALU_CYCLE_1)
	v_dual_mov_b32 v0, 0xbce :: v_dual_mov_b32 v1, s2
	v_mov_b32_e32 v2, s3
	s_add_nc_u64 s[8:9], s[0:1], 0x90
	s_get_pc_i64 s[0:1]
	s_add_nc_u64 s[0:1], s[0:1], __assert_fail@rel64+4
	s_mov_b32 s32, 0
	s_swap_pc_i64 s[30:31], s[0:1]
	.section	.rodata,"a",@progbits
	.p2align	6, 0x0
	.amdhsa_kernel _Z38paged_attention_ll4mi_QKV_mfma4_kernelI14__hip_bfloat16S0_LN4vllm18Fp8KVCacheDataTypeE0EhLi16ELi64ELi256ELb1ELi1EEvPKT_PKT0_S8_ifPKiSA_SA_iPKfiiiPfSD_PS3_PT2_iSC_SC_
		.amdhsa_group_segment_fixed_size 0
		.amdhsa_private_segment_fixed_size 64
		.amdhsa_kernarg_size 400
		.amdhsa_user_sgpr_count 2
		.amdhsa_user_sgpr_dispatch_ptr 0
		.amdhsa_user_sgpr_queue_ptr 0
		.amdhsa_user_sgpr_kernarg_segment_ptr 1
		.amdhsa_user_sgpr_dispatch_id 0
		.amdhsa_user_sgpr_kernarg_preload_length 0
		.amdhsa_user_sgpr_kernarg_preload_offset 0
		.amdhsa_user_sgpr_private_segment_size 0
		.amdhsa_wavefront_size32 1
		.amdhsa_uses_dynamic_stack 0
		.amdhsa_enable_private_segment 1
		.amdhsa_system_sgpr_workgroup_id_x 1
		.amdhsa_system_sgpr_workgroup_id_y 0
		.amdhsa_system_sgpr_workgroup_id_z 0
		.amdhsa_system_sgpr_workgroup_info 0
		.amdhsa_system_vgpr_workitem_id 0
		.amdhsa_next_free_vgpr 51
		.amdhsa_next_free_sgpr 34
		.amdhsa_named_barrier_count 0
		.amdhsa_reserve_vcc 1
		.amdhsa_float_round_mode_32 0
		.amdhsa_float_round_mode_16_64 0
		.amdhsa_float_denorm_mode_32 3
		.amdhsa_float_denorm_mode_16_64 3
		.amdhsa_fp16_overflow 0
		.amdhsa_memory_ordered 1
		.amdhsa_forward_progress 1
		.amdhsa_inst_pref_size 1
		.amdhsa_round_robin_scheduling 0
		.amdhsa_exception_fp_ieee_invalid_op 0
		.amdhsa_exception_fp_denorm_src 0
		.amdhsa_exception_fp_ieee_div_zero 0
		.amdhsa_exception_fp_ieee_overflow 0
		.amdhsa_exception_fp_ieee_underflow 0
		.amdhsa_exception_fp_ieee_inexact 0
		.amdhsa_exception_int_div_zero 0
	.end_amdhsa_kernel
	.section	.text._Z38paged_attention_ll4mi_QKV_mfma4_kernelI14__hip_bfloat16S0_LN4vllm18Fp8KVCacheDataTypeE0EhLi16ELi64ELi256ELb1ELi1EEvPKT_PKT0_S8_ifPKiSA_SA_iPKfiiiPfSD_PS3_PT2_iSC_SC_,"axG",@progbits,_Z38paged_attention_ll4mi_QKV_mfma4_kernelI14__hip_bfloat16S0_LN4vllm18Fp8KVCacheDataTypeE0EhLi16ELi64ELi256ELb1ELi1EEvPKT_PKT0_S8_ifPKiSA_SA_iPKfiiiPfSD_PS3_PT2_iSC_SC_,comdat
.Lfunc_end386:
	.size	_Z38paged_attention_ll4mi_QKV_mfma4_kernelI14__hip_bfloat16S0_LN4vllm18Fp8KVCacheDataTypeE0EhLi16ELi64ELi256ELb1ELi1EEvPKT_PKT0_S8_ifPKiSA_SA_iPKfiiiPfSD_PS3_PT2_iSC_SC_, .Lfunc_end386-_Z38paged_attention_ll4mi_QKV_mfma4_kernelI14__hip_bfloat16S0_LN4vllm18Fp8KVCacheDataTypeE0EhLi16ELi64ELi256ELb1ELi1EEvPKT_PKT0_S8_ifPKiSA_SA_iPKfiiiPfSD_PS3_PT2_iSC_SC_
                                        ; -- End function
	.set _Z38paged_attention_ll4mi_QKV_mfma4_kernelI14__hip_bfloat16S0_LN4vllm18Fp8KVCacheDataTypeE0EhLi16ELi64ELi256ELb1ELi1EEvPKT_PKT0_S8_ifPKiSA_SA_iPKfiiiPfSD_PS3_PT2_iSC_SC_.num_vgpr, max(3, .L__assert_fail.num_vgpr)
	.set _Z38paged_attention_ll4mi_QKV_mfma4_kernelI14__hip_bfloat16S0_LN4vllm18Fp8KVCacheDataTypeE0EhLi16ELi64ELi256ELb1ELi1EEvPKT_PKT0_S8_ifPKiSA_SA_iPKfiiiPfSD_PS3_PT2_iSC_SC_.num_agpr, max(0, .L__assert_fail.num_agpr)
	.set _Z38paged_attention_ll4mi_QKV_mfma4_kernelI14__hip_bfloat16S0_LN4vllm18Fp8KVCacheDataTypeE0EhLi16ELi64ELi256ELb1ELi1EEvPKT_PKT0_S8_ifPKiSA_SA_iPKfiiiPfSD_PS3_PT2_iSC_SC_.numbered_sgpr, max(33, .L__assert_fail.numbered_sgpr)
	.set _Z38paged_attention_ll4mi_QKV_mfma4_kernelI14__hip_bfloat16S0_LN4vllm18Fp8KVCacheDataTypeE0EhLi16ELi64ELi256ELb1ELi1EEvPKT_PKT0_S8_ifPKiSA_SA_iPKfiiiPfSD_PS3_PT2_iSC_SC_.num_named_barrier, max(0, .L__assert_fail.num_named_barrier)
	.set _Z38paged_attention_ll4mi_QKV_mfma4_kernelI14__hip_bfloat16S0_LN4vllm18Fp8KVCacheDataTypeE0EhLi16ELi64ELi256ELb1ELi1EEvPKT_PKT0_S8_ifPKiSA_SA_iPKfiiiPfSD_PS3_PT2_iSC_SC_.private_seg_size, 0+max(.L__assert_fail.private_seg_size)
	.set _Z38paged_attention_ll4mi_QKV_mfma4_kernelI14__hip_bfloat16S0_LN4vllm18Fp8KVCacheDataTypeE0EhLi16ELi64ELi256ELb1ELi1EEvPKT_PKT0_S8_ifPKiSA_SA_iPKfiiiPfSD_PS3_PT2_iSC_SC_.uses_vcc, or(1, .L__assert_fail.uses_vcc)
	.set _Z38paged_attention_ll4mi_QKV_mfma4_kernelI14__hip_bfloat16S0_LN4vllm18Fp8KVCacheDataTypeE0EhLi16ELi64ELi256ELb1ELi1EEvPKT_PKT0_S8_ifPKiSA_SA_iPKfiiiPfSD_PS3_PT2_iSC_SC_.uses_flat_scratch, or(0, .L__assert_fail.uses_flat_scratch)
	.set _Z38paged_attention_ll4mi_QKV_mfma4_kernelI14__hip_bfloat16S0_LN4vllm18Fp8KVCacheDataTypeE0EhLi16ELi64ELi256ELb1ELi1EEvPKT_PKT0_S8_ifPKiSA_SA_iPKfiiiPfSD_PS3_PT2_iSC_SC_.has_dyn_sized_stack, or(0, .L__assert_fail.has_dyn_sized_stack)
	.set _Z38paged_attention_ll4mi_QKV_mfma4_kernelI14__hip_bfloat16S0_LN4vllm18Fp8KVCacheDataTypeE0EhLi16ELi64ELi256ELb1ELi1EEvPKT_PKT0_S8_ifPKiSA_SA_iPKfiiiPfSD_PS3_PT2_iSC_SC_.has_recursion, or(0, .L__assert_fail.has_recursion)
	.set _Z38paged_attention_ll4mi_QKV_mfma4_kernelI14__hip_bfloat16S0_LN4vllm18Fp8KVCacheDataTypeE0EhLi16ELi64ELi256ELb1ELi1EEvPKT_PKT0_S8_ifPKiSA_SA_iPKfiiiPfSD_PS3_PT2_iSC_SC_.has_indirect_call, or(0, .L__assert_fail.has_indirect_call)
	.section	.AMDGPU.csdata,"",@progbits
; Kernel info:
; codeLenInByte = 68
; TotalNumSgprs: 36
; NumVgprs: 51
; ScratchSize: 64
; MemoryBound: 0
; FloatMode: 240
; IeeeMode: 1
; LDSByteSize: 0 bytes/workgroup (compile time only)
; SGPRBlocks: 0
; VGPRBlocks: 3
; NumSGPRsForWavesPerEU: 36
; NumVGPRsForWavesPerEU: 51
; NamedBarCnt: 0
; Occupancy: 16
; WaveLimiterHint : 1
; COMPUTE_PGM_RSRC2:SCRATCH_EN: 1
; COMPUTE_PGM_RSRC2:USER_SGPR: 2
; COMPUTE_PGM_RSRC2:TRAP_HANDLER: 0
; COMPUTE_PGM_RSRC2:TGID_X_EN: 1
; COMPUTE_PGM_RSRC2:TGID_Y_EN: 0
; COMPUTE_PGM_RSRC2:TGID_Z_EN: 0
; COMPUTE_PGM_RSRC2:TIDIG_COMP_CNT: 0
	.section	.text._Z38paged_attention_ll4mi_QKV_mfma4_kernelI14__hip_bfloat16S0_LN4vllm18Fp8KVCacheDataTypeE0EhLi16ELi64ELi256ELb1ELi2EEvPKT_PKT0_S8_ifPKiSA_SA_iPKfiiiPfSD_PS3_PT2_iSC_SC_,"axG",@progbits,_Z38paged_attention_ll4mi_QKV_mfma4_kernelI14__hip_bfloat16S0_LN4vllm18Fp8KVCacheDataTypeE0EhLi16ELi64ELi256ELb1ELi2EEvPKT_PKT0_S8_ifPKiSA_SA_iPKfiiiPfSD_PS3_PT2_iSC_SC_,comdat
	.protected	_Z38paged_attention_ll4mi_QKV_mfma4_kernelI14__hip_bfloat16S0_LN4vllm18Fp8KVCacheDataTypeE0EhLi16ELi64ELi256ELb1ELi2EEvPKT_PKT0_S8_ifPKiSA_SA_iPKfiiiPfSD_PS3_PT2_iSC_SC_ ; -- Begin function _Z38paged_attention_ll4mi_QKV_mfma4_kernelI14__hip_bfloat16S0_LN4vllm18Fp8KVCacheDataTypeE0EhLi16ELi64ELi256ELb1ELi2EEvPKT_PKT0_S8_ifPKiSA_SA_iPKfiiiPfSD_PS3_PT2_iSC_SC_
	.globl	_Z38paged_attention_ll4mi_QKV_mfma4_kernelI14__hip_bfloat16S0_LN4vllm18Fp8KVCacheDataTypeE0EhLi16ELi64ELi256ELb1ELi2EEvPKT_PKT0_S8_ifPKiSA_SA_iPKfiiiPfSD_PS3_PT2_iSC_SC_
	.p2align	8
	.type	_Z38paged_attention_ll4mi_QKV_mfma4_kernelI14__hip_bfloat16S0_LN4vllm18Fp8KVCacheDataTypeE0EhLi16ELi64ELi256ELb1ELi2EEvPKT_PKT0_S8_ifPKiSA_SA_iPKfiiiPfSD_PS3_PT2_iSC_SC_,@function
_Z38paged_attention_ll4mi_QKV_mfma4_kernelI14__hip_bfloat16S0_LN4vllm18Fp8KVCacheDataTypeE0EhLi16ELi64ELi256ELb1ELi2EEvPKT_PKT0_S8_ifPKiSA_SA_iPKfiiiPfSD_PS3_PT2_iSC_SC_: ; @_Z38paged_attention_ll4mi_QKV_mfma4_kernelI14__hip_bfloat16S0_LN4vllm18Fp8KVCacheDataTypeE0EhLi16ELi64ELi256ELb1ELi2EEvPKT_PKT0_S8_ifPKiSA_SA_iPKfiiiPfSD_PS3_PT2_iSC_SC_
; %bb.0:
	s_get_pc_i64 s[2:3]
	s_add_nc_u64 s[2:3], s[2:3], __PRETTY_FUNCTION__._Z38paged_attention_ll4mi_QKV_mfma4_kernelI14__hip_bfloat16S0_LN4vllm18Fp8KVCacheDataTypeE0EhLi16ELi64ELi256ELb1ELi2EEvPKT_PKT0_S8_ifPKiSA_SA_iPKfiiiPfSD_PS3_PT2_iSC_SC_@rel64+4
	s_delay_alu instid0(SALU_CYCLE_1)
	v_dual_mov_b32 v0, 0xbce :: v_dual_mov_b32 v1, s2
	v_mov_b32_e32 v2, s3
	s_add_nc_u64 s[8:9], s[0:1], 0x90
	s_get_pc_i64 s[0:1]
	s_add_nc_u64 s[0:1], s[0:1], __assert_fail@rel64+4
	s_mov_b32 s32, 0
	s_swap_pc_i64 s[30:31], s[0:1]
	.section	.rodata,"a",@progbits
	.p2align	6, 0x0
	.amdhsa_kernel _Z38paged_attention_ll4mi_QKV_mfma4_kernelI14__hip_bfloat16S0_LN4vllm18Fp8KVCacheDataTypeE0EhLi16ELi64ELi256ELb1ELi2EEvPKT_PKT0_S8_ifPKiSA_SA_iPKfiiiPfSD_PS3_PT2_iSC_SC_
		.amdhsa_group_segment_fixed_size 0
		.amdhsa_private_segment_fixed_size 64
		.amdhsa_kernarg_size 400
		.amdhsa_user_sgpr_count 2
		.amdhsa_user_sgpr_dispatch_ptr 0
		.amdhsa_user_sgpr_queue_ptr 0
		.amdhsa_user_sgpr_kernarg_segment_ptr 1
		.amdhsa_user_sgpr_dispatch_id 0
		.amdhsa_user_sgpr_kernarg_preload_length 0
		.amdhsa_user_sgpr_kernarg_preload_offset 0
		.amdhsa_user_sgpr_private_segment_size 0
		.amdhsa_wavefront_size32 1
		.amdhsa_uses_dynamic_stack 0
		.amdhsa_enable_private_segment 1
		.amdhsa_system_sgpr_workgroup_id_x 1
		.amdhsa_system_sgpr_workgroup_id_y 0
		.amdhsa_system_sgpr_workgroup_id_z 0
		.amdhsa_system_sgpr_workgroup_info 0
		.amdhsa_system_vgpr_workitem_id 0
		.amdhsa_next_free_vgpr 51
		.amdhsa_next_free_sgpr 34
		.amdhsa_named_barrier_count 0
		.amdhsa_reserve_vcc 1
		.amdhsa_float_round_mode_32 0
		.amdhsa_float_round_mode_16_64 0
		.amdhsa_float_denorm_mode_32 3
		.amdhsa_float_denorm_mode_16_64 3
		.amdhsa_fp16_overflow 0
		.amdhsa_memory_ordered 1
		.amdhsa_forward_progress 1
		.amdhsa_inst_pref_size 1
		.amdhsa_round_robin_scheduling 0
		.amdhsa_exception_fp_ieee_invalid_op 0
		.amdhsa_exception_fp_denorm_src 0
		.amdhsa_exception_fp_ieee_div_zero 0
		.amdhsa_exception_fp_ieee_overflow 0
		.amdhsa_exception_fp_ieee_underflow 0
		.amdhsa_exception_fp_ieee_inexact 0
		.amdhsa_exception_int_div_zero 0
	.end_amdhsa_kernel
	.section	.text._Z38paged_attention_ll4mi_QKV_mfma4_kernelI14__hip_bfloat16S0_LN4vllm18Fp8KVCacheDataTypeE0EhLi16ELi64ELi256ELb1ELi2EEvPKT_PKT0_S8_ifPKiSA_SA_iPKfiiiPfSD_PS3_PT2_iSC_SC_,"axG",@progbits,_Z38paged_attention_ll4mi_QKV_mfma4_kernelI14__hip_bfloat16S0_LN4vllm18Fp8KVCacheDataTypeE0EhLi16ELi64ELi256ELb1ELi2EEvPKT_PKT0_S8_ifPKiSA_SA_iPKfiiiPfSD_PS3_PT2_iSC_SC_,comdat
.Lfunc_end387:
	.size	_Z38paged_attention_ll4mi_QKV_mfma4_kernelI14__hip_bfloat16S0_LN4vllm18Fp8KVCacheDataTypeE0EhLi16ELi64ELi256ELb1ELi2EEvPKT_PKT0_S8_ifPKiSA_SA_iPKfiiiPfSD_PS3_PT2_iSC_SC_, .Lfunc_end387-_Z38paged_attention_ll4mi_QKV_mfma4_kernelI14__hip_bfloat16S0_LN4vllm18Fp8KVCacheDataTypeE0EhLi16ELi64ELi256ELb1ELi2EEvPKT_PKT0_S8_ifPKiSA_SA_iPKfiiiPfSD_PS3_PT2_iSC_SC_
                                        ; -- End function
	.set _Z38paged_attention_ll4mi_QKV_mfma4_kernelI14__hip_bfloat16S0_LN4vllm18Fp8KVCacheDataTypeE0EhLi16ELi64ELi256ELb1ELi2EEvPKT_PKT0_S8_ifPKiSA_SA_iPKfiiiPfSD_PS3_PT2_iSC_SC_.num_vgpr, max(3, .L__assert_fail.num_vgpr)
	.set _Z38paged_attention_ll4mi_QKV_mfma4_kernelI14__hip_bfloat16S0_LN4vllm18Fp8KVCacheDataTypeE0EhLi16ELi64ELi256ELb1ELi2EEvPKT_PKT0_S8_ifPKiSA_SA_iPKfiiiPfSD_PS3_PT2_iSC_SC_.num_agpr, max(0, .L__assert_fail.num_agpr)
	.set _Z38paged_attention_ll4mi_QKV_mfma4_kernelI14__hip_bfloat16S0_LN4vllm18Fp8KVCacheDataTypeE0EhLi16ELi64ELi256ELb1ELi2EEvPKT_PKT0_S8_ifPKiSA_SA_iPKfiiiPfSD_PS3_PT2_iSC_SC_.numbered_sgpr, max(33, .L__assert_fail.numbered_sgpr)
	.set _Z38paged_attention_ll4mi_QKV_mfma4_kernelI14__hip_bfloat16S0_LN4vllm18Fp8KVCacheDataTypeE0EhLi16ELi64ELi256ELb1ELi2EEvPKT_PKT0_S8_ifPKiSA_SA_iPKfiiiPfSD_PS3_PT2_iSC_SC_.num_named_barrier, max(0, .L__assert_fail.num_named_barrier)
	.set _Z38paged_attention_ll4mi_QKV_mfma4_kernelI14__hip_bfloat16S0_LN4vllm18Fp8KVCacheDataTypeE0EhLi16ELi64ELi256ELb1ELi2EEvPKT_PKT0_S8_ifPKiSA_SA_iPKfiiiPfSD_PS3_PT2_iSC_SC_.private_seg_size, 0+max(.L__assert_fail.private_seg_size)
	.set _Z38paged_attention_ll4mi_QKV_mfma4_kernelI14__hip_bfloat16S0_LN4vllm18Fp8KVCacheDataTypeE0EhLi16ELi64ELi256ELb1ELi2EEvPKT_PKT0_S8_ifPKiSA_SA_iPKfiiiPfSD_PS3_PT2_iSC_SC_.uses_vcc, or(1, .L__assert_fail.uses_vcc)
	.set _Z38paged_attention_ll4mi_QKV_mfma4_kernelI14__hip_bfloat16S0_LN4vllm18Fp8KVCacheDataTypeE0EhLi16ELi64ELi256ELb1ELi2EEvPKT_PKT0_S8_ifPKiSA_SA_iPKfiiiPfSD_PS3_PT2_iSC_SC_.uses_flat_scratch, or(0, .L__assert_fail.uses_flat_scratch)
	.set _Z38paged_attention_ll4mi_QKV_mfma4_kernelI14__hip_bfloat16S0_LN4vllm18Fp8KVCacheDataTypeE0EhLi16ELi64ELi256ELb1ELi2EEvPKT_PKT0_S8_ifPKiSA_SA_iPKfiiiPfSD_PS3_PT2_iSC_SC_.has_dyn_sized_stack, or(0, .L__assert_fail.has_dyn_sized_stack)
	.set _Z38paged_attention_ll4mi_QKV_mfma4_kernelI14__hip_bfloat16S0_LN4vllm18Fp8KVCacheDataTypeE0EhLi16ELi64ELi256ELb1ELi2EEvPKT_PKT0_S8_ifPKiSA_SA_iPKfiiiPfSD_PS3_PT2_iSC_SC_.has_recursion, or(0, .L__assert_fail.has_recursion)
	.set _Z38paged_attention_ll4mi_QKV_mfma4_kernelI14__hip_bfloat16S0_LN4vllm18Fp8KVCacheDataTypeE0EhLi16ELi64ELi256ELb1ELi2EEvPKT_PKT0_S8_ifPKiSA_SA_iPKfiiiPfSD_PS3_PT2_iSC_SC_.has_indirect_call, or(0, .L__assert_fail.has_indirect_call)
	.section	.AMDGPU.csdata,"",@progbits
; Kernel info:
; codeLenInByte = 68
; TotalNumSgprs: 36
; NumVgprs: 51
; ScratchSize: 64
; MemoryBound: 0
; FloatMode: 240
; IeeeMode: 1
; LDSByteSize: 0 bytes/workgroup (compile time only)
; SGPRBlocks: 0
; VGPRBlocks: 3
; NumSGPRsForWavesPerEU: 36
; NumVGPRsForWavesPerEU: 51
; NamedBarCnt: 0
; Occupancy: 16
; WaveLimiterHint : 1
; COMPUTE_PGM_RSRC2:SCRATCH_EN: 1
; COMPUTE_PGM_RSRC2:USER_SGPR: 2
; COMPUTE_PGM_RSRC2:TRAP_HANDLER: 0
; COMPUTE_PGM_RSRC2:TGID_X_EN: 1
; COMPUTE_PGM_RSRC2:TGID_Y_EN: 0
; COMPUTE_PGM_RSRC2:TGID_Z_EN: 0
; COMPUTE_PGM_RSRC2:TIDIG_COMP_CNT: 0
	.section	.text._Z38paged_attention_ll4mi_QKV_mfma4_kernelI14__hip_bfloat16S0_LN4vllm18Fp8KVCacheDataTypeE0EhLi16ELi64ELi256ELb1ELi3EEvPKT_PKT0_S8_ifPKiSA_SA_iPKfiiiPfSD_PS3_PT2_iSC_SC_,"axG",@progbits,_Z38paged_attention_ll4mi_QKV_mfma4_kernelI14__hip_bfloat16S0_LN4vllm18Fp8KVCacheDataTypeE0EhLi16ELi64ELi256ELb1ELi3EEvPKT_PKT0_S8_ifPKiSA_SA_iPKfiiiPfSD_PS3_PT2_iSC_SC_,comdat
	.protected	_Z38paged_attention_ll4mi_QKV_mfma4_kernelI14__hip_bfloat16S0_LN4vllm18Fp8KVCacheDataTypeE0EhLi16ELi64ELi256ELb1ELi3EEvPKT_PKT0_S8_ifPKiSA_SA_iPKfiiiPfSD_PS3_PT2_iSC_SC_ ; -- Begin function _Z38paged_attention_ll4mi_QKV_mfma4_kernelI14__hip_bfloat16S0_LN4vllm18Fp8KVCacheDataTypeE0EhLi16ELi64ELi256ELb1ELi3EEvPKT_PKT0_S8_ifPKiSA_SA_iPKfiiiPfSD_PS3_PT2_iSC_SC_
	.globl	_Z38paged_attention_ll4mi_QKV_mfma4_kernelI14__hip_bfloat16S0_LN4vllm18Fp8KVCacheDataTypeE0EhLi16ELi64ELi256ELb1ELi3EEvPKT_PKT0_S8_ifPKiSA_SA_iPKfiiiPfSD_PS3_PT2_iSC_SC_
	.p2align	8
	.type	_Z38paged_attention_ll4mi_QKV_mfma4_kernelI14__hip_bfloat16S0_LN4vllm18Fp8KVCacheDataTypeE0EhLi16ELi64ELi256ELb1ELi3EEvPKT_PKT0_S8_ifPKiSA_SA_iPKfiiiPfSD_PS3_PT2_iSC_SC_,@function
_Z38paged_attention_ll4mi_QKV_mfma4_kernelI14__hip_bfloat16S0_LN4vllm18Fp8KVCacheDataTypeE0EhLi16ELi64ELi256ELb1ELi3EEvPKT_PKT0_S8_ifPKiSA_SA_iPKfiiiPfSD_PS3_PT2_iSC_SC_: ; @_Z38paged_attention_ll4mi_QKV_mfma4_kernelI14__hip_bfloat16S0_LN4vllm18Fp8KVCacheDataTypeE0EhLi16ELi64ELi256ELb1ELi3EEvPKT_PKT0_S8_ifPKiSA_SA_iPKfiiiPfSD_PS3_PT2_iSC_SC_
; %bb.0:
	s_get_pc_i64 s[2:3]
	s_add_nc_u64 s[2:3], s[2:3], __PRETTY_FUNCTION__._Z38paged_attention_ll4mi_QKV_mfma4_kernelI14__hip_bfloat16S0_LN4vllm18Fp8KVCacheDataTypeE0EhLi16ELi64ELi256ELb1ELi3EEvPKT_PKT0_S8_ifPKiSA_SA_iPKfiiiPfSD_PS3_PT2_iSC_SC_@rel64+4
	s_delay_alu instid0(SALU_CYCLE_1)
	v_dual_mov_b32 v0, 0xbce :: v_dual_mov_b32 v1, s2
	v_mov_b32_e32 v2, s3
	s_add_nc_u64 s[8:9], s[0:1], 0x90
	s_get_pc_i64 s[0:1]
	s_add_nc_u64 s[0:1], s[0:1], __assert_fail@rel64+4
	s_mov_b32 s32, 0
	s_swap_pc_i64 s[30:31], s[0:1]
	.section	.rodata,"a",@progbits
	.p2align	6, 0x0
	.amdhsa_kernel _Z38paged_attention_ll4mi_QKV_mfma4_kernelI14__hip_bfloat16S0_LN4vllm18Fp8KVCacheDataTypeE0EhLi16ELi64ELi256ELb1ELi3EEvPKT_PKT0_S8_ifPKiSA_SA_iPKfiiiPfSD_PS3_PT2_iSC_SC_
		.amdhsa_group_segment_fixed_size 0
		.amdhsa_private_segment_fixed_size 64
		.amdhsa_kernarg_size 400
		.amdhsa_user_sgpr_count 2
		.amdhsa_user_sgpr_dispatch_ptr 0
		.amdhsa_user_sgpr_queue_ptr 0
		.amdhsa_user_sgpr_kernarg_segment_ptr 1
		.amdhsa_user_sgpr_dispatch_id 0
		.amdhsa_user_sgpr_kernarg_preload_length 0
		.amdhsa_user_sgpr_kernarg_preload_offset 0
		.amdhsa_user_sgpr_private_segment_size 0
		.amdhsa_wavefront_size32 1
		.amdhsa_uses_dynamic_stack 0
		.amdhsa_enable_private_segment 1
		.amdhsa_system_sgpr_workgroup_id_x 1
		.amdhsa_system_sgpr_workgroup_id_y 0
		.amdhsa_system_sgpr_workgroup_id_z 0
		.amdhsa_system_sgpr_workgroup_info 0
		.amdhsa_system_vgpr_workitem_id 0
		.amdhsa_next_free_vgpr 51
		.amdhsa_next_free_sgpr 34
		.amdhsa_named_barrier_count 0
		.amdhsa_reserve_vcc 1
		.amdhsa_float_round_mode_32 0
		.amdhsa_float_round_mode_16_64 0
		.amdhsa_float_denorm_mode_32 3
		.amdhsa_float_denorm_mode_16_64 3
		.amdhsa_fp16_overflow 0
		.amdhsa_memory_ordered 1
		.amdhsa_forward_progress 1
		.amdhsa_inst_pref_size 1
		.amdhsa_round_robin_scheduling 0
		.amdhsa_exception_fp_ieee_invalid_op 0
		.amdhsa_exception_fp_denorm_src 0
		.amdhsa_exception_fp_ieee_div_zero 0
		.amdhsa_exception_fp_ieee_overflow 0
		.amdhsa_exception_fp_ieee_underflow 0
		.amdhsa_exception_fp_ieee_inexact 0
		.amdhsa_exception_int_div_zero 0
	.end_amdhsa_kernel
	.section	.text._Z38paged_attention_ll4mi_QKV_mfma4_kernelI14__hip_bfloat16S0_LN4vllm18Fp8KVCacheDataTypeE0EhLi16ELi64ELi256ELb1ELi3EEvPKT_PKT0_S8_ifPKiSA_SA_iPKfiiiPfSD_PS3_PT2_iSC_SC_,"axG",@progbits,_Z38paged_attention_ll4mi_QKV_mfma4_kernelI14__hip_bfloat16S0_LN4vllm18Fp8KVCacheDataTypeE0EhLi16ELi64ELi256ELb1ELi3EEvPKT_PKT0_S8_ifPKiSA_SA_iPKfiiiPfSD_PS3_PT2_iSC_SC_,comdat
.Lfunc_end388:
	.size	_Z38paged_attention_ll4mi_QKV_mfma4_kernelI14__hip_bfloat16S0_LN4vllm18Fp8KVCacheDataTypeE0EhLi16ELi64ELi256ELb1ELi3EEvPKT_PKT0_S8_ifPKiSA_SA_iPKfiiiPfSD_PS3_PT2_iSC_SC_, .Lfunc_end388-_Z38paged_attention_ll4mi_QKV_mfma4_kernelI14__hip_bfloat16S0_LN4vllm18Fp8KVCacheDataTypeE0EhLi16ELi64ELi256ELb1ELi3EEvPKT_PKT0_S8_ifPKiSA_SA_iPKfiiiPfSD_PS3_PT2_iSC_SC_
                                        ; -- End function
	.set _Z38paged_attention_ll4mi_QKV_mfma4_kernelI14__hip_bfloat16S0_LN4vllm18Fp8KVCacheDataTypeE0EhLi16ELi64ELi256ELb1ELi3EEvPKT_PKT0_S8_ifPKiSA_SA_iPKfiiiPfSD_PS3_PT2_iSC_SC_.num_vgpr, max(3, .L__assert_fail.num_vgpr)
	.set _Z38paged_attention_ll4mi_QKV_mfma4_kernelI14__hip_bfloat16S0_LN4vllm18Fp8KVCacheDataTypeE0EhLi16ELi64ELi256ELb1ELi3EEvPKT_PKT0_S8_ifPKiSA_SA_iPKfiiiPfSD_PS3_PT2_iSC_SC_.num_agpr, max(0, .L__assert_fail.num_agpr)
	.set _Z38paged_attention_ll4mi_QKV_mfma4_kernelI14__hip_bfloat16S0_LN4vllm18Fp8KVCacheDataTypeE0EhLi16ELi64ELi256ELb1ELi3EEvPKT_PKT0_S8_ifPKiSA_SA_iPKfiiiPfSD_PS3_PT2_iSC_SC_.numbered_sgpr, max(33, .L__assert_fail.numbered_sgpr)
	.set _Z38paged_attention_ll4mi_QKV_mfma4_kernelI14__hip_bfloat16S0_LN4vllm18Fp8KVCacheDataTypeE0EhLi16ELi64ELi256ELb1ELi3EEvPKT_PKT0_S8_ifPKiSA_SA_iPKfiiiPfSD_PS3_PT2_iSC_SC_.num_named_barrier, max(0, .L__assert_fail.num_named_barrier)
	.set _Z38paged_attention_ll4mi_QKV_mfma4_kernelI14__hip_bfloat16S0_LN4vllm18Fp8KVCacheDataTypeE0EhLi16ELi64ELi256ELb1ELi3EEvPKT_PKT0_S8_ifPKiSA_SA_iPKfiiiPfSD_PS3_PT2_iSC_SC_.private_seg_size, 0+max(.L__assert_fail.private_seg_size)
	.set _Z38paged_attention_ll4mi_QKV_mfma4_kernelI14__hip_bfloat16S0_LN4vllm18Fp8KVCacheDataTypeE0EhLi16ELi64ELi256ELb1ELi3EEvPKT_PKT0_S8_ifPKiSA_SA_iPKfiiiPfSD_PS3_PT2_iSC_SC_.uses_vcc, or(1, .L__assert_fail.uses_vcc)
	.set _Z38paged_attention_ll4mi_QKV_mfma4_kernelI14__hip_bfloat16S0_LN4vllm18Fp8KVCacheDataTypeE0EhLi16ELi64ELi256ELb1ELi3EEvPKT_PKT0_S8_ifPKiSA_SA_iPKfiiiPfSD_PS3_PT2_iSC_SC_.uses_flat_scratch, or(0, .L__assert_fail.uses_flat_scratch)
	.set _Z38paged_attention_ll4mi_QKV_mfma4_kernelI14__hip_bfloat16S0_LN4vllm18Fp8KVCacheDataTypeE0EhLi16ELi64ELi256ELb1ELi3EEvPKT_PKT0_S8_ifPKiSA_SA_iPKfiiiPfSD_PS3_PT2_iSC_SC_.has_dyn_sized_stack, or(0, .L__assert_fail.has_dyn_sized_stack)
	.set _Z38paged_attention_ll4mi_QKV_mfma4_kernelI14__hip_bfloat16S0_LN4vllm18Fp8KVCacheDataTypeE0EhLi16ELi64ELi256ELb1ELi3EEvPKT_PKT0_S8_ifPKiSA_SA_iPKfiiiPfSD_PS3_PT2_iSC_SC_.has_recursion, or(0, .L__assert_fail.has_recursion)
	.set _Z38paged_attention_ll4mi_QKV_mfma4_kernelI14__hip_bfloat16S0_LN4vllm18Fp8KVCacheDataTypeE0EhLi16ELi64ELi256ELb1ELi3EEvPKT_PKT0_S8_ifPKiSA_SA_iPKfiiiPfSD_PS3_PT2_iSC_SC_.has_indirect_call, or(0, .L__assert_fail.has_indirect_call)
	.section	.AMDGPU.csdata,"",@progbits
; Kernel info:
; codeLenInByte = 68
; TotalNumSgprs: 36
; NumVgprs: 51
; ScratchSize: 64
; MemoryBound: 0
; FloatMode: 240
; IeeeMode: 1
; LDSByteSize: 0 bytes/workgroup (compile time only)
; SGPRBlocks: 0
; VGPRBlocks: 3
; NumSGPRsForWavesPerEU: 36
; NumVGPRsForWavesPerEU: 51
; NamedBarCnt: 0
; Occupancy: 16
; WaveLimiterHint : 1
; COMPUTE_PGM_RSRC2:SCRATCH_EN: 1
; COMPUTE_PGM_RSRC2:USER_SGPR: 2
; COMPUTE_PGM_RSRC2:TRAP_HANDLER: 0
; COMPUTE_PGM_RSRC2:TGID_X_EN: 1
; COMPUTE_PGM_RSRC2:TGID_Y_EN: 0
; COMPUTE_PGM_RSRC2:TGID_Z_EN: 0
; COMPUTE_PGM_RSRC2:TIDIG_COMP_CNT: 0
	.section	.text._Z38paged_attention_ll4mi_QKV_mfma4_kernelI14__hip_bfloat16S0_LN4vllm18Fp8KVCacheDataTypeE0EhLi16ELi64ELi256ELb1ELi4EEvPKT_PKT0_S8_ifPKiSA_SA_iPKfiiiPfSD_PS3_PT2_iSC_SC_,"axG",@progbits,_Z38paged_attention_ll4mi_QKV_mfma4_kernelI14__hip_bfloat16S0_LN4vllm18Fp8KVCacheDataTypeE0EhLi16ELi64ELi256ELb1ELi4EEvPKT_PKT0_S8_ifPKiSA_SA_iPKfiiiPfSD_PS3_PT2_iSC_SC_,comdat
	.protected	_Z38paged_attention_ll4mi_QKV_mfma4_kernelI14__hip_bfloat16S0_LN4vllm18Fp8KVCacheDataTypeE0EhLi16ELi64ELi256ELb1ELi4EEvPKT_PKT0_S8_ifPKiSA_SA_iPKfiiiPfSD_PS3_PT2_iSC_SC_ ; -- Begin function _Z38paged_attention_ll4mi_QKV_mfma4_kernelI14__hip_bfloat16S0_LN4vllm18Fp8KVCacheDataTypeE0EhLi16ELi64ELi256ELb1ELi4EEvPKT_PKT0_S8_ifPKiSA_SA_iPKfiiiPfSD_PS3_PT2_iSC_SC_
	.globl	_Z38paged_attention_ll4mi_QKV_mfma4_kernelI14__hip_bfloat16S0_LN4vllm18Fp8KVCacheDataTypeE0EhLi16ELi64ELi256ELb1ELi4EEvPKT_PKT0_S8_ifPKiSA_SA_iPKfiiiPfSD_PS3_PT2_iSC_SC_
	.p2align	8
	.type	_Z38paged_attention_ll4mi_QKV_mfma4_kernelI14__hip_bfloat16S0_LN4vllm18Fp8KVCacheDataTypeE0EhLi16ELi64ELi256ELb1ELi4EEvPKT_PKT0_S8_ifPKiSA_SA_iPKfiiiPfSD_PS3_PT2_iSC_SC_,@function
_Z38paged_attention_ll4mi_QKV_mfma4_kernelI14__hip_bfloat16S0_LN4vllm18Fp8KVCacheDataTypeE0EhLi16ELi64ELi256ELb1ELi4EEvPKT_PKT0_S8_ifPKiSA_SA_iPKfiiiPfSD_PS3_PT2_iSC_SC_: ; @_Z38paged_attention_ll4mi_QKV_mfma4_kernelI14__hip_bfloat16S0_LN4vllm18Fp8KVCacheDataTypeE0EhLi16ELi64ELi256ELb1ELi4EEvPKT_PKT0_S8_ifPKiSA_SA_iPKfiiiPfSD_PS3_PT2_iSC_SC_
; %bb.0:
	s_get_pc_i64 s[2:3]
	s_add_nc_u64 s[2:3], s[2:3], __PRETTY_FUNCTION__._Z38paged_attention_ll4mi_QKV_mfma4_kernelI14__hip_bfloat16S0_LN4vllm18Fp8KVCacheDataTypeE0EhLi16ELi64ELi256ELb1ELi4EEvPKT_PKT0_S8_ifPKiSA_SA_iPKfiiiPfSD_PS3_PT2_iSC_SC_@rel64+4
	s_delay_alu instid0(SALU_CYCLE_1)
	v_dual_mov_b32 v0, 0xbce :: v_dual_mov_b32 v1, s2
	v_mov_b32_e32 v2, s3
	s_add_nc_u64 s[8:9], s[0:1], 0x90
	s_get_pc_i64 s[0:1]
	s_add_nc_u64 s[0:1], s[0:1], __assert_fail@rel64+4
	s_mov_b32 s32, 0
	s_swap_pc_i64 s[30:31], s[0:1]
	.section	.rodata,"a",@progbits
	.p2align	6, 0x0
	.amdhsa_kernel _Z38paged_attention_ll4mi_QKV_mfma4_kernelI14__hip_bfloat16S0_LN4vllm18Fp8KVCacheDataTypeE0EhLi16ELi64ELi256ELb1ELi4EEvPKT_PKT0_S8_ifPKiSA_SA_iPKfiiiPfSD_PS3_PT2_iSC_SC_
		.amdhsa_group_segment_fixed_size 0
		.amdhsa_private_segment_fixed_size 64
		.amdhsa_kernarg_size 400
		.amdhsa_user_sgpr_count 2
		.amdhsa_user_sgpr_dispatch_ptr 0
		.amdhsa_user_sgpr_queue_ptr 0
		.amdhsa_user_sgpr_kernarg_segment_ptr 1
		.amdhsa_user_sgpr_dispatch_id 0
		.amdhsa_user_sgpr_kernarg_preload_length 0
		.amdhsa_user_sgpr_kernarg_preload_offset 0
		.amdhsa_user_sgpr_private_segment_size 0
		.amdhsa_wavefront_size32 1
		.amdhsa_uses_dynamic_stack 0
		.amdhsa_enable_private_segment 1
		.amdhsa_system_sgpr_workgroup_id_x 1
		.amdhsa_system_sgpr_workgroup_id_y 0
		.amdhsa_system_sgpr_workgroup_id_z 0
		.amdhsa_system_sgpr_workgroup_info 0
		.amdhsa_system_vgpr_workitem_id 0
		.amdhsa_next_free_vgpr 51
		.amdhsa_next_free_sgpr 34
		.amdhsa_named_barrier_count 0
		.amdhsa_reserve_vcc 1
		.amdhsa_float_round_mode_32 0
		.amdhsa_float_round_mode_16_64 0
		.amdhsa_float_denorm_mode_32 3
		.amdhsa_float_denorm_mode_16_64 3
		.amdhsa_fp16_overflow 0
		.amdhsa_memory_ordered 1
		.amdhsa_forward_progress 1
		.amdhsa_inst_pref_size 1
		.amdhsa_round_robin_scheduling 0
		.amdhsa_exception_fp_ieee_invalid_op 0
		.amdhsa_exception_fp_denorm_src 0
		.amdhsa_exception_fp_ieee_div_zero 0
		.amdhsa_exception_fp_ieee_overflow 0
		.amdhsa_exception_fp_ieee_underflow 0
		.amdhsa_exception_fp_ieee_inexact 0
		.amdhsa_exception_int_div_zero 0
	.end_amdhsa_kernel
	.section	.text._Z38paged_attention_ll4mi_QKV_mfma4_kernelI14__hip_bfloat16S0_LN4vllm18Fp8KVCacheDataTypeE0EhLi16ELi64ELi256ELb1ELi4EEvPKT_PKT0_S8_ifPKiSA_SA_iPKfiiiPfSD_PS3_PT2_iSC_SC_,"axG",@progbits,_Z38paged_attention_ll4mi_QKV_mfma4_kernelI14__hip_bfloat16S0_LN4vllm18Fp8KVCacheDataTypeE0EhLi16ELi64ELi256ELb1ELi4EEvPKT_PKT0_S8_ifPKiSA_SA_iPKfiiiPfSD_PS3_PT2_iSC_SC_,comdat
.Lfunc_end389:
	.size	_Z38paged_attention_ll4mi_QKV_mfma4_kernelI14__hip_bfloat16S0_LN4vllm18Fp8KVCacheDataTypeE0EhLi16ELi64ELi256ELb1ELi4EEvPKT_PKT0_S8_ifPKiSA_SA_iPKfiiiPfSD_PS3_PT2_iSC_SC_, .Lfunc_end389-_Z38paged_attention_ll4mi_QKV_mfma4_kernelI14__hip_bfloat16S0_LN4vllm18Fp8KVCacheDataTypeE0EhLi16ELi64ELi256ELb1ELi4EEvPKT_PKT0_S8_ifPKiSA_SA_iPKfiiiPfSD_PS3_PT2_iSC_SC_
                                        ; -- End function
	.set _Z38paged_attention_ll4mi_QKV_mfma4_kernelI14__hip_bfloat16S0_LN4vllm18Fp8KVCacheDataTypeE0EhLi16ELi64ELi256ELb1ELi4EEvPKT_PKT0_S8_ifPKiSA_SA_iPKfiiiPfSD_PS3_PT2_iSC_SC_.num_vgpr, max(3, .L__assert_fail.num_vgpr)
	.set _Z38paged_attention_ll4mi_QKV_mfma4_kernelI14__hip_bfloat16S0_LN4vllm18Fp8KVCacheDataTypeE0EhLi16ELi64ELi256ELb1ELi4EEvPKT_PKT0_S8_ifPKiSA_SA_iPKfiiiPfSD_PS3_PT2_iSC_SC_.num_agpr, max(0, .L__assert_fail.num_agpr)
	.set _Z38paged_attention_ll4mi_QKV_mfma4_kernelI14__hip_bfloat16S0_LN4vllm18Fp8KVCacheDataTypeE0EhLi16ELi64ELi256ELb1ELi4EEvPKT_PKT0_S8_ifPKiSA_SA_iPKfiiiPfSD_PS3_PT2_iSC_SC_.numbered_sgpr, max(33, .L__assert_fail.numbered_sgpr)
	.set _Z38paged_attention_ll4mi_QKV_mfma4_kernelI14__hip_bfloat16S0_LN4vllm18Fp8KVCacheDataTypeE0EhLi16ELi64ELi256ELb1ELi4EEvPKT_PKT0_S8_ifPKiSA_SA_iPKfiiiPfSD_PS3_PT2_iSC_SC_.num_named_barrier, max(0, .L__assert_fail.num_named_barrier)
	.set _Z38paged_attention_ll4mi_QKV_mfma4_kernelI14__hip_bfloat16S0_LN4vllm18Fp8KVCacheDataTypeE0EhLi16ELi64ELi256ELb1ELi4EEvPKT_PKT0_S8_ifPKiSA_SA_iPKfiiiPfSD_PS3_PT2_iSC_SC_.private_seg_size, 0+max(.L__assert_fail.private_seg_size)
	.set _Z38paged_attention_ll4mi_QKV_mfma4_kernelI14__hip_bfloat16S0_LN4vllm18Fp8KVCacheDataTypeE0EhLi16ELi64ELi256ELb1ELi4EEvPKT_PKT0_S8_ifPKiSA_SA_iPKfiiiPfSD_PS3_PT2_iSC_SC_.uses_vcc, or(1, .L__assert_fail.uses_vcc)
	.set _Z38paged_attention_ll4mi_QKV_mfma4_kernelI14__hip_bfloat16S0_LN4vllm18Fp8KVCacheDataTypeE0EhLi16ELi64ELi256ELb1ELi4EEvPKT_PKT0_S8_ifPKiSA_SA_iPKfiiiPfSD_PS3_PT2_iSC_SC_.uses_flat_scratch, or(0, .L__assert_fail.uses_flat_scratch)
	.set _Z38paged_attention_ll4mi_QKV_mfma4_kernelI14__hip_bfloat16S0_LN4vllm18Fp8KVCacheDataTypeE0EhLi16ELi64ELi256ELb1ELi4EEvPKT_PKT0_S8_ifPKiSA_SA_iPKfiiiPfSD_PS3_PT2_iSC_SC_.has_dyn_sized_stack, or(0, .L__assert_fail.has_dyn_sized_stack)
	.set _Z38paged_attention_ll4mi_QKV_mfma4_kernelI14__hip_bfloat16S0_LN4vllm18Fp8KVCacheDataTypeE0EhLi16ELi64ELi256ELb1ELi4EEvPKT_PKT0_S8_ifPKiSA_SA_iPKfiiiPfSD_PS3_PT2_iSC_SC_.has_recursion, or(0, .L__assert_fail.has_recursion)
	.set _Z38paged_attention_ll4mi_QKV_mfma4_kernelI14__hip_bfloat16S0_LN4vllm18Fp8KVCacheDataTypeE0EhLi16ELi64ELi256ELb1ELi4EEvPKT_PKT0_S8_ifPKiSA_SA_iPKfiiiPfSD_PS3_PT2_iSC_SC_.has_indirect_call, or(0, .L__assert_fail.has_indirect_call)
	.section	.AMDGPU.csdata,"",@progbits
; Kernel info:
; codeLenInByte = 68
; TotalNumSgprs: 36
; NumVgprs: 51
; ScratchSize: 64
; MemoryBound: 0
; FloatMode: 240
; IeeeMode: 1
; LDSByteSize: 0 bytes/workgroup (compile time only)
; SGPRBlocks: 0
; VGPRBlocks: 3
; NumSGPRsForWavesPerEU: 36
; NumVGPRsForWavesPerEU: 51
; NamedBarCnt: 0
; Occupancy: 16
; WaveLimiterHint : 1
; COMPUTE_PGM_RSRC2:SCRATCH_EN: 1
; COMPUTE_PGM_RSRC2:USER_SGPR: 2
; COMPUTE_PGM_RSRC2:TRAP_HANDLER: 0
; COMPUTE_PGM_RSRC2:TGID_X_EN: 1
; COMPUTE_PGM_RSRC2:TGID_Y_EN: 0
; COMPUTE_PGM_RSRC2:TGID_Z_EN: 0
; COMPUTE_PGM_RSRC2:TIDIG_COMP_CNT: 0
	.section	.text._Z39paged_attention_ll4mi_QKV_mfma16_kernelI14__hip_bfloat16S0_LN4vllm18Fp8KVCacheDataTypeE0EhLi16ELi64ELi256ELb1ELi5EEvPKT_PKT0_S8_ifPKiSA_SA_iPKfiiiPfSD_PS3_PT2_iSC_SC_,"axG",@progbits,_Z39paged_attention_ll4mi_QKV_mfma16_kernelI14__hip_bfloat16S0_LN4vllm18Fp8KVCacheDataTypeE0EhLi16ELi64ELi256ELb1ELi5EEvPKT_PKT0_S8_ifPKiSA_SA_iPKfiiiPfSD_PS3_PT2_iSC_SC_,comdat
	.protected	_Z39paged_attention_ll4mi_QKV_mfma16_kernelI14__hip_bfloat16S0_LN4vllm18Fp8KVCacheDataTypeE0EhLi16ELi64ELi256ELb1ELi5EEvPKT_PKT0_S8_ifPKiSA_SA_iPKfiiiPfSD_PS3_PT2_iSC_SC_ ; -- Begin function _Z39paged_attention_ll4mi_QKV_mfma16_kernelI14__hip_bfloat16S0_LN4vllm18Fp8KVCacheDataTypeE0EhLi16ELi64ELi256ELb1ELi5EEvPKT_PKT0_S8_ifPKiSA_SA_iPKfiiiPfSD_PS3_PT2_iSC_SC_
	.globl	_Z39paged_attention_ll4mi_QKV_mfma16_kernelI14__hip_bfloat16S0_LN4vllm18Fp8KVCacheDataTypeE0EhLi16ELi64ELi256ELb1ELi5EEvPKT_PKT0_S8_ifPKiSA_SA_iPKfiiiPfSD_PS3_PT2_iSC_SC_
	.p2align	8
	.type	_Z39paged_attention_ll4mi_QKV_mfma16_kernelI14__hip_bfloat16S0_LN4vllm18Fp8KVCacheDataTypeE0EhLi16ELi64ELi256ELb1ELi5EEvPKT_PKT0_S8_ifPKiSA_SA_iPKfiiiPfSD_PS3_PT2_iSC_SC_,@function
_Z39paged_attention_ll4mi_QKV_mfma16_kernelI14__hip_bfloat16S0_LN4vllm18Fp8KVCacheDataTypeE0EhLi16ELi64ELi256ELb1ELi5EEvPKT_PKT0_S8_ifPKiSA_SA_iPKfiiiPfSD_PS3_PT2_iSC_SC_: ; @_Z39paged_attention_ll4mi_QKV_mfma16_kernelI14__hip_bfloat16S0_LN4vllm18Fp8KVCacheDataTypeE0EhLi16ELi64ELi256ELb1ELi5EEvPKT_PKT0_S8_ifPKiSA_SA_iPKfiiiPfSD_PS3_PT2_iSC_SC_
; %bb.0:
	s_get_pc_i64 s[2:3]
	s_add_nc_u64 s[2:3], s[2:3], __PRETTY_FUNCTION__._Z39paged_attention_ll4mi_QKV_mfma16_kernelI14__hip_bfloat16S0_LN4vllm18Fp8KVCacheDataTypeE0EhLi16ELi64ELi256ELb1ELi5EEvPKT_PKT0_S8_ifPKiSA_SA_iPKfiiiPfSD_PS3_PT2_iSC_SC_@rel64+4
	s_delay_alu instid0(SALU_CYCLE_1)
	v_dual_mov_b32 v0, 0xbb3 :: v_dual_mov_b32 v1, s2
	v_mov_b32_e32 v2, s3
	s_add_nc_u64 s[8:9], s[0:1], 0x90
	s_get_pc_i64 s[0:1]
	s_add_nc_u64 s[0:1], s[0:1], __assert_fail@rel64+4
	s_mov_b32 s32, 0
	s_swap_pc_i64 s[30:31], s[0:1]
	.section	.rodata,"a",@progbits
	.p2align	6, 0x0
	.amdhsa_kernel _Z39paged_attention_ll4mi_QKV_mfma16_kernelI14__hip_bfloat16S0_LN4vllm18Fp8KVCacheDataTypeE0EhLi16ELi64ELi256ELb1ELi5EEvPKT_PKT0_S8_ifPKiSA_SA_iPKfiiiPfSD_PS3_PT2_iSC_SC_
		.amdhsa_group_segment_fixed_size 0
		.amdhsa_private_segment_fixed_size 64
		.amdhsa_kernarg_size 400
		.amdhsa_user_sgpr_count 2
		.amdhsa_user_sgpr_dispatch_ptr 0
		.amdhsa_user_sgpr_queue_ptr 0
		.amdhsa_user_sgpr_kernarg_segment_ptr 1
		.amdhsa_user_sgpr_dispatch_id 0
		.amdhsa_user_sgpr_kernarg_preload_length 0
		.amdhsa_user_sgpr_kernarg_preload_offset 0
		.amdhsa_user_sgpr_private_segment_size 0
		.amdhsa_wavefront_size32 1
		.amdhsa_uses_dynamic_stack 0
		.amdhsa_enable_private_segment 1
		.amdhsa_system_sgpr_workgroup_id_x 1
		.amdhsa_system_sgpr_workgroup_id_y 0
		.amdhsa_system_sgpr_workgroup_id_z 0
		.amdhsa_system_sgpr_workgroup_info 0
		.amdhsa_system_vgpr_workitem_id 0
		.amdhsa_next_free_vgpr 51
		.amdhsa_next_free_sgpr 34
		.amdhsa_named_barrier_count 0
		.amdhsa_reserve_vcc 1
		.amdhsa_float_round_mode_32 0
		.amdhsa_float_round_mode_16_64 0
		.amdhsa_float_denorm_mode_32 3
		.amdhsa_float_denorm_mode_16_64 3
		.amdhsa_fp16_overflow 0
		.amdhsa_memory_ordered 1
		.amdhsa_forward_progress 1
		.amdhsa_inst_pref_size 1
		.amdhsa_round_robin_scheduling 0
		.amdhsa_exception_fp_ieee_invalid_op 0
		.amdhsa_exception_fp_denorm_src 0
		.amdhsa_exception_fp_ieee_div_zero 0
		.amdhsa_exception_fp_ieee_overflow 0
		.amdhsa_exception_fp_ieee_underflow 0
		.amdhsa_exception_fp_ieee_inexact 0
		.amdhsa_exception_int_div_zero 0
	.end_amdhsa_kernel
	.section	.text._Z39paged_attention_ll4mi_QKV_mfma16_kernelI14__hip_bfloat16S0_LN4vllm18Fp8KVCacheDataTypeE0EhLi16ELi64ELi256ELb1ELi5EEvPKT_PKT0_S8_ifPKiSA_SA_iPKfiiiPfSD_PS3_PT2_iSC_SC_,"axG",@progbits,_Z39paged_attention_ll4mi_QKV_mfma16_kernelI14__hip_bfloat16S0_LN4vllm18Fp8KVCacheDataTypeE0EhLi16ELi64ELi256ELb1ELi5EEvPKT_PKT0_S8_ifPKiSA_SA_iPKfiiiPfSD_PS3_PT2_iSC_SC_,comdat
.Lfunc_end390:
	.size	_Z39paged_attention_ll4mi_QKV_mfma16_kernelI14__hip_bfloat16S0_LN4vllm18Fp8KVCacheDataTypeE0EhLi16ELi64ELi256ELb1ELi5EEvPKT_PKT0_S8_ifPKiSA_SA_iPKfiiiPfSD_PS3_PT2_iSC_SC_, .Lfunc_end390-_Z39paged_attention_ll4mi_QKV_mfma16_kernelI14__hip_bfloat16S0_LN4vllm18Fp8KVCacheDataTypeE0EhLi16ELi64ELi256ELb1ELi5EEvPKT_PKT0_S8_ifPKiSA_SA_iPKfiiiPfSD_PS3_PT2_iSC_SC_
                                        ; -- End function
	.set _Z39paged_attention_ll4mi_QKV_mfma16_kernelI14__hip_bfloat16S0_LN4vllm18Fp8KVCacheDataTypeE0EhLi16ELi64ELi256ELb1ELi5EEvPKT_PKT0_S8_ifPKiSA_SA_iPKfiiiPfSD_PS3_PT2_iSC_SC_.num_vgpr, max(3, .L__assert_fail.num_vgpr)
	.set _Z39paged_attention_ll4mi_QKV_mfma16_kernelI14__hip_bfloat16S0_LN4vllm18Fp8KVCacheDataTypeE0EhLi16ELi64ELi256ELb1ELi5EEvPKT_PKT0_S8_ifPKiSA_SA_iPKfiiiPfSD_PS3_PT2_iSC_SC_.num_agpr, max(0, .L__assert_fail.num_agpr)
	.set _Z39paged_attention_ll4mi_QKV_mfma16_kernelI14__hip_bfloat16S0_LN4vllm18Fp8KVCacheDataTypeE0EhLi16ELi64ELi256ELb1ELi5EEvPKT_PKT0_S8_ifPKiSA_SA_iPKfiiiPfSD_PS3_PT2_iSC_SC_.numbered_sgpr, max(33, .L__assert_fail.numbered_sgpr)
	.set _Z39paged_attention_ll4mi_QKV_mfma16_kernelI14__hip_bfloat16S0_LN4vllm18Fp8KVCacheDataTypeE0EhLi16ELi64ELi256ELb1ELi5EEvPKT_PKT0_S8_ifPKiSA_SA_iPKfiiiPfSD_PS3_PT2_iSC_SC_.num_named_barrier, max(0, .L__assert_fail.num_named_barrier)
	.set _Z39paged_attention_ll4mi_QKV_mfma16_kernelI14__hip_bfloat16S0_LN4vllm18Fp8KVCacheDataTypeE0EhLi16ELi64ELi256ELb1ELi5EEvPKT_PKT0_S8_ifPKiSA_SA_iPKfiiiPfSD_PS3_PT2_iSC_SC_.private_seg_size, 0+max(.L__assert_fail.private_seg_size)
	.set _Z39paged_attention_ll4mi_QKV_mfma16_kernelI14__hip_bfloat16S0_LN4vllm18Fp8KVCacheDataTypeE0EhLi16ELi64ELi256ELb1ELi5EEvPKT_PKT0_S8_ifPKiSA_SA_iPKfiiiPfSD_PS3_PT2_iSC_SC_.uses_vcc, or(1, .L__assert_fail.uses_vcc)
	.set _Z39paged_attention_ll4mi_QKV_mfma16_kernelI14__hip_bfloat16S0_LN4vllm18Fp8KVCacheDataTypeE0EhLi16ELi64ELi256ELb1ELi5EEvPKT_PKT0_S8_ifPKiSA_SA_iPKfiiiPfSD_PS3_PT2_iSC_SC_.uses_flat_scratch, or(0, .L__assert_fail.uses_flat_scratch)
	.set _Z39paged_attention_ll4mi_QKV_mfma16_kernelI14__hip_bfloat16S0_LN4vllm18Fp8KVCacheDataTypeE0EhLi16ELi64ELi256ELb1ELi5EEvPKT_PKT0_S8_ifPKiSA_SA_iPKfiiiPfSD_PS3_PT2_iSC_SC_.has_dyn_sized_stack, or(0, .L__assert_fail.has_dyn_sized_stack)
	.set _Z39paged_attention_ll4mi_QKV_mfma16_kernelI14__hip_bfloat16S0_LN4vllm18Fp8KVCacheDataTypeE0EhLi16ELi64ELi256ELb1ELi5EEvPKT_PKT0_S8_ifPKiSA_SA_iPKfiiiPfSD_PS3_PT2_iSC_SC_.has_recursion, or(0, .L__assert_fail.has_recursion)
	.set _Z39paged_attention_ll4mi_QKV_mfma16_kernelI14__hip_bfloat16S0_LN4vllm18Fp8KVCacheDataTypeE0EhLi16ELi64ELi256ELb1ELi5EEvPKT_PKT0_S8_ifPKiSA_SA_iPKfiiiPfSD_PS3_PT2_iSC_SC_.has_indirect_call, or(0, .L__assert_fail.has_indirect_call)
	.section	.AMDGPU.csdata,"",@progbits
; Kernel info:
; codeLenInByte = 68
; TotalNumSgprs: 36
; NumVgprs: 51
; ScratchSize: 64
; MemoryBound: 0
; FloatMode: 240
; IeeeMode: 1
; LDSByteSize: 0 bytes/workgroup (compile time only)
; SGPRBlocks: 0
; VGPRBlocks: 3
; NumSGPRsForWavesPerEU: 36
; NumVGPRsForWavesPerEU: 51
; NamedBarCnt: 0
; Occupancy: 16
; WaveLimiterHint : 1
; COMPUTE_PGM_RSRC2:SCRATCH_EN: 1
; COMPUTE_PGM_RSRC2:USER_SGPR: 2
; COMPUTE_PGM_RSRC2:TRAP_HANDLER: 0
; COMPUTE_PGM_RSRC2:TGID_X_EN: 1
; COMPUTE_PGM_RSRC2:TGID_Y_EN: 0
; COMPUTE_PGM_RSRC2:TGID_Z_EN: 0
; COMPUTE_PGM_RSRC2:TIDIG_COMP_CNT: 0
	.section	.text._Z39paged_attention_ll4mi_QKV_mfma16_kernelI14__hip_bfloat16S0_LN4vllm18Fp8KVCacheDataTypeE0EhLi16ELi64ELi256ELb1ELi6EEvPKT_PKT0_S8_ifPKiSA_SA_iPKfiiiPfSD_PS3_PT2_iSC_SC_,"axG",@progbits,_Z39paged_attention_ll4mi_QKV_mfma16_kernelI14__hip_bfloat16S0_LN4vllm18Fp8KVCacheDataTypeE0EhLi16ELi64ELi256ELb1ELi6EEvPKT_PKT0_S8_ifPKiSA_SA_iPKfiiiPfSD_PS3_PT2_iSC_SC_,comdat
	.protected	_Z39paged_attention_ll4mi_QKV_mfma16_kernelI14__hip_bfloat16S0_LN4vllm18Fp8KVCacheDataTypeE0EhLi16ELi64ELi256ELb1ELi6EEvPKT_PKT0_S8_ifPKiSA_SA_iPKfiiiPfSD_PS3_PT2_iSC_SC_ ; -- Begin function _Z39paged_attention_ll4mi_QKV_mfma16_kernelI14__hip_bfloat16S0_LN4vllm18Fp8KVCacheDataTypeE0EhLi16ELi64ELi256ELb1ELi6EEvPKT_PKT0_S8_ifPKiSA_SA_iPKfiiiPfSD_PS3_PT2_iSC_SC_
	.globl	_Z39paged_attention_ll4mi_QKV_mfma16_kernelI14__hip_bfloat16S0_LN4vllm18Fp8KVCacheDataTypeE0EhLi16ELi64ELi256ELb1ELi6EEvPKT_PKT0_S8_ifPKiSA_SA_iPKfiiiPfSD_PS3_PT2_iSC_SC_
	.p2align	8
	.type	_Z39paged_attention_ll4mi_QKV_mfma16_kernelI14__hip_bfloat16S0_LN4vllm18Fp8KVCacheDataTypeE0EhLi16ELi64ELi256ELb1ELi6EEvPKT_PKT0_S8_ifPKiSA_SA_iPKfiiiPfSD_PS3_PT2_iSC_SC_,@function
_Z39paged_attention_ll4mi_QKV_mfma16_kernelI14__hip_bfloat16S0_LN4vllm18Fp8KVCacheDataTypeE0EhLi16ELi64ELi256ELb1ELi6EEvPKT_PKT0_S8_ifPKiSA_SA_iPKfiiiPfSD_PS3_PT2_iSC_SC_: ; @_Z39paged_attention_ll4mi_QKV_mfma16_kernelI14__hip_bfloat16S0_LN4vllm18Fp8KVCacheDataTypeE0EhLi16ELi64ELi256ELb1ELi6EEvPKT_PKT0_S8_ifPKiSA_SA_iPKfiiiPfSD_PS3_PT2_iSC_SC_
; %bb.0:
	s_get_pc_i64 s[2:3]
	s_add_nc_u64 s[2:3], s[2:3], __PRETTY_FUNCTION__._Z39paged_attention_ll4mi_QKV_mfma16_kernelI14__hip_bfloat16S0_LN4vllm18Fp8KVCacheDataTypeE0EhLi16ELi64ELi256ELb1ELi6EEvPKT_PKT0_S8_ifPKiSA_SA_iPKfiiiPfSD_PS3_PT2_iSC_SC_@rel64+4
	s_delay_alu instid0(SALU_CYCLE_1)
	v_dual_mov_b32 v0, 0xbb3 :: v_dual_mov_b32 v1, s2
	v_mov_b32_e32 v2, s3
	s_add_nc_u64 s[8:9], s[0:1], 0x90
	s_get_pc_i64 s[0:1]
	s_add_nc_u64 s[0:1], s[0:1], __assert_fail@rel64+4
	s_mov_b32 s32, 0
	s_swap_pc_i64 s[30:31], s[0:1]
	.section	.rodata,"a",@progbits
	.p2align	6, 0x0
	.amdhsa_kernel _Z39paged_attention_ll4mi_QKV_mfma16_kernelI14__hip_bfloat16S0_LN4vllm18Fp8KVCacheDataTypeE0EhLi16ELi64ELi256ELb1ELi6EEvPKT_PKT0_S8_ifPKiSA_SA_iPKfiiiPfSD_PS3_PT2_iSC_SC_
		.amdhsa_group_segment_fixed_size 0
		.amdhsa_private_segment_fixed_size 64
		.amdhsa_kernarg_size 400
		.amdhsa_user_sgpr_count 2
		.amdhsa_user_sgpr_dispatch_ptr 0
		.amdhsa_user_sgpr_queue_ptr 0
		.amdhsa_user_sgpr_kernarg_segment_ptr 1
		.amdhsa_user_sgpr_dispatch_id 0
		.amdhsa_user_sgpr_kernarg_preload_length 0
		.amdhsa_user_sgpr_kernarg_preload_offset 0
		.amdhsa_user_sgpr_private_segment_size 0
		.amdhsa_wavefront_size32 1
		.amdhsa_uses_dynamic_stack 0
		.amdhsa_enable_private_segment 1
		.amdhsa_system_sgpr_workgroup_id_x 1
		.amdhsa_system_sgpr_workgroup_id_y 0
		.amdhsa_system_sgpr_workgroup_id_z 0
		.amdhsa_system_sgpr_workgroup_info 0
		.amdhsa_system_vgpr_workitem_id 0
		.amdhsa_next_free_vgpr 51
		.amdhsa_next_free_sgpr 34
		.amdhsa_named_barrier_count 0
		.amdhsa_reserve_vcc 1
		.amdhsa_float_round_mode_32 0
		.amdhsa_float_round_mode_16_64 0
		.amdhsa_float_denorm_mode_32 3
		.amdhsa_float_denorm_mode_16_64 3
		.amdhsa_fp16_overflow 0
		.amdhsa_memory_ordered 1
		.amdhsa_forward_progress 1
		.amdhsa_inst_pref_size 1
		.amdhsa_round_robin_scheduling 0
		.amdhsa_exception_fp_ieee_invalid_op 0
		.amdhsa_exception_fp_denorm_src 0
		.amdhsa_exception_fp_ieee_div_zero 0
		.amdhsa_exception_fp_ieee_overflow 0
		.amdhsa_exception_fp_ieee_underflow 0
		.amdhsa_exception_fp_ieee_inexact 0
		.amdhsa_exception_int_div_zero 0
	.end_amdhsa_kernel
	.section	.text._Z39paged_attention_ll4mi_QKV_mfma16_kernelI14__hip_bfloat16S0_LN4vllm18Fp8KVCacheDataTypeE0EhLi16ELi64ELi256ELb1ELi6EEvPKT_PKT0_S8_ifPKiSA_SA_iPKfiiiPfSD_PS3_PT2_iSC_SC_,"axG",@progbits,_Z39paged_attention_ll4mi_QKV_mfma16_kernelI14__hip_bfloat16S0_LN4vllm18Fp8KVCacheDataTypeE0EhLi16ELi64ELi256ELb1ELi6EEvPKT_PKT0_S8_ifPKiSA_SA_iPKfiiiPfSD_PS3_PT2_iSC_SC_,comdat
.Lfunc_end391:
	.size	_Z39paged_attention_ll4mi_QKV_mfma16_kernelI14__hip_bfloat16S0_LN4vllm18Fp8KVCacheDataTypeE0EhLi16ELi64ELi256ELb1ELi6EEvPKT_PKT0_S8_ifPKiSA_SA_iPKfiiiPfSD_PS3_PT2_iSC_SC_, .Lfunc_end391-_Z39paged_attention_ll4mi_QKV_mfma16_kernelI14__hip_bfloat16S0_LN4vllm18Fp8KVCacheDataTypeE0EhLi16ELi64ELi256ELb1ELi6EEvPKT_PKT0_S8_ifPKiSA_SA_iPKfiiiPfSD_PS3_PT2_iSC_SC_
                                        ; -- End function
	.set _Z39paged_attention_ll4mi_QKV_mfma16_kernelI14__hip_bfloat16S0_LN4vllm18Fp8KVCacheDataTypeE0EhLi16ELi64ELi256ELb1ELi6EEvPKT_PKT0_S8_ifPKiSA_SA_iPKfiiiPfSD_PS3_PT2_iSC_SC_.num_vgpr, max(3, .L__assert_fail.num_vgpr)
	.set _Z39paged_attention_ll4mi_QKV_mfma16_kernelI14__hip_bfloat16S0_LN4vllm18Fp8KVCacheDataTypeE0EhLi16ELi64ELi256ELb1ELi6EEvPKT_PKT0_S8_ifPKiSA_SA_iPKfiiiPfSD_PS3_PT2_iSC_SC_.num_agpr, max(0, .L__assert_fail.num_agpr)
	.set _Z39paged_attention_ll4mi_QKV_mfma16_kernelI14__hip_bfloat16S0_LN4vllm18Fp8KVCacheDataTypeE0EhLi16ELi64ELi256ELb1ELi6EEvPKT_PKT0_S8_ifPKiSA_SA_iPKfiiiPfSD_PS3_PT2_iSC_SC_.numbered_sgpr, max(33, .L__assert_fail.numbered_sgpr)
	.set _Z39paged_attention_ll4mi_QKV_mfma16_kernelI14__hip_bfloat16S0_LN4vllm18Fp8KVCacheDataTypeE0EhLi16ELi64ELi256ELb1ELi6EEvPKT_PKT0_S8_ifPKiSA_SA_iPKfiiiPfSD_PS3_PT2_iSC_SC_.num_named_barrier, max(0, .L__assert_fail.num_named_barrier)
	.set _Z39paged_attention_ll4mi_QKV_mfma16_kernelI14__hip_bfloat16S0_LN4vllm18Fp8KVCacheDataTypeE0EhLi16ELi64ELi256ELb1ELi6EEvPKT_PKT0_S8_ifPKiSA_SA_iPKfiiiPfSD_PS3_PT2_iSC_SC_.private_seg_size, 0+max(.L__assert_fail.private_seg_size)
	.set _Z39paged_attention_ll4mi_QKV_mfma16_kernelI14__hip_bfloat16S0_LN4vllm18Fp8KVCacheDataTypeE0EhLi16ELi64ELi256ELb1ELi6EEvPKT_PKT0_S8_ifPKiSA_SA_iPKfiiiPfSD_PS3_PT2_iSC_SC_.uses_vcc, or(1, .L__assert_fail.uses_vcc)
	.set _Z39paged_attention_ll4mi_QKV_mfma16_kernelI14__hip_bfloat16S0_LN4vllm18Fp8KVCacheDataTypeE0EhLi16ELi64ELi256ELb1ELi6EEvPKT_PKT0_S8_ifPKiSA_SA_iPKfiiiPfSD_PS3_PT2_iSC_SC_.uses_flat_scratch, or(0, .L__assert_fail.uses_flat_scratch)
	.set _Z39paged_attention_ll4mi_QKV_mfma16_kernelI14__hip_bfloat16S0_LN4vllm18Fp8KVCacheDataTypeE0EhLi16ELi64ELi256ELb1ELi6EEvPKT_PKT0_S8_ifPKiSA_SA_iPKfiiiPfSD_PS3_PT2_iSC_SC_.has_dyn_sized_stack, or(0, .L__assert_fail.has_dyn_sized_stack)
	.set _Z39paged_attention_ll4mi_QKV_mfma16_kernelI14__hip_bfloat16S0_LN4vllm18Fp8KVCacheDataTypeE0EhLi16ELi64ELi256ELb1ELi6EEvPKT_PKT0_S8_ifPKiSA_SA_iPKfiiiPfSD_PS3_PT2_iSC_SC_.has_recursion, or(0, .L__assert_fail.has_recursion)
	.set _Z39paged_attention_ll4mi_QKV_mfma16_kernelI14__hip_bfloat16S0_LN4vllm18Fp8KVCacheDataTypeE0EhLi16ELi64ELi256ELb1ELi6EEvPKT_PKT0_S8_ifPKiSA_SA_iPKfiiiPfSD_PS3_PT2_iSC_SC_.has_indirect_call, or(0, .L__assert_fail.has_indirect_call)
	.section	.AMDGPU.csdata,"",@progbits
; Kernel info:
; codeLenInByte = 68
; TotalNumSgprs: 36
; NumVgprs: 51
; ScratchSize: 64
; MemoryBound: 0
; FloatMode: 240
; IeeeMode: 1
; LDSByteSize: 0 bytes/workgroup (compile time only)
; SGPRBlocks: 0
; VGPRBlocks: 3
; NumSGPRsForWavesPerEU: 36
; NumVGPRsForWavesPerEU: 51
; NamedBarCnt: 0
; Occupancy: 16
; WaveLimiterHint : 1
; COMPUTE_PGM_RSRC2:SCRATCH_EN: 1
; COMPUTE_PGM_RSRC2:USER_SGPR: 2
; COMPUTE_PGM_RSRC2:TRAP_HANDLER: 0
; COMPUTE_PGM_RSRC2:TGID_X_EN: 1
; COMPUTE_PGM_RSRC2:TGID_Y_EN: 0
; COMPUTE_PGM_RSRC2:TGID_Z_EN: 0
; COMPUTE_PGM_RSRC2:TIDIG_COMP_CNT: 0
	.section	.text._Z39paged_attention_ll4mi_QKV_mfma16_kernelI14__hip_bfloat16S0_LN4vllm18Fp8KVCacheDataTypeE0EhLi16ELi64ELi256ELb1ELi7EEvPKT_PKT0_S8_ifPKiSA_SA_iPKfiiiPfSD_PS3_PT2_iSC_SC_,"axG",@progbits,_Z39paged_attention_ll4mi_QKV_mfma16_kernelI14__hip_bfloat16S0_LN4vllm18Fp8KVCacheDataTypeE0EhLi16ELi64ELi256ELb1ELi7EEvPKT_PKT0_S8_ifPKiSA_SA_iPKfiiiPfSD_PS3_PT2_iSC_SC_,comdat
	.protected	_Z39paged_attention_ll4mi_QKV_mfma16_kernelI14__hip_bfloat16S0_LN4vllm18Fp8KVCacheDataTypeE0EhLi16ELi64ELi256ELb1ELi7EEvPKT_PKT0_S8_ifPKiSA_SA_iPKfiiiPfSD_PS3_PT2_iSC_SC_ ; -- Begin function _Z39paged_attention_ll4mi_QKV_mfma16_kernelI14__hip_bfloat16S0_LN4vllm18Fp8KVCacheDataTypeE0EhLi16ELi64ELi256ELb1ELi7EEvPKT_PKT0_S8_ifPKiSA_SA_iPKfiiiPfSD_PS3_PT2_iSC_SC_
	.globl	_Z39paged_attention_ll4mi_QKV_mfma16_kernelI14__hip_bfloat16S0_LN4vllm18Fp8KVCacheDataTypeE0EhLi16ELi64ELi256ELb1ELi7EEvPKT_PKT0_S8_ifPKiSA_SA_iPKfiiiPfSD_PS3_PT2_iSC_SC_
	.p2align	8
	.type	_Z39paged_attention_ll4mi_QKV_mfma16_kernelI14__hip_bfloat16S0_LN4vllm18Fp8KVCacheDataTypeE0EhLi16ELi64ELi256ELb1ELi7EEvPKT_PKT0_S8_ifPKiSA_SA_iPKfiiiPfSD_PS3_PT2_iSC_SC_,@function
_Z39paged_attention_ll4mi_QKV_mfma16_kernelI14__hip_bfloat16S0_LN4vllm18Fp8KVCacheDataTypeE0EhLi16ELi64ELi256ELb1ELi7EEvPKT_PKT0_S8_ifPKiSA_SA_iPKfiiiPfSD_PS3_PT2_iSC_SC_: ; @_Z39paged_attention_ll4mi_QKV_mfma16_kernelI14__hip_bfloat16S0_LN4vllm18Fp8KVCacheDataTypeE0EhLi16ELi64ELi256ELb1ELi7EEvPKT_PKT0_S8_ifPKiSA_SA_iPKfiiiPfSD_PS3_PT2_iSC_SC_
; %bb.0:
	s_get_pc_i64 s[2:3]
	s_add_nc_u64 s[2:3], s[2:3], __PRETTY_FUNCTION__._Z39paged_attention_ll4mi_QKV_mfma16_kernelI14__hip_bfloat16S0_LN4vllm18Fp8KVCacheDataTypeE0EhLi16ELi64ELi256ELb1ELi7EEvPKT_PKT0_S8_ifPKiSA_SA_iPKfiiiPfSD_PS3_PT2_iSC_SC_@rel64+4
	s_delay_alu instid0(SALU_CYCLE_1)
	v_dual_mov_b32 v0, 0xbb3 :: v_dual_mov_b32 v1, s2
	v_mov_b32_e32 v2, s3
	s_add_nc_u64 s[8:9], s[0:1], 0x90
	s_get_pc_i64 s[0:1]
	s_add_nc_u64 s[0:1], s[0:1], __assert_fail@rel64+4
	s_mov_b32 s32, 0
	s_swap_pc_i64 s[30:31], s[0:1]
	.section	.rodata,"a",@progbits
	.p2align	6, 0x0
	.amdhsa_kernel _Z39paged_attention_ll4mi_QKV_mfma16_kernelI14__hip_bfloat16S0_LN4vllm18Fp8KVCacheDataTypeE0EhLi16ELi64ELi256ELb1ELi7EEvPKT_PKT0_S8_ifPKiSA_SA_iPKfiiiPfSD_PS3_PT2_iSC_SC_
		.amdhsa_group_segment_fixed_size 0
		.amdhsa_private_segment_fixed_size 64
		.amdhsa_kernarg_size 400
		.amdhsa_user_sgpr_count 2
		.amdhsa_user_sgpr_dispatch_ptr 0
		.amdhsa_user_sgpr_queue_ptr 0
		.amdhsa_user_sgpr_kernarg_segment_ptr 1
		.amdhsa_user_sgpr_dispatch_id 0
		.amdhsa_user_sgpr_kernarg_preload_length 0
		.amdhsa_user_sgpr_kernarg_preload_offset 0
		.amdhsa_user_sgpr_private_segment_size 0
		.amdhsa_wavefront_size32 1
		.amdhsa_uses_dynamic_stack 0
		.amdhsa_enable_private_segment 1
		.amdhsa_system_sgpr_workgroup_id_x 1
		.amdhsa_system_sgpr_workgroup_id_y 0
		.amdhsa_system_sgpr_workgroup_id_z 0
		.amdhsa_system_sgpr_workgroup_info 0
		.amdhsa_system_vgpr_workitem_id 0
		.amdhsa_next_free_vgpr 51
		.amdhsa_next_free_sgpr 34
		.amdhsa_named_barrier_count 0
		.amdhsa_reserve_vcc 1
		.amdhsa_float_round_mode_32 0
		.amdhsa_float_round_mode_16_64 0
		.amdhsa_float_denorm_mode_32 3
		.amdhsa_float_denorm_mode_16_64 3
		.amdhsa_fp16_overflow 0
		.amdhsa_memory_ordered 1
		.amdhsa_forward_progress 1
		.amdhsa_inst_pref_size 1
		.amdhsa_round_robin_scheduling 0
		.amdhsa_exception_fp_ieee_invalid_op 0
		.amdhsa_exception_fp_denorm_src 0
		.amdhsa_exception_fp_ieee_div_zero 0
		.amdhsa_exception_fp_ieee_overflow 0
		.amdhsa_exception_fp_ieee_underflow 0
		.amdhsa_exception_fp_ieee_inexact 0
		.amdhsa_exception_int_div_zero 0
	.end_amdhsa_kernel
	.section	.text._Z39paged_attention_ll4mi_QKV_mfma16_kernelI14__hip_bfloat16S0_LN4vllm18Fp8KVCacheDataTypeE0EhLi16ELi64ELi256ELb1ELi7EEvPKT_PKT0_S8_ifPKiSA_SA_iPKfiiiPfSD_PS3_PT2_iSC_SC_,"axG",@progbits,_Z39paged_attention_ll4mi_QKV_mfma16_kernelI14__hip_bfloat16S0_LN4vllm18Fp8KVCacheDataTypeE0EhLi16ELi64ELi256ELb1ELi7EEvPKT_PKT0_S8_ifPKiSA_SA_iPKfiiiPfSD_PS3_PT2_iSC_SC_,comdat
.Lfunc_end392:
	.size	_Z39paged_attention_ll4mi_QKV_mfma16_kernelI14__hip_bfloat16S0_LN4vllm18Fp8KVCacheDataTypeE0EhLi16ELi64ELi256ELb1ELi7EEvPKT_PKT0_S8_ifPKiSA_SA_iPKfiiiPfSD_PS3_PT2_iSC_SC_, .Lfunc_end392-_Z39paged_attention_ll4mi_QKV_mfma16_kernelI14__hip_bfloat16S0_LN4vllm18Fp8KVCacheDataTypeE0EhLi16ELi64ELi256ELb1ELi7EEvPKT_PKT0_S8_ifPKiSA_SA_iPKfiiiPfSD_PS3_PT2_iSC_SC_
                                        ; -- End function
	.set _Z39paged_attention_ll4mi_QKV_mfma16_kernelI14__hip_bfloat16S0_LN4vllm18Fp8KVCacheDataTypeE0EhLi16ELi64ELi256ELb1ELi7EEvPKT_PKT0_S8_ifPKiSA_SA_iPKfiiiPfSD_PS3_PT2_iSC_SC_.num_vgpr, max(3, .L__assert_fail.num_vgpr)
	.set _Z39paged_attention_ll4mi_QKV_mfma16_kernelI14__hip_bfloat16S0_LN4vllm18Fp8KVCacheDataTypeE0EhLi16ELi64ELi256ELb1ELi7EEvPKT_PKT0_S8_ifPKiSA_SA_iPKfiiiPfSD_PS3_PT2_iSC_SC_.num_agpr, max(0, .L__assert_fail.num_agpr)
	.set _Z39paged_attention_ll4mi_QKV_mfma16_kernelI14__hip_bfloat16S0_LN4vllm18Fp8KVCacheDataTypeE0EhLi16ELi64ELi256ELb1ELi7EEvPKT_PKT0_S8_ifPKiSA_SA_iPKfiiiPfSD_PS3_PT2_iSC_SC_.numbered_sgpr, max(33, .L__assert_fail.numbered_sgpr)
	.set _Z39paged_attention_ll4mi_QKV_mfma16_kernelI14__hip_bfloat16S0_LN4vllm18Fp8KVCacheDataTypeE0EhLi16ELi64ELi256ELb1ELi7EEvPKT_PKT0_S8_ifPKiSA_SA_iPKfiiiPfSD_PS3_PT2_iSC_SC_.num_named_barrier, max(0, .L__assert_fail.num_named_barrier)
	.set _Z39paged_attention_ll4mi_QKV_mfma16_kernelI14__hip_bfloat16S0_LN4vllm18Fp8KVCacheDataTypeE0EhLi16ELi64ELi256ELb1ELi7EEvPKT_PKT0_S8_ifPKiSA_SA_iPKfiiiPfSD_PS3_PT2_iSC_SC_.private_seg_size, 0+max(.L__assert_fail.private_seg_size)
	.set _Z39paged_attention_ll4mi_QKV_mfma16_kernelI14__hip_bfloat16S0_LN4vllm18Fp8KVCacheDataTypeE0EhLi16ELi64ELi256ELb1ELi7EEvPKT_PKT0_S8_ifPKiSA_SA_iPKfiiiPfSD_PS3_PT2_iSC_SC_.uses_vcc, or(1, .L__assert_fail.uses_vcc)
	.set _Z39paged_attention_ll4mi_QKV_mfma16_kernelI14__hip_bfloat16S0_LN4vllm18Fp8KVCacheDataTypeE0EhLi16ELi64ELi256ELb1ELi7EEvPKT_PKT0_S8_ifPKiSA_SA_iPKfiiiPfSD_PS3_PT2_iSC_SC_.uses_flat_scratch, or(0, .L__assert_fail.uses_flat_scratch)
	.set _Z39paged_attention_ll4mi_QKV_mfma16_kernelI14__hip_bfloat16S0_LN4vllm18Fp8KVCacheDataTypeE0EhLi16ELi64ELi256ELb1ELi7EEvPKT_PKT0_S8_ifPKiSA_SA_iPKfiiiPfSD_PS3_PT2_iSC_SC_.has_dyn_sized_stack, or(0, .L__assert_fail.has_dyn_sized_stack)
	.set _Z39paged_attention_ll4mi_QKV_mfma16_kernelI14__hip_bfloat16S0_LN4vllm18Fp8KVCacheDataTypeE0EhLi16ELi64ELi256ELb1ELi7EEvPKT_PKT0_S8_ifPKiSA_SA_iPKfiiiPfSD_PS3_PT2_iSC_SC_.has_recursion, or(0, .L__assert_fail.has_recursion)
	.set _Z39paged_attention_ll4mi_QKV_mfma16_kernelI14__hip_bfloat16S0_LN4vllm18Fp8KVCacheDataTypeE0EhLi16ELi64ELi256ELb1ELi7EEvPKT_PKT0_S8_ifPKiSA_SA_iPKfiiiPfSD_PS3_PT2_iSC_SC_.has_indirect_call, or(0, .L__assert_fail.has_indirect_call)
	.section	.AMDGPU.csdata,"",@progbits
; Kernel info:
; codeLenInByte = 68
; TotalNumSgprs: 36
; NumVgprs: 51
; ScratchSize: 64
; MemoryBound: 0
; FloatMode: 240
; IeeeMode: 1
; LDSByteSize: 0 bytes/workgroup (compile time only)
; SGPRBlocks: 0
; VGPRBlocks: 3
; NumSGPRsForWavesPerEU: 36
; NumVGPRsForWavesPerEU: 51
; NamedBarCnt: 0
; Occupancy: 16
; WaveLimiterHint : 1
; COMPUTE_PGM_RSRC2:SCRATCH_EN: 1
; COMPUTE_PGM_RSRC2:USER_SGPR: 2
; COMPUTE_PGM_RSRC2:TRAP_HANDLER: 0
; COMPUTE_PGM_RSRC2:TGID_X_EN: 1
; COMPUTE_PGM_RSRC2:TGID_Y_EN: 0
; COMPUTE_PGM_RSRC2:TGID_Z_EN: 0
; COMPUTE_PGM_RSRC2:TIDIG_COMP_CNT: 0
	.section	.text._Z39paged_attention_ll4mi_QKV_mfma16_kernelI14__hip_bfloat16S0_LN4vllm18Fp8KVCacheDataTypeE0EhLi16ELi64ELi256ELb1ELi8EEvPKT_PKT0_S8_ifPKiSA_SA_iPKfiiiPfSD_PS3_PT2_iSC_SC_,"axG",@progbits,_Z39paged_attention_ll4mi_QKV_mfma16_kernelI14__hip_bfloat16S0_LN4vllm18Fp8KVCacheDataTypeE0EhLi16ELi64ELi256ELb1ELi8EEvPKT_PKT0_S8_ifPKiSA_SA_iPKfiiiPfSD_PS3_PT2_iSC_SC_,comdat
	.protected	_Z39paged_attention_ll4mi_QKV_mfma16_kernelI14__hip_bfloat16S0_LN4vllm18Fp8KVCacheDataTypeE0EhLi16ELi64ELi256ELb1ELi8EEvPKT_PKT0_S8_ifPKiSA_SA_iPKfiiiPfSD_PS3_PT2_iSC_SC_ ; -- Begin function _Z39paged_attention_ll4mi_QKV_mfma16_kernelI14__hip_bfloat16S0_LN4vllm18Fp8KVCacheDataTypeE0EhLi16ELi64ELi256ELb1ELi8EEvPKT_PKT0_S8_ifPKiSA_SA_iPKfiiiPfSD_PS3_PT2_iSC_SC_
	.globl	_Z39paged_attention_ll4mi_QKV_mfma16_kernelI14__hip_bfloat16S0_LN4vllm18Fp8KVCacheDataTypeE0EhLi16ELi64ELi256ELb1ELi8EEvPKT_PKT0_S8_ifPKiSA_SA_iPKfiiiPfSD_PS3_PT2_iSC_SC_
	.p2align	8
	.type	_Z39paged_attention_ll4mi_QKV_mfma16_kernelI14__hip_bfloat16S0_LN4vllm18Fp8KVCacheDataTypeE0EhLi16ELi64ELi256ELb1ELi8EEvPKT_PKT0_S8_ifPKiSA_SA_iPKfiiiPfSD_PS3_PT2_iSC_SC_,@function
_Z39paged_attention_ll4mi_QKV_mfma16_kernelI14__hip_bfloat16S0_LN4vllm18Fp8KVCacheDataTypeE0EhLi16ELi64ELi256ELb1ELi8EEvPKT_PKT0_S8_ifPKiSA_SA_iPKfiiiPfSD_PS3_PT2_iSC_SC_: ; @_Z39paged_attention_ll4mi_QKV_mfma16_kernelI14__hip_bfloat16S0_LN4vllm18Fp8KVCacheDataTypeE0EhLi16ELi64ELi256ELb1ELi8EEvPKT_PKT0_S8_ifPKiSA_SA_iPKfiiiPfSD_PS3_PT2_iSC_SC_
; %bb.0:
	s_get_pc_i64 s[2:3]
	s_add_nc_u64 s[2:3], s[2:3], __PRETTY_FUNCTION__._Z39paged_attention_ll4mi_QKV_mfma16_kernelI14__hip_bfloat16S0_LN4vllm18Fp8KVCacheDataTypeE0EhLi16ELi64ELi256ELb1ELi8EEvPKT_PKT0_S8_ifPKiSA_SA_iPKfiiiPfSD_PS3_PT2_iSC_SC_@rel64+4
	s_delay_alu instid0(SALU_CYCLE_1)
	v_dual_mov_b32 v0, 0xbb3 :: v_dual_mov_b32 v1, s2
	v_mov_b32_e32 v2, s3
	s_add_nc_u64 s[8:9], s[0:1], 0x90
	s_get_pc_i64 s[0:1]
	s_add_nc_u64 s[0:1], s[0:1], __assert_fail@rel64+4
	s_mov_b32 s32, 0
	s_swap_pc_i64 s[30:31], s[0:1]
	.section	.rodata,"a",@progbits
	.p2align	6, 0x0
	.amdhsa_kernel _Z39paged_attention_ll4mi_QKV_mfma16_kernelI14__hip_bfloat16S0_LN4vllm18Fp8KVCacheDataTypeE0EhLi16ELi64ELi256ELb1ELi8EEvPKT_PKT0_S8_ifPKiSA_SA_iPKfiiiPfSD_PS3_PT2_iSC_SC_
		.amdhsa_group_segment_fixed_size 0
		.amdhsa_private_segment_fixed_size 64
		.amdhsa_kernarg_size 400
		.amdhsa_user_sgpr_count 2
		.amdhsa_user_sgpr_dispatch_ptr 0
		.amdhsa_user_sgpr_queue_ptr 0
		.amdhsa_user_sgpr_kernarg_segment_ptr 1
		.amdhsa_user_sgpr_dispatch_id 0
		.amdhsa_user_sgpr_kernarg_preload_length 0
		.amdhsa_user_sgpr_kernarg_preload_offset 0
		.amdhsa_user_sgpr_private_segment_size 0
		.amdhsa_wavefront_size32 1
		.amdhsa_uses_dynamic_stack 0
		.amdhsa_enable_private_segment 1
		.amdhsa_system_sgpr_workgroup_id_x 1
		.amdhsa_system_sgpr_workgroup_id_y 0
		.amdhsa_system_sgpr_workgroup_id_z 0
		.amdhsa_system_sgpr_workgroup_info 0
		.amdhsa_system_vgpr_workitem_id 0
		.amdhsa_next_free_vgpr 51
		.amdhsa_next_free_sgpr 34
		.amdhsa_named_barrier_count 0
		.amdhsa_reserve_vcc 1
		.amdhsa_float_round_mode_32 0
		.amdhsa_float_round_mode_16_64 0
		.amdhsa_float_denorm_mode_32 3
		.amdhsa_float_denorm_mode_16_64 3
		.amdhsa_fp16_overflow 0
		.amdhsa_memory_ordered 1
		.amdhsa_forward_progress 1
		.amdhsa_inst_pref_size 1
		.amdhsa_round_robin_scheduling 0
		.amdhsa_exception_fp_ieee_invalid_op 0
		.amdhsa_exception_fp_denorm_src 0
		.amdhsa_exception_fp_ieee_div_zero 0
		.amdhsa_exception_fp_ieee_overflow 0
		.amdhsa_exception_fp_ieee_underflow 0
		.amdhsa_exception_fp_ieee_inexact 0
		.amdhsa_exception_int_div_zero 0
	.end_amdhsa_kernel
	.section	.text._Z39paged_attention_ll4mi_QKV_mfma16_kernelI14__hip_bfloat16S0_LN4vllm18Fp8KVCacheDataTypeE0EhLi16ELi64ELi256ELb1ELi8EEvPKT_PKT0_S8_ifPKiSA_SA_iPKfiiiPfSD_PS3_PT2_iSC_SC_,"axG",@progbits,_Z39paged_attention_ll4mi_QKV_mfma16_kernelI14__hip_bfloat16S0_LN4vllm18Fp8KVCacheDataTypeE0EhLi16ELi64ELi256ELb1ELi8EEvPKT_PKT0_S8_ifPKiSA_SA_iPKfiiiPfSD_PS3_PT2_iSC_SC_,comdat
.Lfunc_end393:
	.size	_Z39paged_attention_ll4mi_QKV_mfma16_kernelI14__hip_bfloat16S0_LN4vllm18Fp8KVCacheDataTypeE0EhLi16ELi64ELi256ELb1ELi8EEvPKT_PKT0_S8_ifPKiSA_SA_iPKfiiiPfSD_PS3_PT2_iSC_SC_, .Lfunc_end393-_Z39paged_attention_ll4mi_QKV_mfma16_kernelI14__hip_bfloat16S0_LN4vllm18Fp8KVCacheDataTypeE0EhLi16ELi64ELi256ELb1ELi8EEvPKT_PKT0_S8_ifPKiSA_SA_iPKfiiiPfSD_PS3_PT2_iSC_SC_
                                        ; -- End function
	.set _Z39paged_attention_ll4mi_QKV_mfma16_kernelI14__hip_bfloat16S0_LN4vllm18Fp8KVCacheDataTypeE0EhLi16ELi64ELi256ELb1ELi8EEvPKT_PKT0_S8_ifPKiSA_SA_iPKfiiiPfSD_PS3_PT2_iSC_SC_.num_vgpr, max(3, .L__assert_fail.num_vgpr)
	.set _Z39paged_attention_ll4mi_QKV_mfma16_kernelI14__hip_bfloat16S0_LN4vllm18Fp8KVCacheDataTypeE0EhLi16ELi64ELi256ELb1ELi8EEvPKT_PKT0_S8_ifPKiSA_SA_iPKfiiiPfSD_PS3_PT2_iSC_SC_.num_agpr, max(0, .L__assert_fail.num_agpr)
	.set _Z39paged_attention_ll4mi_QKV_mfma16_kernelI14__hip_bfloat16S0_LN4vllm18Fp8KVCacheDataTypeE0EhLi16ELi64ELi256ELb1ELi8EEvPKT_PKT0_S8_ifPKiSA_SA_iPKfiiiPfSD_PS3_PT2_iSC_SC_.numbered_sgpr, max(33, .L__assert_fail.numbered_sgpr)
	.set _Z39paged_attention_ll4mi_QKV_mfma16_kernelI14__hip_bfloat16S0_LN4vllm18Fp8KVCacheDataTypeE0EhLi16ELi64ELi256ELb1ELi8EEvPKT_PKT0_S8_ifPKiSA_SA_iPKfiiiPfSD_PS3_PT2_iSC_SC_.num_named_barrier, max(0, .L__assert_fail.num_named_barrier)
	.set _Z39paged_attention_ll4mi_QKV_mfma16_kernelI14__hip_bfloat16S0_LN4vllm18Fp8KVCacheDataTypeE0EhLi16ELi64ELi256ELb1ELi8EEvPKT_PKT0_S8_ifPKiSA_SA_iPKfiiiPfSD_PS3_PT2_iSC_SC_.private_seg_size, 0+max(.L__assert_fail.private_seg_size)
	.set _Z39paged_attention_ll4mi_QKV_mfma16_kernelI14__hip_bfloat16S0_LN4vllm18Fp8KVCacheDataTypeE0EhLi16ELi64ELi256ELb1ELi8EEvPKT_PKT0_S8_ifPKiSA_SA_iPKfiiiPfSD_PS3_PT2_iSC_SC_.uses_vcc, or(1, .L__assert_fail.uses_vcc)
	.set _Z39paged_attention_ll4mi_QKV_mfma16_kernelI14__hip_bfloat16S0_LN4vllm18Fp8KVCacheDataTypeE0EhLi16ELi64ELi256ELb1ELi8EEvPKT_PKT0_S8_ifPKiSA_SA_iPKfiiiPfSD_PS3_PT2_iSC_SC_.uses_flat_scratch, or(0, .L__assert_fail.uses_flat_scratch)
	.set _Z39paged_attention_ll4mi_QKV_mfma16_kernelI14__hip_bfloat16S0_LN4vllm18Fp8KVCacheDataTypeE0EhLi16ELi64ELi256ELb1ELi8EEvPKT_PKT0_S8_ifPKiSA_SA_iPKfiiiPfSD_PS3_PT2_iSC_SC_.has_dyn_sized_stack, or(0, .L__assert_fail.has_dyn_sized_stack)
	.set _Z39paged_attention_ll4mi_QKV_mfma16_kernelI14__hip_bfloat16S0_LN4vllm18Fp8KVCacheDataTypeE0EhLi16ELi64ELi256ELb1ELi8EEvPKT_PKT0_S8_ifPKiSA_SA_iPKfiiiPfSD_PS3_PT2_iSC_SC_.has_recursion, or(0, .L__assert_fail.has_recursion)
	.set _Z39paged_attention_ll4mi_QKV_mfma16_kernelI14__hip_bfloat16S0_LN4vllm18Fp8KVCacheDataTypeE0EhLi16ELi64ELi256ELb1ELi8EEvPKT_PKT0_S8_ifPKiSA_SA_iPKfiiiPfSD_PS3_PT2_iSC_SC_.has_indirect_call, or(0, .L__assert_fail.has_indirect_call)
	.section	.AMDGPU.csdata,"",@progbits
; Kernel info:
; codeLenInByte = 68
; TotalNumSgprs: 36
; NumVgprs: 51
; ScratchSize: 64
; MemoryBound: 0
; FloatMode: 240
; IeeeMode: 1
; LDSByteSize: 0 bytes/workgroup (compile time only)
; SGPRBlocks: 0
; VGPRBlocks: 3
; NumSGPRsForWavesPerEU: 36
; NumVGPRsForWavesPerEU: 51
; NamedBarCnt: 0
; Occupancy: 16
; WaveLimiterHint : 1
; COMPUTE_PGM_RSRC2:SCRATCH_EN: 1
; COMPUTE_PGM_RSRC2:USER_SGPR: 2
; COMPUTE_PGM_RSRC2:TRAP_HANDLER: 0
; COMPUTE_PGM_RSRC2:TGID_X_EN: 1
; COMPUTE_PGM_RSRC2:TGID_Y_EN: 0
; COMPUTE_PGM_RSRC2:TGID_Z_EN: 0
; COMPUTE_PGM_RSRC2:TIDIG_COMP_CNT: 0
	.section	.text._Z39paged_attention_ll4mi_QKV_mfma16_kernelI14__hip_bfloat16S0_LN4vllm18Fp8KVCacheDataTypeE0EhLi16ELi64ELi256ELb1ELi9EEvPKT_PKT0_S8_ifPKiSA_SA_iPKfiiiPfSD_PS3_PT2_iSC_SC_,"axG",@progbits,_Z39paged_attention_ll4mi_QKV_mfma16_kernelI14__hip_bfloat16S0_LN4vllm18Fp8KVCacheDataTypeE0EhLi16ELi64ELi256ELb1ELi9EEvPKT_PKT0_S8_ifPKiSA_SA_iPKfiiiPfSD_PS3_PT2_iSC_SC_,comdat
	.protected	_Z39paged_attention_ll4mi_QKV_mfma16_kernelI14__hip_bfloat16S0_LN4vllm18Fp8KVCacheDataTypeE0EhLi16ELi64ELi256ELb1ELi9EEvPKT_PKT0_S8_ifPKiSA_SA_iPKfiiiPfSD_PS3_PT2_iSC_SC_ ; -- Begin function _Z39paged_attention_ll4mi_QKV_mfma16_kernelI14__hip_bfloat16S0_LN4vllm18Fp8KVCacheDataTypeE0EhLi16ELi64ELi256ELb1ELi9EEvPKT_PKT0_S8_ifPKiSA_SA_iPKfiiiPfSD_PS3_PT2_iSC_SC_
	.globl	_Z39paged_attention_ll4mi_QKV_mfma16_kernelI14__hip_bfloat16S0_LN4vllm18Fp8KVCacheDataTypeE0EhLi16ELi64ELi256ELb1ELi9EEvPKT_PKT0_S8_ifPKiSA_SA_iPKfiiiPfSD_PS3_PT2_iSC_SC_
	.p2align	8
	.type	_Z39paged_attention_ll4mi_QKV_mfma16_kernelI14__hip_bfloat16S0_LN4vllm18Fp8KVCacheDataTypeE0EhLi16ELi64ELi256ELb1ELi9EEvPKT_PKT0_S8_ifPKiSA_SA_iPKfiiiPfSD_PS3_PT2_iSC_SC_,@function
_Z39paged_attention_ll4mi_QKV_mfma16_kernelI14__hip_bfloat16S0_LN4vllm18Fp8KVCacheDataTypeE0EhLi16ELi64ELi256ELb1ELi9EEvPKT_PKT0_S8_ifPKiSA_SA_iPKfiiiPfSD_PS3_PT2_iSC_SC_: ; @_Z39paged_attention_ll4mi_QKV_mfma16_kernelI14__hip_bfloat16S0_LN4vllm18Fp8KVCacheDataTypeE0EhLi16ELi64ELi256ELb1ELi9EEvPKT_PKT0_S8_ifPKiSA_SA_iPKfiiiPfSD_PS3_PT2_iSC_SC_
; %bb.0:
	s_get_pc_i64 s[2:3]
	s_add_nc_u64 s[2:3], s[2:3], __PRETTY_FUNCTION__._Z39paged_attention_ll4mi_QKV_mfma16_kernelI14__hip_bfloat16S0_LN4vllm18Fp8KVCacheDataTypeE0EhLi16ELi64ELi256ELb1ELi9EEvPKT_PKT0_S8_ifPKiSA_SA_iPKfiiiPfSD_PS3_PT2_iSC_SC_@rel64+4
	s_delay_alu instid0(SALU_CYCLE_1)
	v_dual_mov_b32 v0, 0xbb3 :: v_dual_mov_b32 v1, s2
	v_mov_b32_e32 v2, s3
	s_add_nc_u64 s[8:9], s[0:1], 0x90
	s_get_pc_i64 s[0:1]
	s_add_nc_u64 s[0:1], s[0:1], __assert_fail@rel64+4
	s_mov_b32 s32, 0
	s_swap_pc_i64 s[30:31], s[0:1]
	.section	.rodata,"a",@progbits
	.p2align	6, 0x0
	.amdhsa_kernel _Z39paged_attention_ll4mi_QKV_mfma16_kernelI14__hip_bfloat16S0_LN4vllm18Fp8KVCacheDataTypeE0EhLi16ELi64ELi256ELb1ELi9EEvPKT_PKT0_S8_ifPKiSA_SA_iPKfiiiPfSD_PS3_PT2_iSC_SC_
		.amdhsa_group_segment_fixed_size 0
		.amdhsa_private_segment_fixed_size 64
		.amdhsa_kernarg_size 400
		.amdhsa_user_sgpr_count 2
		.amdhsa_user_sgpr_dispatch_ptr 0
		.amdhsa_user_sgpr_queue_ptr 0
		.amdhsa_user_sgpr_kernarg_segment_ptr 1
		.amdhsa_user_sgpr_dispatch_id 0
		.amdhsa_user_sgpr_kernarg_preload_length 0
		.amdhsa_user_sgpr_kernarg_preload_offset 0
		.amdhsa_user_sgpr_private_segment_size 0
		.amdhsa_wavefront_size32 1
		.amdhsa_uses_dynamic_stack 0
		.amdhsa_enable_private_segment 1
		.amdhsa_system_sgpr_workgroup_id_x 1
		.amdhsa_system_sgpr_workgroup_id_y 0
		.amdhsa_system_sgpr_workgroup_id_z 0
		.amdhsa_system_sgpr_workgroup_info 0
		.amdhsa_system_vgpr_workitem_id 0
		.amdhsa_next_free_vgpr 51
		.amdhsa_next_free_sgpr 34
		.amdhsa_named_barrier_count 0
		.amdhsa_reserve_vcc 1
		.amdhsa_float_round_mode_32 0
		.amdhsa_float_round_mode_16_64 0
		.amdhsa_float_denorm_mode_32 3
		.amdhsa_float_denorm_mode_16_64 3
		.amdhsa_fp16_overflow 0
		.amdhsa_memory_ordered 1
		.amdhsa_forward_progress 1
		.amdhsa_inst_pref_size 1
		.amdhsa_round_robin_scheduling 0
		.amdhsa_exception_fp_ieee_invalid_op 0
		.amdhsa_exception_fp_denorm_src 0
		.amdhsa_exception_fp_ieee_div_zero 0
		.amdhsa_exception_fp_ieee_overflow 0
		.amdhsa_exception_fp_ieee_underflow 0
		.amdhsa_exception_fp_ieee_inexact 0
		.amdhsa_exception_int_div_zero 0
	.end_amdhsa_kernel
	.section	.text._Z39paged_attention_ll4mi_QKV_mfma16_kernelI14__hip_bfloat16S0_LN4vllm18Fp8KVCacheDataTypeE0EhLi16ELi64ELi256ELb1ELi9EEvPKT_PKT0_S8_ifPKiSA_SA_iPKfiiiPfSD_PS3_PT2_iSC_SC_,"axG",@progbits,_Z39paged_attention_ll4mi_QKV_mfma16_kernelI14__hip_bfloat16S0_LN4vllm18Fp8KVCacheDataTypeE0EhLi16ELi64ELi256ELb1ELi9EEvPKT_PKT0_S8_ifPKiSA_SA_iPKfiiiPfSD_PS3_PT2_iSC_SC_,comdat
.Lfunc_end394:
	.size	_Z39paged_attention_ll4mi_QKV_mfma16_kernelI14__hip_bfloat16S0_LN4vllm18Fp8KVCacheDataTypeE0EhLi16ELi64ELi256ELb1ELi9EEvPKT_PKT0_S8_ifPKiSA_SA_iPKfiiiPfSD_PS3_PT2_iSC_SC_, .Lfunc_end394-_Z39paged_attention_ll4mi_QKV_mfma16_kernelI14__hip_bfloat16S0_LN4vllm18Fp8KVCacheDataTypeE0EhLi16ELi64ELi256ELb1ELi9EEvPKT_PKT0_S8_ifPKiSA_SA_iPKfiiiPfSD_PS3_PT2_iSC_SC_
                                        ; -- End function
	.set _Z39paged_attention_ll4mi_QKV_mfma16_kernelI14__hip_bfloat16S0_LN4vllm18Fp8KVCacheDataTypeE0EhLi16ELi64ELi256ELb1ELi9EEvPKT_PKT0_S8_ifPKiSA_SA_iPKfiiiPfSD_PS3_PT2_iSC_SC_.num_vgpr, max(3, .L__assert_fail.num_vgpr)
	.set _Z39paged_attention_ll4mi_QKV_mfma16_kernelI14__hip_bfloat16S0_LN4vllm18Fp8KVCacheDataTypeE0EhLi16ELi64ELi256ELb1ELi9EEvPKT_PKT0_S8_ifPKiSA_SA_iPKfiiiPfSD_PS3_PT2_iSC_SC_.num_agpr, max(0, .L__assert_fail.num_agpr)
	.set _Z39paged_attention_ll4mi_QKV_mfma16_kernelI14__hip_bfloat16S0_LN4vllm18Fp8KVCacheDataTypeE0EhLi16ELi64ELi256ELb1ELi9EEvPKT_PKT0_S8_ifPKiSA_SA_iPKfiiiPfSD_PS3_PT2_iSC_SC_.numbered_sgpr, max(33, .L__assert_fail.numbered_sgpr)
	.set _Z39paged_attention_ll4mi_QKV_mfma16_kernelI14__hip_bfloat16S0_LN4vllm18Fp8KVCacheDataTypeE0EhLi16ELi64ELi256ELb1ELi9EEvPKT_PKT0_S8_ifPKiSA_SA_iPKfiiiPfSD_PS3_PT2_iSC_SC_.num_named_barrier, max(0, .L__assert_fail.num_named_barrier)
	.set _Z39paged_attention_ll4mi_QKV_mfma16_kernelI14__hip_bfloat16S0_LN4vllm18Fp8KVCacheDataTypeE0EhLi16ELi64ELi256ELb1ELi9EEvPKT_PKT0_S8_ifPKiSA_SA_iPKfiiiPfSD_PS3_PT2_iSC_SC_.private_seg_size, 0+max(.L__assert_fail.private_seg_size)
	.set _Z39paged_attention_ll4mi_QKV_mfma16_kernelI14__hip_bfloat16S0_LN4vllm18Fp8KVCacheDataTypeE0EhLi16ELi64ELi256ELb1ELi9EEvPKT_PKT0_S8_ifPKiSA_SA_iPKfiiiPfSD_PS3_PT2_iSC_SC_.uses_vcc, or(1, .L__assert_fail.uses_vcc)
	.set _Z39paged_attention_ll4mi_QKV_mfma16_kernelI14__hip_bfloat16S0_LN4vllm18Fp8KVCacheDataTypeE0EhLi16ELi64ELi256ELb1ELi9EEvPKT_PKT0_S8_ifPKiSA_SA_iPKfiiiPfSD_PS3_PT2_iSC_SC_.uses_flat_scratch, or(0, .L__assert_fail.uses_flat_scratch)
	.set _Z39paged_attention_ll4mi_QKV_mfma16_kernelI14__hip_bfloat16S0_LN4vllm18Fp8KVCacheDataTypeE0EhLi16ELi64ELi256ELb1ELi9EEvPKT_PKT0_S8_ifPKiSA_SA_iPKfiiiPfSD_PS3_PT2_iSC_SC_.has_dyn_sized_stack, or(0, .L__assert_fail.has_dyn_sized_stack)
	.set _Z39paged_attention_ll4mi_QKV_mfma16_kernelI14__hip_bfloat16S0_LN4vllm18Fp8KVCacheDataTypeE0EhLi16ELi64ELi256ELb1ELi9EEvPKT_PKT0_S8_ifPKiSA_SA_iPKfiiiPfSD_PS3_PT2_iSC_SC_.has_recursion, or(0, .L__assert_fail.has_recursion)
	.set _Z39paged_attention_ll4mi_QKV_mfma16_kernelI14__hip_bfloat16S0_LN4vllm18Fp8KVCacheDataTypeE0EhLi16ELi64ELi256ELb1ELi9EEvPKT_PKT0_S8_ifPKiSA_SA_iPKfiiiPfSD_PS3_PT2_iSC_SC_.has_indirect_call, or(0, .L__assert_fail.has_indirect_call)
	.section	.AMDGPU.csdata,"",@progbits
; Kernel info:
; codeLenInByte = 68
; TotalNumSgprs: 36
; NumVgprs: 51
; ScratchSize: 64
; MemoryBound: 0
; FloatMode: 240
; IeeeMode: 1
; LDSByteSize: 0 bytes/workgroup (compile time only)
; SGPRBlocks: 0
; VGPRBlocks: 3
; NumSGPRsForWavesPerEU: 36
; NumVGPRsForWavesPerEU: 51
; NamedBarCnt: 0
; Occupancy: 16
; WaveLimiterHint : 1
; COMPUTE_PGM_RSRC2:SCRATCH_EN: 1
; COMPUTE_PGM_RSRC2:USER_SGPR: 2
; COMPUTE_PGM_RSRC2:TRAP_HANDLER: 0
; COMPUTE_PGM_RSRC2:TGID_X_EN: 1
; COMPUTE_PGM_RSRC2:TGID_Y_EN: 0
; COMPUTE_PGM_RSRC2:TGID_Z_EN: 0
; COMPUTE_PGM_RSRC2:TIDIG_COMP_CNT: 0
	.section	.text._Z39paged_attention_ll4mi_QKV_mfma16_kernelI14__hip_bfloat16S0_LN4vllm18Fp8KVCacheDataTypeE0EhLi16ELi64ELi256ELb1ELi10EEvPKT_PKT0_S8_ifPKiSA_SA_iPKfiiiPfSD_PS3_PT2_iSC_SC_,"axG",@progbits,_Z39paged_attention_ll4mi_QKV_mfma16_kernelI14__hip_bfloat16S0_LN4vllm18Fp8KVCacheDataTypeE0EhLi16ELi64ELi256ELb1ELi10EEvPKT_PKT0_S8_ifPKiSA_SA_iPKfiiiPfSD_PS3_PT2_iSC_SC_,comdat
	.protected	_Z39paged_attention_ll4mi_QKV_mfma16_kernelI14__hip_bfloat16S0_LN4vllm18Fp8KVCacheDataTypeE0EhLi16ELi64ELi256ELb1ELi10EEvPKT_PKT0_S8_ifPKiSA_SA_iPKfiiiPfSD_PS3_PT2_iSC_SC_ ; -- Begin function _Z39paged_attention_ll4mi_QKV_mfma16_kernelI14__hip_bfloat16S0_LN4vllm18Fp8KVCacheDataTypeE0EhLi16ELi64ELi256ELb1ELi10EEvPKT_PKT0_S8_ifPKiSA_SA_iPKfiiiPfSD_PS3_PT2_iSC_SC_
	.globl	_Z39paged_attention_ll4mi_QKV_mfma16_kernelI14__hip_bfloat16S0_LN4vllm18Fp8KVCacheDataTypeE0EhLi16ELi64ELi256ELb1ELi10EEvPKT_PKT0_S8_ifPKiSA_SA_iPKfiiiPfSD_PS3_PT2_iSC_SC_
	.p2align	8
	.type	_Z39paged_attention_ll4mi_QKV_mfma16_kernelI14__hip_bfloat16S0_LN4vllm18Fp8KVCacheDataTypeE0EhLi16ELi64ELi256ELb1ELi10EEvPKT_PKT0_S8_ifPKiSA_SA_iPKfiiiPfSD_PS3_PT2_iSC_SC_,@function
_Z39paged_attention_ll4mi_QKV_mfma16_kernelI14__hip_bfloat16S0_LN4vllm18Fp8KVCacheDataTypeE0EhLi16ELi64ELi256ELb1ELi10EEvPKT_PKT0_S8_ifPKiSA_SA_iPKfiiiPfSD_PS3_PT2_iSC_SC_: ; @_Z39paged_attention_ll4mi_QKV_mfma16_kernelI14__hip_bfloat16S0_LN4vllm18Fp8KVCacheDataTypeE0EhLi16ELi64ELi256ELb1ELi10EEvPKT_PKT0_S8_ifPKiSA_SA_iPKfiiiPfSD_PS3_PT2_iSC_SC_
; %bb.0:
	s_get_pc_i64 s[2:3]
	s_add_nc_u64 s[2:3], s[2:3], __PRETTY_FUNCTION__._Z39paged_attention_ll4mi_QKV_mfma16_kernelI14__hip_bfloat16S0_LN4vllm18Fp8KVCacheDataTypeE0EhLi16ELi64ELi256ELb1ELi10EEvPKT_PKT0_S8_ifPKiSA_SA_iPKfiiiPfSD_PS3_PT2_iSC_SC_@rel64+4
	s_delay_alu instid0(SALU_CYCLE_1)
	v_dual_mov_b32 v0, 0xbb3 :: v_dual_mov_b32 v1, s2
	v_mov_b32_e32 v2, s3
	s_add_nc_u64 s[8:9], s[0:1], 0x90
	s_get_pc_i64 s[0:1]
	s_add_nc_u64 s[0:1], s[0:1], __assert_fail@rel64+4
	s_mov_b32 s32, 0
	s_swap_pc_i64 s[30:31], s[0:1]
	.section	.rodata,"a",@progbits
	.p2align	6, 0x0
	.amdhsa_kernel _Z39paged_attention_ll4mi_QKV_mfma16_kernelI14__hip_bfloat16S0_LN4vllm18Fp8KVCacheDataTypeE0EhLi16ELi64ELi256ELb1ELi10EEvPKT_PKT0_S8_ifPKiSA_SA_iPKfiiiPfSD_PS3_PT2_iSC_SC_
		.amdhsa_group_segment_fixed_size 0
		.amdhsa_private_segment_fixed_size 64
		.amdhsa_kernarg_size 400
		.amdhsa_user_sgpr_count 2
		.amdhsa_user_sgpr_dispatch_ptr 0
		.amdhsa_user_sgpr_queue_ptr 0
		.amdhsa_user_sgpr_kernarg_segment_ptr 1
		.amdhsa_user_sgpr_dispatch_id 0
		.amdhsa_user_sgpr_kernarg_preload_length 0
		.amdhsa_user_sgpr_kernarg_preload_offset 0
		.amdhsa_user_sgpr_private_segment_size 0
		.amdhsa_wavefront_size32 1
		.amdhsa_uses_dynamic_stack 0
		.amdhsa_enable_private_segment 1
		.amdhsa_system_sgpr_workgroup_id_x 1
		.amdhsa_system_sgpr_workgroup_id_y 0
		.amdhsa_system_sgpr_workgroup_id_z 0
		.amdhsa_system_sgpr_workgroup_info 0
		.amdhsa_system_vgpr_workitem_id 0
		.amdhsa_next_free_vgpr 51
		.amdhsa_next_free_sgpr 34
		.amdhsa_named_barrier_count 0
		.amdhsa_reserve_vcc 1
		.amdhsa_float_round_mode_32 0
		.amdhsa_float_round_mode_16_64 0
		.amdhsa_float_denorm_mode_32 3
		.amdhsa_float_denorm_mode_16_64 3
		.amdhsa_fp16_overflow 0
		.amdhsa_memory_ordered 1
		.amdhsa_forward_progress 1
		.amdhsa_inst_pref_size 1
		.amdhsa_round_robin_scheduling 0
		.amdhsa_exception_fp_ieee_invalid_op 0
		.amdhsa_exception_fp_denorm_src 0
		.amdhsa_exception_fp_ieee_div_zero 0
		.amdhsa_exception_fp_ieee_overflow 0
		.amdhsa_exception_fp_ieee_underflow 0
		.amdhsa_exception_fp_ieee_inexact 0
		.amdhsa_exception_int_div_zero 0
	.end_amdhsa_kernel
	.section	.text._Z39paged_attention_ll4mi_QKV_mfma16_kernelI14__hip_bfloat16S0_LN4vllm18Fp8KVCacheDataTypeE0EhLi16ELi64ELi256ELb1ELi10EEvPKT_PKT0_S8_ifPKiSA_SA_iPKfiiiPfSD_PS3_PT2_iSC_SC_,"axG",@progbits,_Z39paged_attention_ll4mi_QKV_mfma16_kernelI14__hip_bfloat16S0_LN4vllm18Fp8KVCacheDataTypeE0EhLi16ELi64ELi256ELb1ELi10EEvPKT_PKT0_S8_ifPKiSA_SA_iPKfiiiPfSD_PS3_PT2_iSC_SC_,comdat
.Lfunc_end395:
	.size	_Z39paged_attention_ll4mi_QKV_mfma16_kernelI14__hip_bfloat16S0_LN4vllm18Fp8KVCacheDataTypeE0EhLi16ELi64ELi256ELb1ELi10EEvPKT_PKT0_S8_ifPKiSA_SA_iPKfiiiPfSD_PS3_PT2_iSC_SC_, .Lfunc_end395-_Z39paged_attention_ll4mi_QKV_mfma16_kernelI14__hip_bfloat16S0_LN4vllm18Fp8KVCacheDataTypeE0EhLi16ELi64ELi256ELb1ELi10EEvPKT_PKT0_S8_ifPKiSA_SA_iPKfiiiPfSD_PS3_PT2_iSC_SC_
                                        ; -- End function
	.set _Z39paged_attention_ll4mi_QKV_mfma16_kernelI14__hip_bfloat16S0_LN4vllm18Fp8KVCacheDataTypeE0EhLi16ELi64ELi256ELb1ELi10EEvPKT_PKT0_S8_ifPKiSA_SA_iPKfiiiPfSD_PS3_PT2_iSC_SC_.num_vgpr, max(3, .L__assert_fail.num_vgpr)
	.set _Z39paged_attention_ll4mi_QKV_mfma16_kernelI14__hip_bfloat16S0_LN4vllm18Fp8KVCacheDataTypeE0EhLi16ELi64ELi256ELb1ELi10EEvPKT_PKT0_S8_ifPKiSA_SA_iPKfiiiPfSD_PS3_PT2_iSC_SC_.num_agpr, max(0, .L__assert_fail.num_agpr)
	.set _Z39paged_attention_ll4mi_QKV_mfma16_kernelI14__hip_bfloat16S0_LN4vllm18Fp8KVCacheDataTypeE0EhLi16ELi64ELi256ELb1ELi10EEvPKT_PKT0_S8_ifPKiSA_SA_iPKfiiiPfSD_PS3_PT2_iSC_SC_.numbered_sgpr, max(33, .L__assert_fail.numbered_sgpr)
	.set _Z39paged_attention_ll4mi_QKV_mfma16_kernelI14__hip_bfloat16S0_LN4vllm18Fp8KVCacheDataTypeE0EhLi16ELi64ELi256ELb1ELi10EEvPKT_PKT0_S8_ifPKiSA_SA_iPKfiiiPfSD_PS3_PT2_iSC_SC_.num_named_barrier, max(0, .L__assert_fail.num_named_barrier)
	.set _Z39paged_attention_ll4mi_QKV_mfma16_kernelI14__hip_bfloat16S0_LN4vllm18Fp8KVCacheDataTypeE0EhLi16ELi64ELi256ELb1ELi10EEvPKT_PKT0_S8_ifPKiSA_SA_iPKfiiiPfSD_PS3_PT2_iSC_SC_.private_seg_size, 0+max(.L__assert_fail.private_seg_size)
	.set _Z39paged_attention_ll4mi_QKV_mfma16_kernelI14__hip_bfloat16S0_LN4vllm18Fp8KVCacheDataTypeE0EhLi16ELi64ELi256ELb1ELi10EEvPKT_PKT0_S8_ifPKiSA_SA_iPKfiiiPfSD_PS3_PT2_iSC_SC_.uses_vcc, or(1, .L__assert_fail.uses_vcc)
	.set _Z39paged_attention_ll4mi_QKV_mfma16_kernelI14__hip_bfloat16S0_LN4vllm18Fp8KVCacheDataTypeE0EhLi16ELi64ELi256ELb1ELi10EEvPKT_PKT0_S8_ifPKiSA_SA_iPKfiiiPfSD_PS3_PT2_iSC_SC_.uses_flat_scratch, or(0, .L__assert_fail.uses_flat_scratch)
	.set _Z39paged_attention_ll4mi_QKV_mfma16_kernelI14__hip_bfloat16S0_LN4vllm18Fp8KVCacheDataTypeE0EhLi16ELi64ELi256ELb1ELi10EEvPKT_PKT0_S8_ifPKiSA_SA_iPKfiiiPfSD_PS3_PT2_iSC_SC_.has_dyn_sized_stack, or(0, .L__assert_fail.has_dyn_sized_stack)
	.set _Z39paged_attention_ll4mi_QKV_mfma16_kernelI14__hip_bfloat16S0_LN4vllm18Fp8KVCacheDataTypeE0EhLi16ELi64ELi256ELb1ELi10EEvPKT_PKT0_S8_ifPKiSA_SA_iPKfiiiPfSD_PS3_PT2_iSC_SC_.has_recursion, or(0, .L__assert_fail.has_recursion)
	.set _Z39paged_attention_ll4mi_QKV_mfma16_kernelI14__hip_bfloat16S0_LN4vllm18Fp8KVCacheDataTypeE0EhLi16ELi64ELi256ELb1ELi10EEvPKT_PKT0_S8_ifPKiSA_SA_iPKfiiiPfSD_PS3_PT2_iSC_SC_.has_indirect_call, or(0, .L__assert_fail.has_indirect_call)
	.section	.AMDGPU.csdata,"",@progbits
; Kernel info:
; codeLenInByte = 68
; TotalNumSgprs: 36
; NumVgprs: 51
; ScratchSize: 64
; MemoryBound: 0
; FloatMode: 240
; IeeeMode: 1
; LDSByteSize: 0 bytes/workgroup (compile time only)
; SGPRBlocks: 0
; VGPRBlocks: 3
; NumSGPRsForWavesPerEU: 36
; NumVGPRsForWavesPerEU: 51
; NamedBarCnt: 0
; Occupancy: 16
; WaveLimiterHint : 1
; COMPUTE_PGM_RSRC2:SCRATCH_EN: 1
; COMPUTE_PGM_RSRC2:USER_SGPR: 2
; COMPUTE_PGM_RSRC2:TRAP_HANDLER: 0
; COMPUTE_PGM_RSRC2:TGID_X_EN: 1
; COMPUTE_PGM_RSRC2:TGID_Y_EN: 0
; COMPUTE_PGM_RSRC2:TGID_Z_EN: 0
; COMPUTE_PGM_RSRC2:TIDIG_COMP_CNT: 0
	.section	.text._Z39paged_attention_ll4mi_QKV_mfma16_kernelI14__hip_bfloat16S0_LN4vllm18Fp8KVCacheDataTypeE0EhLi16ELi64ELi256ELb1ELi11EEvPKT_PKT0_S8_ifPKiSA_SA_iPKfiiiPfSD_PS3_PT2_iSC_SC_,"axG",@progbits,_Z39paged_attention_ll4mi_QKV_mfma16_kernelI14__hip_bfloat16S0_LN4vllm18Fp8KVCacheDataTypeE0EhLi16ELi64ELi256ELb1ELi11EEvPKT_PKT0_S8_ifPKiSA_SA_iPKfiiiPfSD_PS3_PT2_iSC_SC_,comdat
	.protected	_Z39paged_attention_ll4mi_QKV_mfma16_kernelI14__hip_bfloat16S0_LN4vllm18Fp8KVCacheDataTypeE0EhLi16ELi64ELi256ELb1ELi11EEvPKT_PKT0_S8_ifPKiSA_SA_iPKfiiiPfSD_PS3_PT2_iSC_SC_ ; -- Begin function _Z39paged_attention_ll4mi_QKV_mfma16_kernelI14__hip_bfloat16S0_LN4vllm18Fp8KVCacheDataTypeE0EhLi16ELi64ELi256ELb1ELi11EEvPKT_PKT0_S8_ifPKiSA_SA_iPKfiiiPfSD_PS3_PT2_iSC_SC_
	.globl	_Z39paged_attention_ll4mi_QKV_mfma16_kernelI14__hip_bfloat16S0_LN4vllm18Fp8KVCacheDataTypeE0EhLi16ELi64ELi256ELb1ELi11EEvPKT_PKT0_S8_ifPKiSA_SA_iPKfiiiPfSD_PS3_PT2_iSC_SC_
	.p2align	8
	.type	_Z39paged_attention_ll4mi_QKV_mfma16_kernelI14__hip_bfloat16S0_LN4vllm18Fp8KVCacheDataTypeE0EhLi16ELi64ELi256ELb1ELi11EEvPKT_PKT0_S8_ifPKiSA_SA_iPKfiiiPfSD_PS3_PT2_iSC_SC_,@function
_Z39paged_attention_ll4mi_QKV_mfma16_kernelI14__hip_bfloat16S0_LN4vllm18Fp8KVCacheDataTypeE0EhLi16ELi64ELi256ELb1ELi11EEvPKT_PKT0_S8_ifPKiSA_SA_iPKfiiiPfSD_PS3_PT2_iSC_SC_: ; @_Z39paged_attention_ll4mi_QKV_mfma16_kernelI14__hip_bfloat16S0_LN4vllm18Fp8KVCacheDataTypeE0EhLi16ELi64ELi256ELb1ELi11EEvPKT_PKT0_S8_ifPKiSA_SA_iPKfiiiPfSD_PS3_PT2_iSC_SC_
; %bb.0:
	s_get_pc_i64 s[2:3]
	s_add_nc_u64 s[2:3], s[2:3], __PRETTY_FUNCTION__._Z39paged_attention_ll4mi_QKV_mfma16_kernelI14__hip_bfloat16S0_LN4vllm18Fp8KVCacheDataTypeE0EhLi16ELi64ELi256ELb1ELi11EEvPKT_PKT0_S8_ifPKiSA_SA_iPKfiiiPfSD_PS3_PT2_iSC_SC_@rel64+4
	s_delay_alu instid0(SALU_CYCLE_1)
	v_dual_mov_b32 v0, 0xbb3 :: v_dual_mov_b32 v1, s2
	v_mov_b32_e32 v2, s3
	s_add_nc_u64 s[8:9], s[0:1], 0x90
	s_get_pc_i64 s[0:1]
	s_add_nc_u64 s[0:1], s[0:1], __assert_fail@rel64+4
	s_mov_b32 s32, 0
	s_swap_pc_i64 s[30:31], s[0:1]
	.section	.rodata,"a",@progbits
	.p2align	6, 0x0
	.amdhsa_kernel _Z39paged_attention_ll4mi_QKV_mfma16_kernelI14__hip_bfloat16S0_LN4vllm18Fp8KVCacheDataTypeE0EhLi16ELi64ELi256ELb1ELi11EEvPKT_PKT0_S8_ifPKiSA_SA_iPKfiiiPfSD_PS3_PT2_iSC_SC_
		.amdhsa_group_segment_fixed_size 0
		.amdhsa_private_segment_fixed_size 64
		.amdhsa_kernarg_size 400
		.amdhsa_user_sgpr_count 2
		.amdhsa_user_sgpr_dispatch_ptr 0
		.amdhsa_user_sgpr_queue_ptr 0
		.amdhsa_user_sgpr_kernarg_segment_ptr 1
		.amdhsa_user_sgpr_dispatch_id 0
		.amdhsa_user_sgpr_kernarg_preload_length 0
		.amdhsa_user_sgpr_kernarg_preload_offset 0
		.amdhsa_user_sgpr_private_segment_size 0
		.amdhsa_wavefront_size32 1
		.amdhsa_uses_dynamic_stack 0
		.amdhsa_enable_private_segment 1
		.amdhsa_system_sgpr_workgroup_id_x 1
		.amdhsa_system_sgpr_workgroup_id_y 0
		.amdhsa_system_sgpr_workgroup_id_z 0
		.amdhsa_system_sgpr_workgroup_info 0
		.amdhsa_system_vgpr_workitem_id 0
		.amdhsa_next_free_vgpr 51
		.amdhsa_next_free_sgpr 34
		.amdhsa_named_barrier_count 0
		.amdhsa_reserve_vcc 1
		.amdhsa_float_round_mode_32 0
		.amdhsa_float_round_mode_16_64 0
		.amdhsa_float_denorm_mode_32 3
		.amdhsa_float_denorm_mode_16_64 3
		.amdhsa_fp16_overflow 0
		.amdhsa_memory_ordered 1
		.amdhsa_forward_progress 1
		.amdhsa_inst_pref_size 1
		.amdhsa_round_robin_scheduling 0
		.amdhsa_exception_fp_ieee_invalid_op 0
		.amdhsa_exception_fp_denorm_src 0
		.amdhsa_exception_fp_ieee_div_zero 0
		.amdhsa_exception_fp_ieee_overflow 0
		.amdhsa_exception_fp_ieee_underflow 0
		.amdhsa_exception_fp_ieee_inexact 0
		.amdhsa_exception_int_div_zero 0
	.end_amdhsa_kernel
	.section	.text._Z39paged_attention_ll4mi_QKV_mfma16_kernelI14__hip_bfloat16S0_LN4vllm18Fp8KVCacheDataTypeE0EhLi16ELi64ELi256ELb1ELi11EEvPKT_PKT0_S8_ifPKiSA_SA_iPKfiiiPfSD_PS3_PT2_iSC_SC_,"axG",@progbits,_Z39paged_attention_ll4mi_QKV_mfma16_kernelI14__hip_bfloat16S0_LN4vllm18Fp8KVCacheDataTypeE0EhLi16ELi64ELi256ELb1ELi11EEvPKT_PKT0_S8_ifPKiSA_SA_iPKfiiiPfSD_PS3_PT2_iSC_SC_,comdat
.Lfunc_end396:
	.size	_Z39paged_attention_ll4mi_QKV_mfma16_kernelI14__hip_bfloat16S0_LN4vllm18Fp8KVCacheDataTypeE0EhLi16ELi64ELi256ELb1ELi11EEvPKT_PKT0_S8_ifPKiSA_SA_iPKfiiiPfSD_PS3_PT2_iSC_SC_, .Lfunc_end396-_Z39paged_attention_ll4mi_QKV_mfma16_kernelI14__hip_bfloat16S0_LN4vllm18Fp8KVCacheDataTypeE0EhLi16ELi64ELi256ELb1ELi11EEvPKT_PKT0_S8_ifPKiSA_SA_iPKfiiiPfSD_PS3_PT2_iSC_SC_
                                        ; -- End function
	.set _Z39paged_attention_ll4mi_QKV_mfma16_kernelI14__hip_bfloat16S0_LN4vllm18Fp8KVCacheDataTypeE0EhLi16ELi64ELi256ELb1ELi11EEvPKT_PKT0_S8_ifPKiSA_SA_iPKfiiiPfSD_PS3_PT2_iSC_SC_.num_vgpr, max(3, .L__assert_fail.num_vgpr)
	.set _Z39paged_attention_ll4mi_QKV_mfma16_kernelI14__hip_bfloat16S0_LN4vllm18Fp8KVCacheDataTypeE0EhLi16ELi64ELi256ELb1ELi11EEvPKT_PKT0_S8_ifPKiSA_SA_iPKfiiiPfSD_PS3_PT2_iSC_SC_.num_agpr, max(0, .L__assert_fail.num_agpr)
	.set _Z39paged_attention_ll4mi_QKV_mfma16_kernelI14__hip_bfloat16S0_LN4vllm18Fp8KVCacheDataTypeE0EhLi16ELi64ELi256ELb1ELi11EEvPKT_PKT0_S8_ifPKiSA_SA_iPKfiiiPfSD_PS3_PT2_iSC_SC_.numbered_sgpr, max(33, .L__assert_fail.numbered_sgpr)
	.set _Z39paged_attention_ll4mi_QKV_mfma16_kernelI14__hip_bfloat16S0_LN4vllm18Fp8KVCacheDataTypeE0EhLi16ELi64ELi256ELb1ELi11EEvPKT_PKT0_S8_ifPKiSA_SA_iPKfiiiPfSD_PS3_PT2_iSC_SC_.num_named_barrier, max(0, .L__assert_fail.num_named_barrier)
	.set _Z39paged_attention_ll4mi_QKV_mfma16_kernelI14__hip_bfloat16S0_LN4vllm18Fp8KVCacheDataTypeE0EhLi16ELi64ELi256ELb1ELi11EEvPKT_PKT0_S8_ifPKiSA_SA_iPKfiiiPfSD_PS3_PT2_iSC_SC_.private_seg_size, 0+max(.L__assert_fail.private_seg_size)
	.set _Z39paged_attention_ll4mi_QKV_mfma16_kernelI14__hip_bfloat16S0_LN4vllm18Fp8KVCacheDataTypeE0EhLi16ELi64ELi256ELb1ELi11EEvPKT_PKT0_S8_ifPKiSA_SA_iPKfiiiPfSD_PS3_PT2_iSC_SC_.uses_vcc, or(1, .L__assert_fail.uses_vcc)
	.set _Z39paged_attention_ll4mi_QKV_mfma16_kernelI14__hip_bfloat16S0_LN4vllm18Fp8KVCacheDataTypeE0EhLi16ELi64ELi256ELb1ELi11EEvPKT_PKT0_S8_ifPKiSA_SA_iPKfiiiPfSD_PS3_PT2_iSC_SC_.uses_flat_scratch, or(0, .L__assert_fail.uses_flat_scratch)
	.set _Z39paged_attention_ll4mi_QKV_mfma16_kernelI14__hip_bfloat16S0_LN4vllm18Fp8KVCacheDataTypeE0EhLi16ELi64ELi256ELb1ELi11EEvPKT_PKT0_S8_ifPKiSA_SA_iPKfiiiPfSD_PS3_PT2_iSC_SC_.has_dyn_sized_stack, or(0, .L__assert_fail.has_dyn_sized_stack)
	.set _Z39paged_attention_ll4mi_QKV_mfma16_kernelI14__hip_bfloat16S0_LN4vllm18Fp8KVCacheDataTypeE0EhLi16ELi64ELi256ELb1ELi11EEvPKT_PKT0_S8_ifPKiSA_SA_iPKfiiiPfSD_PS3_PT2_iSC_SC_.has_recursion, or(0, .L__assert_fail.has_recursion)
	.set _Z39paged_attention_ll4mi_QKV_mfma16_kernelI14__hip_bfloat16S0_LN4vllm18Fp8KVCacheDataTypeE0EhLi16ELi64ELi256ELb1ELi11EEvPKT_PKT0_S8_ifPKiSA_SA_iPKfiiiPfSD_PS3_PT2_iSC_SC_.has_indirect_call, or(0, .L__assert_fail.has_indirect_call)
	.section	.AMDGPU.csdata,"",@progbits
; Kernel info:
; codeLenInByte = 68
; TotalNumSgprs: 36
; NumVgprs: 51
; ScratchSize: 64
; MemoryBound: 0
; FloatMode: 240
; IeeeMode: 1
; LDSByteSize: 0 bytes/workgroup (compile time only)
; SGPRBlocks: 0
; VGPRBlocks: 3
; NumSGPRsForWavesPerEU: 36
; NumVGPRsForWavesPerEU: 51
; NamedBarCnt: 0
; Occupancy: 16
; WaveLimiterHint : 1
; COMPUTE_PGM_RSRC2:SCRATCH_EN: 1
; COMPUTE_PGM_RSRC2:USER_SGPR: 2
; COMPUTE_PGM_RSRC2:TRAP_HANDLER: 0
; COMPUTE_PGM_RSRC2:TGID_X_EN: 1
; COMPUTE_PGM_RSRC2:TGID_Y_EN: 0
; COMPUTE_PGM_RSRC2:TGID_Z_EN: 0
; COMPUTE_PGM_RSRC2:TIDIG_COMP_CNT: 0
	.section	.text._Z39paged_attention_ll4mi_QKV_mfma16_kernelI14__hip_bfloat16S0_LN4vllm18Fp8KVCacheDataTypeE0EhLi16ELi64ELi256ELb1ELi12EEvPKT_PKT0_S8_ifPKiSA_SA_iPKfiiiPfSD_PS3_PT2_iSC_SC_,"axG",@progbits,_Z39paged_attention_ll4mi_QKV_mfma16_kernelI14__hip_bfloat16S0_LN4vllm18Fp8KVCacheDataTypeE0EhLi16ELi64ELi256ELb1ELi12EEvPKT_PKT0_S8_ifPKiSA_SA_iPKfiiiPfSD_PS3_PT2_iSC_SC_,comdat
	.protected	_Z39paged_attention_ll4mi_QKV_mfma16_kernelI14__hip_bfloat16S0_LN4vllm18Fp8KVCacheDataTypeE0EhLi16ELi64ELi256ELb1ELi12EEvPKT_PKT0_S8_ifPKiSA_SA_iPKfiiiPfSD_PS3_PT2_iSC_SC_ ; -- Begin function _Z39paged_attention_ll4mi_QKV_mfma16_kernelI14__hip_bfloat16S0_LN4vllm18Fp8KVCacheDataTypeE0EhLi16ELi64ELi256ELb1ELi12EEvPKT_PKT0_S8_ifPKiSA_SA_iPKfiiiPfSD_PS3_PT2_iSC_SC_
	.globl	_Z39paged_attention_ll4mi_QKV_mfma16_kernelI14__hip_bfloat16S0_LN4vllm18Fp8KVCacheDataTypeE0EhLi16ELi64ELi256ELb1ELi12EEvPKT_PKT0_S8_ifPKiSA_SA_iPKfiiiPfSD_PS3_PT2_iSC_SC_
	.p2align	8
	.type	_Z39paged_attention_ll4mi_QKV_mfma16_kernelI14__hip_bfloat16S0_LN4vllm18Fp8KVCacheDataTypeE0EhLi16ELi64ELi256ELb1ELi12EEvPKT_PKT0_S8_ifPKiSA_SA_iPKfiiiPfSD_PS3_PT2_iSC_SC_,@function
_Z39paged_attention_ll4mi_QKV_mfma16_kernelI14__hip_bfloat16S0_LN4vllm18Fp8KVCacheDataTypeE0EhLi16ELi64ELi256ELb1ELi12EEvPKT_PKT0_S8_ifPKiSA_SA_iPKfiiiPfSD_PS3_PT2_iSC_SC_: ; @_Z39paged_attention_ll4mi_QKV_mfma16_kernelI14__hip_bfloat16S0_LN4vllm18Fp8KVCacheDataTypeE0EhLi16ELi64ELi256ELb1ELi12EEvPKT_PKT0_S8_ifPKiSA_SA_iPKfiiiPfSD_PS3_PT2_iSC_SC_
; %bb.0:
	s_get_pc_i64 s[2:3]
	s_add_nc_u64 s[2:3], s[2:3], __PRETTY_FUNCTION__._Z39paged_attention_ll4mi_QKV_mfma16_kernelI14__hip_bfloat16S0_LN4vllm18Fp8KVCacheDataTypeE0EhLi16ELi64ELi256ELb1ELi12EEvPKT_PKT0_S8_ifPKiSA_SA_iPKfiiiPfSD_PS3_PT2_iSC_SC_@rel64+4
	s_delay_alu instid0(SALU_CYCLE_1)
	v_dual_mov_b32 v0, 0xbb3 :: v_dual_mov_b32 v1, s2
	v_mov_b32_e32 v2, s3
	s_add_nc_u64 s[8:9], s[0:1], 0x90
	s_get_pc_i64 s[0:1]
	s_add_nc_u64 s[0:1], s[0:1], __assert_fail@rel64+4
	s_mov_b32 s32, 0
	s_swap_pc_i64 s[30:31], s[0:1]
	.section	.rodata,"a",@progbits
	.p2align	6, 0x0
	.amdhsa_kernel _Z39paged_attention_ll4mi_QKV_mfma16_kernelI14__hip_bfloat16S0_LN4vllm18Fp8KVCacheDataTypeE0EhLi16ELi64ELi256ELb1ELi12EEvPKT_PKT0_S8_ifPKiSA_SA_iPKfiiiPfSD_PS3_PT2_iSC_SC_
		.amdhsa_group_segment_fixed_size 0
		.amdhsa_private_segment_fixed_size 64
		.amdhsa_kernarg_size 400
		.amdhsa_user_sgpr_count 2
		.amdhsa_user_sgpr_dispatch_ptr 0
		.amdhsa_user_sgpr_queue_ptr 0
		.amdhsa_user_sgpr_kernarg_segment_ptr 1
		.amdhsa_user_sgpr_dispatch_id 0
		.amdhsa_user_sgpr_kernarg_preload_length 0
		.amdhsa_user_sgpr_kernarg_preload_offset 0
		.amdhsa_user_sgpr_private_segment_size 0
		.amdhsa_wavefront_size32 1
		.amdhsa_uses_dynamic_stack 0
		.amdhsa_enable_private_segment 1
		.amdhsa_system_sgpr_workgroup_id_x 1
		.amdhsa_system_sgpr_workgroup_id_y 0
		.amdhsa_system_sgpr_workgroup_id_z 0
		.amdhsa_system_sgpr_workgroup_info 0
		.amdhsa_system_vgpr_workitem_id 0
		.amdhsa_next_free_vgpr 51
		.amdhsa_next_free_sgpr 34
		.amdhsa_named_barrier_count 0
		.amdhsa_reserve_vcc 1
		.amdhsa_float_round_mode_32 0
		.amdhsa_float_round_mode_16_64 0
		.amdhsa_float_denorm_mode_32 3
		.amdhsa_float_denorm_mode_16_64 3
		.amdhsa_fp16_overflow 0
		.amdhsa_memory_ordered 1
		.amdhsa_forward_progress 1
		.amdhsa_inst_pref_size 1
		.amdhsa_round_robin_scheduling 0
		.amdhsa_exception_fp_ieee_invalid_op 0
		.amdhsa_exception_fp_denorm_src 0
		.amdhsa_exception_fp_ieee_div_zero 0
		.amdhsa_exception_fp_ieee_overflow 0
		.amdhsa_exception_fp_ieee_underflow 0
		.amdhsa_exception_fp_ieee_inexact 0
		.amdhsa_exception_int_div_zero 0
	.end_amdhsa_kernel
	.section	.text._Z39paged_attention_ll4mi_QKV_mfma16_kernelI14__hip_bfloat16S0_LN4vllm18Fp8KVCacheDataTypeE0EhLi16ELi64ELi256ELb1ELi12EEvPKT_PKT0_S8_ifPKiSA_SA_iPKfiiiPfSD_PS3_PT2_iSC_SC_,"axG",@progbits,_Z39paged_attention_ll4mi_QKV_mfma16_kernelI14__hip_bfloat16S0_LN4vllm18Fp8KVCacheDataTypeE0EhLi16ELi64ELi256ELb1ELi12EEvPKT_PKT0_S8_ifPKiSA_SA_iPKfiiiPfSD_PS3_PT2_iSC_SC_,comdat
.Lfunc_end397:
	.size	_Z39paged_attention_ll4mi_QKV_mfma16_kernelI14__hip_bfloat16S0_LN4vllm18Fp8KVCacheDataTypeE0EhLi16ELi64ELi256ELb1ELi12EEvPKT_PKT0_S8_ifPKiSA_SA_iPKfiiiPfSD_PS3_PT2_iSC_SC_, .Lfunc_end397-_Z39paged_attention_ll4mi_QKV_mfma16_kernelI14__hip_bfloat16S0_LN4vllm18Fp8KVCacheDataTypeE0EhLi16ELi64ELi256ELb1ELi12EEvPKT_PKT0_S8_ifPKiSA_SA_iPKfiiiPfSD_PS3_PT2_iSC_SC_
                                        ; -- End function
	.set _Z39paged_attention_ll4mi_QKV_mfma16_kernelI14__hip_bfloat16S0_LN4vllm18Fp8KVCacheDataTypeE0EhLi16ELi64ELi256ELb1ELi12EEvPKT_PKT0_S8_ifPKiSA_SA_iPKfiiiPfSD_PS3_PT2_iSC_SC_.num_vgpr, max(3, .L__assert_fail.num_vgpr)
	.set _Z39paged_attention_ll4mi_QKV_mfma16_kernelI14__hip_bfloat16S0_LN4vllm18Fp8KVCacheDataTypeE0EhLi16ELi64ELi256ELb1ELi12EEvPKT_PKT0_S8_ifPKiSA_SA_iPKfiiiPfSD_PS3_PT2_iSC_SC_.num_agpr, max(0, .L__assert_fail.num_agpr)
	.set _Z39paged_attention_ll4mi_QKV_mfma16_kernelI14__hip_bfloat16S0_LN4vllm18Fp8KVCacheDataTypeE0EhLi16ELi64ELi256ELb1ELi12EEvPKT_PKT0_S8_ifPKiSA_SA_iPKfiiiPfSD_PS3_PT2_iSC_SC_.numbered_sgpr, max(33, .L__assert_fail.numbered_sgpr)
	.set _Z39paged_attention_ll4mi_QKV_mfma16_kernelI14__hip_bfloat16S0_LN4vllm18Fp8KVCacheDataTypeE0EhLi16ELi64ELi256ELb1ELi12EEvPKT_PKT0_S8_ifPKiSA_SA_iPKfiiiPfSD_PS3_PT2_iSC_SC_.num_named_barrier, max(0, .L__assert_fail.num_named_barrier)
	.set _Z39paged_attention_ll4mi_QKV_mfma16_kernelI14__hip_bfloat16S0_LN4vllm18Fp8KVCacheDataTypeE0EhLi16ELi64ELi256ELb1ELi12EEvPKT_PKT0_S8_ifPKiSA_SA_iPKfiiiPfSD_PS3_PT2_iSC_SC_.private_seg_size, 0+max(.L__assert_fail.private_seg_size)
	.set _Z39paged_attention_ll4mi_QKV_mfma16_kernelI14__hip_bfloat16S0_LN4vllm18Fp8KVCacheDataTypeE0EhLi16ELi64ELi256ELb1ELi12EEvPKT_PKT0_S8_ifPKiSA_SA_iPKfiiiPfSD_PS3_PT2_iSC_SC_.uses_vcc, or(1, .L__assert_fail.uses_vcc)
	.set _Z39paged_attention_ll4mi_QKV_mfma16_kernelI14__hip_bfloat16S0_LN4vllm18Fp8KVCacheDataTypeE0EhLi16ELi64ELi256ELb1ELi12EEvPKT_PKT0_S8_ifPKiSA_SA_iPKfiiiPfSD_PS3_PT2_iSC_SC_.uses_flat_scratch, or(0, .L__assert_fail.uses_flat_scratch)
	.set _Z39paged_attention_ll4mi_QKV_mfma16_kernelI14__hip_bfloat16S0_LN4vllm18Fp8KVCacheDataTypeE0EhLi16ELi64ELi256ELb1ELi12EEvPKT_PKT0_S8_ifPKiSA_SA_iPKfiiiPfSD_PS3_PT2_iSC_SC_.has_dyn_sized_stack, or(0, .L__assert_fail.has_dyn_sized_stack)
	.set _Z39paged_attention_ll4mi_QKV_mfma16_kernelI14__hip_bfloat16S0_LN4vllm18Fp8KVCacheDataTypeE0EhLi16ELi64ELi256ELb1ELi12EEvPKT_PKT0_S8_ifPKiSA_SA_iPKfiiiPfSD_PS3_PT2_iSC_SC_.has_recursion, or(0, .L__assert_fail.has_recursion)
	.set _Z39paged_attention_ll4mi_QKV_mfma16_kernelI14__hip_bfloat16S0_LN4vllm18Fp8KVCacheDataTypeE0EhLi16ELi64ELi256ELb1ELi12EEvPKT_PKT0_S8_ifPKiSA_SA_iPKfiiiPfSD_PS3_PT2_iSC_SC_.has_indirect_call, or(0, .L__assert_fail.has_indirect_call)
	.section	.AMDGPU.csdata,"",@progbits
; Kernel info:
; codeLenInByte = 68
; TotalNumSgprs: 36
; NumVgprs: 51
; ScratchSize: 64
; MemoryBound: 0
; FloatMode: 240
; IeeeMode: 1
; LDSByteSize: 0 bytes/workgroup (compile time only)
; SGPRBlocks: 0
; VGPRBlocks: 3
; NumSGPRsForWavesPerEU: 36
; NumVGPRsForWavesPerEU: 51
; NamedBarCnt: 0
; Occupancy: 16
; WaveLimiterHint : 1
; COMPUTE_PGM_RSRC2:SCRATCH_EN: 1
; COMPUTE_PGM_RSRC2:USER_SGPR: 2
; COMPUTE_PGM_RSRC2:TRAP_HANDLER: 0
; COMPUTE_PGM_RSRC2:TGID_X_EN: 1
; COMPUTE_PGM_RSRC2:TGID_Y_EN: 0
; COMPUTE_PGM_RSRC2:TGID_Z_EN: 0
; COMPUTE_PGM_RSRC2:TIDIG_COMP_CNT: 0
	.section	.text._Z39paged_attention_ll4mi_QKV_mfma16_kernelI14__hip_bfloat16S0_LN4vllm18Fp8KVCacheDataTypeE0EhLi16ELi64ELi256ELb1ELi13EEvPKT_PKT0_S8_ifPKiSA_SA_iPKfiiiPfSD_PS3_PT2_iSC_SC_,"axG",@progbits,_Z39paged_attention_ll4mi_QKV_mfma16_kernelI14__hip_bfloat16S0_LN4vllm18Fp8KVCacheDataTypeE0EhLi16ELi64ELi256ELb1ELi13EEvPKT_PKT0_S8_ifPKiSA_SA_iPKfiiiPfSD_PS3_PT2_iSC_SC_,comdat
	.protected	_Z39paged_attention_ll4mi_QKV_mfma16_kernelI14__hip_bfloat16S0_LN4vllm18Fp8KVCacheDataTypeE0EhLi16ELi64ELi256ELb1ELi13EEvPKT_PKT0_S8_ifPKiSA_SA_iPKfiiiPfSD_PS3_PT2_iSC_SC_ ; -- Begin function _Z39paged_attention_ll4mi_QKV_mfma16_kernelI14__hip_bfloat16S0_LN4vllm18Fp8KVCacheDataTypeE0EhLi16ELi64ELi256ELb1ELi13EEvPKT_PKT0_S8_ifPKiSA_SA_iPKfiiiPfSD_PS3_PT2_iSC_SC_
	.globl	_Z39paged_attention_ll4mi_QKV_mfma16_kernelI14__hip_bfloat16S0_LN4vllm18Fp8KVCacheDataTypeE0EhLi16ELi64ELi256ELb1ELi13EEvPKT_PKT0_S8_ifPKiSA_SA_iPKfiiiPfSD_PS3_PT2_iSC_SC_
	.p2align	8
	.type	_Z39paged_attention_ll4mi_QKV_mfma16_kernelI14__hip_bfloat16S0_LN4vllm18Fp8KVCacheDataTypeE0EhLi16ELi64ELi256ELb1ELi13EEvPKT_PKT0_S8_ifPKiSA_SA_iPKfiiiPfSD_PS3_PT2_iSC_SC_,@function
_Z39paged_attention_ll4mi_QKV_mfma16_kernelI14__hip_bfloat16S0_LN4vllm18Fp8KVCacheDataTypeE0EhLi16ELi64ELi256ELb1ELi13EEvPKT_PKT0_S8_ifPKiSA_SA_iPKfiiiPfSD_PS3_PT2_iSC_SC_: ; @_Z39paged_attention_ll4mi_QKV_mfma16_kernelI14__hip_bfloat16S0_LN4vllm18Fp8KVCacheDataTypeE0EhLi16ELi64ELi256ELb1ELi13EEvPKT_PKT0_S8_ifPKiSA_SA_iPKfiiiPfSD_PS3_PT2_iSC_SC_
; %bb.0:
	s_get_pc_i64 s[2:3]
	s_add_nc_u64 s[2:3], s[2:3], __PRETTY_FUNCTION__._Z39paged_attention_ll4mi_QKV_mfma16_kernelI14__hip_bfloat16S0_LN4vllm18Fp8KVCacheDataTypeE0EhLi16ELi64ELi256ELb1ELi13EEvPKT_PKT0_S8_ifPKiSA_SA_iPKfiiiPfSD_PS3_PT2_iSC_SC_@rel64+4
	s_delay_alu instid0(SALU_CYCLE_1)
	v_dual_mov_b32 v0, 0xbb3 :: v_dual_mov_b32 v1, s2
	v_mov_b32_e32 v2, s3
	s_add_nc_u64 s[8:9], s[0:1], 0x90
	s_get_pc_i64 s[0:1]
	s_add_nc_u64 s[0:1], s[0:1], __assert_fail@rel64+4
	s_mov_b32 s32, 0
	s_swap_pc_i64 s[30:31], s[0:1]
	.section	.rodata,"a",@progbits
	.p2align	6, 0x0
	.amdhsa_kernel _Z39paged_attention_ll4mi_QKV_mfma16_kernelI14__hip_bfloat16S0_LN4vllm18Fp8KVCacheDataTypeE0EhLi16ELi64ELi256ELb1ELi13EEvPKT_PKT0_S8_ifPKiSA_SA_iPKfiiiPfSD_PS3_PT2_iSC_SC_
		.amdhsa_group_segment_fixed_size 0
		.amdhsa_private_segment_fixed_size 64
		.amdhsa_kernarg_size 400
		.amdhsa_user_sgpr_count 2
		.amdhsa_user_sgpr_dispatch_ptr 0
		.amdhsa_user_sgpr_queue_ptr 0
		.amdhsa_user_sgpr_kernarg_segment_ptr 1
		.amdhsa_user_sgpr_dispatch_id 0
		.amdhsa_user_sgpr_kernarg_preload_length 0
		.amdhsa_user_sgpr_kernarg_preload_offset 0
		.amdhsa_user_sgpr_private_segment_size 0
		.amdhsa_wavefront_size32 1
		.amdhsa_uses_dynamic_stack 0
		.amdhsa_enable_private_segment 1
		.amdhsa_system_sgpr_workgroup_id_x 1
		.amdhsa_system_sgpr_workgroup_id_y 0
		.amdhsa_system_sgpr_workgroup_id_z 0
		.amdhsa_system_sgpr_workgroup_info 0
		.amdhsa_system_vgpr_workitem_id 0
		.amdhsa_next_free_vgpr 51
		.amdhsa_next_free_sgpr 34
		.amdhsa_named_barrier_count 0
		.amdhsa_reserve_vcc 1
		.amdhsa_float_round_mode_32 0
		.amdhsa_float_round_mode_16_64 0
		.amdhsa_float_denorm_mode_32 3
		.amdhsa_float_denorm_mode_16_64 3
		.amdhsa_fp16_overflow 0
		.amdhsa_memory_ordered 1
		.amdhsa_forward_progress 1
		.amdhsa_inst_pref_size 1
		.amdhsa_round_robin_scheduling 0
		.amdhsa_exception_fp_ieee_invalid_op 0
		.amdhsa_exception_fp_denorm_src 0
		.amdhsa_exception_fp_ieee_div_zero 0
		.amdhsa_exception_fp_ieee_overflow 0
		.amdhsa_exception_fp_ieee_underflow 0
		.amdhsa_exception_fp_ieee_inexact 0
		.amdhsa_exception_int_div_zero 0
	.end_amdhsa_kernel
	.section	.text._Z39paged_attention_ll4mi_QKV_mfma16_kernelI14__hip_bfloat16S0_LN4vllm18Fp8KVCacheDataTypeE0EhLi16ELi64ELi256ELb1ELi13EEvPKT_PKT0_S8_ifPKiSA_SA_iPKfiiiPfSD_PS3_PT2_iSC_SC_,"axG",@progbits,_Z39paged_attention_ll4mi_QKV_mfma16_kernelI14__hip_bfloat16S0_LN4vllm18Fp8KVCacheDataTypeE0EhLi16ELi64ELi256ELb1ELi13EEvPKT_PKT0_S8_ifPKiSA_SA_iPKfiiiPfSD_PS3_PT2_iSC_SC_,comdat
.Lfunc_end398:
	.size	_Z39paged_attention_ll4mi_QKV_mfma16_kernelI14__hip_bfloat16S0_LN4vllm18Fp8KVCacheDataTypeE0EhLi16ELi64ELi256ELb1ELi13EEvPKT_PKT0_S8_ifPKiSA_SA_iPKfiiiPfSD_PS3_PT2_iSC_SC_, .Lfunc_end398-_Z39paged_attention_ll4mi_QKV_mfma16_kernelI14__hip_bfloat16S0_LN4vllm18Fp8KVCacheDataTypeE0EhLi16ELi64ELi256ELb1ELi13EEvPKT_PKT0_S8_ifPKiSA_SA_iPKfiiiPfSD_PS3_PT2_iSC_SC_
                                        ; -- End function
	.set _Z39paged_attention_ll4mi_QKV_mfma16_kernelI14__hip_bfloat16S0_LN4vllm18Fp8KVCacheDataTypeE0EhLi16ELi64ELi256ELb1ELi13EEvPKT_PKT0_S8_ifPKiSA_SA_iPKfiiiPfSD_PS3_PT2_iSC_SC_.num_vgpr, max(3, .L__assert_fail.num_vgpr)
	.set _Z39paged_attention_ll4mi_QKV_mfma16_kernelI14__hip_bfloat16S0_LN4vllm18Fp8KVCacheDataTypeE0EhLi16ELi64ELi256ELb1ELi13EEvPKT_PKT0_S8_ifPKiSA_SA_iPKfiiiPfSD_PS3_PT2_iSC_SC_.num_agpr, max(0, .L__assert_fail.num_agpr)
	.set _Z39paged_attention_ll4mi_QKV_mfma16_kernelI14__hip_bfloat16S0_LN4vllm18Fp8KVCacheDataTypeE0EhLi16ELi64ELi256ELb1ELi13EEvPKT_PKT0_S8_ifPKiSA_SA_iPKfiiiPfSD_PS3_PT2_iSC_SC_.numbered_sgpr, max(33, .L__assert_fail.numbered_sgpr)
	.set _Z39paged_attention_ll4mi_QKV_mfma16_kernelI14__hip_bfloat16S0_LN4vllm18Fp8KVCacheDataTypeE0EhLi16ELi64ELi256ELb1ELi13EEvPKT_PKT0_S8_ifPKiSA_SA_iPKfiiiPfSD_PS3_PT2_iSC_SC_.num_named_barrier, max(0, .L__assert_fail.num_named_barrier)
	.set _Z39paged_attention_ll4mi_QKV_mfma16_kernelI14__hip_bfloat16S0_LN4vllm18Fp8KVCacheDataTypeE0EhLi16ELi64ELi256ELb1ELi13EEvPKT_PKT0_S8_ifPKiSA_SA_iPKfiiiPfSD_PS3_PT2_iSC_SC_.private_seg_size, 0+max(.L__assert_fail.private_seg_size)
	.set _Z39paged_attention_ll4mi_QKV_mfma16_kernelI14__hip_bfloat16S0_LN4vllm18Fp8KVCacheDataTypeE0EhLi16ELi64ELi256ELb1ELi13EEvPKT_PKT0_S8_ifPKiSA_SA_iPKfiiiPfSD_PS3_PT2_iSC_SC_.uses_vcc, or(1, .L__assert_fail.uses_vcc)
	.set _Z39paged_attention_ll4mi_QKV_mfma16_kernelI14__hip_bfloat16S0_LN4vllm18Fp8KVCacheDataTypeE0EhLi16ELi64ELi256ELb1ELi13EEvPKT_PKT0_S8_ifPKiSA_SA_iPKfiiiPfSD_PS3_PT2_iSC_SC_.uses_flat_scratch, or(0, .L__assert_fail.uses_flat_scratch)
	.set _Z39paged_attention_ll4mi_QKV_mfma16_kernelI14__hip_bfloat16S0_LN4vllm18Fp8KVCacheDataTypeE0EhLi16ELi64ELi256ELb1ELi13EEvPKT_PKT0_S8_ifPKiSA_SA_iPKfiiiPfSD_PS3_PT2_iSC_SC_.has_dyn_sized_stack, or(0, .L__assert_fail.has_dyn_sized_stack)
	.set _Z39paged_attention_ll4mi_QKV_mfma16_kernelI14__hip_bfloat16S0_LN4vllm18Fp8KVCacheDataTypeE0EhLi16ELi64ELi256ELb1ELi13EEvPKT_PKT0_S8_ifPKiSA_SA_iPKfiiiPfSD_PS3_PT2_iSC_SC_.has_recursion, or(0, .L__assert_fail.has_recursion)
	.set _Z39paged_attention_ll4mi_QKV_mfma16_kernelI14__hip_bfloat16S0_LN4vllm18Fp8KVCacheDataTypeE0EhLi16ELi64ELi256ELb1ELi13EEvPKT_PKT0_S8_ifPKiSA_SA_iPKfiiiPfSD_PS3_PT2_iSC_SC_.has_indirect_call, or(0, .L__assert_fail.has_indirect_call)
	.section	.AMDGPU.csdata,"",@progbits
; Kernel info:
; codeLenInByte = 68
; TotalNumSgprs: 36
; NumVgprs: 51
; ScratchSize: 64
; MemoryBound: 0
; FloatMode: 240
; IeeeMode: 1
; LDSByteSize: 0 bytes/workgroup (compile time only)
; SGPRBlocks: 0
; VGPRBlocks: 3
; NumSGPRsForWavesPerEU: 36
; NumVGPRsForWavesPerEU: 51
; NamedBarCnt: 0
; Occupancy: 16
; WaveLimiterHint : 1
; COMPUTE_PGM_RSRC2:SCRATCH_EN: 1
; COMPUTE_PGM_RSRC2:USER_SGPR: 2
; COMPUTE_PGM_RSRC2:TRAP_HANDLER: 0
; COMPUTE_PGM_RSRC2:TGID_X_EN: 1
; COMPUTE_PGM_RSRC2:TGID_Y_EN: 0
; COMPUTE_PGM_RSRC2:TGID_Z_EN: 0
; COMPUTE_PGM_RSRC2:TIDIG_COMP_CNT: 0
	.section	.text._Z39paged_attention_ll4mi_QKV_mfma16_kernelI14__hip_bfloat16S0_LN4vllm18Fp8KVCacheDataTypeE0EhLi16ELi64ELi256ELb1ELi14EEvPKT_PKT0_S8_ifPKiSA_SA_iPKfiiiPfSD_PS3_PT2_iSC_SC_,"axG",@progbits,_Z39paged_attention_ll4mi_QKV_mfma16_kernelI14__hip_bfloat16S0_LN4vllm18Fp8KVCacheDataTypeE0EhLi16ELi64ELi256ELb1ELi14EEvPKT_PKT0_S8_ifPKiSA_SA_iPKfiiiPfSD_PS3_PT2_iSC_SC_,comdat
	.protected	_Z39paged_attention_ll4mi_QKV_mfma16_kernelI14__hip_bfloat16S0_LN4vllm18Fp8KVCacheDataTypeE0EhLi16ELi64ELi256ELb1ELi14EEvPKT_PKT0_S8_ifPKiSA_SA_iPKfiiiPfSD_PS3_PT2_iSC_SC_ ; -- Begin function _Z39paged_attention_ll4mi_QKV_mfma16_kernelI14__hip_bfloat16S0_LN4vllm18Fp8KVCacheDataTypeE0EhLi16ELi64ELi256ELb1ELi14EEvPKT_PKT0_S8_ifPKiSA_SA_iPKfiiiPfSD_PS3_PT2_iSC_SC_
	.globl	_Z39paged_attention_ll4mi_QKV_mfma16_kernelI14__hip_bfloat16S0_LN4vllm18Fp8KVCacheDataTypeE0EhLi16ELi64ELi256ELb1ELi14EEvPKT_PKT0_S8_ifPKiSA_SA_iPKfiiiPfSD_PS3_PT2_iSC_SC_
	.p2align	8
	.type	_Z39paged_attention_ll4mi_QKV_mfma16_kernelI14__hip_bfloat16S0_LN4vllm18Fp8KVCacheDataTypeE0EhLi16ELi64ELi256ELb1ELi14EEvPKT_PKT0_S8_ifPKiSA_SA_iPKfiiiPfSD_PS3_PT2_iSC_SC_,@function
_Z39paged_attention_ll4mi_QKV_mfma16_kernelI14__hip_bfloat16S0_LN4vllm18Fp8KVCacheDataTypeE0EhLi16ELi64ELi256ELb1ELi14EEvPKT_PKT0_S8_ifPKiSA_SA_iPKfiiiPfSD_PS3_PT2_iSC_SC_: ; @_Z39paged_attention_ll4mi_QKV_mfma16_kernelI14__hip_bfloat16S0_LN4vllm18Fp8KVCacheDataTypeE0EhLi16ELi64ELi256ELb1ELi14EEvPKT_PKT0_S8_ifPKiSA_SA_iPKfiiiPfSD_PS3_PT2_iSC_SC_
; %bb.0:
	s_get_pc_i64 s[2:3]
	s_add_nc_u64 s[2:3], s[2:3], __PRETTY_FUNCTION__._Z39paged_attention_ll4mi_QKV_mfma16_kernelI14__hip_bfloat16S0_LN4vllm18Fp8KVCacheDataTypeE0EhLi16ELi64ELi256ELb1ELi14EEvPKT_PKT0_S8_ifPKiSA_SA_iPKfiiiPfSD_PS3_PT2_iSC_SC_@rel64+4
	s_delay_alu instid0(SALU_CYCLE_1)
	v_dual_mov_b32 v0, 0xbb3 :: v_dual_mov_b32 v1, s2
	v_mov_b32_e32 v2, s3
	s_add_nc_u64 s[8:9], s[0:1], 0x90
	s_get_pc_i64 s[0:1]
	s_add_nc_u64 s[0:1], s[0:1], __assert_fail@rel64+4
	s_mov_b32 s32, 0
	s_swap_pc_i64 s[30:31], s[0:1]
	.section	.rodata,"a",@progbits
	.p2align	6, 0x0
	.amdhsa_kernel _Z39paged_attention_ll4mi_QKV_mfma16_kernelI14__hip_bfloat16S0_LN4vllm18Fp8KVCacheDataTypeE0EhLi16ELi64ELi256ELb1ELi14EEvPKT_PKT0_S8_ifPKiSA_SA_iPKfiiiPfSD_PS3_PT2_iSC_SC_
		.amdhsa_group_segment_fixed_size 0
		.amdhsa_private_segment_fixed_size 64
		.amdhsa_kernarg_size 400
		.amdhsa_user_sgpr_count 2
		.amdhsa_user_sgpr_dispatch_ptr 0
		.amdhsa_user_sgpr_queue_ptr 0
		.amdhsa_user_sgpr_kernarg_segment_ptr 1
		.amdhsa_user_sgpr_dispatch_id 0
		.amdhsa_user_sgpr_kernarg_preload_length 0
		.amdhsa_user_sgpr_kernarg_preload_offset 0
		.amdhsa_user_sgpr_private_segment_size 0
		.amdhsa_wavefront_size32 1
		.amdhsa_uses_dynamic_stack 0
		.amdhsa_enable_private_segment 1
		.amdhsa_system_sgpr_workgroup_id_x 1
		.amdhsa_system_sgpr_workgroup_id_y 0
		.amdhsa_system_sgpr_workgroup_id_z 0
		.amdhsa_system_sgpr_workgroup_info 0
		.amdhsa_system_vgpr_workitem_id 0
		.amdhsa_next_free_vgpr 51
		.amdhsa_next_free_sgpr 34
		.amdhsa_named_barrier_count 0
		.amdhsa_reserve_vcc 1
		.amdhsa_float_round_mode_32 0
		.amdhsa_float_round_mode_16_64 0
		.amdhsa_float_denorm_mode_32 3
		.amdhsa_float_denorm_mode_16_64 3
		.amdhsa_fp16_overflow 0
		.amdhsa_memory_ordered 1
		.amdhsa_forward_progress 1
		.amdhsa_inst_pref_size 1
		.amdhsa_round_robin_scheduling 0
		.amdhsa_exception_fp_ieee_invalid_op 0
		.amdhsa_exception_fp_denorm_src 0
		.amdhsa_exception_fp_ieee_div_zero 0
		.amdhsa_exception_fp_ieee_overflow 0
		.amdhsa_exception_fp_ieee_underflow 0
		.amdhsa_exception_fp_ieee_inexact 0
		.amdhsa_exception_int_div_zero 0
	.end_amdhsa_kernel
	.section	.text._Z39paged_attention_ll4mi_QKV_mfma16_kernelI14__hip_bfloat16S0_LN4vllm18Fp8KVCacheDataTypeE0EhLi16ELi64ELi256ELb1ELi14EEvPKT_PKT0_S8_ifPKiSA_SA_iPKfiiiPfSD_PS3_PT2_iSC_SC_,"axG",@progbits,_Z39paged_attention_ll4mi_QKV_mfma16_kernelI14__hip_bfloat16S0_LN4vllm18Fp8KVCacheDataTypeE0EhLi16ELi64ELi256ELb1ELi14EEvPKT_PKT0_S8_ifPKiSA_SA_iPKfiiiPfSD_PS3_PT2_iSC_SC_,comdat
.Lfunc_end399:
	.size	_Z39paged_attention_ll4mi_QKV_mfma16_kernelI14__hip_bfloat16S0_LN4vllm18Fp8KVCacheDataTypeE0EhLi16ELi64ELi256ELb1ELi14EEvPKT_PKT0_S8_ifPKiSA_SA_iPKfiiiPfSD_PS3_PT2_iSC_SC_, .Lfunc_end399-_Z39paged_attention_ll4mi_QKV_mfma16_kernelI14__hip_bfloat16S0_LN4vllm18Fp8KVCacheDataTypeE0EhLi16ELi64ELi256ELb1ELi14EEvPKT_PKT0_S8_ifPKiSA_SA_iPKfiiiPfSD_PS3_PT2_iSC_SC_
                                        ; -- End function
	.set _Z39paged_attention_ll4mi_QKV_mfma16_kernelI14__hip_bfloat16S0_LN4vllm18Fp8KVCacheDataTypeE0EhLi16ELi64ELi256ELb1ELi14EEvPKT_PKT0_S8_ifPKiSA_SA_iPKfiiiPfSD_PS3_PT2_iSC_SC_.num_vgpr, max(3, .L__assert_fail.num_vgpr)
	.set _Z39paged_attention_ll4mi_QKV_mfma16_kernelI14__hip_bfloat16S0_LN4vllm18Fp8KVCacheDataTypeE0EhLi16ELi64ELi256ELb1ELi14EEvPKT_PKT0_S8_ifPKiSA_SA_iPKfiiiPfSD_PS3_PT2_iSC_SC_.num_agpr, max(0, .L__assert_fail.num_agpr)
	.set _Z39paged_attention_ll4mi_QKV_mfma16_kernelI14__hip_bfloat16S0_LN4vllm18Fp8KVCacheDataTypeE0EhLi16ELi64ELi256ELb1ELi14EEvPKT_PKT0_S8_ifPKiSA_SA_iPKfiiiPfSD_PS3_PT2_iSC_SC_.numbered_sgpr, max(33, .L__assert_fail.numbered_sgpr)
	.set _Z39paged_attention_ll4mi_QKV_mfma16_kernelI14__hip_bfloat16S0_LN4vllm18Fp8KVCacheDataTypeE0EhLi16ELi64ELi256ELb1ELi14EEvPKT_PKT0_S8_ifPKiSA_SA_iPKfiiiPfSD_PS3_PT2_iSC_SC_.num_named_barrier, max(0, .L__assert_fail.num_named_barrier)
	.set _Z39paged_attention_ll4mi_QKV_mfma16_kernelI14__hip_bfloat16S0_LN4vllm18Fp8KVCacheDataTypeE0EhLi16ELi64ELi256ELb1ELi14EEvPKT_PKT0_S8_ifPKiSA_SA_iPKfiiiPfSD_PS3_PT2_iSC_SC_.private_seg_size, 0+max(.L__assert_fail.private_seg_size)
	.set _Z39paged_attention_ll4mi_QKV_mfma16_kernelI14__hip_bfloat16S0_LN4vllm18Fp8KVCacheDataTypeE0EhLi16ELi64ELi256ELb1ELi14EEvPKT_PKT0_S8_ifPKiSA_SA_iPKfiiiPfSD_PS3_PT2_iSC_SC_.uses_vcc, or(1, .L__assert_fail.uses_vcc)
	.set _Z39paged_attention_ll4mi_QKV_mfma16_kernelI14__hip_bfloat16S0_LN4vllm18Fp8KVCacheDataTypeE0EhLi16ELi64ELi256ELb1ELi14EEvPKT_PKT0_S8_ifPKiSA_SA_iPKfiiiPfSD_PS3_PT2_iSC_SC_.uses_flat_scratch, or(0, .L__assert_fail.uses_flat_scratch)
	.set _Z39paged_attention_ll4mi_QKV_mfma16_kernelI14__hip_bfloat16S0_LN4vllm18Fp8KVCacheDataTypeE0EhLi16ELi64ELi256ELb1ELi14EEvPKT_PKT0_S8_ifPKiSA_SA_iPKfiiiPfSD_PS3_PT2_iSC_SC_.has_dyn_sized_stack, or(0, .L__assert_fail.has_dyn_sized_stack)
	.set _Z39paged_attention_ll4mi_QKV_mfma16_kernelI14__hip_bfloat16S0_LN4vllm18Fp8KVCacheDataTypeE0EhLi16ELi64ELi256ELb1ELi14EEvPKT_PKT0_S8_ifPKiSA_SA_iPKfiiiPfSD_PS3_PT2_iSC_SC_.has_recursion, or(0, .L__assert_fail.has_recursion)
	.set _Z39paged_attention_ll4mi_QKV_mfma16_kernelI14__hip_bfloat16S0_LN4vllm18Fp8KVCacheDataTypeE0EhLi16ELi64ELi256ELb1ELi14EEvPKT_PKT0_S8_ifPKiSA_SA_iPKfiiiPfSD_PS3_PT2_iSC_SC_.has_indirect_call, or(0, .L__assert_fail.has_indirect_call)
	.section	.AMDGPU.csdata,"",@progbits
; Kernel info:
; codeLenInByte = 68
; TotalNumSgprs: 36
; NumVgprs: 51
; ScratchSize: 64
; MemoryBound: 0
; FloatMode: 240
; IeeeMode: 1
; LDSByteSize: 0 bytes/workgroup (compile time only)
; SGPRBlocks: 0
; VGPRBlocks: 3
; NumSGPRsForWavesPerEU: 36
; NumVGPRsForWavesPerEU: 51
; NamedBarCnt: 0
; Occupancy: 16
; WaveLimiterHint : 1
; COMPUTE_PGM_RSRC2:SCRATCH_EN: 1
; COMPUTE_PGM_RSRC2:USER_SGPR: 2
; COMPUTE_PGM_RSRC2:TRAP_HANDLER: 0
; COMPUTE_PGM_RSRC2:TGID_X_EN: 1
; COMPUTE_PGM_RSRC2:TGID_Y_EN: 0
; COMPUTE_PGM_RSRC2:TGID_Z_EN: 0
; COMPUTE_PGM_RSRC2:TIDIG_COMP_CNT: 0
	.section	.text._Z39paged_attention_ll4mi_QKV_mfma16_kernelI14__hip_bfloat16S0_LN4vllm18Fp8KVCacheDataTypeE0EhLi16ELi64ELi256ELb1ELi15EEvPKT_PKT0_S8_ifPKiSA_SA_iPKfiiiPfSD_PS3_PT2_iSC_SC_,"axG",@progbits,_Z39paged_attention_ll4mi_QKV_mfma16_kernelI14__hip_bfloat16S0_LN4vllm18Fp8KVCacheDataTypeE0EhLi16ELi64ELi256ELb1ELi15EEvPKT_PKT0_S8_ifPKiSA_SA_iPKfiiiPfSD_PS3_PT2_iSC_SC_,comdat
	.protected	_Z39paged_attention_ll4mi_QKV_mfma16_kernelI14__hip_bfloat16S0_LN4vllm18Fp8KVCacheDataTypeE0EhLi16ELi64ELi256ELb1ELi15EEvPKT_PKT0_S8_ifPKiSA_SA_iPKfiiiPfSD_PS3_PT2_iSC_SC_ ; -- Begin function _Z39paged_attention_ll4mi_QKV_mfma16_kernelI14__hip_bfloat16S0_LN4vllm18Fp8KVCacheDataTypeE0EhLi16ELi64ELi256ELb1ELi15EEvPKT_PKT0_S8_ifPKiSA_SA_iPKfiiiPfSD_PS3_PT2_iSC_SC_
	.globl	_Z39paged_attention_ll4mi_QKV_mfma16_kernelI14__hip_bfloat16S0_LN4vllm18Fp8KVCacheDataTypeE0EhLi16ELi64ELi256ELb1ELi15EEvPKT_PKT0_S8_ifPKiSA_SA_iPKfiiiPfSD_PS3_PT2_iSC_SC_
	.p2align	8
	.type	_Z39paged_attention_ll4mi_QKV_mfma16_kernelI14__hip_bfloat16S0_LN4vllm18Fp8KVCacheDataTypeE0EhLi16ELi64ELi256ELb1ELi15EEvPKT_PKT0_S8_ifPKiSA_SA_iPKfiiiPfSD_PS3_PT2_iSC_SC_,@function
_Z39paged_attention_ll4mi_QKV_mfma16_kernelI14__hip_bfloat16S0_LN4vllm18Fp8KVCacheDataTypeE0EhLi16ELi64ELi256ELb1ELi15EEvPKT_PKT0_S8_ifPKiSA_SA_iPKfiiiPfSD_PS3_PT2_iSC_SC_: ; @_Z39paged_attention_ll4mi_QKV_mfma16_kernelI14__hip_bfloat16S0_LN4vllm18Fp8KVCacheDataTypeE0EhLi16ELi64ELi256ELb1ELi15EEvPKT_PKT0_S8_ifPKiSA_SA_iPKfiiiPfSD_PS3_PT2_iSC_SC_
; %bb.0:
	s_get_pc_i64 s[2:3]
	s_add_nc_u64 s[2:3], s[2:3], __PRETTY_FUNCTION__._Z39paged_attention_ll4mi_QKV_mfma16_kernelI14__hip_bfloat16S0_LN4vllm18Fp8KVCacheDataTypeE0EhLi16ELi64ELi256ELb1ELi15EEvPKT_PKT0_S8_ifPKiSA_SA_iPKfiiiPfSD_PS3_PT2_iSC_SC_@rel64+4
	s_delay_alu instid0(SALU_CYCLE_1)
	v_dual_mov_b32 v0, 0xbb3 :: v_dual_mov_b32 v1, s2
	v_mov_b32_e32 v2, s3
	s_add_nc_u64 s[8:9], s[0:1], 0x90
	s_get_pc_i64 s[0:1]
	s_add_nc_u64 s[0:1], s[0:1], __assert_fail@rel64+4
	s_mov_b32 s32, 0
	s_swap_pc_i64 s[30:31], s[0:1]
	.section	.rodata,"a",@progbits
	.p2align	6, 0x0
	.amdhsa_kernel _Z39paged_attention_ll4mi_QKV_mfma16_kernelI14__hip_bfloat16S0_LN4vllm18Fp8KVCacheDataTypeE0EhLi16ELi64ELi256ELb1ELi15EEvPKT_PKT0_S8_ifPKiSA_SA_iPKfiiiPfSD_PS3_PT2_iSC_SC_
		.amdhsa_group_segment_fixed_size 0
		.amdhsa_private_segment_fixed_size 64
		.amdhsa_kernarg_size 400
		.amdhsa_user_sgpr_count 2
		.amdhsa_user_sgpr_dispatch_ptr 0
		.amdhsa_user_sgpr_queue_ptr 0
		.amdhsa_user_sgpr_kernarg_segment_ptr 1
		.amdhsa_user_sgpr_dispatch_id 0
		.amdhsa_user_sgpr_kernarg_preload_length 0
		.amdhsa_user_sgpr_kernarg_preload_offset 0
		.amdhsa_user_sgpr_private_segment_size 0
		.amdhsa_wavefront_size32 1
		.amdhsa_uses_dynamic_stack 0
		.amdhsa_enable_private_segment 1
		.amdhsa_system_sgpr_workgroup_id_x 1
		.amdhsa_system_sgpr_workgroup_id_y 0
		.amdhsa_system_sgpr_workgroup_id_z 0
		.amdhsa_system_sgpr_workgroup_info 0
		.amdhsa_system_vgpr_workitem_id 0
		.amdhsa_next_free_vgpr 51
		.amdhsa_next_free_sgpr 34
		.amdhsa_named_barrier_count 0
		.amdhsa_reserve_vcc 1
		.amdhsa_float_round_mode_32 0
		.amdhsa_float_round_mode_16_64 0
		.amdhsa_float_denorm_mode_32 3
		.amdhsa_float_denorm_mode_16_64 3
		.amdhsa_fp16_overflow 0
		.amdhsa_memory_ordered 1
		.amdhsa_forward_progress 1
		.amdhsa_inst_pref_size 1
		.amdhsa_round_robin_scheduling 0
		.amdhsa_exception_fp_ieee_invalid_op 0
		.amdhsa_exception_fp_denorm_src 0
		.amdhsa_exception_fp_ieee_div_zero 0
		.amdhsa_exception_fp_ieee_overflow 0
		.amdhsa_exception_fp_ieee_underflow 0
		.amdhsa_exception_fp_ieee_inexact 0
		.amdhsa_exception_int_div_zero 0
	.end_amdhsa_kernel
	.section	.text._Z39paged_attention_ll4mi_QKV_mfma16_kernelI14__hip_bfloat16S0_LN4vllm18Fp8KVCacheDataTypeE0EhLi16ELi64ELi256ELb1ELi15EEvPKT_PKT0_S8_ifPKiSA_SA_iPKfiiiPfSD_PS3_PT2_iSC_SC_,"axG",@progbits,_Z39paged_attention_ll4mi_QKV_mfma16_kernelI14__hip_bfloat16S0_LN4vllm18Fp8KVCacheDataTypeE0EhLi16ELi64ELi256ELb1ELi15EEvPKT_PKT0_S8_ifPKiSA_SA_iPKfiiiPfSD_PS3_PT2_iSC_SC_,comdat
.Lfunc_end400:
	.size	_Z39paged_attention_ll4mi_QKV_mfma16_kernelI14__hip_bfloat16S0_LN4vllm18Fp8KVCacheDataTypeE0EhLi16ELi64ELi256ELb1ELi15EEvPKT_PKT0_S8_ifPKiSA_SA_iPKfiiiPfSD_PS3_PT2_iSC_SC_, .Lfunc_end400-_Z39paged_attention_ll4mi_QKV_mfma16_kernelI14__hip_bfloat16S0_LN4vllm18Fp8KVCacheDataTypeE0EhLi16ELi64ELi256ELb1ELi15EEvPKT_PKT0_S8_ifPKiSA_SA_iPKfiiiPfSD_PS3_PT2_iSC_SC_
                                        ; -- End function
	.set _Z39paged_attention_ll4mi_QKV_mfma16_kernelI14__hip_bfloat16S0_LN4vllm18Fp8KVCacheDataTypeE0EhLi16ELi64ELi256ELb1ELi15EEvPKT_PKT0_S8_ifPKiSA_SA_iPKfiiiPfSD_PS3_PT2_iSC_SC_.num_vgpr, max(3, .L__assert_fail.num_vgpr)
	.set _Z39paged_attention_ll4mi_QKV_mfma16_kernelI14__hip_bfloat16S0_LN4vllm18Fp8KVCacheDataTypeE0EhLi16ELi64ELi256ELb1ELi15EEvPKT_PKT0_S8_ifPKiSA_SA_iPKfiiiPfSD_PS3_PT2_iSC_SC_.num_agpr, max(0, .L__assert_fail.num_agpr)
	.set _Z39paged_attention_ll4mi_QKV_mfma16_kernelI14__hip_bfloat16S0_LN4vllm18Fp8KVCacheDataTypeE0EhLi16ELi64ELi256ELb1ELi15EEvPKT_PKT0_S8_ifPKiSA_SA_iPKfiiiPfSD_PS3_PT2_iSC_SC_.numbered_sgpr, max(33, .L__assert_fail.numbered_sgpr)
	.set _Z39paged_attention_ll4mi_QKV_mfma16_kernelI14__hip_bfloat16S0_LN4vllm18Fp8KVCacheDataTypeE0EhLi16ELi64ELi256ELb1ELi15EEvPKT_PKT0_S8_ifPKiSA_SA_iPKfiiiPfSD_PS3_PT2_iSC_SC_.num_named_barrier, max(0, .L__assert_fail.num_named_barrier)
	.set _Z39paged_attention_ll4mi_QKV_mfma16_kernelI14__hip_bfloat16S0_LN4vllm18Fp8KVCacheDataTypeE0EhLi16ELi64ELi256ELb1ELi15EEvPKT_PKT0_S8_ifPKiSA_SA_iPKfiiiPfSD_PS3_PT2_iSC_SC_.private_seg_size, 0+max(.L__assert_fail.private_seg_size)
	.set _Z39paged_attention_ll4mi_QKV_mfma16_kernelI14__hip_bfloat16S0_LN4vllm18Fp8KVCacheDataTypeE0EhLi16ELi64ELi256ELb1ELi15EEvPKT_PKT0_S8_ifPKiSA_SA_iPKfiiiPfSD_PS3_PT2_iSC_SC_.uses_vcc, or(1, .L__assert_fail.uses_vcc)
	.set _Z39paged_attention_ll4mi_QKV_mfma16_kernelI14__hip_bfloat16S0_LN4vllm18Fp8KVCacheDataTypeE0EhLi16ELi64ELi256ELb1ELi15EEvPKT_PKT0_S8_ifPKiSA_SA_iPKfiiiPfSD_PS3_PT2_iSC_SC_.uses_flat_scratch, or(0, .L__assert_fail.uses_flat_scratch)
	.set _Z39paged_attention_ll4mi_QKV_mfma16_kernelI14__hip_bfloat16S0_LN4vllm18Fp8KVCacheDataTypeE0EhLi16ELi64ELi256ELb1ELi15EEvPKT_PKT0_S8_ifPKiSA_SA_iPKfiiiPfSD_PS3_PT2_iSC_SC_.has_dyn_sized_stack, or(0, .L__assert_fail.has_dyn_sized_stack)
	.set _Z39paged_attention_ll4mi_QKV_mfma16_kernelI14__hip_bfloat16S0_LN4vllm18Fp8KVCacheDataTypeE0EhLi16ELi64ELi256ELb1ELi15EEvPKT_PKT0_S8_ifPKiSA_SA_iPKfiiiPfSD_PS3_PT2_iSC_SC_.has_recursion, or(0, .L__assert_fail.has_recursion)
	.set _Z39paged_attention_ll4mi_QKV_mfma16_kernelI14__hip_bfloat16S0_LN4vllm18Fp8KVCacheDataTypeE0EhLi16ELi64ELi256ELb1ELi15EEvPKT_PKT0_S8_ifPKiSA_SA_iPKfiiiPfSD_PS3_PT2_iSC_SC_.has_indirect_call, or(0, .L__assert_fail.has_indirect_call)
	.section	.AMDGPU.csdata,"",@progbits
; Kernel info:
; codeLenInByte = 68
; TotalNumSgprs: 36
; NumVgprs: 51
; ScratchSize: 64
; MemoryBound: 0
; FloatMode: 240
; IeeeMode: 1
; LDSByteSize: 0 bytes/workgroup (compile time only)
; SGPRBlocks: 0
; VGPRBlocks: 3
; NumSGPRsForWavesPerEU: 36
; NumVGPRsForWavesPerEU: 51
; NamedBarCnt: 0
; Occupancy: 16
; WaveLimiterHint : 1
; COMPUTE_PGM_RSRC2:SCRATCH_EN: 1
; COMPUTE_PGM_RSRC2:USER_SGPR: 2
; COMPUTE_PGM_RSRC2:TRAP_HANDLER: 0
; COMPUTE_PGM_RSRC2:TGID_X_EN: 1
; COMPUTE_PGM_RSRC2:TGID_Y_EN: 0
; COMPUTE_PGM_RSRC2:TGID_Z_EN: 0
; COMPUTE_PGM_RSRC2:TIDIG_COMP_CNT: 0
	.section	.text._Z39paged_attention_ll4mi_QKV_mfma16_kernelI14__hip_bfloat16S0_LN4vllm18Fp8KVCacheDataTypeE0EhLi16ELi64ELi256ELb1ELi16EEvPKT_PKT0_S8_ifPKiSA_SA_iPKfiiiPfSD_PS3_PT2_iSC_SC_,"axG",@progbits,_Z39paged_attention_ll4mi_QKV_mfma16_kernelI14__hip_bfloat16S0_LN4vllm18Fp8KVCacheDataTypeE0EhLi16ELi64ELi256ELb1ELi16EEvPKT_PKT0_S8_ifPKiSA_SA_iPKfiiiPfSD_PS3_PT2_iSC_SC_,comdat
	.protected	_Z39paged_attention_ll4mi_QKV_mfma16_kernelI14__hip_bfloat16S0_LN4vllm18Fp8KVCacheDataTypeE0EhLi16ELi64ELi256ELb1ELi16EEvPKT_PKT0_S8_ifPKiSA_SA_iPKfiiiPfSD_PS3_PT2_iSC_SC_ ; -- Begin function _Z39paged_attention_ll4mi_QKV_mfma16_kernelI14__hip_bfloat16S0_LN4vllm18Fp8KVCacheDataTypeE0EhLi16ELi64ELi256ELb1ELi16EEvPKT_PKT0_S8_ifPKiSA_SA_iPKfiiiPfSD_PS3_PT2_iSC_SC_
	.globl	_Z39paged_attention_ll4mi_QKV_mfma16_kernelI14__hip_bfloat16S0_LN4vllm18Fp8KVCacheDataTypeE0EhLi16ELi64ELi256ELb1ELi16EEvPKT_PKT0_S8_ifPKiSA_SA_iPKfiiiPfSD_PS3_PT2_iSC_SC_
	.p2align	8
	.type	_Z39paged_attention_ll4mi_QKV_mfma16_kernelI14__hip_bfloat16S0_LN4vllm18Fp8KVCacheDataTypeE0EhLi16ELi64ELi256ELb1ELi16EEvPKT_PKT0_S8_ifPKiSA_SA_iPKfiiiPfSD_PS3_PT2_iSC_SC_,@function
_Z39paged_attention_ll4mi_QKV_mfma16_kernelI14__hip_bfloat16S0_LN4vllm18Fp8KVCacheDataTypeE0EhLi16ELi64ELi256ELb1ELi16EEvPKT_PKT0_S8_ifPKiSA_SA_iPKfiiiPfSD_PS3_PT2_iSC_SC_: ; @_Z39paged_attention_ll4mi_QKV_mfma16_kernelI14__hip_bfloat16S0_LN4vllm18Fp8KVCacheDataTypeE0EhLi16ELi64ELi256ELb1ELi16EEvPKT_PKT0_S8_ifPKiSA_SA_iPKfiiiPfSD_PS3_PT2_iSC_SC_
; %bb.0:
	s_get_pc_i64 s[2:3]
	s_add_nc_u64 s[2:3], s[2:3], __PRETTY_FUNCTION__._Z39paged_attention_ll4mi_QKV_mfma16_kernelI14__hip_bfloat16S0_LN4vllm18Fp8KVCacheDataTypeE0EhLi16ELi64ELi256ELb1ELi16EEvPKT_PKT0_S8_ifPKiSA_SA_iPKfiiiPfSD_PS3_PT2_iSC_SC_@rel64+4
	s_delay_alu instid0(SALU_CYCLE_1)
	v_dual_mov_b32 v0, 0xbb3 :: v_dual_mov_b32 v1, s2
	v_mov_b32_e32 v2, s3
	s_add_nc_u64 s[8:9], s[0:1], 0x90
	s_get_pc_i64 s[0:1]
	s_add_nc_u64 s[0:1], s[0:1], __assert_fail@rel64+4
	s_mov_b32 s32, 0
	s_swap_pc_i64 s[30:31], s[0:1]
	.section	.rodata,"a",@progbits
	.p2align	6, 0x0
	.amdhsa_kernel _Z39paged_attention_ll4mi_QKV_mfma16_kernelI14__hip_bfloat16S0_LN4vllm18Fp8KVCacheDataTypeE0EhLi16ELi64ELi256ELb1ELi16EEvPKT_PKT0_S8_ifPKiSA_SA_iPKfiiiPfSD_PS3_PT2_iSC_SC_
		.amdhsa_group_segment_fixed_size 0
		.amdhsa_private_segment_fixed_size 64
		.amdhsa_kernarg_size 400
		.amdhsa_user_sgpr_count 2
		.amdhsa_user_sgpr_dispatch_ptr 0
		.amdhsa_user_sgpr_queue_ptr 0
		.amdhsa_user_sgpr_kernarg_segment_ptr 1
		.amdhsa_user_sgpr_dispatch_id 0
		.amdhsa_user_sgpr_kernarg_preload_length 0
		.amdhsa_user_sgpr_kernarg_preload_offset 0
		.amdhsa_user_sgpr_private_segment_size 0
		.amdhsa_wavefront_size32 1
		.amdhsa_uses_dynamic_stack 0
		.amdhsa_enable_private_segment 1
		.amdhsa_system_sgpr_workgroup_id_x 1
		.amdhsa_system_sgpr_workgroup_id_y 0
		.amdhsa_system_sgpr_workgroup_id_z 0
		.amdhsa_system_sgpr_workgroup_info 0
		.amdhsa_system_vgpr_workitem_id 0
		.amdhsa_next_free_vgpr 51
		.amdhsa_next_free_sgpr 34
		.amdhsa_named_barrier_count 0
		.amdhsa_reserve_vcc 1
		.amdhsa_float_round_mode_32 0
		.amdhsa_float_round_mode_16_64 0
		.amdhsa_float_denorm_mode_32 3
		.amdhsa_float_denorm_mode_16_64 3
		.amdhsa_fp16_overflow 0
		.amdhsa_memory_ordered 1
		.amdhsa_forward_progress 1
		.amdhsa_inst_pref_size 1
		.amdhsa_round_robin_scheduling 0
		.amdhsa_exception_fp_ieee_invalid_op 0
		.amdhsa_exception_fp_denorm_src 0
		.amdhsa_exception_fp_ieee_div_zero 0
		.amdhsa_exception_fp_ieee_overflow 0
		.amdhsa_exception_fp_ieee_underflow 0
		.amdhsa_exception_fp_ieee_inexact 0
		.amdhsa_exception_int_div_zero 0
	.end_amdhsa_kernel
	.section	.text._Z39paged_attention_ll4mi_QKV_mfma16_kernelI14__hip_bfloat16S0_LN4vllm18Fp8KVCacheDataTypeE0EhLi16ELi64ELi256ELb1ELi16EEvPKT_PKT0_S8_ifPKiSA_SA_iPKfiiiPfSD_PS3_PT2_iSC_SC_,"axG",@progbits,_Z39paged_attention_ll4mi_QKV_mfma16_kernelI14__hip_bfloat16S0_LN4vllm18Fp8KVCacheDataTypeE0EhLi16ELi64ELi256ELb1ELi16EEvPKT_PKT0_S8_ifPKiSA_SA_iPKfiiiPfSD_PS3_PT2_iSC_SC_,comdat
.Lfunc_end401:
	.size	_Z39paged_attention_ll4mi_QKV_mfma16_kernelI14__hip_bfloat16S0_LN4vllm18Fp8KVCacheDataTypeE0EhLi16ELi64ELi256ELb1ELi16EEvPKT_PKT0_S8_ifPKiSA_SA_iPKfiiiPfSD_PS3_PT2_iSC_SC_, .Lfunc_end401-_Z39paged_attention_ll4mi_QKV_mfma16_kernelI14__hip_bfloat16S0_LN4vllm18Fp8KVCacheDataTypeE0EhLi16ELi64ELi256ELb1ELi16EEvPKT_PKT0_S8_ifPKiSA_SA_iPKfiiiPfSD_PS3_PT2_iSC_SC_
                                        ; -- End function
	.set _Z39paged_attention_ll4mi_QKV_mfma16_kernelI14__hip_bfloat16S0_LN4vllm18Fp8KVCacheDataTypeE0EhLi16ELi64ELi256ELb1ELi16EEvPKT_PKT0_S8_ifPKiSA_SA_iPKfiiiPfSD_PS3_PT2_iSC_SC_.num_vgpr, max(3, .L__assert_fail.num_vgpr)
	.set _Z39paged_attention_ll4mi_QKV_mfma16_kernelI14__hip_bfloat16S0_LN4vllm18Fp8KVCacheDataTypeE0EhLi16ELi64ELi256ELb1ELi16EEvPKT_PKT0_S8_ifPKiSA_SA_iPKfiiiPfSD_PS3_PT2_iSC_SC_.num_agpr, max(0, .L__assert_fail.num_agpr)
	.set _Z39paged_attention_ll4mi_QKV_mfma16_kernelI14__hip_bfloat16S0_LN4vllm18Fp8KVCacheDataTypeE0EhLi16ELi64ELi256ELb1ELi16EEvPKT_PKT0_S8_ifPKiSA_SA_iPKfiiiPfSD_PS3_PT2_iSC_SC_.numbered_sgpr, max(33, .L__assert_fail.numbered_sgpr)
	.set _Z39paged_attention_ll4mi_QKV_mfma16_kernelI14__hip_bfloat16S0_LN4vllm18Fp8KVCacheDataTypeE0EhLi16ELi64ELi256ELb1ELi16EEvPKT_PKT0_S8_ifPKiSA_SA_iPKfiiiPfSD_PS3_PT2_iSC_SC_.num_named_barrier, max(0, .L__assert_fail.num_named_barrier)
	.set _Z39paged_attention_ll4mi_QKV_mfma16_kernelI14__hip_bfloat16S0_LN4vllm18Fp8KVCacheDataTypeE0EhLi16ELi64ELi256ELb1ELi16EEvPKT_PKT0_S8_ifPKiSA_SA_iPKfiiiPfSD_PS3_PT2_iSC_SC_.private_seg_size, 0+max(.L__assert_fail.private_seg_size)
	.set _Z39paged_attention_ll4mi_QKV_mfma16_kernelI14__hip_bfloat16S0_LN4vllm18Fp8KVCacheDataTypeE0EhLi16ELi64ELi256ELb1ELi16EEvPKT_PKT0_S8_ifPKiSA_SA_iPKfiiiPfSD_PS3_PT2_iSC_SC_.uses_vcc, or(1, .L__assert_fail.uses_vcc)
	.set _Z39paged_attention_ll4mi_QKV_mfma16_kernelI14__hip_bfloat16S0_LN4vllm18Fp8KVCacheDataTypeE0EhLi16ELi64ELi256ELb1ELi16EEvPKT_PKT0_S8_ifPKiSA_SA_iPKfiiiPfSD_PS3_PT2_iSC_SC_.uses_flat_scratch, or(0, .L__assert_fail.uses_flat_scratch)
	.set _Z39paged_attention_ll4mi_QKV_mfma16_kernelI14__hip_bfloat16S0_LN4vllm18Fp8KVCacheDataTypeE0EhLi16ELi64ELi256ELb1ELi16EEvPKT_PKT0_S8_ifPKiSA_SA_iPKfiiiPfSD_PS3_PT2_iSC_SC_.has_dyn_sized_stack, or(0, .L__assert_fail.has_dyn_sized_stack)
	.set _Z39paged_attention_ll4mi_QKV_mfma16_kernelI14__hip_bfloat16S0_LN4vllm18Fp8KVCacheDataTypeE0EhLi16ELi64ELi256ELb1ELi16EEvPKT_PKT0_S8_ifPKiSA_SA_iPKfiiiPfSD_PS3_PT2_iSC_SC_.has_recursion, or(0, .L__assert_fail.has_recursion)
	.set _Z39paged_attention_ll4mi_QKV_mfma16_kernelI14__hip_bfloat16S0_LN4vllm18Fp8KVCacheDataTypeE0EhLi16ELi64ELi256ELb1ELi16EEvPKT_PKT0_S8_ifPKiSA_SA_iPKfiiiPfSD_PS3_PT2_iSC_SC_.has_indirect_call, or(0, .L__assert_fail.has_indirect_call)
	.section	.AMDGPU.csdata,"",@progbits
; Kernel info:
; codeLenInByte = 68
; TotalNumSgprs: 36
; NumVgprs: 51
; ScratchSize: 64
; MemoryBound: 0
; FloatMode: 240
; IeeeMode: 1
; LDSByteSize: 0 bytes/workgroup (compile time only)
; SGPRBlocks: 0
; VGPRBlocks: 3
; NumSGPRsForWavesPerEU: 36
; NumVGPRsForWavesPerEU: 51
; NamedBarCnt: 0
; Occupancy: 16
; WaveLimiterHint : 1
; COMPUTE_PGM_RSRC2:SCRATCH_EN: 1
; COMPUTE_PGM_RSRC2:USER_SGPR: 2
; COMPUTE_PGM_RSRC2:TRAP_HANDLER: 0
; COMPUTE_PGM_RSRC2:TGID_X_EN: 1
; COMPUTE_PGM_RSRC2:TGID_Y_EN: 0
; COMPUTE_PGM_RSRC2:TGID_Z_EN: 0
; COMPUTE_PGM_RSRC2:TIDIG_COMP_CNT: 0
	.section	.text._Z35paged_attention_ll4mi_reduce_kernelI14__hip_bfloat16hLi64ELi64ELi256ELi1EEvPT0_PKfS4_PKT_PKiS9_iS4_,"axG",@progbits,_Z35paged_attention_ll4mi_reduce_kernelI14__hip_bfloat16hLi64ELi64ELi256ELi1EEvPT0_PKfS4_PKT_PKiS9_iS4_,comdat
	.protected	_Z35paged_attention_ll4mi_reduce_kernelI14__hip_bfloat16hLi64ELi64ELi256ELi1EEvPT0_PKfS4_PKT_PKiS9_iS4_ ; -- Begin function _Z35paged_attention_ll4mi_reduce_kernelI14__hip_bfloat16hLi64ELi64ELi256ELi1EEvPT0_PKfS4_PKT_PKiS9_iS4_
	.globl	_Z35paged_attention_ll4mi_reduce_kernelI14__hip_bfloat16hLi64ELi64ELi256ELi1EEvPT0_PKfS4_PKT_PKiS9_iS4_
	.p2align	8
	.type	_Z35paged_attention_ll4mi_reduce_kernelI14__hip_bfloat16hLi64ELi64ELi256ELi1EEvPT0_PKfS4_PKT_PKiS9_iS4_,@function
_Z35paged_attention_ll4mi_reduce_kernelI14__hip_bfloat16hLi64ELi64ELi256ELi1EEvPT0_PKfS4_PKT_PKiS9_iS4_: ; @_Z35paged_attention_ll4mi_reduce_kernelI14__hip_bfloat16hLi64ELi64ELi256ELi1EEvPT0_PKfS4_PKT_PKiS9_iS4_
; %bb.0:
	s_get_pc_i64 s[2:3]
	s_add_nc_u64 s[2:3], s[2:3], __PRETTY_FUNCTION__._Z35paged_attention_ll4mi_reduce_kernelI14__hip_bfloat16hLi64ELi64ELi256ELi1EEvPT0_PKfS4_PKT_PKiS9_iS4_@rel64+4
	s_delay_alu instid0(SALU_CYCLE_1)
	v_dual_mov_b32 v0, 0xbdd :: v_dual_mov_b32 v1, s2
	v_mov_b32_e32 v2, s3
	s_add_nc_u64 s[8:9], s[0:1], 64
	s_get_pc_i64 s[0:1]
	s_add_nc_u64 s[0:1], s[0:1], __assert_fail@rel64+4
	s_mov_b32 s32, 0
	s_swap_pc_i64 s[30:31], s[0:1]
	.section	.rodata,"a",@progbits
	.p2align	6, 0x0
	.amdhsa_kernel _Z35paged_attention_ll4mi_reduce_kernelI14__hip_bfloat16hLi64ELi64ELi256ELi1EEvPT0_PKfS4_PKT_PKiS9_iS4_
		.amdhsa_group_segment_fixed_size 0
		.amdhsa_private_segment_fixed_size 64
		.amdhsa_kernarg_size 320
		.amdhsa_user_sgpr_count 2
		.amdhsa_user_sgpr_dispatch_ptr 0
		.amdhsa_user_sgpr_queue_ptr 0
		.amdhsa_user_sgpr_kernarg_segment_ptr 1
		.amdhsa_user_sgpr_dispatch_id 0
		.amdhsa_user_sgpr_kernarg_preload_length 0
		.amdhsa_user_sgpr_kernarg_preload_offset 0
		.amdhsa_user_sgpr_private_segment_size 0
		.amdhsa_wavefront_size32 1
		.amdhsa_uses_dynamic_stack 0
		.amdhsa_enable_private_segment 1
		.amdhsa_system_sgpr_workgroup_id_x 1
		.amdhsa_system_sgpr_workgroup_id_y 0
		.amdhsa_system_sgpr_workgroup_id_z 0
		.amdhsa_system_sgpr_workgroup_info 0
		.amdhsa_system_vgpr_workitem_id 0
		.amdhsa_next_free_vgpr 51
		.amdhsa_next_free_sgpr 34
		.amdhsa_named_barrier_count 0
		.amdhsa_reserve_vcc 1
		.amdhsa_float_round_mode_32 0
		.amdhsa_float_round_mode_16_64 0
		.amdhsa_float_denorm_mode_32 3
		.amdhsa_float_denorm_mode_16_64 3
		.amdhsa_fp16_overflow 0
		.amdhsa_memory_ordered 1
		.amdhsa_forward_progress 1
		.amdhsa_inst_pref_size 1
		.amdhsa_round_robin_scheduling 0
		.amdhsa_exception_fp_ieee_invalid_op 0
		.amdhsa_exception_fp_denorm_src 0
		.amdhsa_exception_fp_ieee_div_zero 0
		.amdhsa_exception_fp_ieee_overflow 0
		.amdhsa_exception_fp_ieee_underflow 0
		.amdhsa_exception_fp_ieee_inexact 0
		.amdhsa_exception_int_div_zero 0
	.end_amdhsa_kernel
	.section	.text._Z35paged_attention_ll4mi_reduce_kernelI14__hip_bfloat16hLi64ELi64ELi256ELi1EEvPT0_PKfS4_PKT_PKiS9_iS4_,"axG",@progbits,_Z35paged_attention_ll4mi_reduce_kernelI14__hip_bfloat16hLi64ELi64ELi256ELi1EEvPT0_PKfS4_PKT_PKiS9_iS4_,comdat
.Lfunc_end402:
	.size	_Z35paged_attention_ll4mi_reduce_kernelI14__hip_bfloat16hLi64ELi64ELi256ELi1EEvPT0_PKfS4_PKT_PKiS9_iS4_, .Lfunc_end402-_Z35paged_attention_ll4mi_reduce_kernelI14__hip_bfloat16hLi64ELi64ELi256ELi1EEvPT0_PKfS4_PKT_PKiS9_iS4_
                                        ; -- End function
	.set _Z35paged_attention_ll4mi_reduce_kernelI14__hip_bfloat16hLi64ELi64ELi256ELi1EEvPT0_PKfS4_PKT_PKiS9_iS4_.num_vgpr, max(3, .L__assert_fail.num_vgpr)
	.set _Z35paged_attention_ll4mi_reduce_kernelI14__hip_bfloat16hLi64ELi64ELi256ELi1EEvPT0_PKfS4_PKT_PKiS9_iS4_.num_agpr, max(0, .L__assert_fail.num_agpr)
	.set _Z35paged_attention_ll4mi_reduce_kernelI14__hip_bfloat16hLi64ELi64ELi256ELi1EEvPT0_PKfS4_PKT_PKiS9_iS4_.numbered_sgpr, max(33, .L__assert_fail.numbered_sgpr)
	.set _Z35paged_attention_ll4mi_reduce_kernelI14__hip_bfloat16hLi64ELi64ELi256ELi1EEvPT0_PKfS4_PKT_PKiS9_iS4_.num_named_barrier, max(0, .L__assert_fail.num_named_barrier)
	.set _Z35paged_attention_ll4mi_reduce_kernelI14__hip_bfloat16hLi64ELi64ELi256ELi1EEvPT0_PKfS4_PKT_PKiS9_iS4_.private_seg_size, 0+max(.L__assert_fail.private_seg_size)
	.set _Z35paged_attention_ll4mi_reduce_kernelI14__hip_bfloat16hLi64ELi64ELi256ELi1EEvPT0_PKfS4_PKT_PKiS9_iS4_.uses_vcc, or(1, .L__assert_fail.uses_vcc)
	.set _Z35paged_attention_ll4mi_reduce_kernelI14__hip_bfloat16hLi64ELi64ELi256ELi1EEvPT0_PKfS4_PKT_PKiS9_iS4_.uses_flat_scratch, or(0, .L__assert_fail.uses_flat_scratch)
	.set _Z35paged_attention_ll4mi_reduce_kernelI14__hip_bfloat16hLi64ELi64ELi256ELi1EEvPT0_PKfS4_PKT_PKiS9_iS4_.has_dyn_sized_stack, or(0, .L__assert_fail.has_dyn_sized_stack)
	.set _Z35paged_attention_ll4mi_reduce_kernelI14__hip_bfloat16hLi64ELi64ELi256ELi1EEvPT0_PKfS4_PKT_PKiS9_iS4_.has_recursion, or(0, .L__assert_fail.has_recursion)
	.set _Z35paged_attention_ll4mi_reduce_kernelI14__hip_bfloat16hLi64ELi64ELi256ELi1EEvPT0_PKfS4_PKT_PKiS9_iS4_.has_indirect_call, or(0, .L__assert_fail.has_indirect_call)
	.section	.AMDGPU.csdata,"",@progbits
; Kernel info:
; codeLenInByte = 64
; TotalNumSgprs: 36
; NumVgprs: 51
; ScratchSize: 64
; MemoryBound: 0
; FloatMode: 240
; IeeeMode: 1
; LDSByteSize: 0 bytes/workgroup (compile time only)
; SGPRBlocks: 0
; VGPRBlocks: 3
; NumSGPRsForWavesPerEU: 36
; NumVGPRsForWavesPerEU: 51
; NamedBarCnt: 0
; Occupancy: 16
; WaveLimiterHint : 1
; COMPUTE_PGM_RSRC2:SCRATCH_EN: 1
; COMPUTE_PGM_RSRC2:USER_SGPR: 2
; COMPUTE_PGM_RSRC2:TRAP_HANDLER: 0
; COMPUTE_PGM_RSRC2:TGID_X_EN: 1
; COMPUTE_PGM_RSRC2:TGID_Y_EN: 0
; COMPUTE_PGM_RSRC2:TGID_Z_EN: 0
; COMPUTE_PGM_RSRC2:TIDIG_COMP_CNT: 0
	.section	.text._Z35paged_attention_ll4mi_reduce_kernelI14__hip_bfloat16hLi64ELi64ELi256ELi2EEvPT0_PKfS4_PKT_PKiS9_iS4_,"axG",@progbits,_Z35paged_attention_ll4mi_reduce_kernelI14__hip_bfloat16hLi64ELi64ELi256ELi2EEvPT0_PKfS4_PKT_PKiS9_iS4_,comdat
	.protected	_Z35paged_attention_ll4mi_reduce_kernelI14__hip_bfloat16hLi64ELi64ELi256ELi2EEvPT0_PKfS4_PKT_PKiS9_iS4_ ; -- Begin function _Z35paged_attention_ll4mi_reduce_kernelI14__hip_bfloat16hLi64ELi64ELi256ELi2EEvPT0_PKfS4_PKT_PKiS9_iS4_
	.globl	_Z35paged_attention_ll4mi_reduce_kernelI14__hip_bfloat16hLi64ELi64ELi256ELi2EEvPT0_PKfS4_PKT_PKiS9_iS4_
	.p2align	8
	.type	_Z35paged_attention_ll4mi_reduce_kernelI14__hip_bfloat16hLi64ELi64ELi256ELi2EEvPT0_PKfS4_PKT_PKiS9_iS4_,@function
_Z35paged_attention_ll4mi_reduce_kernelI14__hip_bfloat16hLi64ELi64ELi256ELi2EEvPT0_PKfS4_PKT_PKiS9_iS4_: ; @_Z35paged_attention_ll4mi_reduce_kernelI14__hip_bfloat16hLi64ELi64ELi256ELi2EEvPT0_PKfS4_PKT_PKiS9_iS4_
; %bb.0:
	s_get_pc_i64 s[2:3]
	s_add_nc_u64 s[2:3], s[2:3], __PRETTY_FUNCTION__._Z35paged_attention_ll4mi_reduce_kernelI14__hip_bfloat16hLi64ELi64ELi256ELi2EEvPT0_PKfS4_PKT_PKiS9_iS4_@rel64+4
	s_delay_alu instid0(SALU_CYCLE_1)
	v_dual_mov_b32 v0, 0xbdd :: v_dual_mov_b32 v1, s2
	v_mov_b32_e32 v2, s3
	s_add_nc_u64 s[8:9], s[0:1], 64
	s_get_pc_i64 s[0:1]
	s_add_nc_u64 s[0:1], s[0:1], __assert_fail@rel64+4
	s_mov_b32 s32, 0
	s_swap_pc_i64 s[30:31], s[0:1]
	.section	.rodata,"a",@progbits
	.p2align	6, 0x0
	.amdhsa_kernel _Z35paged_attention_ll4mi_reduce_kernelI14__hip_bfloat16hLi64ELi64ELi256ELi2EEvPT0_PKfS4_PKT_PKiS9_iS4_
		.amdhsa_group_segment_fixed_size 0
		.amdhsa_private_segment_fixed_size 64
		.amdhsa_kernarg_size 320
		.amdhsa_user_sgpr_count 2
		.amdhsa_user_sgpr_dispatch_ptr 0
		.amdhsa_user_sgpr_queue_ptr 0
		.amdhsa_user_sgpr_kernarg_segment_ptr 1
		.amdhsa_user_sgpr_dispatch_id 0
		.amdhsa_user_sgpr_kernarg_preload_length 0
		.amdhsa_user_sgpr_kernarg_preload_offset 0
		.amdhsa_user_sgpr_private_segment_size 0
		.amdhsa_wavefront_size32 1
		.amdhsa_uses_dynamic_stack 0
		.amdhsa_enable_private_segment 1
		.amdhsa_system_sgpr_workgroup_id_x 1
		.amdhsa_system_sgpr_workgroup_id_y 0
		.amdhsa_system_sgpr_workgroup_id_z 0
		.amdhsa_system_sgpr_workgroup_info 0
		.amdhsa_system_vgpr_workitem_id 0
		.amdhsa_next_free_vgpr 51
		.amdhsa_next_free_sgpr 34
		.amdhsa_named_barrier_count 0
		.amdhsa_reserve_vcc 1
		.amdhsa_float_round_mode_32 0
		.amdhsa_float_round_mode_16_64 0
		.amdhsa_float_denorm_mode_32 3
		.amdhsa_float_denorm_mode_16_64 3
		.amdhsa_fp16_overflow 0
		.amdhsa_memory_ordered 1
		.amdhsa_forward_progress 1
		.amdhsa_inst_pref_size 1
		.amdhsa_round_robin_scheduling 0
		.amdhsa_exception_fp_ieee_invalid_op 0
		.amdhsa_exception_fp_denorm_src 0
		.amdhsa_exception_fp_ieee_div_zero 0
		.amdhsa_exception_fp_ieee_overflow 0
		.amdhsa_exception_fp_ieee_underflow 0
		.amdhsa_exception_fp_ieee_inexact 0
		.amdhsa_exception_int_div_zero 0
	.end_amdhsa_kernel
	.section	.text._Z35paged_attention_ll4mi_reduce_kernelI14__hip_bfloat16hLi64ELi64ELi256ELi2EEvPT0_PKfS4_PKT_PKiS9_iS4_,"axG",@progbits,_Z35paged_attention_ll4mi_reduce_kernelI14__hip_bfloat16hLi64ELi64ELi256ELi2EEvPT0_PKfS4_PKT_PKiS9_iS4_,comdat
.Lfunc_end403:
	.size	_Z35paged_attention_ll4mi_reduce_kernelI14__hip_bfloat16hLi64ELi64ELi256ELi2EEvPT0_PKfS4_PKT_PKiS9_iS4_, .Lfunc_end403-_Z35paged_attention_ll4mi_reduce_kernelI14__hip_bfloat16hLi64ELi64ELi256ELi2EEvPT0_PKfS4_PKT_PKiS9_iS4_
                                        ; -- End function
	.set _Z35paged_attention_ll4mi_reduce_kernelI14__hip_bfloat16hLi64ELi64ELi256ELi2EEvPT0_PKfS4_PKT_PKiS9_iS4_.num_vgpr, max(3, .L__assert_fail.num_vgpr)
	.set _Z35paged_attention_ll4mi_reduce_kernelI14__hip_bfloat16hLi64ELi64ELi256ELi2EEvPT0_PKfS4_PKT_PKiS9_iS4_.num_agpr, max(0, .L__assert_fail.num_agpr)
	.set _Z35paged_attention_ll4mi_reduce_kernelI14__hip_bfloat16hLi64ELi64ELi256ELi2EEvPT0_PKfS4_PKT_PKiS9_iS4_.numbered_sgpr, max(33, .L__assert_fail.numbered_sgpr)
	.set _Z35paged_attention_ll4mi_reduce_kernelI14__hip_bfloat16hLi64ELi64ELi256ELi2EEvPT0_PKfS4_PKT_PKiS9_iS4_.num_named_barrier, max(0, .L__assert_fail.num_named_barrier)
	.set _Z35paged_attention_ll4mi_reduce_kernelI14__hip_bfloat16hLi64ELi64ELi256ELi2EEvPT0_PKfS4_PKT_PKiS9_iS4_.private_seg_size, 0+max(.L__assert_fail.private_seg_size)
	.set _Z35paged_attention_ll4mi_reduce_kernelI14__hip_bfloat16hLi64ELi64ELi256ELi2EEvPT0_PKfS4_PKT_PKiS9_iS4_.uses_vcc, or(1, .L__assert_fail.uses_vcc)
	.set _Z35paged_attention_ll4mi_reduce_kernelI14__hip_bfloat16hLi64ELi64ELi256ELi2EEvPT0_PKfS4_PKT_PKiS9_iS4_.uses_flat_scratch, or(0, .L__assert_fail.uses_flat_scratch)
	.set _Z35paged_attention_ll4mi_reduce_kernelI14__hip_bfloat16hLi64ELi64ELi256ELi2EEvPT0_PKfS4_PKT_PKiS9_iS4_.has_dyn_sized_stack, or(0, .L__assert_fail.has_dyn_sized_stack)
	.set _Z35paged_attention_ll4mi_reduce_kernelI14__hip_bfloat16hLi64ELi64ELi256ELi2EEvPT0_PKfS4_PKT_PKiS9_iS4_.has_recursion, or(0, .L__assert_fail.has_recursion)
	.set _Z35paged_attention_ll4mi_reduce_kernelI14__hip_bfloat16hLi64ELi64ELi256ELi2EEvPT0_PKfS4_PKT_PKiS9_iS4_.has_indirect_call, or(0, .L__assert_fail.has_indirect_call)
	.section	.AMDGPU.csdata,"",@progbits
; Kernel info:
; codeLenInByte = 64
; TotalNumSgprs: 36
; NumVgprs: 51
; ScratchSize: 64
; MemoryBound: 0
; FloatMode: 240
; IeeeMode: 1
; LDSByteSize: 0 bytes/workgroup (compile time only)
; SGPRBlocks: 0
; VGPRBlocks: 3
; NumSGPRsForWavesPerEU: 36
; NumVGPRsForWavesPerEU: 51
; NamedBarCnt: 0
; Occupancy: 16
; WaveLimiterHint : 1
; COMPUTE_PGM_RSRC2:SCRATCH_EN: 1
; COMPUTE_PGM_RSRC2:USER_SGPR: 2
; COMPUTE_PGM_RSRC2:TRAP_HANDLER: 0
; COMPUTE_PGM_RSRC2:TGID_X_EN: 1
; COMPUTE_PGM_RSRC2:TGID_Y_EN: 0
; COMPUTE_PGM_RSRC2:TGID_Z_EN: 0
; COMPUTE_PGM_RSRC2:TIDIG_COMP_CNT: 0
	.section	.text._Z35paged_attention_ll4mi_reduce_kernelI14__hip_bfloat16hLi64ELi64ELi256ELi3EEvPT0_PKfS4_PKT_PKiS9_iS4_,"axG",@progbits,_Z35paged_attention_ll4mi_reduce_kernelI14__hip_bfloat16hLi64ELi64ELi256ELi3EEvPT0_PKfS4_PKT_PKiS9_iS4_,comdat
	.protected	_Z35paged_attention_ll4mi_reduce_kernelI14__hip_bfloat16hLi64ELi64ELi256ELi3EEvPT0_PKfS4_PKT_PKiS9_iS4_ ; -- Begin function _Z35paged_attention_ll4mi_reduce_kernelI14__hip_bfloat16hLi64ELi64ELi256ELi3EEvPT0_PKfS4_PKT_PKiS9_iS4_
	.globl	_Z35paged_attention_ll4mi_reduce_kernelI14__hip_bfloat16hLi64ELi64ELi256ELi3EEvPT0_PKfS4_PKT_PKiS9_iS4_
	.p2align	8
	.type	_Z35paged_attention_ll4mi_reduce_kernelI14__hip_bfloat16hLi64ELi64ELi256ELi3EEvPT0_PKfS4_PKT_PKiS9_iS4_,@function
_Z35paged_attention_ll4mi_reduce_kernelI14__hip_bfloat16hLi64ELi64ELi256ELi3EEvPT0_PKfS4_PKT_PKiS9_iS4_: ; @_Z35paged_attention_ll4mi_reduce_kernelI14__hip_bfloat16hLi64ELi64ELi256ELi3EEvPT0_PKfS4_PKT_PKiS9_iS4_
; %bb.0:
	s_get_pc_i64 s[2:3]
	s_add_nc_u64 s[2:3], s[2:3], __PRETTY_FUNCTION__._Z35paged_attention_ll4mi_reduce_kernelI14__hip_bfloat16hLi64ELi64ELi256ELi3EEvPT0_PKfS4_PKT_PKiS9_iS4_@rel64+4
	s_delay_alu instid0(SALU_CYCLE_1)
	v_dual_mov_b32 v0, 0xbdd :: v_dual_mov_b32 v1, s2
	v_mov_b32_e32 v2, s3
	s_add_nc_u64 s[8:9], s[0:1], 64
	s_get_pc_i64 s[0:1]
	s_add_nc_u64 s[0:1], s[0:1], __assert_fail@rel64+4
	s_mov_b32 s32, 0
	s_swap_pc_i64 s[30:31], s[0:1]
	.section	.rodata,"a",@progbits
	.p2align	6, 0x0
	.amdhsa_kernel _Z35paged_attention_ll4mi_reduce_kernelI14__hip_bfloat16hLi64ELi64ELi256ELi3EEvPT0_PKfS4_PKT_PKiS9_iS4_
		.amdhsa_group_segment_fixed_size 0
		.amdhsa_private_segment_fixed_size 64
		.amdhsa_kernarg_size 320
		.amdhsa_user_sgpr_count 2
		.amdhsa_user_sgpr_dispatch_ptr 0
		.amdhsa_user_sgpr_queue_ptr 0
		.amdhsa_user_sgpr_kernarg_segment_ptr 1
		.amdhsa_user_sgpr_dispatch_id 0
		.amdhsa_user_sgpr_kernarg_preload_length 0
		.amdhsa_user_sgpr_kernarg_preload_offset 0
		.amdhsa_user_sgpr_private_segment_size 0
		.amdhsa_wavefront_size32 1
		.amdhsa_uses_dynamic_stack 0
		.amdhsa_enable_private_segment 1
		.amdhsa_system_sgpr_workgroup_id_x 1
		.amdhsa_system_sgpr_workgroup_id_y 0
		.amdhsa_system_sgpr_workgroup_id_z 0
		.amdhsa_system_sgpr_workgroup_info 0
		.amdhsa_system_vgpr_workitem_id 0
		.amdhsa_next_free_vgpr 51
		.amdhsa_next_free_sgpr 34
		.amdhsa_named_barrier_count 0
		.amdhsa_reserve_vcc 1
		.amdhsa_float_round_mode_32 0
		.amdhsa_float_round_mode_16_64 0
		.amdhsa_float_denorm_mode_32 3
		.amdhsa_float_denorm_mode_16_64 3
		.amdhsa_fp16_overflow 0
		.amdhsa_memory_ordered 1
		.amdhsa_forward_progress 1
		.amdhsa_inst_pref_size 1
		.amdhsa_round_robin_scheduling 0
		.amdhsa_exception_fp_ieee_invalid_op 0
		.amdhsa_exception_fp_denorm_src 0
		.amdhsa_exception_fp_ieee_div_zero 0
		.amdhsa_exception_fp_ieee_overflow 0
		.amdhsa_exception_fp_ieee_underflow 0
		.amdhsa_exception_fp_ieee_inexact 0
		.amdhsa_exception_int_div_zero 0
	.end_amdhsa_kernel
	.section	.text._Z35paged_attention_ll4mi_reduce_kernelI14__hip_bfloat16hLi64ELi64ELi256ELi3EEvPT0_PKfS4_PKT_PKiS9_iS4_,"axG",@progbits,_Z35paged_attention_ll4mi_reduce_kernelI14__hip_bfloat16hLi64ELi64ELi256ELi3EEvPT0_PKfS4_PKT_PKiS9_iS4_,comdat
.Lfunc_end404:
	.size	_Z35paged_attention_ll4mi_reduce_kernelI14__hip_bfloat16hLi64ELi64ELi256ELi3EEvPT0_PKfS4_PKT_PKiS9_iS4_, .Lfunc_end404-_Z35paged_attention_ll4mi_reduce_kernelI14__hip_bfloat16hLi64ELi64ELi256ELi3EEvPT0_PKfS4_PKT_PKiS9_iS4_
                                        ; -- End function
	.set _Z35paged_attention_ll4mi_reduce_kernelI14__hip_bfloat16hLi64ELi64ELi256ELi3EEvPT0_PKfS4_PKT_PKiS9_iS4_.num_vgpr, max(3, .L__assert_fail.num_vgpr)
	.set _Z35paged_attention_ll4mi_reduce_kernelI14__hip_bfloat16hLi64ELi64ELi256ELi3EEvPT0_PKfS4_PKT_PKiS9_iS4_.num_agpr, max(0, .L__assert_fail.num_agpr)
	.set _Z35paged_attention_ll4mi_reduce_kernelI14__hip_bfloat16hLi64ELi64ELi256ELi3EEvPT0_PKfS4_PKT_PKiS9_iS4_.numbered_sgpr, max(33, .L__assert_fail.numbered_sgpr)
	.set _Z35paged_attention_ll4mi_reduce_kernelI14__hip_bfloat16hLi64ELi64ELi256ELi3EEvPT0_PKfS4_PKT_PKiS9_iS4_.num_named_barrier, max(0, .L__assert_fail.num_named_barrier)
	.set _Z35paged_attention_ll4mi_reduce_kernelI14__hip_bfloat16hLi64ELi64ELi256ELi3EEvPT0_PKfS4_PKT_PKiS9_iS4_.private_seg_size, 0+max(.L__assert_fail.private_seg_size)
	.set _Z35paged_attention_ll4mi_reduce_kernelI14__hip_bfloat16hLi64ELi64ELi256ELi3EEvPT0_PKfS4_PKT_PKiS9_iS4_.uses_vcc, or(1, .L__assert_fail.uses_vcc)
	.set _Z35paged_attention_ll4mi_reduce_kernelI14__hip_bfloat16hLi64ELi64ELi256ELi3EEvPT0_PKfS4_PKT_PKiS9_iS4_.uses_flat_scratch, or(0, .L__assert_fail.uses_flat_scratch)
	.set _Z35paged_attention_ll4mi_reduce_kernelI14__hip_bfloat16hLi64ELi64ELi256ELi3EEvPT0_PKfS4_PKT_PKiS9_iS4_.has_dyn_sized_stack, or(0, .L__assert_fail.has_dyn_sized_stack)
	.set _Z35paged_attention_ll4mi_reduce_kernelI14__hip_bfloat16hLi64ELi64ELi256ELi3EEvPT0_PKfS4_PKT_PKiS9_iS4_.has_recursion, or(0, .L__assert_fail.has_recursion)
	.set _Z35paged_attention_ll4mi_reduce_kernelI14__hip_bfloat16hLi64ELi64ELi256ELi3EEvPT0_PKfS4_PKT_PKiS9_iS4_.has_indirect_call, or(0, .L__assert_fail.has_indirect_call)
	.section	.AMDGPU.csdata,"",@progbits
; Kernel info:
; codeLenInByte = 64
; TotalNumSgprs: 36
; NumVgprs: 51
; ScratchSize: 64
; MemoryBound: 0
; FloatMode: 240
; IeeeMode: 1
; LDSByteSize: 0 bytes/workgroup (compile time only)
; SGPRBlocks: 0
; VGPRBlocks: 3
; NumSGPRsForWavesPerEU: 36
; NumVGPRsForWavesPerEU: 51
; NamedBarCnt: 0
; Occupancy: 16
; WaveLimiterHint : 1
; COMPUTE_PGM_RSRC2:SCRATCH_EN: 1
; COMPUTE_PGM_RSRC2:USER_SGPR: 2
; COMPUTE_PGM_RSRC2:TRAP_HANDLER: 0
; COMPUTE_PGM_RSRC2:TGID_X_EN: 1
; COMPUTE_PGM_RSRC2:TGID_Y_EN: 0
; COMPUTE_PGM_RSRC2:TGID_Z_EN: 0
; COMPUTE_PGM_RSRC2:TIDIG_COMP_CNT: 0
	.section	.text._Z35paged_attention_ll4mi_reduce_kernelI14__hip_bfloat16hLi64ELi64ELi256ELi4EEvPT0_PKfS4_PKT_PKiS9_iS4_,"axG",@progbits,_Z35paged_attention_ll4mi_reduce_kernelI14__hip_bfloat16hLi64ELi64ELi256ELi4EEvPT0_PKfS4_PKT_PKiS9_iS4_,comdat
	.protected	_Z35paged_attention_ll4mi_reduce_kernelI14__hip_bfloat16hLi64ELi64ELi256ELi4EEvPT0_PKfS4_PKT_PKiS9_iS4_ ; -- Begin function _Z35paged_attention_ll4mi_reduce_kernelI14__hip_bfloat16hLi64ELi64ELi256ELi4EEvPT0_PKfS4_PKT_PKiS9_iS4_
	.globl	_Z35paged_attention_ll4mi_reduce_kernelI14__hip_bfloat16hLi64ELi64ELi256ELi4EEvPT0_PKfS4_PKT_PKiS9_iS4_
	.p2align	8
	.type	_Z35paged_attention_ll4mi_reduce_kernelI14__hip_bfloat16hLi64ELi64ELi256ELi4EEvPT0_PKfS4_PKT_PKiS9_iS4_,@function
_Z35paged_attention_ll4mi_reduce_kernelI14__hip_bfloat16hLi64ELi64ELi256ELi4EEvPT0_PKfS4_PKT_PKiS9_iS4_: ; @_Z35paged_attention_ll4mi_reduce_kernelI14__hip_bfloat16hLi64ELi64ELi256ELi4EEvPT0_PKfS4_PKT_PKiS9_iS4_
; %bb.0:
	s_get_pc_i64 s[2:3]
	s_add_nc_u64 s[2:3], s[2:3], __PRETTY_FUNCTION__._Z35paged_attention_ll4mi_reduce_kernelI14__hip_bfloat16hLi64ELi64ELi256ELi4EEvPT0_PKfS4_PKT_PKiS9_iS4_@rel64+4
	s_delay_alu instid0(SALU_CYCLE_1)
	v_dual_mov_b32 v0, 0xbdd :: v_dual_mov_b32 v1, s2
	v_mov_b32_e32 v2, s3
	s_add_nc_u64 s[8:9], s[0:1], 64
	s_get_pc_i64 s[0:1]
	s_add_nc_u64 s[0:1], s[0:1], __assert_fail@rel64+4
	s_mov_b32 s32, 0
	s_swap_pc_i64 s[30:31], s[0:1]
	.section	.rodata,"a",@progbits
	.p2align	6, 0x0
	.amdhsa_kernel _Z35paged_attention_ll4mi_reduce_kernelI14__hip_bfloat16hLi64ELi64ELi256ELi4EEvPT0_PKfS4_PKT_PKiS9_iS4_
		.amdhsa_group_segment_fixed_size 0
		.amdhsa_private_segment_fixed_size 64
		.amdhsa_kernarg_size 320
		.amdhsa_user_sgpr_count 2
		.amdhsa_user_sgpr_dispatch_ptr 0
		.amdhsa_user_sgpr_queue_ptr 0
		.amdhsa_user_sgpr_kernarg_segment_ptr 1
		.amdhsa_user_sgpr_dispatch_id 0
		.amdhsa_user_sgpr_kernarg_preload_length 0
		.amdhsa_user_sgpr_kernarg_preload_offset 0
		.amdhsa_user_sgpr_private_segment_size 0
		.amdhsa_wavefront_size32 1
		.amdhsa_uses_dynamic_stack 0
		.amdhsa_enable_private_segment 1
		.amdhsa_system_sgpr_workgroup_id_x 1
		.amdhsa_system_sgpr_workgroup_id_y 0
		.amdhsa_system_sgpr_workgroup_id_z 0
		.amdhsa_system_sgpr_workgroup_info 0
		.amdhsa_system_vgpr_workitem_id 0
		.amdhsa_next_free_vgpr 51
		.amdhsa_next_free_sgpr 34
		.amdhsa_named_barrier_count 0
		.amdhsa_reserve_vcc 1
		.amdhsa_float_round_mode_32 0
		.amdhsa_float_round_mode_16_64 0
		.amdhsa_float_denorm_mode_32 3
		.amdhsa_float_denorm_mode_16_64 3
		.amdhsa_fp16_overflow 0
		.amdhsa_memory_ordered 1
		.amdhsa_forward_progress 1
		.amdhsa_inst_pref_size 1
		.amdhsa_round_robin_scheduling 0
		.amdhsa_exception_fp_ieee_invalid_op 0
		.amdhsa_exception_fp_denorm_src 0
		.amdhsa_exception_fp_ieee_div_zero 0
		.amdhsa_exception_fp_ieee_overflow 0
		.amdhsa_exception_fp_ieee_underflow 0
		.amdhsa_exception_fp_ieee_inexact 0
		.amdhsa_exception_int_div_zero 0
	.end_amdhsa_kernel
	.section	.text._Z35paged_attention_ll4mi_reduce_kernelI14__hip_bfloat16hLi64ELi64ELi256ELi4EEvPT0_PKfS4_PKT_PKiS9_iS4_,"axG",@progbits,_Z35paged_attention_ll4mi_reduce_kernelI14__hip_bfloat16hLi64ELi64ELi256ELi4EEvPT0_PKfS4_PKT_PKiS9_iS4_,comdat
.Lfunc_end405:
	.size	_Z35paged_attention_ll4mi_reduce_kernelI14__hip_bfloat16hLi64ELi64ELi256ELi4EEvPT0_PKfS4_PKT_PKiS9_iS4_, .Lfunc_end405-_Z35paged_attention_ll4mi_reduce_kernelI14__hip_bfloat16hLi64ELi64ELi256ELi4EEvPT0_PKfS4_PKT_PKiS9_iS4_
                                        ; -- End function
	.set _Z35paged_attention_ll4mi_reduce_kernelI14__hip_bfloat16hLi64ELi64ELi256ELi4EEvPT0_PKfS4_PKT_PKiS9_iS4_.num_vgpr, max(3, .L__assert_fail.num_vgpr)
	.set _Z35paged_attention_ll4mi_reduce_kernelI14__hip_bfloat16hLi64ELi64ELi256ELi4EEvPT0_PKfS4_PKT_PKiS9_iS4_.num_agpr, max(0, .L__assert_fail.num_agpr)
	.set _Z35paged_attention_ll4mi_reduce_kernelI14__hip_bfloat16hLi64ELi64ELi256ELi4EEvPT0_PKfS4_PKT_PKiS9_iS4_.numbered_sgpr, max(33, .L__assert_fail.numbered_sgpr)
	.set _Z35paged_attention_ll4mi_reduce_kernelI14__hip_bfloat16hLi64ELi64ELi256ELi4EEvPT0_PKfS4_PKT_PKiS9_iS4_.num_named_barrier, max(0, .L__assert_fail.num_named_barrier)
	.set _Z35paged_attention_ll4mi_reduce_kernelI14__hip_bfloat16hLi64ELi64ELi256ELi4EEvPT0_PKfS4_PKT_PKiS9_iS4_.private_seg_size, 0+max(.L__assert_fail.private_seg_size)
	.set _Z35paged_attention_ll4mi_reduce_kernelI14__hip_bfloat16hLi64ELi64ELi256ELi4EEvPT0_PKfS4_PKT_PKiS9_iS4_.uses_vcc, or(1, .L__assert_fail.uses_vcc)
	.set _Z35paged_attention_ll4mi_reduce_kernelI14__hip_bfloat16hLi64ELi64ELi256ELi4EEvPT0_PKfS4_PKT_PKiS9_iS4_.uses_flat_scratch, or(0, .L__assert_fail.uses_flat_scratch)
	.set _Z35paged_attention_ll4mi_reduce_kernelI14__hip_bfloat16hLi64ELi64ELi256ELi4EEvPT0_PKfS4_PKT_PKiS9_iS4_.has_dyn_sized_stack, or(0, .L__assert_fail.has_dyn_sized_stack)
	.set _Z35paged_attention_ll4mi_reduce_kernelI14__hip_bfloat16hLi64ELi64ELi256ELi4EEvPT0_PKfS4_PKT_PKiS9_iS4_.has_recursion, or(0, .L__assert_fail.has_recursion)
	.set _Z35paged_attention_ll4mi_reduce_kernelI14__hip_bfloat16hLi64ELi64ELi256ELi4EEvPT0_PKfS4_PKT_PKiS9_iS4_.has_indirect_call, or(0, .L__assert_fail.has_indirect_call)
	.section	.AMDGPU.csdata,"",@progbits
; Kernel info:
; codeLenInByte = 64
; TotalNumSgprs: 36
; NumVgprs: 51
; ScratchSize: 64
; MemoryBound: 0
; FloatMode: 240
; IeeeMode: 1
; LDSByteSize: 0 bytes/workgroup (compile time only)
; SGPRBlocks: 0
; VGPRBlocks: 3
; NumSGPRsForWavesPerEU: 36
; NumVGPRsForWavesPerEU: 51
; NamedBarCnt: 0
; Occupancy: 16
; WaveLimiterHint : 1
; COMPUTE_PGM_RSRC2:SCRATCH_EN: 1
; COMPUTE_PGM_RSRC2:USER_SGPR: 2
; COMPUTE_PGM_RSRC2:TRAP_HANDLER: 0
; COMPUTE_PGM_RSRC2:TGID_X_EN: 1
; COMPUTE_PGM_RSRC2:TGID_Y_EN: 0
; COMPUTE_PGM_RSRC2:TGID_Z_EN: 0
; COMPUTE_PGM_RSRC2:TIDIG_COMP_CNT: 0
	.section	.text._Z35paged_attention_ll4mi_reduce_kernelI14__hip_bfloat16hLi64ELi64ELi256ELi5EEvPT0_PKfS4_PKT_PKiS9_iS4_,"axG",@progbits,_Z35paged_attention_ll4mi_reduce_kernelI14__hip_bfloat16hLi64ELi64ELi256ELi5EEvPT0_PKfS4_PKT_PKiS9_iS4_,comdat
	.protected	_Z35paged_attention_ll4mi_reduce_kernelI14__hip_bfloat16hLi64ELi64ELi256ELi5EEvPT0_PKfS4_PKT_PKiS9_iS4_ ; -- Begin function _Z35paged_attention_ll4mi_reduce_kernelI14__hip_bfloat16hLi64ELi64ELi256ELi5EEvPT0_PKfS4_PKT_PKiS9_iS4_
	.globl	_Z35paged_attention_ll4mi_reduce_kernelI14__hip_bfloat16hLi64ELi64ELi256ELi5EEvPT0_PKfS4_PKT_PKiS9_iS4_
	.p2align	8
	.type	_Z35paged_attention_ll4mi_reduce_kernelI14__hip_bfloat16hLi64ELi64ELi256ELi5EEvPT0_PKfS4_PKT_PKiS9_iS4_,@function
_Z35paged_attention_ll4mi_reduce_kernelI14__hip_bfloat16hLi64ELi64ELi256ELi5EEvPT0_PKfS4_PKT_PKiS9_iS4_: ; @_Z35paged_attention_ll4mi_reduce_kernelI14__hip_bfloat16hLi64ELi64ELi256ELi5EEvPT0_PKfS4_PKT_PKiS9_iS4_
; %bb.0:
	s_get_pc_i64 s[2:3]
	s_add_nc_u64 s[2:3], s[2:3], __PRETTY_FUNCTION__._Z35paged_attention_ll4mi_reduce_kernelI14__hip_bfloat16hLi64ELi64ELi256ELi5EEvPT0_PKfS4_PKT_PKiS9_iS4_@rel64+4
	s_delay_alu instid0(SALU_CYCLE_1)
	v_dual_mov_b32 v0, 0xbdd :: v_dual_mov_b32 v1, s2
	v_mov_b32_e32 v2, s3
	s_add_nc_u64 s[8:9], s[0:1], 64
	s_get_pc_i64 s[0:1]
	s_add_nc_u64 s[0:1], s[0:1], __assert_fail@rel64+4
	s_mov_b32 s32, 0
	s_swap_pc_i64 s[30:31], s[0:1]
	.section	.rodata,"a",@progbits
	.p2align	6, 0x0
	.amdhsa_kernel _Z35paged_attention_ll4mi_reduce_kernelI14__hip_bfloat16hLi64ELi64ELi256ELi5EEvPT0_PKfS4_PKT_PKiS9_iS4_
		.amdhsa_group_segment_fixed_size 0
		.amdhsa_private_segment_fixed_size 64
		.amdhsa_kernarg_size 320
		.amdhsa_user_sgpr_count 2
		.amdhsa_user_sgpr_dispatch_ptr 0
		.amdhsa_user_sgpr_queue_ptr 0
		.amdhsa_user_sgpr_kernarg_segment_ptr 1
		.amdhsa_user_sgpr_dispatch_id 0
		.amdhsa_user_sgpr_kernarg_preload_length 0
		.amdhsa_user_sgpr_kernarg_preload_offset 0
		.amdhsa_user_sgpr_private_segment_size 0
		.amdhsa_wavefront_size32 1
		.amdhsa_uses_dynamic_stack 0
		.amdhsa_enable_private_segment 1
		.amdhsa_system_sgpr_workgroup_id_x 1
		.amdhsa_system_sgpr_workgroup_id_y 0
		.amdhsa_system_sgpr_workgroup_id_z 0
		.amdhsa_system_sgpr_workgroup_info 0
		.amdhsa_system_vgpr_workitem_id 0
		.amdhsa_next_free_vgpr 51
		.amdhsa_next_free_sgpr 34
		.amdhsa_named_barrier_count 0
		.amdhsa_reserve_vcc 1
		.amdhsa_float_round_mode_32 0
		.amdhsa_float_round_mode_16_64 0
		.amdhsa_float_denorm_mode_32 3
		.amdhsa_float_denorm_mode_16_64 3
		.amdhsa_fp16_overflow 0
		.amdhsa_memory_ordered 1
		.amdhsa_forward_progress 1
		.amdhsa_inst_pref_size 1
		.amdhsa_round_robin_scheduling 0
		.amdhsa_exception_fp_ieee_invalid_op 0
		.amdhsa_exception_fp_denorm_src 0
		.amdhsa_exception_fp_ieee_div_zero 0
		.amdhsa_exception_fp_ieee_overflow 0
		.amdhsa_exception_fp_ieee_underflow 0
		.amdhsa_exception_fp_ieee_inexact 0
		.amdhsa_exception_int_div_zero 0
	.end_amdhsa_kernel
	.section	.text._Z35paged_attention_ll4mi_reduce_kernelI14__hip_bfloat16hLi64ELi64ELi256ELi5EEvPT0_PKfS4_PKT_PKiS9_iS4_,"axG",@progbits,_Z35paged_attention_ll4mi_reduce_kernelI14__hip_bfloat16hLi64ELi64ELi256ELi5EEvPT0_PKfS4_PKT_PKiS9_iS4_,comdat
.Lfunc_end406:
	.size	_Z35paged_attention_ll4mi_reduce_kernelI14__hip_bfloat16hLi64ELi64ELi256ELi5EEvPT0_PKfS4_PKT_PKiS9_iS4_, .Lfunc_end406-_Z35paged_attention_ll4mi_reduce_kernelI14__hip_bfloat16hLi64ELi64ELi256ELi5EEvPT0_PKfS4_PKT_PKiS9_iS4_
                                        ; -- End function
	.set _Z35paged_attention_ll4mi_reduce_kernelI14__hip_bfloat16hLi64ELi64ELi256ELi5EEvPT0_PKfS4_PKT_PKiS9_iS4_.num_vgpr, max(3, .L__assert_fail.num_vgpr)
	.set _Z35paged_attention_ll4mi_reduce_kernelI14__hip_bfloat16hLi64ELi64ELi256ELi5EEvPT0_PKfS4_PKT_PKiS9_iS4_.num_agpr, max(0, .L__assert_fail.num_agpr)
	.set _Z35paged_attention_ll4mi_reduce_kernelI14__hip_bfloat16hLi64ELi64ELi256ELi5EEvPT0_PKfS4_PKT_PKiS9_iS4_.numbered_sgpr, max(33, .L__assert_fail.numbered_sgpr)
	.set _Z35paged_attention_ll4mi_reduce_kernelI14__hip_bfloat16hLi64ELi64ELi256ELi5EEvPT0_PKfS4_PKT_PKiS9_iS4_.num_named_barrier, max(0, .L__assert_fail.num_named_barrier)
	.set _Z35paged_attention_ll4mi_reduce_kernelI14__hip_bfloat16hLi64ELi64ELi256ELi5EEvPT0_PKfS4_PKT_PKiS9_iS4_.private_seg_size, 0+max(.L__assert_fail.private_seg_size)
	.set _Z35paged_attention_ll4mi_reduce_kernelI14__hip_bfloat16hLi64ELi64ELi256ELi5EEvPT0_PKfS4_PKT_PKiS9_iS4_.uses_vcc, or(1, .L__assert_fail.uses_vcc)
	.set _Z35paged_attention_ll4mi_reduce_kernelI14__hip_bfloat16hLi64ELi64ELi256ELi5EEvPT0_PKfS4_PKT_PKiS9_iS4_.uses_flat_scratch, or(0, .L__assert_fail.uses_flat_scratch)
	.set _Z35paged_attention_ll4mi_reduce_kernelI14__hip_bfloat16hLi64ELi64ELi256ELi5EEvPT0_PKfS4_PKT_PKiS9_iS4_.has_dyn_sized_stack, or(0, .L__assert_fail.has_dyn_sized_stack)
	.set _Z35paged_attention_ll4mi_reduce_kernelI14__hip_bfloat16hLi64ELi64ELi256ELi5EEvPT0_PKfS4_PKT_PKiS9_iS4_.has_recursion, or(0, .L__assert_fail.has_recursion)
	.set _Z35paged_attention_ll4mi_reduce_kernelI14__hip_bfloat16hLi64ELi64ELi256ELi5EEvPT0_PKfS4_PKT_PKiS9_iS4_.has_indirect_call, or(0, .L__assert_fail.has_indirect_call)
	.section	.AMDGPU.csdata,"",@progbits
; Kernel info:
; codeLenInByte = 64
; TotalNumSgprs: 36
; NumVgprs: 51
; ScratchSize: 64
; MemoryBound: 0
; FloatMode: 240
; IeeeMode: 1
; LDSByteSize: 0 bytes/workgroup (compile time only)
; SGPRBlocks: 0
; VGPRBlocks: 3
; NumSGPRsForWavesPerEU: 36
; NumVGPRsForWavesPerEU: 51
; NamedBarCnt: 0
; Occupancy: 16
; WaveLimiterHint : 1
; COMPUTE_PGM_RSRC2:SCRATCH_EN: 1
; COMPUTE_PGM_RSRC2:USER_SGPR: 2
; COMPUTE_PGM_RSRC2:TRAP_HANDLER: 0
; COMPUTE_PGM_RSRC2:TGID_X_EN: 1
; COMPUTE_PGM_RSRC2:TGID_Y_EN: 0
; COMPUTE_PGM_RSRC2:TGID_Z_EN: 0
; COMPUTE_PGM_RSRC2:TIDIG_COMP_CNT: 0
	.section	.text._Z35paged_attention_ll4mi_reduce_kernelI14__hip_bfloat16hLi64ELi64ELi256ELi6EEvPT0_PKfS4_PKT_PKiS9_iS4_,"axG",@progbits,_Z35paged_attention_ll4mi_reduce_kernelI14__hip_bfloat16hLi64ELi64ELi256ELi6EEvPT0_PKfS4_PKT_PKiS9_iS4_,comdat
	.protected	_Z35paged_attention_ll4mi_reduce_kernelI14__hip_bfloat16hLi64ELi64ELi256ELi6EEvPT0_PKfS4_PKT_PKiS9_iS4_ ; -- Begin function _Z35paged_attention_ll4mi_reduce_kernelI14__hip_bfloat16hLi64ELi64ELi256ELi6EEvPT0_PKfS4_PKT_PKiS9_iS4_
	.globl	_Z35paged_attention_ll4mi_reduce_kernelI14__hip_bfloat16hLi64ELi64ELi256ELi6EEvPT0_PKfS4_PKT_PKiS9_iS4_
	.p2align	8
	.type	_Z35paged_attention_ll4mi_reduce_kernelI14__hip_bfloat16hLi64ELi64ELi256ELi6EEvPT0_PKfS4_PKT_PKiS9_iS4_,@function
_Z35paged_attention_ll4mi_reduce_kernelI14__hip_bfloat16hLi64ELi64ELi256ELi6EEvPT0_PKfS4_PKT_PKiS9_iS4_: ; @_Z35paged_attention_ll4mi_reduce_kernelI14__hip_bfloat16hLi64ELi64ELi256ELi6EEvPT0_PKfS4_PKT_PKiS9_iS4_
; %bb.0:
	s_get_pc_i64 s[2:3]
	s_add_nc_u64 s[2:3], s[2:3], __PRETTY_FUNCTION__._Z35paged_attention_ll4mi_reduce_kernelI14__hip_bfloat16hLi64ELi64ELi256ELi6EEvPT0_PKfS4_PKT_PKiS9_iS4_@rel64+4
	s_delay_alu instid0(SALU_CYCLE_1)
	v_dual_mov_b32 v0, 0xbdd :: v_dual_mov_b32 v1, s2
	v_mov_b32_e32 v2, s3
	s_add_nc_u64 s[8:9], s[0:1], 64
	s_get_pc_i64 s[0:1]
	s_add_nc_u64 s[0:1], s[0:1], __assert_fail@rel64+4
	s_mov_b32 s32, 0
	s_swap_pc_i64 s[30:31], s[0:1]
	.section	.rodata,"a",@progbits
	.p2align	6, 0x0
	.amdhsa_kernel _Z35paged_attention_ll4mi_reduce_kernelI14__hip_bfloat16hLi64ELi64ELi256ELi6EEvPT0_PKfS4_PKT_PKiS9_iS4_
		.amdhsa_group_segment_fixed_size 0
		.amdhsa_private_segment_fixed_size 64
		.amdhsa_kernarg_size 320
		.amdhsa_user_sgpr_count 2
		.amdhsa_user_sgpr_dispatch_ptr 0
		.amdhsa_user_sgpr_queue_ptr 0
		.amdhsa_user_sgpr_kernarg_segment_ptr 1
		.amdhsa_user_sgpr_dispatch_id 0
		.amdhsa_user_sgpr_kernarg_preload_length 0
		.amdhsa_user_sgpr_kernarg_preload_offset 0
		.amdhsa_user_sgpr_private_segment_size 0
		.amdhsa_wavefront_size32 1
		.amdhsa_uses_dynamic_stack 0
		.amdhsa_enable_private_segment 1
		.amdhsa_system_sgpr_workgroup_id_x 1
		.amdhsa_system_sgpr_workgroup_id_y 0
		.amdhsa_system_sgpr_workgroup_id_z 0
		.amdhsa_system_sgpr_workgroup_info 0
		.amdhsa_system_vgpr_workitem_id 0
		.amdhsa_next_free_vgpr 51
		.amdhsa_next_free_sgpr 34
		.amdhsa_named_barrier_count 0
		.amdhsa_reserve_vcc 1
		.amdhsa_float_round_mode_32 0
		.amdhsa_float_round_mode_16_64 0
		.amdhsa_float_denorm_mode_32 3
		.amdhsa_float_denorm_mode_16_64 3
		.amdhsa_fp16_overflow 0
		.amdhsa_memory_ordered 1
		.amdhsa_forward_progress 1
		.amdhsa_inst_pref_size 1
		.amdhsa_round_robin_scheduling 0
		.amdhsa_exception_fp_ieee_invalid_op 0
		.amdhsa_exception_fp_denorm_src 0
		.amdhsa_exception_fp_ieee_div_zero 0
		.amdhsa_exception_fp_ieee_overflow 0
		.amdhsa_exception_fp_ieee_underflow 0
		.amdhsa_exception_fp_ieee_inexact 0
		.amdhsa_exception_int_div_zero 0
	.end_amdhsa_kernel
	.section	.text._Z35paged_attention_ll4mi_reduce_kernelI14__hip_bfloat16hLi64ELi64ELi256ELi6EEvPT0_PKfS4_PKT_PKiS9_iS4_,"axG",@progbits,_Z35paged_attention_ll4mi_reduce_kernelI14__hip_bfloat16hLi64ELi64ELi256ELi6EEvPT0_PKfS4_PKT_PKiS9_iS4_,comdat
.Lfunc_end407:
	.size	_Z35paged_attention_ll4mi_reduce_kernelI14__hip_bfloat16hLi64ELi64ELi256ELi6EEvPT0_PKfS4_PKT_PKiS9_iS4_, .Lfunc_end407-_Z35paged_attention_ll4mi_reduce_kernelI14__hip_bfloat16hLi64ELi64ELi256ELi6EEvPT0_PKfS4_PKT_PKiS9_iS4_
                                        ; -- End function
	.set _Z35paged_attention_ll4mi_reduce_kernelI14__hip_bfloat16hLi64ELi64ELi256ELi6EEvPT0_PKfS4_PKT_PKiS9_iS4_.num_vgpr, max(3, .L__assert_fail.num_vgpr)
	.set _Z35paged_attention_ll4mi_reduce_kernelI14__hip_bfloat16hLi64ELi64ELi256ELi6EEvPT0_PKfS4_PKT_PKiS9_iS4_.num_agpr, max(0, .L__assert_fail.num_agpr)
	.set _Z35paged_attention_ll4mi_reduce_kernelI14__hip_bfloat16hLi64ELi64ELi256ELi6EEvPT0_PKfS4_PKT_PKiS9_iS4_.numbered_sgpr, max(33, .L__assert_fail.numbered_sgpr)
	.set _Z35paged_attention_ll4mi_reduce_kernelI14__hip_bfloat16hLi64ELi64ELi256ELi6EEvPT0_PKfS4_PKT_PKiS9_iS4_.num_named_barrier, max(0, .L__assert_fail.num_named_barrier)
	.set _Z35paged_attention_ll4mi_reduce_kernelI14__hip_bfloat16hLi64ELi64ELi256ELi6EEvPT0_PKfS4_PKT_PKiS9_iS4_.private_seg_size, 0+max(.L__assert_fail.private_seg_size)
	.set _Z35paged_attention_ll4mi_reduce_kernelI14__hip_bfloat16hLi64ELi64ELi256ELi6EEvPT0_PKfS4_PKT_PKiS9_iS4_.uses_vcc, or(1, .L__assert_fail.uses_vcc)
	.set _Z35paged_attention_ll4mi_reduce_kernelI14__hip_bfloat16hLi64ELi64ELi256ELi6EEvPT0_PKfS4_PKT_PKiS9_iS4_.uses_flat_scratch, or(0, .L__assert_fail.uses_flat_scratch)
	.set _Z35paged_attention_ll4mi_reduce_kernelI14__hip_bfloat16hLi64ELi64ELi256ELi6EEvPT0_PKfS4_PKT_PKiS9_iS4_.has_dyn_sized_stack, or(0, .L__assert_fail.has_dyn_sized_stack)
	.set _Z35paged_attention_ll4mi_reduce_kernelI14__hip_bfloat16hLi64ELi64ELi256ELi6EEvPT0_PKfS4_PKT_PKiS9_iS4_.has_recursion, or(0, .L__assert_fail.has_recursion)
	.set _Z35paged_attention_ll4mi_reduce_kernelI14__hip_bfloat16hLi64ELi64ELi256ELi6EEvPT0_PKfS4_PKT_PKiS9_iS4_.has_indirect_call, or(0, .L__assert_fail.has_indirect_call)
	.section	.AMDGPU.csdata,"",@progbits
; Kernel info:
; codeLenInByte = 64
; TotalNumSgprs: 36
; NumVgprs: 51
; ScratchSize: 64
; MemoryBound: 0
; FloatMode: 240
; IeeeMode: 1
; LDSByteSize: 0 bytes/workgroup (compile time only)
; SGPRBlocks: 0
; VGPRBlocks: 3
; NumSGPRsForWavesPerEU: 36
; NumVGPRsForWavesPerEU: 51
; NamedBarCnt: 0
; Occupancy: 16
; WaveLimiterHint : 1
; COMPUTE_PGM_RSRC2:SCRATCH_EN: 1
; COMPUTE_PGM_RSRC2:USER_SGPR: 2
; COMPUTE_PGM_RSRC2:TRAP_HANDLER: 0
; COMPUTE_PGM_RSRC2:TGID_X_EN: 1
; COMPUTE_PGM_RSRC2:TGID_Y_EN: 0
; COMPUTE_PGM_RSRC2:TGID_Z_EN: 0
; COMPUTE_PGM_RSRC2:TIDIG_COMP_CNT: 0
	.section	.text._Z35paged_attention_ll4mi_reduce_kernelI14__hip_bfloat16hLi64ELi64ELi256ELi7EEvPT0_PKfS4_PKT_PKiS9_iS4_,"axG",@progbits,_Z35paged_attention_ll4mi_reduce_kernelI14__hip_bfloat16hLi64ELi64ELi256ELi7EEvPT0_PKfS4_PKT_PKiS9_iS4_,comdat
	.protected	_Z35paged_attention_ll4mi_reduce_kernelI14__hip_bfloat16hLi64ELi64ELi256ELi7EEvPT0_PKfS4_PKT_PKiS9_iS4_ ; -- Begin function _Z35paged_attention_ll4mi_reduce_kernelI14__hip_bfloat16hLi64ELi64ELi256ELi7EEvPT0_PKfS4_PKT_PKiS9_iS4_
	.globl	_Z35paged_attention_ll4mi_reduce_kernelI14__hip_bfloat16hLi64ELi64ELi256ELi7EEvPT0_PKfS4_PKT_PKiS9_iS4_
	.p2align	8
	.type	_Z35paged_attention_ll4mi_reduce_kernelI14__hip_bfloat16hLi64ELi64ELi256ELi7EEvPT0_PKfS4_PKT_PKiS9_iS4_,@function
_Z35paged_attention_ll4mi_reduce_kernelI14__hip_bfloat16hLi64ELi64ELi256ELi7EEvPT0_PKfS4_PKT_PKiS9_iS4_: ; @_Z35paged_attention_ll4mi_reduce_kernelI14__hip_bfloat16hLi64ELi64ELi256ELi7EEvPT0_PKfS4_PKT_PKiS9_iS4_
; %bb.0:
	s_get_pc_i64 s[2:3]
	s_add_nc_u64 s[2:3], s[2:3], __PRETTY_FUNCTION__._Z35paged_attention_ll4mi_reduce_kernelI14__hip_bfloat16hLi64ELi64ELi256ELi7EEvPT0_PKfS4_PKT_PKiS9_iS4_@rel64+4
	s_delay_alu instid0(SALU_CYCLE_1)
	v_dual_mov_b32 v0, 0xbdd :: v_dual_mov_b32 v1, s2
	v_mov_b32_e32 v2, s3
	s_add_nc_u64 s[8:9], s[0:1], 64
	s_get_pc_i64 s[0:1]
	s_add_nc_u64 s[0:1], s[0:1], __assert_fail@rel64+4
	s_mov_b32 s32, 0
	s_swap_pc_i64 s[30:31], s[0:1]
	.section	.rodata,"a",@progbits
	.p2align	6, 0x0
	.amdhsa_kernel _Z35paged_attention_ll4mi_reduce_kernelI14__hip_bfloat16hLi64ELi64ELi256ELi7EEvPT0_PKfS4_PKT_PKiS9_iS4_
		.amdhsa_group_segment_fixed_size 0
		.amdhsa_private_segment_fixed_size 64
		.amdhsa_kernarg_size 320
		.amdhsa_user_sgpr_count 2
		.amdhsa_user_sgpr_dispatch_ptr 0
		.amdhsa_user_sgpr_queue_ptr 0
		.amdhsa_user_sgpr_kernarg_segment_ptr 1
		.amdhsa_user_sgpr_dispatch_id 0
		.amdhsa_user_sgpr_kernarg_preload_length 0
		.amdhsa_user_sgpr_kernarg_preload_offset 0
		.amdhsa_user_sgpr_private_segment_size 0
		.amdhsa_wavefront_size32 1
		.amdhsa_uses_dynamic_stack 0
		.amdhsa_enable_private_segment 1
		.amdhsa_system_sgpr_workgroup_id_x 1
		.amdhsa_system_sgpr_workgroup_id_y 0
		.amdhsa_system_sgpr_workgroup_id_z 0
		.amdhsa_system_sgpr_workgroup_info 0
		.amdhsa_system_vgpr_workitem_id 0
		.amdhsa_next_free_vgpr 51
		.amdhsa_next_free_sgpr 34
		.amdhsa_named_barrier_count 0
		.amdhsa_reserve_vcc 1
		.amdhsa_float_round_mode_32 0
		.amdhsa_float_round_mode_16_64 0
		.amdhsa_float_denorm_mode_32 3
		.amdhsa_float_denorm_mode_16_64 3
		.amdhsa_fp16_overflow 0
		.amdhsa_memory_ordered 1
		.amdhsa_forward_progress 1
		.amdhsa_inst_pref_size 1
		.amdhsa_round_robin_scheduling 0
		.amdhsa_exception_fp_ieee_invalid_op 0
		.amdhsa_exception_fp_denorm_src 0
		.amdhsa_exception_fp_ieee_div_zero 0
		.amdhsa_exception_fp_ieee_overflow 0
		.amdhsa_exception_fp_ieee_underflow 0
		.amdhsa_exception_fp_ieee_inexact 0
		.amdhsa_exception_int_div_zero 0
	.end_amdhsa_kernel
	.section	.text._Z35paged_attention_ll4mi_reduce_kernelI14__hip_bfloat16hLi64ELi64ELi256ELi7EEvPT0_PKfS4_PKT_PKiS9_iS4_,"axG",@progbits,_Z35paged_attention_ll4mi_reduce_kernelI14__hip_bfloat16hLi64ELi64ELi256ELi7EEvPT0_PKfS4_PKT_PKiS9_iS4_,comdat
.Lfunc_end408:
	.size	_Z35paged_attention_ll4mi_reduce_kernelI14__hip_bfloat16hLi64ELi64ELi256ELi7EEvPT0_PKfS4_PKT_PKiS9_iS4_, .Lfunc_end408-_Z35paged_attention_ll4mi_reduce_kernelI14__hip_bfloat16hLi64ELi64ELi256ELi7EEvPT0_PKfS4_PKT_PKiS9_iS4_
                                        ; -- End function
	.set _Z35paged_attention_ll4mi_reduce_kernelI14__hip_bfloat16hLi64ELi64ELi256ELi7EEvPT0_PKfS4_PKT_PKiS9_iS4_.num_vgpr, max(3, .L__assert_fail.num_vgpr)
	.set _Z35paged_attention_ll4mi_reduce_kernelI14__hip_bfloat16hLi64ELi64ELi256ELi7EEvPT0_PKfS4_PKT_PKiS9_iS4_.num_agpr, max(0, .L__assert_fail.num_agpr)
	.set _Z35paged_attention_ll4mi_reduce_kernelI14__hip_bfloat16hLi64ELi64ELi256ELi7EEvPT0_PKfS4_PKT_PKiS9_iS4_.numbered_sgpr, max(33, .L__assert_fail.numbered_sgpr)
	.set _Z35paged_attention_ll4mi_reduce_kernelI14__hip_bfloat16hLi64ELi64ELi256ELi7EEvPT0_PKfS4_PKT_PKiS9_iS4_.num_named_barrier, max(0, .L__assert_fail.num_named_barrier)
	.set _Z35paged_attention_ll4mi_reduce_kernelI14__hip_bfloat16hLi64ELi64ELi256ELi7EEvPT0_PKfS4_PKT_PKiS9_iS4_.private_seg_size, 0+max(.L__assert_fail.private_seg_size)
	.set _Z35paged_attention_ll4mi_reduce_kernelI14__hip_bfloat16hLi64ELi64ELi256ELi7EEvPT0_PKfS4_PKT_PKiS9_iS4_.uses_vcc, or(1, .L__assert_fail.uses_vcc)
	.set _Z35paged_attention_ll4mi_reduce_kernelI14__hip_bfloat16hLi64ELi64ELi256ELi7EEvPT0_PKfS4_PKT_PKiS9_iS4_.uses_flat_scratch, or(0, .L__assert_fail.uses_flat_scratch)
	.set _Z35paged_attention_ll4mi_reduce_kernelI14__hip_bfloat16hLi64ELi64ELi256ELi7EEvPT0_PKfS4_PKT_PKiS9_iS4_.has_dyn_sized_stack, or(0, .L__assert_fail.has_dyn_sized_stack)
	.set _Z35paged_attention_ll4mi_reduce_kernelI14__hip_bfloat16hLi64ELi64ELi256ELi7EEvPT0_PKfS4_PKT_PKiS9_iS4_.has_recursion, or(0, .L__assert_fail.has_recursion)
	.set _Z35paged_attention_ll4mi_reduce_kernelI14__hip_bfloat16hLi64ELi64ELi256ELi7EEvPT0_PKfS4_PKT_PKiS9_iS4_.has_indirect_call, or(0, .L__assert_fail.has_indirect_call)
	.section	.AMDGPU.csdata,"",@progbits
; Kernel info:
; codeLenInByte = 64
; TotalNumSgprs: 36
; NumVgprs: 51
; ScratchSize: 64
; MemoryBound: 0
; FloatMode: 240
; IeeeMode: 1
; LDSByteSize: 0 bytes/workgroup (compile time only)
; SGPRBlocks: 0
; VGPRBlocks: 3
; NumSGPRsForWavesPerEU: 36
; NumVGPRsForWavesPerEU: 51
; NamedBarCnt: 0
; Occupancy: 16
; WaveLimiterHint : 1
; COMPUTE_PGM_RSRC2:SCRATCH_EN: 1
; COMPUTE_PGM_RSRC2:USER_SGPR: 2
; COMPUTE_PGM_RSRC2:TRAP_HANDLER: 0
; COMPUTE_PGM_RSRC2:TGID_X_EN: 1
; COMPUTE_PGM_RSRC2:TGID_Y_EN: 0
; COMPUTE_PGM_RSRC2:TGID_Z_EN: 0
; COMPUTE_PGM_RSRC2:TIDIG_COMP_CNT: 0
	.section	.text._Z35paged_attention_ll4mi_reduce_kernelI14__hip_bfloat16hLi64ELi64ELi256ELi8EEvPT0_PKfS4_PKT_PKiS9_iS4_,"axG",@progbits,_Z35paged_attention_ll4mi_reduce_kernelI14__hip_bfloat16hLi64ELi64ELi256ELi8EEvPT0_PKfS4_PKT_PKiS9_iS4_,comdat
	.protected	_Z35paged_attention_ll4mi_reduce_kernelI14__hip_bfloat16hLi64ELi64ELi256ELi8EEvPT0_PKfS4_PKT_PKiS9_iS4_ ; -- Begin function _Z35paged_attention_ll4mi_reduce_kernelI14__hip_bfloat16hLi64ELi64ELi256ELi8EEvPT0_PKfS4_PKT_PKiS9_iS4_
	.globl	_Z35paged_attention_ll4mi_reduce_kernelI14__hip_bfloat16hLi64ELi64ELi256ELi8EEvPT0_PKfS4_PKT_PKiS9_iS4_
	.p2align	8
	.type	_Z35paged_attention_ll4mi_reduce_kernelI14__hip_bfloat16hLi64ELi64ELi256ELi8EEvPT0_PKfS4_PKT_PKiS9_iS4_,@function
_Z35paged_attention_ll4mi_reduce_kernelI14__hip_bfloat16hLi64ELi64ELi256ELi8EEvPT0_PKfS4_PKT_PKiS9_iS4_: ; @_Z35paged_attention_ll4mi_reduce_kernelI14__hip_bfloat16hLi64ELi64ELi256ELi8EEvPT0_PKfS4_PKT_PKiS9_iS4_
; %bb.0:
	s_get_pc_i64 s[2:3]
	s_add_nc_u64 s[2:3], s[2:3], __PRETTY_FUNCTION__._Z35paged_attention_ll4mi_reduce_kernelI14__hip_bfloat16hLi64ELi64ELi256ELi8EEvPT0_PKfS4_PKT_PKiS9_iS4_@rel64+4
	s_delay_alu instid0(SALU_CYCLE_1)
	v_dual_mov_b32 v0, 0xbdd :: v_dual_mov_b32 v1, s2
	v_mov_b32_e32 v2, s3
	s_add_nc_u64 s[8:9], s[0:1], 64
	s_get_pc_i64 s[0:1]
	s_add_nc_u64 s[0:1], s[0:1], __assert_fail@rel64+4
	s_mov_b32 s32, 0
	s_swap_pc_i64 s[30:31], s[0:1]
	.section	.rodata,"a",@progbits
	.p2align	6, 0x0
	.amdhsa_kernel _Z35paged_attention_ll4mi_reduce_kernelI14__hip_bfloat16hLi64ELi64ELi256ELi8EEvPT0_PKfS4_PKT_PKiS9_iS4_
		.amdhsa_group_segment_fixed_size 0
		.amdhsa_private_segment_fixed_size 64
		.amdhsa_kernarg_size 320
		.amdhsa_user_sgpr_count 2
		.amdhsa_user_sgpr_dispatch_ptr 0
		.amdhsa_user_sgpr_queue_ptr 0
		.amdhsa_user_sgpr_kernarg_segment_ptr 1
		.amdhsa_user_sgpr_dispatch_id 0
		.amdhsa_user_sgpr_kernarg_preload_length 0
		.amdhsa_user_sgpr_kernarg_preload_offset 0
		.amdhsa_user_sgpr_private_segment_size 0
		.amdhsa_wavefront_size32 1
		.amdhsa_uses_dynamic_stack 0
		.amdhsa_enable_private_segment 1
		.amdhsa_system_sgpr_workgroup_id_x 1
		.amdhsa_system_sgpr_workgroup_id_y 0
		.amdhsa_system_sgpr_workgroup_id_z 0
		.amdhsa_system_sgpr_workgroup_info 0
		.amdhsa_system_vgpr_workitem_id 0
		.amdhsa_next_free_vgpr 51
		.amdhsa_next_free_sgpr 34
		.amdhsa_named_barrier_count 0
		.amdhsa_reserve_vcc 1
		.amdhsa_float_round_mode_32 0
		.amdhsa_float_round_mode_16_64 0
		.amdhsa_float_denorm_mode_32 3
		.amdhsa_float_denorm_mode_16_64 3
		.amdhsa_fp16_overflow 0
		.amdhsa_memory_ordered 1
		.amdhsa_forward_progress 1
		.amdhsa_inst_pref_size 1
		.amdhsa_round_robin_scheduling 0
		.amdhsa_exception_fp_ieee_invalid_op 0
		.amdhsa_exception_fp_denorm_src 0
		.amdhsa_exception_fp_ieee_div_zero 0
		.amdhsa_exception_fp_ieee_overflow 0
		.amdhsa_exception_fp_ieee_underflow 0
		.amdhsa_exception_fp_ieee_inexact 0
		.amdhsa_exception_int_div_zero 0
	.end_amdhsa_kernel
	.section	.text._Z35paged_attention_ll4mi_reduce_kernelI14__hip_bfloat16hLi64ELi64ELi256ELi8EEvPT0_PKfS4_PKT_PKiS9_iS4_,"axG",@progbits,_Z35paged_attention_ll4mi_reduce_kernelI14__hip_bfloat16hLi64ELi64ELi256ELi8EEvPT0_PKfS4_PKT_PKiS9_iS4_,comdat
.Lfunc_end409:
	.size	_Z35paged_attention_ll4mi_reduce_kernelI14__hip_bfloat16hLi64ELi64ELi256ELi8EEvPT0_PKfS4_PKT_PKiS9_iS4_, .Lfunc_end409-_Z35paged_attention_ll4mi_reduce_kernelI14__hip_bfloat16hLi64ELi64ELi256ELi8EEvPT0_PKfS4_PKT_PKiS9_iS4_
                                        ; -- End function
	.set _Z35paged_attention_ll4mi_reduce_kernelI14__hip_bfloat16hLi64ELi64ELi256ELi8EEvPT0_PKfS4_PKT_PKiS9_iS4_.num_vgpr, max(3, .L__assert_fail.num_vgpr)
	.set _Z35paged_attention_ll4mi_reduce_kernelI14__hip_bfloat16hLi64ELi64ELi256ELi8EEvPT0_PKfS4_PKT_PKiS9_iS4_.num_agpr, max(0, .L__assert_fail.num_agpr)
	.set _Z35paged_attention_ll4mi_reduce_kernelI14__hip_bfloat16hLi64ELi64ELi256ELi8EEvPT0_PKfS4_PKT_PKiS9_iS4_.numbered_sgpr, max(33, .L__assert_fail.numbered_sgpr)
	.set _Z35paged_attention_ll4mi_reduce_kernelI14__hip_bfloat16hLi64ELi64ELi256ELi8EEvPT0_PKfS4_PKT_PKiS9_iS4_.num_named_barrier, max(0, .L__assert_fail.num_named_barrier)
	.set _Z35paged_attention_ll4mi_reduce_kernelI14__hip_bfloat16hLi64ELi64ELi256ELi8EEvPT0_PKfS4_PKT_PKiS9_iS4_.private_seg_size, 0+max(.L__assert_fail.private_seg_size)
	.set _Z35paged_attention_ll4mi_reduce_kernelI14__hip_bfloat16hLi64ELi64ELi256ELi8EEvPT0_PKfS4_PKT_PKiS9_iS4_.uses_vcc, or(1, .L__assert_fail.uses_vcc)
	.set _Z35paged_attention_ll4mi_reduce_kernelI14__hip_bfloat16hLi64ELi64ELi256ELi8EEvPT0_PKfS4_PKT_PKiS9_iS4_.uses_flat_scratch, or(0, .L__assert_fail.uses_flat_scratch)
	.set _Z35paged_attention_ll4mi_reduce_kernelI14__hip_bfloat16hLi64ELi64ELi256ELi8EEvPT0_PKfS4_PKT_PKiS9_iS4_.has_dyn_sized_stack, or(0, .L__assert_fail.has_dyn_sized_stack)
	.set _Z35paged_attention_ll4mi_reduce_kernelI14__hip_bfloat16hLi64ELi64ELi256ELi8EEvPT0_PKfS4_PKT_PKiS9_iS4_.has_recursion, or(0, .L__assert_fail.has_recursion)
	.set _Z35paged_attention_ll4mi_reduce_kernelI14__hip_bfloat16hLi64ELi64ELi256ELi8EEvPT0_PKfS4_PKT_PKiS9_iS4_.has_indirect_call, or(0, .L__assert_fail.has_indirect_call)
	.section	.AMDGPU.csdata,"",@progbits
; Kernel info:
; codeLenInByte = 64
; TotalNumSgprs: 36
; NumVgprs: 51
; ScratchSize: 64
; MemoryBound: 0
; FloatMode: 240
; IeeeMode: 1
; LDSByteSize: 0 bytes/workgroup (compile time only)
; SGPRBlocks: 0
; VGPRBlocks: 3
; NumSGPRsForWavesPerEU: 36
; NumVGPRsForWavesPerEU: 51
; NamedBarCnt: 0
; Occupancy: 16
; WaveLimiterHint : 1
; COMPUTE_PGM_RSRC2:SCRATCH_EN: 1
; COMPUTE_PGM_RSRC2:USER_SGPR: 2
; COMPUTE_PGM_RSRC2:TRAP_HANDLER: 0
; COMPUTE_PGM_RSRC2:TGID_X_EN: 1
; COMPUTE_PGM_RSRC2:TGID_Y_EN: 0
; COMPUTE_PGM_RSRC2:TGID_Z_EN: 0
; COMPUTE_PGM_RSRC2:TIDIG_COMP_CNT: 0
	.section	.text._Z39paged_attention_ll4mi_QKV_mfma16_kernelI14__hip_bfloat16S0_LN4vllm18Fp8KVCacheDataTypeE0EhLi16ELi64ELi256ELb1ELi1EEvPKT_PKT0_S8_ifPKiSA_SA_iPKfiiiPfSD_PS3_PT2_iSC_SC_,"axG",@progbits,_Z39paged_attention_ll4mi_QKV_mfma16_kernelI14__hip_bfloat16S0_LN4vllm18Fp8KVCacheDataTypeE0EhLi16ELi64ELi256ELb1ELi1EEvPKT_PKT0_S8_ifPKiSA_SA_iPKfiiiPfSD_PS3_PT2_iSC_SC_,comdat
	.protected	_Z39paged_attention_ll4mi_QKV_mfma16_kernelI14__hip_bfloat16S0_LN4vllm18Fp8KVCacheDataTypeE0EhLi16ELi64ELi256ELb1ELi1EEvPKT_PKT0_S8_ifPKiSA_SA_iPKfiiiPfSD_PS3_PT2_iSC_SC_ ; -- Begin function _Z39paged_attention_ll4mi_QKV_mfma16_kernelI14__hip_bfloat16S0_LN4vllm18Fp8KVCacheDataTypeE0EhLi16ELi64ELi256ELb1ELi1EEvPKT_PKT0_S8_ifPKiSA_SA_iPKfiiiPfSD_PS3_PT2_iSC_SC_
	.globl	_Z39paged_attention_ll4mi_QKV_mfma16_kernelI14__hip_bfloat16S0_LN4vllm18Fp8KVCacheDataTypeE0EhLi16ELi64ELi256ELb1ELi1EEvPKT_PKT0_S8_ifPKiSA_SA_iPKfiiiPfSD_PS3_PT2_iSC_SC_
	.p2align	8
	.type	_Z39paged_attention_ll4mi_QKV_mfma16_kernelI14__hip_bfloat16S0_LN4vllm18Fp8KVCacheDataTypeE0EhLi16ELi64ELi256ELb1ELi1EEvPKT_PKT0_S8_ifPKiSA_SA_iPKfiiiPfSD_PS3_PT2_iSC_SC_,@function
_Z39paged_attention_ll4mi_QKV_mfma16_kernelI14__hip_bfloat16S0_LN4vllm18Fp8KVCacheDataTypeE0EhLi16ELi64ELi256ELb1ELi1EEvPKT_PKT0_S8_ifPKiSA_SA_iPKfiiiPfSD_PS3_PT2_iSC_SC_: ; @_Z39paged_attention_ll4mi_QKV_mfma16_kernelI14__hip_bfloat16S0_LN4vllm18Fp8KVCacheDataTypeE0EhLi16ELi64ELi256ELb1ELi1EEvPKT_PKT0_S8_ifPKiSA_SA_iPKfiiiPfSD_PS3_PT2_iSC_SC_
; %bb.0:
	s_get_pc_i64 s[2:3]
	s_add_nc_u64 s[2:3], s[2:3], __PRETTY_FUNCTION__._Z39paged_attention_ll4mi_QKV_mfma16_kernelI14__hip_bfloat16S0_LN4vllm18Fp8KVCacheDataTypeE0EhLi16ELi64ELi256ELb1ELi1EEvPKT_PKT0_S8_ifPKiSA_SA_iPKfiiiPfSD_PS3_PT2_iSC_SC_@rel64+4
	s_delay_alu instid0(SALU_CYCLE_1)
	v_dual_mov_b32 v0, 0xbb3 :: v_dual_mov_b32 v1, s2
	v_mov_b32_e32 v2, s3
	s_add_nc_u64 s[8:9], s[0:1], 0x90
	s_get_pc_i64 s[0:1]
	s_add_nc_u64 s[0:1], s[0:1], __assert_fail@rel64+4
	s_mov_b32 s32, 0
	s_swap_pc_i64 s[30:31], s[0:1]
	.section	.rodata,"a",@progbits
	.p2align	6, 0x0
	.amdhsa_kernel _Z39paged_attention_ll4mi_QKV_mfma16_kernelI14__hip_bfloat16S0_LN4vllm18Fp8KVCacheDataTypeE0EhLi16ELi64ELi256ELb1ELi1EEvPKT_PKT0_S8_ifPKiSA_SA_iPKfiiiPfSD_PS3_PT2_iSC_SC_
		.amdhsa_group_segment_fixed_size 0
		.amdhsa_private_segment_fixed_size 64
		.amdhsa_kernarg_size 400
		.amdhsa_user_sgpr_count 2
		.amdhsa_user_sgpr_dispatch_ptr 0
		.amdhsa_user_sgpr_queue_ptr 0
		.amdhsa_user_sgpr_kernarg_segment_ptr 1
		.amdhsa_user_sgpr_dispatch_id 0
		.amdhsa_user_sgpr_kernarg_preload_length 0
		.amdhsa_user_sgpr_kernarg_preload_offset 0
		.amdhsa_user_sgpr_private_segment_size 0
		.amdhsa_wavefront_size32 1
		.amdhsa_uses_dynamic_stack 0
		.amdhsa_enable_private_segment 1
		.amdhsa_system_sgpr_workgroup_id_x 1
		.amdhsa_system_sgpr_workgroup_id_y 0
		.amdhsa_system_sgpr_workgroup_id_z 0
		.amdhsa_system_sgpr_workgroup_info 0
		.amdhsa_system_vgpr_workitem_id 0
		.amdhsa_next_free_vgpr 51
		.amdhsa_next_free_sgpr 34
		.amdhsa_named_barrier_count 0
		.amdhsa_reserve_vcc 1
		.amdhsa_float_round_mode_32 0
		.amdhsa_float_round_mode_16_64 0
		.amdhsa_float_denorm_mode_32 3
		.amdhsa_float_denorm_mode_16_64 3
		.amdhsa_fp16_overflow 0
		.amdhsa_memory_ordered 1
		.amdhsa_forward_progress 1
		.amdhsa_inst_pref_size 1
		.amdhsa_round_robin_scheduling 0
		.amdhsa_exception_fp_ieee_invalid_op 0
		.amdhsa_exception_fp_denorm_src 0
		.amdhsa_exception_fp_ieee_div_zero 0
		.amdhsa_exception_fp_ieee_overflow 0
		.amdhsa_exception_fp_ieee_underflow 0
		.amdhsa_exception_fp_ieee_inexact 0
		.amdhsa_exception_int_div_zero 0
	.end_amdhsa_kernel
	.section	.text._Z39paged_attention_ll4mi_QKV_mfma16_kernelI14__hip_bfloat16S0_LN4vllm18Fp8KVCacheDataTypeE0EhLi16ELi64ELi256ELb1ELi1EEvPKT_PKT0_S8_ifPKiSA_SA_iPKfiiiPfSD_PS3_PT2_iSC_SC_,"axG",@progbits,_Z39paged_attention_ll4mi_QKV_mfma16_kernelI14__hip_bfloat16S0_LN4vllm18Fp8KVCacheDataTypeE0EhLi16ELi64ELi256ELb1ELi1EEvPKT_PKT0_S8_ifPKiSA_SA_iPKfiiiPfSD_PS3_PT2_iSC_SC_,comdat
.Lfunc_end410:
	.size	_Z39paged_attention_ll4mi_QKV_mfma16_kernelI14__hip_bfloat16S0_LN4vllm18Fp8KVCacheDataTypeE0EhLi16ELi64ELi256ELb1ELi1EEvPKT_PKT0_S8_ifPKiSA_SA_iPKfiiiPfSD_PS3_PT2_iSC_SC_, .Lfunc_end410-_Z39paged_attention_ll4mi_QKV_mfma16_kernelI14__hip_bfloat16S0_LN4vllm18Fp8KVCacheDataTypeE0EhLi16ELi64ELi256ELb1ELi1EEvPKT_PKT0_S8_ifPKiSA_SA_iPKfiiiPfSD_PS3_PT2_iSC_SC_
                                        ; -- End function
	.set _Z39paged_attention_ll4mi_QKV_mfma16_kernelI14__hip_bfloat16S0_LN4vllm18Fp8KVCacheDataTypeE0EhLi16ELi64ELi256ELb1ELi1EEvPKT_PKT0_S8_ifPKiSA_SA_iPKfiiiPfSD_PS3_PT2_iSC_SC_.num_vgpr, max(3, .L__assert_fail.num_vgpr)
	.set _Z39paged_attention_ll4mi_QKV_mfma16_kernelI14__hip_bfloat16S0_LN4vllm18Fp8KVCacheDataTypeE0EhLi16ELi64ELi256ELb1ELi1EEvPKT_PKT0_S8_ifPKiSA_SA_iPKfiiiPfSD_PS3_PT2_iSC_SC_.num_agpr, max(0, .L__assert_fail.num_agpr)
	.set _Z39paged_attention_ll4mi_QKV_mfma16_kernelI14__hip_bfloat16S0_LN4vllm18Fp8KVCacheDataTypeE0EhLi16ELi64ELi256ELb1ELi1EEvPKT_PKT0_S8_ifPKiSA_SA_iPKfiiiPfSD_PS3_PT2_iSC_SC_.numbered_sgpr, max(33, .L__assert_fail.numbered_sgpr)
	.set _Z39paged_attention_ll4mi_QKV_mfma16_kernelI14__hip_bfloat16S0_LN4vllm18Fp8KVCacheDataTypeE0EhLi16ELi64ELi256ELb1ELi1EEvPKT_PKT0_S8_ifPKiSA_SA_iPKfiiiPfSD_PS3_PT2_iSC_SC_.num_named_barrier, max(0, .L__assert_fail.num_named_barrier)
	.set _Z39paged_attention_ll4mi_QKV_mfma16_kernelI14__hip_bfloat16S0_LN4vllm18Fp8KVCacheDataTypeE0EhLi16ELi64ELi256ELb1ELi1EEvPKT_PKT0_S8_ifPKiSA_SA_iPKfiiiPfSD_PS3_PT2_iSC_SC_.private_seg_size, 0+max(.L__assert_fail.private_seg_size)
	.set _Z39paged_attention_ll4mi_QKV_mfma16_kernelI14__hip_bfloat16S0_LN4vllm18Fp8KVCacheDataTypeE0EhLi16ELi64ELi256ELb1ELi1EEvPKT_PKT0_S8_ifPKiSA_SA_iPKfiiiPfSD_PS3_PT2_iSC_SC_.uses_vcc, or(1, .L__assert_fail.uses_vcc)
	.set _Z39paged_attention_ll4mi_QKV_mfma16_kernelI14__hip_bfloat16S0_LN4vllm18Fp8KVCacheDataTypeE0EhLi16ELi64ELi256ELb1ELi1EEvPKT_PKT0_S8_ifPKiSA_SA_iPKfiiiPfSD_PS3_PT2_iSC_SC_.uses_flat_scratch, or(0, .L__assert_fail.uses_flat_scratch)
	.set _Z39paged_attention_ll4mi_QKV_mfma16_kernelI14__hip_bfloat16S0_LN4vllm18Fp8KVCacheDataTypeE0EhLi16ELi64ELi256ELb1ELi1EEvPKT_PKT0_S8_ifPKiSA_SA_iPKfiiiPfSD_PS3_PT2_iSC_SC_.has_dyn_sized_stack, or(0, .L__assert_fail.has_dyn_sized_stack)
	.set _Z39paged_attention_ll4mi_QKV_mfma16_kernelI14__hip_bfloat16S0_LN4vllm18Fp8KVCacheDataTypeE0EhLi16ELi64ELi256ELb1ELi1EEvPKT_PKT0_S8_ifPKiSA_SA_iPKfiiiPfSD_PS3_PT2_iSC_SC_.has_recursion, or(0, .L__assert_fail.has_recursion)
	.set _Z39paged_attention_ll4mi_QKV_mfma16_kernelI14__hip_bfloat16S0_LN4vllm18Fp8KVCacheDataTypeE0EhLi16ELi64ELi256ELb1ELi1EEvPKT_PKT0_S8_ifPKiSA_SA_iPKfiiiPfSD_PS3_PT2_iSC_SC_.has_indirect_call, or(0, .L__assert_fail.has_indirect_call)
	.section	.AMDGPU.csdata,"",@progbits
; Kernel info:
; codeLenInByte = 68
; TotalNumSgprs: 36
; NumVgprs: 51
; ScratchSize: 64
; MemoryBound: 0
; FloatMode: 240
; IeeeMode: 1
; LDSByteSize: 0 bytes/workgroup (compile time only)
; SGPRBlocks: 0
; VGPRBlocks: 3
; NumSGPRsForWavesPerEU: 36
; NumVGPRsForWavesPerEU: 51
; NamedBarCnt: 0
; Occupancy: 16
; WaveLimiterHint : 1
; COMPUTE_PGM_RSRC2:SCRATCH_EN: 1
; COMPUTE_PGM_RSRC2:USER_SGPR: 2
; COMPUTE_PGM_RSRC2:TRAP_HANDLER: 0
; COMPUTE_PGM_RSRC2:TGID_X_EN: 1
; COMPUTE_PGM_RSRC2:TGID_Y_EN: 0
; COMPUTE_PGM_RSRC2:TGID_Z_EN: 0
; COMPUTE_PGM_RSRC2:TIDIG_COMP_CNT: 0
	.section	.text._Z39paged_attention_ll4mi_QKV_mfma16_kernelI14__hip_bfloat16S0_LN4vllm18Fp8KVCacheDataTypeE0EhLi16ELi64ELi256ELb1ELi2EEvPKT_PKT0_S8_ifPKiSA_SA_iPKfiiiPfSD_PS3_PT2_iSC_SC_,"axG",@progbits,_Z39paged_attention_ll4mi_QKV_mfma16_kernelI14__hip_bfloat16S0_LN4vllm18Fp8KVCacheDataTypeE0EhLi16ELi64ELi256ELb1ELi2EEvPKT_PKT0_S8_ifPKiSA_SA_iPKfiiiPfSD_PS3_PT2_iSC_SC_,comdat
	.protected	_Z39paged_attention_ll4mi_QKV_mfma16_kernelI14__hip_bfloat16S0_LN4vllm18Fp8KVCacheDataTypeE0EhLi16ELi64ELi256ELb1ELi2EEvPKT_PKT0_S8_ifPKiSA_SA_iPKfiiiPfSD_PS3_PT2_iSC_SC_ ; -- Begin function _Z39paged_attention_ll4mi_QKV_mfma16_kernelI14__hip_bfloat16S0_LN4vllm18Fp8KVCacheDataTypeE0EhLi16ELi64ELi256ELb1ELi2EEvPKT_PKT0_S8_ifPKiSA_SA_iPKfiiiPfSD_PS3_PT2_iSC_SC_
	.globl	_Z39paged_attention_ll4mi_QKV_mfma16_kernelI14__hip_bfloat16S0_LN4vllm18Fp8KVCacheDataTypeE0EhLi16ELi64ELi256ELb1ELi2EEvPKT_PKT0_S8_ifPKiSA_SA_iPKfiiiPfSD_PS3_PT2_iSC_SC_
	.p2align	8
	.type	_Z39paged_attention_ll4mi_QKV_mfma16_kernelI14__hip_bfloat16S0_LN4vllm18Fp8KVCacheDataTypeE0EhLi16ELi64ELi256ELb1ELi2EEvPKT_PKT0_S8_ifPKiSA_SA_iPKfiiiPfSD_PS3_PT2_iSC_SC_,@function
_Z39paged_attention_ll4mi_QKV_mfma16_kernelI14__hip_bfloat16S0_LN4vllm18Fp8KVCacheDataTypeE0EhLi16ELi64ELi256ELb1ELi2EEvPKT_PKT0_S8_ifPKiSA_SA_iPKfiiiPfSD_PS3_PT2_iSC_SC_: ; @_Z39paged_attention_ll4mi_QKV_mfma16_kernelI14__hip_bfloat16S0_LN4vllm18Fp8KVCacheDataTypeE0EhLi16ELi64ELi256ELb1ELi2EEvPKT_PKT0_S8_ifPKiSA_SA_iPKfiiiPfSD_PS3_PT2_iSC_SC_
; %bb.0:
	s_get_pc_i64 s[2:3]
	s_add_nc_u64 s[2:3], s[2:3], __PRETTY_FUNCTION__._Z39paged_attention_ll4mi_QKV_mfma16_kernelI14__hip_bfloat16S0_LN4vllm18Fp8KVCacheDataTypeE0EhLi16ELi64ELi256ELb1ELi2EEvPKT_PKT0_S8_ifPKiSA_SA_iPKfiiiPfSD_PS3_PT2_iSC_SC_@rel64+4
	s_delay_alu instid0(SALU_CYCLE_1)
	v_dual_mov_b32 v0, 0xbb3 :: v_dual_mov_b32 v1, s2
	v_mov_b32_e32 v2, s3
	s_add_nc_u64 s[8:9], s[0:1], 0x90
	s_get_pc_i64 s[0:1]
	s_add_nc_u64 s[0:1], s[0:1], __assert_fail@rel64+4
	s_mov_b32 s32, 0
	s_swap_pc_i64 s[30:31], s[0:1]
	.section	.rodata,"a",@progbits
	.p2align	6, 0x0
	.amdhsa_kernel _Z39paged_attention_ll4mi_QKV_mfma16_kernelI14__hip_bfloat16S0_LN4vllm18Fp8KVCacheDataTypeE0EhLi16ELi64ELi256ELb1ELi2EEvPKT_PKT0_S8_ifPKiSA_SA_iPKfiiiPfSD_PS3_PT2_iSC_SC_
		.amdhsa_group_segment_fixed_size 0
		.amdhsa_private_segment_fixed_size 64
		.amdhsa_kernarg_size 400
		.amdhsa_user_sgpr_count 2
		.amdhsa_user_sgpr_dispatch_ptr 0
		.amdhsa_user_sgpr_queue_ptr 0
		.amdhsa_user_sgpr_kernarg_segment_ptr 1
		.amdhsa_user_sgpr_dispatch_id 0
		.amdhsa_user_sgpr_kernarg_preload_length 0
		.amdhsa_user_sgpr_kernarg_preload_offset 0
		.amdhsa_user_sgpr_private_segment_size 0
		.amdhsa_wavefront_size32 1
		.amdhsa_uses_dynamic_stack 0
		.amdhsa_enable_private_segment 1
		.amdhsa_system_sgpr_workgroup_id_x 1
		.amdhsa_system_sgpr_workgroup_id_y 0
		.amdhsa_system_sgpr_workgroup_id_z 0
		.amdhsa_system_sgpr_workgroup_info 0
		.amdhsa_system_vgpr_workitem_id 0
		.amdhsa_next_free_vgpr 51
		.amdhsa_next_free_sgpr 34
		.amdhsa_named_barrier_count 0
		.amdhsa_reserve_vcc 1
		.amdhsa_float_round_mode_32 0
		.amdhsa_float_round_mode_16_64 0
		.amdhsa_float_denorm_mode_32 3
		.amdhsa_float_denorm_mode_16_64 3
		.amdhsa_fp16_overflow 0
		.amdhsa_memory_ordered 1
		.amdhsa_forward_progress 1
		.amdhsa_inst_pref_size 1
		.amdhsa_round_robin_scheduling 0
		.amdhsa_exception_fp_ieee_invalid_op 0
		.amdhsa_exception_fp_denorm_src 0
		.amdhsa_exception_fp_ieee_div_zero 0
		.amdhsa_exception_fp_ieee_overflow 0
		.amdhsa_exception_fp_ieee_underflow 0
		.amdhsa_exception_fp_ieee_inexact 0
		.amdhsa_exception_int_div_zero 0
	.end_amdhsa_kernel
	.section	.text._Z39paged_attention_ll4mi_QKV_mfma16_kernelI14__hip_bfloat16S0_LN4vllm18Fp8KVCacheDataTypeE0EhLi16ELi64ELi256ELb1ELi2EEvPKT_PKT0_S8_ifPKiSA_SA_iPKfiiiPfSD_PS3_PT2_iSC_SC_,"axG",@progbits,_Z39paged_attention_ll4mi_QKV_mfma16_kernelI14__hip_bfloat16S0_LN4vllm18Fp8KVCacheDataTypeE0EhLi16ELi64ELi256ELb1ELi2EEvPKT_PKT0_S8_ifPKiSA_SA_iPKfiiiPfSD_PS3_PT2_iSC_SC_,comdat
.Lfunc_end411:
	.size	_Z39paged_attention_ll4mi_QKV_mfma16_kernelI14__hip_bfloat16S0_LN4vllm18Fp8KVCacheDataTypeE0EhLi16ELi64ELi256ELb1ELi2EEvPKT_PKT0_S8_ifPKiSA_SA_iPKfiiiPfSD_PS3_PT2_iSC_SC_, .Lfunc_end411-_Z39paged_attention_ll4mi_QKV_mfma16_kernelI14__hip_bfloat16S0_LN4vllm18Fp8KVCacheDataTypeE0EhLi16ELi64ELi256ELb1ELi2EEvPKT_PKT0_S8_ifPKiSA_SA_iPKfiiiPfSD_PS3_PT2_iSC_SC_
                                        ; -- End function
	.set _Z39paged_attention_ll4mi_QKV_mfma16_kernelI14__hip_bfloat16S0_LN4vllm18Fp8KVCacheDataTypeE0EhLi16ELi64ELi256ELb1ELi2EEvPKT_PKT0_S8_ifPKiSA_SA_iPKfiiiPfSD_PS3_PT2_iSC_SC_.num_vgpr, max(3, .L__assert_fail.num_vgpr)
	.set _Z39paged_attention_ll4mi_QKV_mfma16_kernelI14__hip_bfloat16S0_LN4vllm18Fp8KVCacheDataTypeE0EhLi16ELi64ELi256ELb1ELi2EEvPKT_PKT0_S8_ifPKiSA_SA_iPKfiiiPfSD_PS3_PT2_iSC_SC_.num_agpr, max(0, .L__assert_fail.num_agpr)
	.set _Z39paged_attention_ll4mi_QKV_mfma16_kernelI14__hip_bfloat16S0_LN4vllm18Fp8KVCacheDataTypeE0EhLi16ELi64ELi256ELb1ELi2EEvPKT_PKT0_S8_ifPKiSA_SA_iPKfiiiPfSD_PS3_PT2_iSC_SC_.numbered_sgpr, max(33, .L__assert_fail.numbered_sgpr)
	.set _Z39paged_attention_ll4mi_QKV_mfma16_kernelI14__hip_bfloat16S0_LN4vllm18Fp8KVCacheDataTypeE0EhLi16ELi64ELi256ELb1ELi2EEvPKT_PKT0_S8_ifPKiSA_SA_iPKfiiiPfSD_PS3_PT2_iSC_SC_.num_named_barrier, max(0, .L__assert_fail.num_named_barrier)
	.set _Z39paged_attention_ll4mi_QKV_mfma16_kernelI14__hip_bfloat16S0_LN4vllm18Fp8KVCacheDataTypeE0EhLi16ELi64ELi256ELb1ELi2EEvPKT_PKT0_S8_ifPKiSA_SA_iPKfiiiPfSD_PS3_PT2_iSC_SC_.private_seg_size, 0+max(.L__assert_fail.private_seg_size)
	.set _Z39paged_attention_ll4mi_QKV_mfma16_kernelI14__hip_bfloat16S0_LN4vllm18Fp8KVCacheDataTypeE0EhLi16ELi64ELi256ELb1ELi2EEvPKT_PKT0_S8_ifPKiSA_SA_iPKfiiiPfSD_PS3_PT2_iSC_SC_.uses_vcc, or(1, .L__assert_fail.uses_vcc)
	.set _Z39paged_attention_ll4mi_QKV_mfma16_kernelI14__hip_bfloat16S0_LN4vllm18Fp8KVCacheDataTypeE0EhLi16ELi64ELi256ELb1ELi2EEvPKT_PKT0_S8_ifPKiSA_SA_iPKfiiiPfSD_PS3_PT2_iSC_SC_.uses_flat_scratch, or(0, .L__assert_fail.uses_flat_scratch)
	.set _Z39paged_attention_ll4mi_QKV_mfma16_kernelI14__hip_bfloat16S0_LN4vllm18Fp8KVCacheDataTypeE0EhLi16ELi64ELi256ELb1ELi2EEvPKT_PKT0_S8_ifPKiSA_SA_iPKfiiiPfSD_PS3_PT2_iSC_SC_.has_dyn_sized_stack, or(0, .L__assert_fail.has_dyn_sized_stack)
	.set _Z39paged_attention_ll4mi_QKV_mfma16_kernelI14__hip_bfloat16S0_LN4vllm18Fp8KVCacheDataTypeE0EhLi16ELi64ELi256ELb1ELi2EEvPKT_PKT0_S8_ifPKiSA_SA_iPKfiiiPfSD_PS3_PT2_iSC_SC_.has_recursion, or(0, .L__assert_fail.has_recursion)
	.set _Z39paged_attention_ll4mi_QKV_mfma16_kernelI14__hip_bfloat16S0_LN4vllm18Fp8KVCacheDataTypeE0EhLi16ELi64ELi256ELb1ELi2EEvPKT_PKT0_S8_ifPKiSA_SA_iPKfiiiPfSD_PS3_PT2_iSC_SC_.has_indirect_call, or(0, .L__assert_fail.has_indirect_call)
	.section	.AMDGPU.csdata,"",@progbits
; Kernel info:
; codeLenInByte = 68
; TotalNumSgprs: 36
; NumVgprs: 51
; ScratchSize: 64
; MemoryBound: 0
; FloatMode: 240
; IeeeMode: 1
; LDSByteSize: 0 bytes/workgroup (compile time only)
; SGPRBlocks: 0
; VGPRBlocks: 3
; NumSGPRsForWavesPerEU: 36
; NumVGPRsForWavesPerEU: 51
; NamedBarCnt: 0
; Occupancy: 16
; WaveLimiterHint : 1
; COMPUTE_PGM_RSRC2:SCRATCH_EN: 1
; COMPUTE_PGM_RSRC2:USER_SGPR: 2
; COMPUTE_PGM_RSRC2:TRAP_HANDLER: 0
; COMPUTE_PGM_RSRC2:TGID_X_EN: 1
; COMPUTE_PGM_RSRC2:TGID_Y_EN: 0
; COMPUTE_PGM_RSRC2:TGID_Z_EN: 0
; COMPUTE_PGM_RSRC2:TIDIG_COMP_CNT: 0
	.section	.text._Z39paged_attention_ll4mi_QKV_mfma16_kernelI14__hip_bfloat16S0_LN4vllm18Fp8KVCacheDataTypeE0EhLi16ELi64ELi256ELb1ELi3EEvPKT_PKT0_S8_ifPKiSA_SA_iPKfiiiPfSD_PS3_PT2_iSC_SC_,"axG",@progbits,_Z39paged_attention_ll4mi_QKV_mfma16_kernelI14__hip_bfloat16S0_LN4vllm18Fp8KVCacheDataTypeE0EhLi16ELi64ELi256ELb1ELi3EEvPKT_PKT0_S8_ifPKiSA_SA_iPKfiiiPfSD_PS3_PT2_iSC_SC_,comdat
	.protected	_Z39paged_attention_ll4mi_QKV_mfma16_kernelI14__hip_bfloat16S0_LN4vllm18Fp8KVCacheDataTypeE0EhLi16ELi64ELi256ELb1ELi3EEvPKT_PKT0_S8_ifPKiSA_SA_iPKfiiiPfSD_PS3_PT2_iSC_SC_ ; -- Begin function _Z39paged_attention_ll4mi_QKV_mfma16_kernelI14__hip_bfloat16S0_LN4vllm18Fp8KVCacheDataTypeE0EhLi16ELi64ELi256ELb1ELi3EEvPKT_PKT0_S8_ifPKiSA_SA_iPKfiiiPfSD_PS3_PT2_iSC_SC_
	.globl	_Z39paged_attention_ll4mi_QKV_mfma16_kernelI14__hip_bfloat16S0_LN4vllm18Fp8KVCacheDataTypeE0EhLi16ELi64ELi256ELb1ELi3EEvPKT_PKT0_S8_ifPKiSA_SA_iPKfiiiPfSD_PS3_PT2_iSC_SC_
	.p2align	8
	.type	_Z39paged_attention_ll4mi_QKV_mfma16_kernelI14__hip_bfloat16S0_LN4vllm18Fp8KVCacheDataTypeE0EhLi16ELi64ELi256ELb1ELi3EEvPKT_PKT0_S8_ifPKiSA_SA_iPKfiiiPfSD_PS3_PT2_iSC_SC_,@function
_Z39paged_attention_ll4mi_QKV_mfma16_kernelI14__hip_bfloat16S0_LN4vllm18Fp8KVCacheDataTypeE0EhLi16ELi64ELi256ELb1ELi3EEvPKT_PKT0_S8_ifPKiSA_SA_iPKfiiiPfSD_PS3_PT2_iSC_SC_: ; @_Z39paged_attention_ll4mi_QKV_mfma16_kernelI14__hip_bfloat16S0_LN4vllm18Fp8KVCacheDataTypeE0EhLi16ELi64ELi256ELb1ELi3EEvPKT_PKT0_S8_ifPKiSA_SA_iPKfiiiPfSD_PS3_PT2_iSC_SC_
; %bb.0:
	s_get_pc_i64 s[2:3]
	s_add_nc_u64 s[2:3], s[2:3], __PRETTY_FUNCTION__._Z39paged_attention_ll4mi_QKV_mfma16_kernelI14__hip_bfloat16S0_LN4vllm18Fp8KVCacheDataTypeE0EhLi16ELi64ELi256ELb1ELi3EEvPKT_PKT0_S8_ifPKiSA_SA_iPKfiiiPfSD_PS3_PT2_iSC_SC_@rel64+4
	s_delay_alu instid0(SALU_CYCLE_1)
	v_dual_mov_b32 v0, 0xbb3 :: v_dual_mov_b32 v1, s2
	v_mov_b32_e32 v2, s3
	s_add_nc_u64 s[8:9], s[0:1], 0x90
	s_get_pc_i64 s[0:1]
	s_add_nc_u64 s[0:1], s[0:1], __assert_fail@rel64+4
	s_mov_b32 s32, 0
	s_swap_pc_i64 s[30:31], s[0:1]
	.section	.rodata,"a",@progbits
	.p2align	6, 0x0
	.amdhsa_kernel _Z39paged_attention_ll4mi_QKV_mfma16_kernelI14__hip_bfloat16S0_LN4vllm18Fp8KVCacheDataTypeE0EhLi16ELi64ELi256ELb1ELi3EEvPKT_PKT0_S8_ifPKiSA_SA_iPKfiiiPfSD_PS3_PT2_iSC_SC_
		.amdhsa_group_segment_fixed_size 0
		.amdhsa_private_segment_fixed_size 64
		.amdhsa_kernarg_size 400
		.amdhsa_user_sgpr_count 2
		.amdhsa_user_sgpr_dispatch_ptr 0
		.amdhsa_user_sgpr_queue_ptr 0
		.amdhsa_user_sgpr_kernarg_segment_ptr 1
		.amdhsa_user_sgpr_dispatch_id 0
		.amdhsa_user_sgpr_kernarg_preload_length 0
		.amdhsa_user_sgpr_kernarg_preload_offset 0
		.amdhsa_user_sgpr_private_segment_size 0
		.amdhsa_wavefront_size32 1
		.amdhsa_uses_dynamic_stack 0
		.amdhsa_enable_private_segment 1
		.amdhsa_system_sgpr_workgroup_id_x 1
		.amdhsa_system_sgpr_workgroup_id_y 0
		.amdhsa_system_sgpr_workgroup_id_z 0
		.amdhsa_system_sgpr_workgroup_info 0
		.amdhsa_system_vgpr_workitem_id 0
		.amdhsa_next_free_vgpr 51
		.amdhsa_next_free_sgpr 34
		.amdhsa_named_barrier_count 0
		.amdhsa_reserve_vcc 1
		.amdhsa_float_round_mode_32 0
		.amdhsa_float_round_mode_16_64 0
		.amdhsa_float_denorm_mode_32 3
		.amdhsa_float_denorm_mode_16_64 3
		.amdhsa_fp16_overflow 0
		.amdhsa_memory_ordered 1
		.amdhsa_forward_progress 1
		.amdhsa_inst_pref_size 1
		.amdhsa_round_robin_scheduling 0
		.amdhsa_exception_fp_ieee_invalid_op 0
		.amdhsa_exception_fp_denorm_src 0
		.amdhsa_exception_fp_ieee_div_zero 0
		.amdhsa_exception_fp_ieee_overflow 0
		.amdhsa_exception_fp_ieee_underflow 0
		.amdhsa_exception_fp_ieee_inexact 0
		.amdhsa_exception_int_div_zero 0
	.end_amdhsa_kernel
	.section	.text._Z39paged_attention_ll4mi_QKV_mfma16_kernelI14__hip_bfloat16S0_LN4vllm18Fp8KVCacheDataTypeE0EhLi16ELi64ELi256ELb1ELi3EEvPKT_PKT0_S8_ifPKiSA_SA_iPKfiiiPfSD_PS3_PT2_iSC_SC_,"axG",@progbits,_Z39paged_attention_ll4mi_QKV_mfma16_kernelI14__hip_bfloat16S0_LN4vllm18Fp8KVCacheDataTypeE0EhLi16ELi64ELi256ELb1ELi3EEvPKT_PKT0_S8_ifPKiSA_SA_iPKfiiiPfSD_PS3_PT2_iSC_SC_,comdat
.Lfunc_end412:
	.size	_Z39paged_attention_ll4mi_QKV_mfma16_kernelI14__hip_bfloat16S0_LN4vllm18Fp8KVCacheDataTypeE0EhLi16ELi64ELi256ELb1ELi3EEvPKT_PKT0_S8_ifPKiSA_SA_iPKfiiiPfSD_PS3_PT2_iSC_SC_, .Lfunc_end412-_Z39paged_attention_ll4mi_QKV_mfma16_kernelI14__hip_bfloat16S0_LN4vllm18Fp8KVCacheDataTypeE0EhLi16ELi64ELi256ELb1ELi3EEvPKT_PKT0_S8_ifPKiSA_SA_iPKfiiiPfSD_PS3_PT2_iSC_SC_
                                        ; -- End function
	.set _Z39paged_attention_ll4mi_QKV_mfma16_kernelI14__hip_bfloat16S0_LN4vllm18Fp8KVCacheDataTypeE0EhLi16ELi64ELi256ELb1ELi3EEvPKT_PKT0_S8_ifPKiSA_SA_iPKfiiiPfSD_PS3_PT2_iSC_SC_.num_vgpr, max(3, .L__assert_fail.num_vgpr)
	.set _Z39paged_attention_ll4mi_QKV_mfma16_kernelI14__hip_bfloat16S0_LN4vllm18Fp8KVCacheDataTypeE0EhLi16ELi64ELi256ELb1ELi3EEvPKT_PKT0_S8_ifPKiSA_SA_iPKfiiiPfSD_PS3_PT2_iSC_SC_.num_agpr, max(0, .L__assert_fail.num_agpr)
	.set _Z39paged_attention_ll4mi_QKV_mfma16_kernelI14__hip_bfloat16S0_LN4vllm18Fp8KVCacheDataTypeE0EhLi16ELi64ELi256ELb1ELi3EEvPKT_PKT0_S8_ifPKiSA_SA_iPKfiiiPfSD_PS3_PT2_iSC_SC_.numbered_sgpr, max(33, .L__assert_fail.numbered_sgpr)
	.set _Z39paged_attention_ll4mi_QKV_mfma16_kernelI14__hip_bfloat16S0_LN4vllm18Fp8KVCacheDataTypeE0EhLi16ELi64ELi256ELb1ELi3EEvPKT_PKT0_S8_ifPKiSA_SA_iPKfiiiPfSD_PS3_PT2_iSC_SC_.num_named_barrier, max(0, .L__assert_fail.num_named_barrier)
	.set _Z39paged_attention_ll4mi_QKV_mfma16_kernelI14__hip_bfloat16S0_LN4vllm18Fp8KVCacheDataTypeE0EhLi16ELi64ELi256ELb1ELi3EEvPKT_PKT0_S8_ifPKiSA_SA_iPKfiiiPfSD_PS3_PT2_iSC_SC_.private_seg_size, 0+max(.L__assert_fail.private_seg_size)
	.set _Z39paged_attention_ll4mi_QKV_mfma16_kernelI14__hip_bfloat16S0_LN4vllm18Fp8KVCacheDataTypeE0EhLi16ELi64ELi256ELb1ELi3EEvPKT_PKT0_S8_ifPKiSA_SA_iPKfiiiPfSD_PS3_PT2_iSC_SC_.uses_vcc, or(1, .L__assert_fail.uses_vcc)
	.set _Z39paged_attention_ll4mi_QKV_mfma16_kernelI14__hip_bfloat16S0_LN4vllm18Fp8KVCacheDataTypeE0EhLi16ELi64ELi256ELb1ELi3EEvPKT_PKT0_S8_ifPKiSA_SA_iPKfiiiPfSD_PS3_PT2_iSC_SC_.uses_flat_scratch, or(0, .L__assert_fail.uses_flat_scratch)
	.set _Z39paged_attention_ll4mi_QKV_mfma16_kernelI14__hip_bfloat16S0_LN4vllm18Fp8KVCacheDataTypeE0EhLi16ELi64ELi256ELb1ELi3EEvPKT_PKT0_S8_ifPKiSA_SA_iPKfiiiPfSD_PS3_PT2_iSC_SC_.has_dyn_sized_stack, or(0, .L__assert_fail.has_dyn_sized_stack)
	.set _Z39paged_attention_ll4mi_QKV_mfma16_kernelI14__hip_bfloat16S0_LN4vllm18Fp8KVCacheDataTypeE0EhLi16ELi64ELi256ELb1ELi3EEvPKT_PKT0_S8_ifPKiSA_SA_iPKfiiiPfSD_PS3_PT2_iSC_SC_.has_recursion, or(0, .L__assert_fail.has_recursion)
	.set _Z39paged_attention_ll4mi_QKV_mfma16_kernelI14__hip_bfloat16S0_LN4vllm18Fp8KVCacheDataTypeE0EhLi16ELi64ELi256ELb1ELi3EEvPKT_PKT0_S8_ifPKiSA_SA_iPKfiiiPfSD_PS3_PT2_iSC_SC_.has_indirect_call, or(0, .L__assert_fail.has_indirect_call)
	.section	.AMDGPU.csdata,"",@progbits
; Kernel info:
; codeLenInByte = 68
; TotalNumSgprs: 36
; NumVgprs: 51
; ScratchSize: 64
; MemoryBound: 0
; FloatMode: 240
; IeeeMode: 1
; LDSByteSize: 0 bytes/workgroup (compile time only)
; SGPRBlocks: 0
; VGPRBlocks: 3
; NumSGPRsForWavesPerEU: 36
; NumVGPRsForWavesPerEU: 51
; NamedBarCnt: 0
; Occupancy: 16
; WaveLimiterHint : 1
; COMPUTE_PGM_RSRC2:SCRATCH_EN: 1
; COMPUTE_PGM_RSRC2:USER_SGPR: 2
; COMPUTE_PGM_RSRC2:TRAP_HANDLER: 0
; COMPUTE_PGM_RSRC2:TGID_X_EN: 1
; COMPUTE_PGM_RSRC2:TGID_Y_EN: 0
; COMPUTE_PGM_RSRC2:TGID_Z_EN: 0
; COMPUTE_PGM_RSRC2:TIDIG_COMP_CNT: 0
	.section	.text._Z39paged_attention_ll4mi_QKV_mfma16_kernelI14__hip_bfloat16S0_LN4vllm18Fp8KVCacheDataTypeE0EhLi16ELi64ELi256ELb1ELi4EEvPKT_PKT0_S8_ifPKiSA_SA_iPKfiiiPfSD_PS3_PT2_iSC_SC_,"axG",@progbits,_Z39paged_attention_ll4mi_QKV_mfma16_kernelI14__hip_bfloat16S0_LN4vllm18Fp8KVCacheDataTypeE0EhLi16ELi64ELi256ELb1ELi4EEvPKT_PKT0_S8_ifPKiSA_SA_iPKfiiiPfSD_PS3_PT2_iSC_SC_,comdat
	.protected	_Z39paged_attention_ll4mi_QKV_mfma16_kernelI14__hip_bfloat16S0_LN4vllm18Fp8KVCacheDataTypeE0EhLi16ELi64ELi256ELb1ELi4EEvPKT_PKT0_S8_ifPKiSA_SA_iPKfiiiPfSD_PS3_PT2_iSC_SC_ ; -- Begin function _Z39paged_attention_ll4mi_QKV_mfma16_kernelI14__hip_bfloat16S0_LN4vllm18Fp8KVCacheDataTypeE0EhLi16ELi64ELi256ELb1ELi4EEvPKT_PKT0_S8_ifPKiSA_SA_iPKfiiiPfSD_PS3_PT2_iSC_SC_
	.globl	_Z39paged_attention_ll4mi_QKV_mfma16_kernelI14__hip_bfloat16S0_LN4vllm18Fp8KVCacheDataTypeE0EhLi16ELi64ELi256ELb1ELi4EEvPKT_PKT0_S8_ifPKiSA_SA_iPKfiiiPfSD_PS3_PT2_iSC_SC_
	.p2align	8
	.type	_Z39paged_attention_ll4mi_QKV_mfma16_kernelI14__hip_bfloat16S0_LN4vllm18Fp8KVCacheDataTypeE0EhLi16ELi64ELi256ELb1ELi4EEvPKT_PKT0_S8_ifPKiSA_SA_iPKfiiiPfSD_PS3_PT2_iSC_SC_,@function
_Z39paged_attention_ll4mi_QKV_mfma16_kernelI14__hip_bfloat16S0_LN4vllm18Fp8KVCacheDataTypeE0EhLi16ELi64ELi256ELb1ELi4EEvPKT_PKT0_S8_ifPKiSA_SA_iPKfiiiPfSD_PS3_PT2_iSC_SC_: ; @_Z39paged_attention_ll4mi_QKV_mfma16_kernelI14__hip_bfloat16S0_LN4vllm18Fp8KVCacheDataTypeE0EhLi16ELi64ELi256ELb1ELi4EEvPKT_PKT0_S8_ifPKiSA_SA_iPKfiiiPfSD_PS3_PT2_iSC_SC_
; %bb.0:
	s_get_pc_i64 s[2:3]
	s_add_nc_u64 s[2:3], s[2:3], __PRETTY_FUNCTION__._Z39paged_attention_ll4mi_QKV_mfma16_kernelI14__hip_bfloat16S0_LN4vllm18Fp8KVCacheDataTypeE0EhLi16ELi64ELi256ELb1ELi4EEvPKT_PKT0_S8_ifPKiSA_SA_iPKfiiiPfSD_PS3_PT2_iSC_SC_@rel64+4
	s_delay_alu instid0(SALU_CYCLE_1)
	v_dual_mov_b32 v0, 0xbb3 :: v_dual_mov_b32 v1, s2
	v_mov_b32_e32 v2, s3
	s_add_nc_u64 s[8:9], s[0:1], 0x90
	s_get_pc_i64 s[0:1]
	s_add_nc_u64 s[0:1], s[0:1], __assert_fail@rel64+4
	s_mov_b32 s32, 0
	s_swap_pc_i64 s[30:31], s[0:1]
	.section	.rodata,"a",@progbits
	.p2align	6, 0x0
	.amdhsa_kernel _Z39paged_attention_ll4mi_QKV_mfma16_kernelI14__hip_bfloat16S0_LN4vllm18Fp8KVCacheDataTypeE0EhLi16ELi64ELi256ELb1ELi4EEvPKT_PKT0_S8_ifPKiSA_SA_iPKfiiiPfSD_PS3_PT2_iSC_SC_
		.amdhsa_group_segment_fixed_size 0
		.amdhsa_private_segment_fixed_size 64
		.amdhsa_kernarg_size 400
		.amdhsa_user_sgpr_count 2
		.amdhsa_user_sgpr_dispatch_ptr 0
		.amdhsa_user_sgpr_queue_ptr 0
		.amdhsa_user_sgpr_kernarg_segment_ptr 1
		.amdhsa_user_sgpr_dispatch_id 0
		.amdhsa_user_sgpr_kernarg_preload_length 0
		.amdhsa_user_sgpr_kernarg_preload_offset 0
		.amdhsa_user_sgpr_private_segment_size 0
		.amdhsa_wavefront_size32 1
		.amdhsa_uses_dynamic_stack 0
		.amdhsa_enable_private_segment 1
		.amdhsa_system_sgpr_workgroup_id_x 1
		.amdhsa_system_sgpr_workgroup_id_y 0
		.amdhsa_system_sgpr_workgroup_id_z 0
		.amdhsa_system_sgpr_workgroup_info 0
		.amdhsa_system_vgpr_workitem_id 0
		.amdhsa_next_free_vgpr 51
		.amdhsa_next_free_sgpr 34
		.amdhsa_named_barrier_count 0
		.amdhsa_reserve_vcc 1
		.amdhsa_float_round_mode_32 0
		.amdhsa_float_round_mode_16_64 0
		.amdhsa_float_denorm_mode_32 3
		.amdhsa_float_denorm_mode_16_64 3
		.amdhsa_fp16_overflow 0
		.amdhsa_memory_ordered 1
		.amdhsa_forward_progress 1
		.amdhsa_inst_pref_size 1
		.amdhsa_round_robin_scheduling 0
		.amdhsa_exception_fp_ieee_invalid_op 0
		.amdhsa_exception_fp_denorm_src 0
		.amdhsa_exception_fp_ieee_div_zero 0
		.amdhsa_exception_fp_ieee_overflow 0
		.amdhsa_exception_fp_ieee_underflow 0
		.amdhsa_exception_fp_ieee_inexact 0
		.amdhsa_exception_int_div_zero 0
	.end_amdhsa_kernel
	.section	.text._Z39paged_attention_ll4mi_QKV_mfma16_kernelI14__hip_bfloat16S0_LN4vllm18Fp8KVCacheDataTypeE0EhLi16ELi64ELi256ELb1ELi4EEvPKT_PKT0_S8_ifPKiSA_SA_iPKfiiiPfSD_PS3_PT2_iSC_SC_,"axG",@progbits,_Z39paged_attention_ll4mi_QKV_mfma16_kernelI14__hip_bfloat16S0_LN4vllm18Fp8KVCacheDataTypeE0EhLi16ELi64ELi256ELb1ELi4EEvPKT_PKT0_S8_ifPKiSA_SA_iPKfiiiPfSD_PS3_PT2_iSC_SC_,comdat
.Lfunc_end413:
	.size	_Z39paged_attention_ll4mi_QKV_mfma16_kernelI14__hip_bfloat16S0_LN4vllm18Fp8KVCacheDataTypeE0EhLi16ELi64ELi256ELb1ELi4EEvPKT_PKT0_S8_ifPKiSA_SA_iPKfiiiPfSD_PS3_PT2_iSC_SC_, .Lfunc_end413-_Z39paged_attention_ll4mi_QKV_mfma16_kernelI14__hip_bfloat16S0_LN4vllm18Fp8KVCacheDataTypeE0EhLi16ELi64ELi256ELb1ELi4EEvPKT_PKT0_S8_ifPKiSA_SA_iPKfiiiPfSD_PS3_PT2_iSC_SC_
                                        ; -- End function
	.set _Z39paged_attention_ll4mi_QKV_mfma16_kernelI14__hip_bfloat16S0_LN4vllm18Fp8KVCacheDataTypeE0EhLi16ELi64ELi256ELb1ELi4EEvPKT_PKT0_S8_ifPKiSA_SA_iPKfiiiPfSD_PS3_PT2_iSC_SC_.num_vgpr, max(3, .L__assert_fail.num_vgpr)
	.set _Z39paged_attention_ll4mi_QKV_mfma16_kernelI14__hip_bfloat16S0_LN4vllm18Fp8KVCacheDataTypeE0EhLi16ELi64ELi256ELb1ELi4EEvPKT_PKT0_S8_ifPKiSA_SA_iPKfiiiPfSD_PS3_PT2_iSC_SC_.num_agpr, max(0, .L__assert_fail.num_agpr)
	.set _Z39paged_attention_ll4mi_QKV_mfma16_kernelI14__hip_bfloat16S0_LN4vllm18Fp8KVCacheDataTypeE0EhLi16ELi64ELi256ELb1ELi4EEvPKT_PKT0_S8_ifPKiSA_SA_iPKfiiiPfSD_PS3_PT2_iSC_SC_.numbered_sgpr, max(33, .L__assert_fail.numbered_sgpr)
	.set _Z39paged_attention_ll4mi_QKV_mfma16_kernelI14__hip_bfloat16S0_LN4vllm18Fp8KVCacheDataTypeE0EhLi16ELi64ELi256ELb1ELi4EEvPKT_PKT0_S8_ifPKiSA_SA_iPKfiiiPfSD_PS3_PT2_iSC_SC_.num_named_barrier, max(0, .L__assert_fail.num_named_barrier)
	.set _Z39paged_attention_ll4mi_QKV_mfma16_kernelI14__hip_bfloat16S0_LN4vllm18Fp8KVCacheDataTypeE0EhLi16ELi64ELi256ELb1ELi4EEvPKT_PKT0_S8_ifPKiSA_SA_iPKfiiiPfSD_PS3_PT2_iSC_SC_.private_seg_size, 0+max(.L__assert_fail.private_seg_size)
	.set _Z39paged_attention_ll4mi_QKV_mfma16_kernelI14__hip_bfloat16S0_LN4vllm18Fp8KVCacheDataTypeE0EhLi16ELi64ELi256ELb1ELi4EEvPKT_PKT0_S8_ifPKiSA_SA_iPKfiiiPfSD_PS3_PT2_iSC_SC_.uses_vcc, or(1, .L__assert_fail.uses_vcc)
	.set _Z39paged_attention_ll4mi_QKV_mfma16_kernelI14__hip_bfloat16S0_LN4vllm18Fp8KVCacheDataTypeE0EhLi16ELi64ELi256ELb1ELi4EEvPKT_PKT0_S8_ifPKiSA_SA_iPKfiiiPfSD_PS3_PT2_iSC_SC_.uses_flat_scratch, or(0, .L__assert_fail.uses_flat_scratch)
	.set _Z39paged_attention_ll4mi_QKV_mfma16_kernelI14__hip_bfloat16S0_LN4vllm18Fp8KVCacheDataTypeE0EhLi16ELi64ELi256ELb1ELi4EEvPKT_PKT0_S8_ifPKiSA_SA_iPKfiiiPfSD_PS3_PT2_iSC_SC_.has_dyn_sized_stack, or(0, .L__assert_fail.has_dyn_sized_stack)
	.set _Z39paged_attention_ll4mi_QKV_mfma16_kernelI14__hip_bfloat16S0_LN4vllm18Fp8KVCacheDataTypeE0EhLi16ELi64ELi256ELb1ELi4EEvPKT_PKT0_S8_ifPKiSA_SA_iPKfiiiPfSD_PS3_PT2_iSC_SC_.has_recursion, or(0, .L__assert_fail.has_recursion)
	.set _Z39paged_attention_ll4mi_QKV_mfma16_kernelI14__hip_bfloat16S0_LN4vllm18Fp8KVCacheDataTypeE0EhLi16ELi64ELi256ELb1ELi4EEvPKT_PKT0_S8_ifPKiSA_SA_iPKfiiiPfSD_PS3_PT2_iSC_SC_.has_indirect_call, or(0, .L__assert_fail.has_indirect_call)
	.section	.AMDGPU.csdata,"",@progbits
; Kernel info:
; codeLenInByte = 68
; TotalNumSgprs: 36
; NumVgprs: 51
; ScratchSize: 64
; MemoryBound: 0
; FloatMode: 240
; IeeeMode: 1
; LDSByteSize: 0 bytes/workgroup (compile time only)
; SGPRBlocks: 0
; VGPRBlocks: 3
; NumSGPRsForWavesPerEU: 36
; NumVGPRsForWavesPerEU: 51
; NamedBarCnt: 0
; Occupancy: 16
; WaveLimiterHint : 1
; COMPUTE_PGM_RSRC2:SCRATCH_EN: 1
; COMPUTE_PGM_RSRC2:USER_SGPR: 2
; COMPUTE_PGM_RSRC2:TRAP_HANDLER: 0
; COMPUTE_PGM_RSRC2:TGID_X_EN: 1
; COMPUTE_PGM_RSRC2:TGID_Y_EN: 0
; COMPUTE_PGM_RSRC2:TGID_Z_EN: 0
; COMPUTE_PGM_RSRC2:TIDIG_COMP_CNT: 0
	.section	.text._Z35paged_attention_ll4mi_reduce_kernelI14__hip_bfloat16hLi64ELi64ELi256ELi9EEvPT0_PKfS4_PKT_PKiS9_iS4_,"axG",@progbits,_Z35paged_attention_ll4mi_reduce_kernelI14__hip_bfloat16hLi64ELi64ELi256ELi9EEvPT0_PKfS4_PKT_PKiS9_iS4_,comdat
	.protected	_Z35paged_attention_ll4mi_reduce_kernelI14__hip_bfloat16hLi64ELi64ELi256ELi9EEvPT0_PKfS4_PKT_PKiS9_iS4_ ; -- Begin function _Z35paged_attention_ll4mi_reduce_kernelI14__hip_bfloat16hLi64ELi64ELi256ELi9EEvPT0_PKfS4_PKT_PKiS9_iS4_
	.globl	_Z35paged_attention_ll4mi_reduce_kernelI14__hip_bfloat16hLi64ELi64ELi256ELi9EEvPT0_PKfS4_PKT_PKiS9_iS4_
	.p2align	8
	.type	_Z35paged_attention_ll4mi_reduce_kernelI14__hip_bfloat16hLi64ELi64ELi256ELi9EEvPT0_PKfS4_PKT_PKiS9_iS4_,@function
_Z35paged_attention_ll4mi_reduce_kernelI14__hip_bfloat16hLi64ELi64ELi256ELi9EEvPT0_PKfS4_PKT_PKiS9_iS4_: ; @_Z35paged_attention_ll4mi_reduce_kernelI14__hip_bfloat16hLi64ELi64ELi256ELi9EEvPT0_PKfS4_PKT_PKiS9_iS4_
; %bb.0:
	s_get_pc_i64 s[2:3]
	s_add_nc_u64 s[2:3], s[2:3], __PRETTY_FUNCTION__._Z35paged_attention_ll4mi_reduce_kernelI14__hip_bfloat16hLi64ELi64ELi256ELi9EEvPT0_PKfS4_PKT_PKiS9_iS4_@rel64+4
	s_delay_alu instid0(SALU_CYCLE_1)
	v_dual_mov_b32 v0, 0xbdd :: v_dual_mov_b32 v1, s2
	v_mov_b32_e32 v2, s3
	s_add_nc_u64 s[8:9], s[0:1], 64
	s_get_pc_i64 s[0:1]
	s_add_nc_u64 s[0:1], s[0:1], __assert_fail@rel64+4
	s_mov_b32 s32, 0
	s_swap_pc_i64 s[30:31], s[0:1]
	.section	.rodata,"a",@progbits
	.p2align	6, 0x0
	.amdhsa_kernel _Z35paged_attention_ll4mi_reduce_kernelI14__hip_bfloat16hLi64ELi64ELi256ELi9EEvPT0_PKfS4_PKT_PKiS9_iS4_
		.amdhsa_group_segment_fixed_size 0
		.amdhsa_private_segment_fixed_size 64
		.amdhsa_kernarg_size 320
		.amdhsa_user_sgpr_count 2
		.amdhsa_user_sgpr_dispatch_ptr 0
		.amdhsa_user_sgpr_queue_ptr 0
		.amdhsa_user_sgpr_kernarg_segment_ptr 1
		.amdhsa_user_sgpr_dispatch_id 0
		.amdhsa_user_sgpr_kernarg_preload_length 0
		.amdhsa_user_sgpr_kernarg_preload_offset 0
		.amdhsa_user_sgpr_private_segment_size 0
		.amdhsa_wavefront_size32 1
		.amdhsa_uses_dynamic_stack 0
		.amdhsa_enable_private_segment 1
		.amdhsa_system_sgpr_workgroup_id_x 1
		.amdhsa_system_sgpr_workgroup_id_y 0
		.amdhsa_system_sgpr_workgroup_id_z 0
		.amdhsa_system_sgpr_workgroup_info 0
		.amdhsa_system_vgpr_workitem_id 0
		.amdhsa_next_free_vgpr 51
		.amdhsa_next_free_sgpr 34
		.amdhsa_named_barrier_count 0
		.amdhsa_reserve_vcc 1
		.amdhsa_float_round_mode_32 0
		.amdhsa_float_round_mode_16_64 0
		.amdhsa_float_denorm_mode_32 3
		.amdhsa_float_denorm_mode_16_64 3
		.amdhsa_fp16_overflow 0
		.amdhsa_memory_ordered 1
		.amdhsa_forward_progress 1
		.amdhsa_inst_pref_size 1
		.amdhsa_round_robin_scheduling 0
		.amdhsa_exception_fp_ieee_invalid_op 0
		.amdhsa_exception_fp_denorm_src 0
		.amdhsa_exception_fp_ieee_div_zero 0
		.amdhsa_exception_fp_ieee_overflow 0
		.amdhsa_exception_fp_ieee_underflow 0
		.amdhsa_exception_fp_ieee_inexact 0
		.amdhsa_exception_int_div_zero 0
	.end_amdhsa_kernel
	.section	.text._Z35paged_attention_ll4mi_reduce_kernelI14__hip_bfloat16hLi64ELi64ELi256ELi9EEvPT0_PKfS4_PKT_PKiS9_iS4_,"axG",@progbits,_Z35paged_attention_ll4mi_reduce_kernelI14__hip_bfloat16hLi64ELi64ELi256ELi9EEvPT0_PKfS4_PKT_PKiS9_iS4_,comdat
.Lfunc_end414:
	.size	_Z35paged_attention_ll4mi_reduce_kernelI14__hip_bfloat16hLi64ELi64ELi256ELi9EEvPT0_PKfS4_PKT_PKiS9_iS4_, .Lfunc_end414-_Z35paged_attention_ll4mi_reduce_kernelI14__hip_bfloat16hLi64ELi64ELi256ELi9EEvPT0_PKfS4_PKT_PKiS9_iS4_
                                        ; -- End function
	.set _Z35paged_attention_ll4mi_reduce_kernelI14__hip_bfloat16hLi64ELi64ELi256ELi9EEvPT0_PKfS4_PKT_PKiS9_iS4_.num_vgpr, max(3, .L__assert_fail.num_vgpr)
	.set _Z35paged_attention_ll4mi_reduce_kernelI14__hip_bfloat16hLi64ELi64ELi256ELi9EEvPT0_PKfS4_PKT_PKiS9_iS4_.num_agpr, max(0, .L__assert_fail.num_agpr)
	.set _Z35paged_attention_ll4mi_reduce_kernelI14__hip_bfloat16hLi64ELi64ELi256ELi9EEvPT0_PKfS4_PKT_PKiS9_iS4_.numbered_sgpr, max(33, .L__assert_fail.numbered_sgpr)
	.set _Z35paged_attention_ll4mi_reduce_kernelI14__hip_bfloat16hLi64ELi64ELi256ELi9EEvPT0_PKfS4_PKT_PKiS9_iS4_.num_named_barrier, max(0, .L__assert_fail.num_named_barrier)
	.set _Z35paged_attention_ll4mi_reduce_kernelI14__hip_bfloat16hLi64ELi64ELi256ELi9EEvPT0_PKfS4_PKT_PKiS9_iS4_.private_seg_size, 0+max(.L__assert_fail.private_seg_size)
	.set _Z35paged_attention_ll4mi_reduce_kernelI14__hip_bfloat16hLi64ELi64ELi256ELi9EEvPT0_PKfS4_PKT_PKiS9_iS4_.uses_vcc, or(1, .L__assert_fail.uses_vcc)
	.set _Z35paged_attention_ll4mi_reduce_kernelI14__hip_bfloat16hLi64ELi64ELi256ELi9EEvPT0_PKfS4_PKT_PKiS9_iS4_.uses_flat_scratch, or(0, .L__assert_fail.uses_flat_scratch)
	.set _Z35paged_attention_ll4mi_reduce_kernelI14__hip_bfloat16hLi64ELi64ELi256ELi9EEvPT0_PKfS4_PKT_PKiS9_iS4_.has_dyn_sized_stack, or(0, .L__assert_fail.has_dyn_sized_stack)
	.set _Z35paged_attention_ll4mi_reduce_kernelI14__hip_bfloat16hLi64ELi64ELi256ELi9EEvPT0_PKfS4_PKT_PKiS9_iS4_.has_recursion, or(0, .L__assert_fail.has_recursion)
	.set _Z35paged_attention_ll4mi_reduce_kernelI14__hip_bfloat16hLi64ELi64ELi256ELi9EEvPT0_PKfS4_PKT_PKiS9_iS4_.has_indirect_call, or(0, .L__assert_fail.has_indirect_call)
	.section	.AMDGPU.csdata,"",@progbits
; Kernel info:
; codeLenInByte = 64
; TotalNumSgprs: 36
; NumVgprs: 51
; ScratchSize: 64
; MemoryBound: 0
; FloatMode: 240
; IeeeMode: 1
; LDSByteSize: 0 bytes/workgroup (compile time only)
; SGPRBlocks: 0
; VGPRBlocks: 3
; NumSGPRsForWavesPerEU: 36
; NumVGPRsForWavesPerEU: 51
; NamedBarCnt: 0
; Occupancy: 16
; WaveLimiterHint : 1
; COMPUTE_PGM_RSRC2:SCRATCH_EN: 1
; COMPUTE_PGM_RSRC2:USER_SGPR: 2
; COMPUTE_PGM_RSRC2:TRAP_HANDLER: 0
; COMPUTE_PGM_RSRC2:TGID_X_EN: 1
; COMPUTE_PGM_RSRC2:TGID_Y_EN: 0
; COMPUTE_PGM_RSRC2:TGID_Z_EN: 0
; COMPUTE_PGM_RSRC2:TIDIG_COMP_CNT: 0
	.section	.text._Z35paged_attention_ll4mi_reduce_kernelI14__hip_bfloat16hLi64ELi64ELi256ELi10EEvPT0_PKfS4_PKT_PKiS9_iS4_,"axG",@progbits,_Z35paged_attention_ll4mi_reduce_kernelI14__hip_bfloat16hLi64ELi64ELi256ELi10EEvPT0_PKfS4_PKT_PKiS9_iS4_,comdat
	.protected	_Z35paged_attention_ll4mi_reduce_kernelI14__hip_bfloat16hLi64ELi64ELi256ELi10EEvPT0_PKfS4_PKT_PKiS9_iS4_ ; -- Begin function _Z35paged_attention_ll4mi_reduce_kernelI14__hip_bfloat16hLi64ELi64ELi256ELi10EEvPT0_PKfS4_PKT_PKiS9_iS4_
	.globl	_Z35paged_attention_ll4mi_reduce_kernelI14__hip_bfloat16hLi64ELi64ELi256ELi10EEvPT0_PKfS4_PKT_PKiS9_iS4_
	.p2align	8
	.type	_Z35paged_attention_ll4mi_reduce_kernelI14__hip_bfloat16hLi64ELi64ELi256ELi10EEvPT0_PKfS4_PKT_PKiS9_iS4_,@function
_Z35paged_attention_ll4mi_reduce_kernelI14__hip_bfloat16hLi64ELi64ELi256ELi10EEvPT0_PKfS4_PKT_PKiS9_iS4_: ; @_Z35paged_attention_ll4mi_reduce_kernelI14__hip_bfloat16hLi64ELi64ELi256ELi10EEvPT0_PKfS4_PKT_PKiS9_iS4_
; %bb.0:
	s_get_pc_i64 s[2:3]
	s_add_nc_u64 s[2:3], s[2:3], __PRETTY_FUNCTION__._Z35paged_attention_ll4mi_reduce_kernelI14__hip_bfloat16hLi64ELi64ELi256ELi10EEvPT0_PKfS4_PKT_PKiS9_iS4_@rel64+4
	s_delay_alu instid0(SALU_CYCLE_1)
	v_dual_mov_b32 v0, 0xbdd :: v_dual_mov_b32 v1, s2
	v_mov_b32_e32 v2, s3
	s_add_nc_u64 s[8:9], s[0:1], 64
	s_get_pc_i64 s[0:1]
	s_add_nc_u64 s[0:1], s[0:1], __assert_fail@rel64+4
	s_mov_b32 s32, 0
	s_swap_pc_i64 s[30:31], s[0:1]
	.section	.rodata,"a",@progbits
	.p2align	6, 0x0
	.amdhsa_kernel _Z35paged_attention_ll4mi_reduce_kernelI14__hip_bfloat16hLi64ELi64ELi256ELi10EEvPT0_PKfS4_PKT_PKiS9_iS4_
		.amdhsa_group_segment_fixed_size 0
		.amdhsa_private_segment_fixed_size 64
		.amdhsa_kernarg_size 320
		.amdhsa_user_sgpr_count 2
		.amdhsa_user_sgpr_dispatch_ptr 0
		.amdhsa_user_sgpr_queue_ptr 0
		.amdhsa_user_sgpr_kernarg_segment_ptr 1
		.amdhsa_user_sgpr_dispatch_id 0
		.amdhsa_user_sgpr_kernarg_preload_length 0
		.amdhsa_user_sgpr_kernarg_preload_offset 0
		.amdhsa_user_sgpr_private_segment_size 0
		.amdhsa_wavefront_size32 1
		.amdhsa_uses_dynamic_stack 0
		.amdhsa_enable_private_segment 1
		.amdhsa_system_sgpr_workgroup_id_x 1
		.amdhsa_system_sgpr_workgroup_id_y 0
		.amdhsa_system_sgpr_workgroup_id_z 0
		.amdhsa_system_sgpr_workgroup_info 0
		.amdhsa_system_vgpr_workitem_id 0
		.amdhsa_next_free_vgpr 51
		.amdhsa_next_free_sgpr 34
		.amdhsa_named_barrier_count 0
		.amdhsa_reserve_vcc 1
		.amdhsa_float_round_mode_32 0
		.amdhsa_float_round_mode_16_64 0
		.amdhsa_float_denorm_mode_32 3
		.amdhsa_float_denorm_mode_16_64 3
		.amdhsa_fp16_overflow 0
		.amdhsa_memory_ordered 1
		.amdhsa_forward_progress 1
		.amdhsa_inst_pref_size 1
		.amdhsa_round_robin_scheduling 0
		.amdhsa_exception_fp_ieee_invalid_op 0
		.amdhsa_exception_fp_denorm_src 0
		.amdhsa_exception_fp_ieee_div_zero 0
		.amdhsa_exception_fp_ieee_overflow 0
		.amdhsa_exception_fp_ieee_underflow 0
		.amdhsa_exception_fp_ieee_inexact 0
		.amdhsa_exception_int_div_zero 0
	.end_amdhsa_kernel
	.section	.text._Z35paged_attention_ll4mi_reduce_kernelI14__hip_bfloat16hLi64ELi64ELi256ELi10EEvPT0_PKfS4_PKT_PKiS9_iS4_,"axG",@progbits,_Z35paged_attention_ll4mi_reduce_kernelI14__hip_bfloat16hLi64ELi64ELi256ELi10EEvPT0_PKfS4_PKT_PKiS9_iS4_,comdat
.Lfunc_end415:
	.size	_Z35paged_attention_ll4mi_reduce_kernelI14__hip_bfloat16hLi64ELi64ELi256ELi10EEvPT0_PKfS4_PKT_PKiS9_iS4_, .Lfunc_end415-_Z35paged_attention_ll4mi_reduce_kernelI14__hip_bfloat16hLi64ELi64ELi256ELi10EEvPT0_PKfS4_PKT_PKiS9_iS4_
                                        ; -- End function
	.set _Z35paged_attention_ll4mi_reduce_kernelI14__hip_bfloat16hLi64ELi64ELi256ELi10EEvPT0_PKfS4_PKT_PKiS9_iS4_.num_vgpr, max(3, .L__assert_fail.num_vgpr)
	.set _Z35paged_attention_ll4mi_reduce_kernelI14__hip_bfloat16hLi64ELi64ELi256ELi10EEvPT0_PKfS4_PKT_PKiS9_iS4_.num_agpr, max(0, .L__assert_fail.num_agpr)
	.set _Z35paged_attention_ll4mi_reduce_kernelI14__hip_bfloat16hLi64ELi64ELi256ELi10EEvPT0_PKfS4_PKT_PKiS9_iS4_.numbered_sgpr, max(33, .L__assert_fail.numbered_sgpr)
	.set _Z35paged_attention_ll4mi_reduce_kernelI14__hip_bfloat16hLi64ELi64ELi256ELi10EEvPT0_PKfS4_PKT_PKiS9_iS4_.num_named_barrier, max(0, .L__assert_fail.num_named_barrier)
	.set _Z35paged_attention_ll4mi_reduce_kernelI14__hip_bfloat16hLi64ELi64ELi256ELi10EEvPT0_PKfS4_PKT_PKiS9_iS4_.private_seg_size, 0+max(.L__assert_fail.private_seg_size)
	.set _Z35paged_attention_ll4mi_reduce_kernelI14__hip_bfloat16hLi64ELi64ELi256ELi10EEvPT0_PKfS4_PKT_PKiS9_iS4_.uses_vcc, or(1, .L__assert_fail.uses_vcc)
	.set _Z35paged_attention_ll4mi_reduce_kernelI14__hip_bfloat16hLi64ELi64ELi256ELi10EEvPT0_PKfS4_PKT_PKiS9_iS4_.uses_flat_scratch, or(0, .L__assert_fail.uses_flat_scratch)
	.set _Z35paged_attention_ll4mi_reduce_kernelI14__hip_bfloat16hLi64ELi64ELi256ELi10EEvPT0_PKfS4_PKT_PKiS9_iS4_.has_dyn_sized_stack, or(0, .L__assert_fail.has_dyn_sized_stack)
	.set _Z35paged_attention_ll4mi_reduce_kernelI14__hip_bfloat16hLi64ELi64ELi256ELi10EEvPT0_PKfS4_PKT_PKiS9_iS4_.has_recursion, or(0, .L__assert_fail.has_recursion)
	.set _Z35paged_attention_ll4mi_reduce_kernelI14__hip_bfloat16hLi64ELi64ELi256ELi10EEvPT0_PKfS4_PKT_PKiS9_iS4_.has_indirect_call, or(0, .L__assert_fail.has_indirect_call)
	.section	.AMDGPU.csdata,"",@progbits
; Kernel info:
; codeLenInByte = 64
; TotalNumSgprs: 36
; NumVgprs: 51
; ScratchSize: 64
; MemoryBound: 0
; FloatMode: 240
; IeeeMode: 1
; LDSByteSize: 0 bytes/workgroup (compile time only)
; SGPRBlocks: 0
; VGPRBlocks: 3
; NumSGPRsForWavesPerEU: 36
; NumVGPRsForWavesPerEU: 51
; NamedBarCnt: 0
; Occupancy: 16
; WaveLimiterHint : 1
; COMPUTE_PGM_RSRC2:SCRATCH_EN: 1
; COMPUTE_PGM_RSRC2:USER_SGPR: 2
; COMPUTE_PGM_RSRC2:TRAP_HANDLER: 0
; COMPUTE_PGM_RSRC2:TGID_X_EN: 1
; COMPUTE_PGM_RSRC2:TGID_Y_EN: 0
; COMPUTE_PGM_RSRC2:TGID_Z_EN: 0
; COMPUTE_PGM_RSRC2:TIDIG_COMP_CNT: 0
	.section	.text._Z35paged_attention_ll4mi_reduce_kernelI14__hip_bfloat16hLi64ELi64ELi256ELi11EEvPT0_PKfS4_PKT_PKiS9_iS4_,"axG",@progbits,_Z35paged_attention_ll4mi_reduce_kernelI14__hip_bfloat16hLi64ELi64ELi256ELi11EEvPT0_PKfS4_PKT_PKiS9_iS4_,comdat
	.protected	_Z35paged_attention_ll4mi_reduce_kernelI14__hip_bfloat16hLi64ELi64ELi256ELi11EEvPT0_PKfS4_PKT_PKiS9_iS4_ ; -- Begin function _Z35paged_attention_ll4mi_reduce_kernelI14__hip_bfloat16hLi64ELi64ELi256ELi11EEvPT0_PKfS4_PKT_PKiS9_iS4_
	.globl	_Z35paged_attention_ll4mi_reduce_kernelI14__hip_bfloat16hLi64ELi64ELi256ELi11EEvPT0_PKfS4_PKT_PKiS9_iS4_
	.p2align	8
	.type	_Z35paged_attention_ll4mi_reduce_kernelI14__hip_bfloat16hLi64ELi64ELi256ELi11EEvPT0_PKfS4_PKT_PKiS9_iS4_,@function
_Z35paged_attention_ll4mi_reduce_kernelI14__hip_bfloat16hLi64ELi64ELi256ELi11EEvPT0_PKfS4_PKT_PKiS9_iS4_: ; @_Z35paged_attention_ll4mi_reduce_kernelI14__hip_bfloat16hLi64ELi64ELi256ELi11EEvPT0_PKfS4_PKT_PKiS9_iS4_
; %bb.0:
	s_get_pc_i64 s[2:3]
	s_add_nc_u64 s[2:3], s[2:3], __PRETTY_FUNCTION__._Z35paged_attention_ll4mi_reduce_kernelI14__hip_bfloat16hLi64ELi64ELi256ELi11EEvPT0_PKfS4_PKT_PKiS9_iS4_@rel64+4
	s_delay_alu instid0(SALU_CYCLE_1)
	v_dual_mov_b32 v0, 0xbdd :: v_dual_mov_b32 v1, s2
	v_mov_b32_e32 v2, s3
	s_add_nc_u64 s[8:9], s[0:1], 64
	s_get_pc_i64 s[0:1]
	s_add_nc_u64 s[0:1], s[0:1], __assert_fail@rel64+4
	s_mov_b32 s32, 0
	s_swap_pc_i64 s[30:31], s[0:1]
	.section	.rodata,"a",@progbits
	.p2align	6, 0x0
	.amdhsa_kernel _Z35paged_attention_ll4mi_reduce_kernelI14__hip_bfloat16hLi64ELi64ELi256ELi11EEvPT0_PKfS4_PKT_PKiS9_iS4_
		.amdhsa_group_segment_fixed_size 0
		.amdhsa_private_segment_fixed_size 64
		.amdhsa_kernarg_size 320
		.amdhsa_user_sgpr_count 2
		.amdhsa_user_sgpr_dispatch_ptr 0
		.amdhsa_user_sgpr_queue_ptr 0
		.amdhsa_user_sgpr_kernarg_segment_ptr 1
		.amdhsa_user_sgpr_dispatch_id 0
		.amdhsa_user_sgpr_kernarg_preload_length 0
		.amdhsa_user_sgpr_kernarg_preload_offset 0
		.amdhsa_user_sgpr_private_segment_size 0
		.amdhsa_wavefront_size32 1
		.amdhsa_uses_dynamic_stack 0
		.amdhsa_enable_private_segment 1
		.amdhsa_system_sgpr_workgroup_id_x 1
		.amdhsa_system_sgpr_workgroup_id_y 0
		.amdhsa_system_sgpr_workgroup_id_z 0
		.amdhsa_system_sgpr_workgroup_info 0
		.amdhsa_system_vgpr_workitem_id 0
		.amdhsa_next_free_vgpr 51
		.amdhsa_next_free_sgpr 34
		.amdhsa_named_barrier_count 0
		.amdhsa_reserve_vcc 1
		.amdhsa_float_round_mode_32 0
		.amdhsa_float_round_mode_16_64 0
		.amdhsa_float_denorm_mode_32 3
		.amdhsa_float_denorm_mode_16_64 3
		.amdhsa_fp16_overflow 0
		.amdhsa_memory_ordered 1
		.amdhsa_forward_progress 1
		.amdhsa_inst_pref_size 1
		.amdhsa_round_robin_scheduling 0
		.amdhsa_exception_fp_ieee_invalid_op 0
		.amdhsa_exception_fp_denorm_src 0
		.amdhsa_exception_fp_ieee_div_zero 0
		.amdhsa_exception_fp_ieee_overflow 0
		.amdhsa_exception_fp_ieee_underflow 0
		.amdhsa_exception_fp_ieee_inexact 0
		.amdhsa_exception_int_div_zero 0
	.end_amdhsa_kernel
	.section	.text._Z35paged_attention_ll4mi_reduce_kernelI14__hip_bfloat16hLi64ELi64ELi256ELi11EEvPT0_PKfS4_PKT_PKiS9_iS4_,"axG",@progbits,_Z35paged_attention_ll4mi_reduce_kernelI14__hip_bfloat16hLi64ELi64ELi256ELi11EEvPT0_PKfS4_PKT_PKiS9_iS4_,comdat
.Lfunc_end416:
	.size	_Z35paged_attention_ll4mi_reduce_kernelI14__hip_bfloat16hLi64ELi64ELi256ELi11EEvPT0_PKfS4_PKT_PKiS9_iS4_, .Lfunc_end416-_Z35paged_attention_ll4mi_reduce_kernelI14__hip_bfloat16hLi64ELi64ELi256ELi11EEvPT0_PKfS4_PKT_PKiS9_iS4_
                                        ; -- End function
	.set _Z35paged_attention_ll4mi_reduce_kernelI14__hip_bfloat16hLi64ELi64ELi256ELi11EEvPT0_PKfS4_PKT_PKiS9_iS4_.num_vgpr, max(3, .L__assert_fail.num_vgpr)
	.set _Z35paged_attention_ll4mi_reduce_kernelI14__hip_bfloat16hLi64ELi64ELi256ELi11EEvPT0_PKfS4_PKT_PKiS9_iS4_.num_agpr, max(0, .L__assert_fail.num_agpr)
	.set _Z35paged_attention_ll4mi_reduce_kernelI14__hip_bfloat16hLi64ELi64ELi256ELi11EEvPT0_PKfS4_PKT_PKiS9_iS4_.numbered_sgpr, max(33, .L__assert_fail.numbered_sgpr)
	.set _Z35paged_attention_ll4mi_reduce_kernelI14__hip_bfloat16hLi64ELi64ELi256ELi11EEvPT0_PKfS4_PKT_PKiS9_iS4_.num_named_barrier, max(0, .L__assert_fail.num_named_barrier)
	.set _Z35paged_attention_ll4mi_reduce_kernelI14__hip_bfloat16hLi64ELi64ELi256ELi11EEvPT0_PKfS4_PKT_PKiS9_iS4_.private_seg_size, 0+max(.L__assert_fail.private_seg_size)
	.set _Z35paged_attention_ll4mi_reduce_kernelI14__hip_bfloat16hLi64ELi64ELi256ELi11EEvPT0_PKfS4_PKT_PKiS9_iS4_.uses_vcc, or(1, .L__assert_fail.uses_vcc)
	.set _Z35paged_attention_ll4mi_reduce_kernelI14__hip_bfloat16hLi64ELi64ELi256ELi11EEvPT0_PKfS4_PKT_PKiS9_iS4_.uses_flat_scratch, or(0, .L__assert_fail.uses_flat_scratch)
	.set _Z35paged_attention_ll4mi_reduce_kernelI14__hip_bfloat16hLi64ELi64ELi256ELi11EEvPT0_PKfS4_PKT_PKiS9_iS4_.has_dyn_sized_stack, or(0, .L__assert_fail.has_dyn_sized_stack)
	.set _Z35paged_attention_ll4mi_reduce_kernelI14__hip_bfloat16hLi64ELi64ELi256ELi11EEvPT0_PKfS4_PKT_PKiS9_iS4_.has_recursion, or(0, .L__assert_fail.has_recursion)
	.set _Z35paged_attention_ll4mi_reduce_kernelI14__hip_bfloat16hLi64ELi64ELi256ELi11EEvPT0_PKfS4_PKT_PKiS9_iS4_.has_indirect_call, or(0, .L__assert_fail.has_indirect_call)
	.section	.AMDGPU.csdata,"",@progbits
; Kernel info:
; codeLenInByte = 64
; TotalNumSgprs: 36
; NumVgprs: 51
; ScratchSize: 64
; MemoryBound: 0
; FloatMode: 240
; IeeeMode: 1
; LDSByteSize: 0 bytes/workgroup (compile time only)
; SGPRBlocks: 0
; VGPRBlocks: 3
; NumSGPRsForWavesPerEU: 36
; NumVGPRsForWavesPerEU: 51
; NamedBarCnt: 0
; Occupancy: 16
; WaveLimiterHint : 1
; COMPUTE_PGM_RSRC2:SCRATCH_EN: 1
; COMPUTE_PGM_RSRC2:USER_SGPR: 2
; COMPUTE_PGM_RSRC2:TRAP_HANDLER: 0
; COMPUTE_PGM_RSRC2:TGID_X_EN: 1
; COMPUTE_PGM_RSRC2:TGID_Y_EN: 0
; COMPUTE_PGM_RSRC2:TGID_Z_EN: 0
; COMPUTE_PGM_RSRC2:TIDIG_COMP_CNT: 0
	.section	.text._Z35paged_attention_ll4mi_reduce_kernelI14__hip_bfloat16hLi64ELi64ELi256ELi12EEvPT0_PKfS4_PKT_PKiS9_iS4_,"axG",@progbits,_Z35paged_attention_ll4mi_reduce_kernelI14__hip_bfloat16hLi64ELi64ELi256ELi12EEvPT0_PKfS4_PKT_PKiS9_iS4_,comdat
	.protected	_Z35paged_attention_ll4mi_reduce_kernelI14__hip_bfloat16hLi64ELi64ELi256ELi12EEvPT0_PKfS4_PKT_PKiS9_iS4_ ; -- Begin function _Z35paged_attention_ll4mi_reduce_kernelI14__hip_bfloat16hLi64ELi64ELi256ELi12EEvPT0_PKfS4_PKT_PKiS9_iS4_
	.globl	_Z35paged_attention_ll4mi_reduce_kernelI14__hip_bfloat16hLi64ELi64ELi256ELi12EEvPT0_PKfS4_PKT_PKiS9_iS4_
	.p2align	8
	.type	_Z35paged_attention_ll4mi_reduce_kernelI14__hip_bfloat16hLi64ELi64ELi256ELi12EEvPT0_PKfS4_PKT_PKiS9_iS4_,@function
_Z35paged_attention_ll4mi_reduce_kernelI14__hip_bfloat16hLi64ELi64ELi256ELi12EEvPT0_PKfS4_PKT_PKiS9_iS4_: ; @_Z35paged_attention_ll4mi_reduce_kernelI14__hip_bfloat16hLi64ELi64ELi256ELi12EEvPT0_PKfS4_PKT_PKiS9_iS4_
; %bb.0:
	s_get_pc_i64 s[2:3]
	s_add_nc_u64 s[2:3], s[2:3], __PRETTY_FUNCTION__._Z35paged_attention_ll4mi_reduce_kernelI14__hip_bfloat16hLi64ELi64ELi256ELi12EEvPT0_PKfS4_PKT_PKiS9_iS4_@rel64+4
	s_delay_alu instid0(SALU_CYCLE_1)
	v_dual_mov_b32 v0, 0xbdd :: v_dual_mov_b32 v1, s2
	v_mov_b32_e32 v2, s3
	s_add_nc_u64 s[8:9], s[0:1], 64
	s_get_pc_i64 s[0:1]
	s_add_nc_u64 s[0:1], s[0:1], __assert_fail@rel64+4
	s_mov_b32 s32, 0
	s_swap_pc_i64 s[30:31], s[0:1]
	.section	.rodata,"a",@progbits
	.p2align	6, 0x0
	.amdhsa_kernel _Z35paged_attention_ll4mi_reduce_kernelI14__hip_bfloat16hLi64ELi64ELi256ELi12EEvPT0_PKfS4_PKT_PKiS9_iS4_
		.amdhsa_group_segment_fixed_size 0
		.amdhsa_private_segment_fixed_size 64
		.amdhsa_kernarg_size 320
		.amdhsa_user_sgpr_count 2
		.amdhsa_user_sgpr_dispatch_ptr 0
		.amdhsa_user_sgpr_queue_ptr 0
		.amdhsa_user_sgpr_kernarg_segment_ptr 1
		.amdhsa_user_sgpr_dispatch_id 0
		.amdhsa_user_sgpr_kernarg_preload_length 0
		.amdhsa_user_sgpr_kernarg_preload_offset 0
		.amdhsa_user_sgpr_private_segment_size 0
		.amdhsa_wavefront_size32 1
		.amdhsa_uses_dynamic_stack 0
		.amdhsa_enable_private_segment 1
		.amdhsa_system_sgpr_workgroup_id_x 1
		.amdhsa_system_sgpr_workgroup_id_y 0
		.amdhsa_system_sgpr_workgroup_id_z 0
		.amdhsa_system_sgpr_workgroup_info 0
		.amdhsa_system_vgpr_workitem_id 0
		.amdhsa_next_free_vgpr 51
		.amdhsa_next_free_sgpr 34
		.amdhsa_named_barrier_count 0
		.amdhsa_reserve_vcc 1
		.amdhsa_float_round_mode_32 0
		.amdhsa_float_round_mode_16_64 0
		.amdhsa_float_denorm_mode_32 3
		.amdhsa_float_denorm_mode_16_64 3
		.amdhsa_fp16_overflow 0
		.amdhsa_memory_ordered 1
		.amdhsa_forward_progress 1
		.amdhsa_inst_pref_size 1
		.amdhsa_round_robin_scheduling 0
		.amdhsa_exception_fp_ieee_invalid_op 0
		.amdhsa_exception_fp_denorm_src 0
		.amdhsa_exception_fp_ieee_div_zero 0
		.amdhsa_exception_fp_ieee_overflow 0
		.amdhsa_exception_fp_ieee_underflow 0
		.amdhsa_exception_fp_ieee_inexact 0
		.amdhsa_exception_int_div_zero 0
	.end_amdhsa_kernel
	.section	.text._Z35paged_attention_ll4mi_reduce_kernelI14__hip_bfloat16hLi64ELi64ELi256ELi12EEvPT0_PKfS4_PKT_PKiS9_iS4_,"axG",@progbits,_Z35paged_attention_ll4mi_reduce_kernelI14__hip_bfloat16hLi64ELi64ELi256ELi12EEvPT0_PKfS4_PKT_PKiS9_iS4_,comdat
.Lfunc_end417:
	.size	_Z35paged_attention_ll4mi_reduce_kernelI14__hip_bfloat16hLi64ELi64ELi256ELi12EEvPT0_PKfS4_PKT_PKiS9_iS4_, .Lfunc_end417-_Z35paged_attention_ll4mi_reduce_kernelI14__hip_bfloat16hLi64ELi64ELi256ELi12EEvPT0_PKfS4_PKT_PKiS9_iS4_
                                        ; -- End function
	.set _Z35paged_attention_ll4mi_reduce_kernelI14__hip_bfloat16hLi64ELi64ELi256ELi12EEvPT0_PKfS4_PKT_PKiS9_iS4_.num_vgpr, max(3, .L__assert_fail.num_vgpr)
	.set _Z35paged_attention_ll4mi_reduce_kernelI14__hip_bfloat16hLi64ELi64ELi256ELi12EEvPT0_PKfS4_PKT_PKiS9_iS4_.num_agpr, max(0, .L__assert_fail.num_agpr)
	.set _Z35paged_attention_ll4mi_reduce_kernelI14__hip_bfloat16hLi64ELi64ELi256ELi12EEvPT0_PKfS4_PKT_PKiS9_iS4_.numbered_sgpr, max(33, .L__assert_fail.numbered_sgpr)
	.set _Z35paged_attention_ll4mi_reduce_kernelI14__hip_bfloat16hLi64ELi64ELi256ELi12EEvPT0_PKfS4_PKT_PKiS9_iS4_.num_named_barrier, max(0, .L__assert_fail.num_named_barrier)
	.set _Z35paged_attention_ll4mi_reduce_kernelI14__hip_bfloat16hLi64ELi64ELi256ELi12EEvPT0_PKfS4_PKT_PKiS9_iS4_.private_seg_size, 0+max(.L__assert_fail.private_seg_size)
	.set _Z35paged_attention_ll4mi_reduce_kernelI14__hip_bfloat16hLi64ELi64ELi256ELi12EEvPT0_PKfS4_PKT_PKiS9_iS4_.uses_vcc, or(1, .L__assert_fail.uses_vcc)
	.set _Z35paged_attention_ll4mi_reduce_kernelI14__hip_bfloat16hLi64ELi64ELi256ELi12EEvPT0_PKfS4_PKT_PKiS9_iS4_.uses_flat_scratch, or(0, .L__assert_fail.uses_flat_scratch)
	.set _Z35paged_attention_ll4mi_reduce_kernelI14__hip_bfloat16hLi64ELi64ELi256ELi12EEvPT0_PKfS4_PKT_PKiS9_iS4_.has_dyn_sized_stack, or(0, .L__assert_fail.has_dyn_sized_stack)
	.set _Z35paged_attention_ll4mi_reduce_kernelI14__hip_bfloat16hLi64ELi64ELi256ELi12EEvPT0_PKfS4_PKT_PKiS9_iS4_.has_recursion, or(0, .L__assert_fail.has_recursion)
	.set _Z35paged_attention_ll4mi_reduce_kernelI14__hip_bfloat16hLi64ELi64ELi256ELi12EEvPT0_PKfS4_PKT_PKiS9_iS4_.has_indirect_call, or(0, .L__assert_fail.has_indirect_call)
	.section	.AMDGPU.csdata,"",@progbits
; Kernel info:
; codeLenInByte = 64
; TotalNumSgprs: 36
; NumVgprs: 51
; ScratchSize: 64
; MemoryBound: 0
; FloatMode: 240
; IeeeMode: 1
; LDSByteSize: 0 bytes/workgroup (compile time only)
; SGPRBlocks: 0
; VGPRBlocks: 3
; NumSGPRsForWavesPerEU: 36
; NumVGPRsForWavesPerEU: 51
; NamedBarCnt: 0
; Occupancy: 16
; WaveLimiterHint : 1
; COMPUTE_PGM_RSRC2:SCRATCH_EN: 1
; COMPUTE_PGM_RSRC2:USER_SGPR: 2
; COMPUTE_PGM_RSRC2:TRAP_HANDLER: 0
; COMPUTE_PGM_RSRC2:TGID_X_EN: 1
; COMPUTE_PGM_RSRC2:TGID_Y_EN: 0
; COMPUTE_PGM_RSRC2:TGID_Z_EN: 0
; COMPUTE_PGM_RSRC2:TIDIG_COMP_CNT: 0
	.section	.text._Z35paged_attention_ll4mi_reduce_kernelI14__hip_bfloat16hLi64ELi64ELi256ELi13EEvPT0_PKfS4_PKT_PKiS9_iS4_,"axG",@progbits,_Z35paged_attention_ll4mi_reduce_kernelI14__hip_bfloat16hLi64ELi64ELi256ELi13EEvPT0_PKfS4_PKT_PKiS9_iS4_,comdat
	.protected	_Z35paged_attention_ll4mi_reduce_kernelI14__hip_bfloat16hLi64ELi64ELi256ELi13EEvPT0_PKfS4_PKT_PKiS9_iS4_ ; -- Begin function _Z35paged_attention_ll4mi_reduce_kernelI14__hip_bfloat16hLi64ELi64ELi256ELi13EEvPT0_PKfS4_PKT_PKiS9_iS4_
	.globl	_Z35paged_attention_ll4mi_reduce_kernelI14__hip_bfloat16hLi64ELi64ELi256ELi13EEvPT0_PKfS4_PKT_PKiS9_iS4_
	.p2align	8
	.type	_Z35paged_attention_ll4mi_reduce_kernelI14__hip_bfloat16hLi64ELi64ELi256ELi13EEvPT0_PKfS4_PKT_PKiS9_iS4_,@function
_Z35paged_attention_ll4mi_reduce_kernelI14__hip_bfloat16hLi64ELi64ELi256ELi13EEvPT0_PKfS4_PKT_PKiS9_iS4_: ; @_Z35paged_attention_ll4mi_reduce_kernelI14__hip_bfloat16hLi64ELi64ELi256ELi13EEvPT0_PKfS4_PKT_PKiS9_iS4_
; %bb.0:
	s_get_pc_i64 s[2:3]
	s_add_nc_u64 s[2:3], s[2:3], __PRETTY_FUNCTION__._Z35paged_attention_ll4mi_reduce_kernelI14__hip_bfloat16hLi64ELi64ELi256ELi13EEvPT0_PKfS4_PKT_PKiS9_iS4_@rel64+4
	s_delay_alu instid0(SALU_CYCLE_1)
	v_dual_mov_b32 v0, 0xbdd :: v_dual_mov_b32 v1, s2
	v_mov_b32_e32 v2, s3
	s_add_nc_u64 s[8:9], s[0:1], 64
	s_get_pc_i64 s[0:1]
	s_add_nc_u64 s[0:1], s[0:1], __assert_fail@rel64+4
	s_mov_b32 s32, 0
	s_swap_pc_i64 s[30:31], s[0:1]
	.section	.rodata,"a",@progbits
	.p2align	6, 0x0
	.amdhsa_kernel _Z35paged_attention_ll4mi_reduce_kernelI14__hip_bfloat16hLi64ELi64ELi256ELi13EEvPT0_PKfS4_PKT_PKiS9_iS4_
		.amdhsa_group_segment_fixed_size 0
		.amdhsa_private_segment_fixed_size 64
		.amdhsa_kernarg_size 320
		.amdhsa_user_sgpr_count 2
		.amdhsa_user_sgpr_dispatch_ptr 0
		.amdhsa_user_sgpr_queue_ptr 0
		.amdhsa_user_sgpr_kernarg_segment_ptr 1
		.amdhsa_user_sgpr_dispatch_id 0
		.amdhsa_user_sgpr_kernarg_preload_length 0
		.amdhsa_user_sgpr_kernarg_preload_offset 0
		.amdhsa_user_sgpr_private_segment_size 0
		.amdhsa_wavefront_size32 1
		.amdhsa_uses_dynamic_stack 0
		.amdhsa_enable_private_segment 1
		.amdhsa_system_sgpr_workgroup_id_x 1
		.amdhsa_system_sgpr_workgroup_id_y 0
		.amdhsa_system_sgpr_workgroup_id_z 0
		.amdhsa_system_sgpr_workgroup_info 0
		.amdhsa_system_vgpr_workitem_id 0
		.amdhsa_next_free_vgpr 51
		.amdhsa_next_free_sgpr 34
		.amdhsa_named_barrier_count 0
		.amdhsa_reserve_vcc 1
		.amdhsa_float_round_mode_32 0
		.amdhsa_float_round_mode_16_64 0
		.amdhsa_float_denorm_mode_32 3
		.amdhsa_float_denorm_mode_16_64 3
		.amdhsa_fp16_overflow 0
		.amdhsa_memory_ordered 1
		.amdhsa_forward_progress 1
		.amdhsa_inst_pref_size 1
		.amdhsa_round_robin_scheduling 0
		.amdhsa_exception_fp_ieee_invalid_op 0
		.amdhsa_exception_fp_denorm_src 0
		.amdhsa_exception_fp_ieee_div_zero 0
		.amdhsa_exception_fp_ieee_overflow 0
		.amdhsa_exception_fp_ieee_underflow 0
		.amdhsa_exception_fp_ieee_inexact 0
		.amdhsa_exception_int_div_zero 0
	.end_amdhsa_kernel
	.section	.text._Z35paged_attention_ll4mi_reduce_kernelI14__hip_bfloat16hLi64ELi64ELi256ELi13EEvPT0_PKfS4_PKT_PKiS9_iS4_,"axG",@progbits,_Z35paged_attention_ll4mi_reduce_kernelI14__hip_bfloat16hLi64ELi64ELi256ELi13EEvPT0_PKfS4_PKT_PKiS9_iS4_,comdat
.Lfunc_end418:
	.size	_Z35paged_attention_ll4mi_reduce_kernelI14__hip_bfloat16hLi64ELi64ELi256ELi13EEvPT0_PKfS4_PKT_PKiS9_iS4_, .Lfunc_end418-_Z35paged_attention_ll4mi_reduce_kernelI14__hip_bfloat16hLi64ELi64ELi256ELi13EEvPT0_PKfS4_PKT_PKiS9_iS4_
                                        ; -- End function
	.set _Z35paged_attention_ll4mi_reduce_kernelI14__hip_bfloat16hLi64ELi64ELi256ELi13EEvPT0_PKfS4_PKT_PKiS9_iS4_.num_vgpr, max(3, .L__assert_fail.num_vgpr)
	.set _Z35paged_attention_ll4mi_reduce_kernelI14__hip_bfloat16hLi64ELi64ELi256ELi13EEvPT0_PKfS4_PKT_PKiS9_iS4_.num_agpr, max(0, .L__assert_fail.num_agpr)
	.set _Z35paged_attention_ll4mi_reduce_kernelI14__hip_bfloat16hLi64ELi64ELi256ELi13EEvPT0_PKfS4_PKT_PKiS9_iS4_.numbered_sgpr, max(33, .L__assert_fail.numbered_sgpr)
	.set _Z35paged_attention_ll4mi_reduce_kernelI14__hip_bfloat16hLi64ELi64ELi256ELi13EEvPT0_PKfS4_PKT_PKiS9_iS4_.num_named_barrier, max(0, .L__assert_fail.num_named_barrier)
	.set _Z35paged_attention_ll4mi_reduce_kernelI14__hip_bfloat16hLi64ELi64ELi256ELi13EEvPT0_PKfS4_PKT_PKiS9_iS4_.private_seg_size, 0+max(.L__assert_fail.private_seg_size)
	.set _Z35paged_attention_ll4mi_reduce_kernelI14__hip_bfloat16hLi64ELi64ELi256ELi13EEvPT0_PKfS4_PKT_PKiS9_iS4_.uses_vcc, or(1, .L__assert_fail.uses_vcc)
	.set _Z35paged_attention_ll4mi_reduce_kernelI14__hip_bfloat16hLi64ELi64ELi256ELi13EEvPT0_PKfS4_PKT_PKiS9_iS4_.uses_flat_scratch, or(0, .L__assert_fail.uses_flat_scratch)
	.set _Z35paged_attention_ll4mi_reduce_kernelI14__hip_bfloat16hLi64ELi64ELi256ELi13EEvPT0_PKfS4_PKT_PKiS9_iS4_.has_dyn_sized_stack, or(0, .L__assert_fail.has_dyn_sized_stack)
	.set _Z35paged_attention_ll4mi_reduce_kernelI14__hip_bfloat16hLi64ELi64ELi256ELi13EEvPT0_PKfS4_PKT_PKiS9_iS4_.has_recursion, or(0, .L__assert_fail.has_recursion)
	.set _Z35paged_attention_ll4mi_reduce_kernelI14__hip_bfloat16hLi64ELi64ELi256ELi13EEvPT0_PKfS4_PKT_PKiS9_iS4_.has_indirect_call, or(0, .L__assert_fail.has_indirect_call)
	.section	.AMDGPU.csdata,"",@progbits
; Kernel info:
; codeLenInByte = 64
; TotalNumSgprs: 36
; NumVgprs: 51
; ScratchSize: 64
; MemoryBound: 0
; FloatMode: 240
; IeeeMode: 1
; LDSByteSize: 0 bytes/workgroup (compile time only)
; SGPRBlocks: 0
; VGPRBlocks: 3
; NumSGPRsForWavesPerEU: 36
; NumVGPRsForWavesPerEU: 51
; NamedBarCnt: 0
; Occupancy: 16
; WaveLimiterHint : 1
; COMPUTE_PGM_RSRC2:SCRATCH_EN: 1
; COMPUTE_PGM_RSRC2:USER_SGPR: 2
; COMPUTE_PGM_RSRC2:TRAP_HANDLER: 0
; COMPUTE_PGM_RSRC2:TGID_X_EN: 1
; COMPUTE_PGM_RSRC2:TGID_Y_EN: 0
; COMPUTE_PGM_RSRC2:TGID_Z_EN: 0
; COMPUTE_PGM_RSRC2:TIDIG_COMP_CNT: 0
	.section	.text._Z35paged_attention_ll4mi_reduce_kernelI14__hip_bfloat16hLi64ELi64ELi256ELi14EEvPT0_PKfS4_PKT_PKiS9_iS4_,"axG",@progbits,_Z35paged_attention_ll4mi_reduce_kernelI14__hip_bfloat16hLi64ELi64ELi256ELi14EEvPT0_PKfS4_PKT_PKiS9_iS4_,comdat
	.protected	_Z35paged_attention_ll4mi_reduce_kernelI14__hip_bfloat16hLi64ELi64ELi256ELi14EEvPT0_PKfS4_PKT_PKiS9_iS4_ ; -- Begin function _Z35paged_attention_ll4mi_reduce_kernelI14__hip_bfloat16hLi64ELi64ELi256ELi14EEvPT0_PKfS4_PKT_PKiS9_iS4_
	.globl	_Z35paged_attention_ll4mi_reduce_kernelI14__hip_bfloat16hLi64ELi64ELi256ELi14EEvPT0_PKfS4_PKT_PKiS9_iS4_
	.p2align	8
	.type	_Z35paged_attention_ll4mi_reduce_kernelI14__hip_bfloat16hLi64ELi64ELi256ELi14EEvPT0_PKfS4_PKT_PKiS9_iS4_,@function
_Z35paged_attention_ll4mi_reduce_kernelI14__hip_bfloat16hLi64ELi64ELi256ELi14EEvPT0_PKfS4_PKT_PKiS9_iS4_: ; @_Z35paged_attention_ll4mi_reduce_kernelI14__hip_bfloat16hLi64ELi64ELi256ELi14EEvPT0_PKfS4_PKT_PKiS9_iS4_
; %bb.0:
	s_get_pc_i64 s[2:3]
	s_add_nc_u64 s[2:3], s[2:3], __PRETTY_FUNCTION__._Z35paged_attention_ll4mi_reduce_kernelI14__hip_bfloat16hLi64ELi64ELi256ELi14EEvPT0_PKfS4_PKT_PKiS9_iS4_@rel64+4
	s_delay_alu instid0(SALU_CYCLE_1)
	v_dual_mov_b32 v0, 0xbdd :: v_dual_mov_b32 v1, s2
	v_mov_b32_e32 v2, s3
	s_add_nc_u64 s[8:9], s[0:1], 64
	s_get_pc_i64 s[0:1]
	s_add_nc_u64 s[0:1], s[0:1], __assert_fail@rel64+4
	s_mov_b32 s32, 0
	s_swap_pc_i64 s[30:31], s[0:1]
	.section	.rodata,"a",@progbits
	.p2align	6, 0x0
	.amdhsa_kernel _Z35paged_attention_ll4mi_reduce_kernelI14__hip_bfloat16hLi64ELi64ELi256ELi14EEvPT0_PKfS4_PKT_PKiS9_iS4_
		.amdhsa_group_segment_fixed_size 0
		.amdhsa_private_segment_fixed_size 64
		.amdhsa_kernarg_size 320
		.amdhsa_user_sgpr_count 2
		.amdhsa_user_sgpr_dispatch_ptr 0
		.amdhsa_user_sgpr_queue_ptr 0
		.amdhsa_user_sgpr_kernarg_segment_ptr 1
		.amdhsa_user_sgpr_dispatch_id 0
		.amdhsa_user_sgpr_kernarg_preload_length 0
		.amdhsa_user_sgpr_kernarg_preload_offset 0
		.amdhsa_user_sgpr_private_segment_size 0
		.amdhsa_wavefront_size32 1
		.amdhsa_uses_dynamic_stack 0
		.amdhsa_enable_private_segment 1
		.amdhsa_system_sgpr_workgroup_id_x 1
		.amdhsa_system_sgpr_workgroup_id_y 0
		.amdhsa_system_sgpr_workgroup_id_z 0
		.amdhsa_system_sgpr_workgroup_info 0
		.amdhsa_system_vgpr_workitem_id 0
		.amdhsa_next_free_vgpr 51
		.amdhsa_next_free_sgpr 34
		.amdhsa_named_barrier_count 0
		.amdhsa_reserve_vcc 1
		.amdhsa_float_round_mode_32 0
		.amdhsa_float_round_mode_16_64 0
		.amdhsa_float_denorm_mode_32 3
		.amdhsa_float_denorm_mode_16_64 3
		.amdhsa_fp16_overflow 0
		.amdhsa_memory_ordered 1
		.amdhsa_forward_progress 1
		.amdhsa_inst_pref_size 1
		.amdhsa_round_robin_scheduling 0
		.amdhsa_exception_fp_ieee_invalid_op 0
		.amdhsa_exception_fp_denorm_src 0
		.amdhsa_exception_fp_ieee_div_zero 0
		.amdhsa_exception_fp_ieee_overflow 0
		.amdhsa_exception_fp_ieee_underflow 0
		.amdhsa_exception_fp_ieee_inexact 0
		.amdhsa_exception_int_div_zero 0
	.end_amdhsa_kernel
	.section	.text._Z35paged_attention_ll4mi_reduce_kernelI14__hip_bfloat16hLi64ELi64ELi256ELi14EEvPT0_PKfS4_PKT_PKiS9_iS4_,"axG",@progbits,_Z35paged_attention_ll4mi_reduce_kernelI14__hip_bfloat16hLi64ELi64ELi256ELi14EEvPT0_PKfS4_PKT_PKiS9_iS4_,comdat
.Lfunc_end419:
	.size	_Z35paged_attention_ll4mi_reduce_kernelI14__hip_bfloat16hLi64ELi64ELi256ELi14EEvPT0_PKfS4_PKT_PKiS9_iS4_, .Lfunc_end419-_Z35paged_attention_ll4mi_reduce_kernelI14__hip_bfloat16hLi64ELi64ELi256ELi14EEvPT0_PKfS4_PKT_PKiS9_iS4_
                                        ; -- End function
	.set _Z35paged_attention_ll4mi_reduce_kernelI14__hip_bfloat16hLi64ELi64ELi256ELi14EEvPT0_PKfS4_PKT_PKiS9_iS4_.num_vgpr, max(3, .L__assert_fail.num_vgpr)
	.set _Z35paged_attention_ll4mi_reduce_kernelI14__hip_bfloat16hLi64ELi64ELi256ELi14EEvPT0_PKfS4_PKT_PKiS9_iS4_.num_agpr, max(0, .L__assert_fail.num_agpr)
	.set _Z35paged_attention_ll4mi_reduce_kernelI14__hip_bfloat16hLi64ELi64ELi256ELi14EEvPT0_PKfS4_PKT_PKiS9_iS4_.numbered_sgpr, max(33, .L__assert_fail.numbered_sgpr)
	.set _Z35paged_attention_ll4mi_reduce_kernelI14__hip_bfloat16hLi64ELi64ELi256ELi14EEvPT0_PKfS4_PKT_PKiS9_iS4_.num_named_barrier, max(0, .L__assert_fail.num_named_barrier)
	.set _Z35paged_attention_ll4mi_reduce_kernelI14__hip_bfloat16hLi64ELi64ELi256ELi14EEvPT0_PKfS4_PKT_PKiS9_iS4_.private_seg_size, 0+max(.L__assert_fail.private_seg_size)
	.set _Z35paged_attention_ll4mi_reduce_kernelI14__hip_bfloat16hLi64ELi64ELi256ELi14EEvPT0_PKfS4_PKT_PKiS9_iS4_.uses_vcc, or(1, .L__assert_fail.uses_vcc)
	.set _Z35paged_attention_ll4mi_reduce_kernelI14__hip_bfloat16hLi64ELi64ELi256ELi14EEvPT0_PKfS4_PKT_PKiS9_iS4_.uses_flat_scratch, or(0, .L__assert_fail.uses_flat_scratch)
	.set _Z35paged_attention_ll4mi_reduce_kernelI14__hip_bfloat16hLi64ELi64ELi256ELi14EEvPT0_PKfS4_PKT_PKiS9_iS4_.has_dyn_sized_stack, or(0, .L__assert_fail.has_dyn_sized_stack)
	.set _Z35paged_attention_ll4mi_reduce_kernelI14__hip_bfloat16hLi64ELi64ELi256ELi14EEvPT0_PKfS4_PKT_PKiS9_iS4_.has_recursion, or(0, .L__assert_fail.has_recursion)
	.set _Z35paged_attention_ll4mi_reduce_kernelI14__hip_bfloat16hLi64ELi64ELi256ELi14EEvPT0_PKfS4_PKT_PKiS9_iS4_.has_indirect_call, or(0, .L__assert_fail.has_indirect_call)
	.section	.AMDGPU.csdata,"",@progbits
; Kernel info:
; codeLenInByte = 64
; TotalNumSgprs: 36
; NumVgprs: 51
; ScratchSize: 64
; MemoryBound: 0
; FloatMode: 240
; IeeeMode: 1
; LDSByteSize: 0 bytes/workgroup (compile time only)
; SGPRBlocks: 0
; VGPRBlocks: 3
; NumSGPRsForWavesPerEU: 36
; NumVGPRsForWavesPerEU: 51
; NamedBarCnt: 0
; Occupancy: 16
; WaveLimiterHint : 1
; COMPUTE_PGM_RSRC2:SCRATCH_EN: 1
; COMPUTE_PGM_RSRC2:USER_SGPR: 2
; COMPUTE_PGM_RSRC2:TRAP_HANDLER: 0
; COMPUTE_PGM_RSRC2:TGID_X_EN: 1
; COMPUTE_PGM_RSRC2:TGID_Y_EN: 0
; COMPUTE_PGM_RSRC2:TGID_Z_EN: 0
; COMPUTE_PGM_RSRC2:TIDIG_COMP_CNT: 0
	.section	.text._Z35paged_attention_ll4mi_reduce_kernelI14__hip_bfloat16hLi64ELi64ELi256ELi15EEvPT0_PKfS4_PKT_PKiS9_iS4_,"axG",@progbits,_Z35paged_attention_ll4mi_reduce_kernelI14__hip_bfloat16hLi64ELi64ELi256ELi15EEvPT0_PKfS4_PKT_PKiS9_iS4_,comdat
	.protected	_Z35paged_attention_ll4mi_reduce_kernelI14__hip_bfloat16hLi64ELi64ELi256ELi15EEvPT0_PKfS4_PKT_PKiS9_iS4_ ; -- Begin function _Z35paged_attention_ll4mi_reduce_kernelI14__hip_bfloat16hLi64ELi64ELi256ELi15EEvPT0_PKfS4_PKT_PKiS9_iS4_
	.globl	_Z35paged_attention_ll4mi_reduce_kernelI14__hip_bfloat16hLi64ELi64ELi256ELi15EEvPT0_PKfS4_PKT_PKiS9_iS4_
	.p2align	8
	.type	_Z35paged_attention_ll4mi_reduce_kernelI14__hip_bfloat16hLi64ELi64ELi256ELi15EEvPT0_PKfS4_PKT_PKiS9_iS4_,@function
_Z35paged_attention_ll4mi_reduce_kernelI14__hip_bfloat16hLi64ELi64ELi256ELi15EEvPT0_PKfS4_PKT_PKiS9_iS4_: ; @_Z35paged_attention_ll4mi_reduce_kernelI14__hip_bfloat16hLi64ELi64ELi256ELi15EEvPT0_PKfS4_PKT_PKiS9_iS4_
; %bb.0:
	s_get_pc_i64 s[2:3]
	s_add_nc_u64 s[2:3], s[2:3], __PRETTY_FUNCTION__._Z35paged_attention_ll4mi_reduce_kernelI14__hip_bfloat16hLi64ELi64ELi256ELi15EEvPT0_PKfS4_PKT_PKiS9_iS4_@rel64+4
	s_delay_alu instid0(SALU_CYCLE_1)
	v_dual_mov_b32 v0, 0xbdd :: v_dual_mov_b32 v1, s2
	v_mov_b32_e32 v2, s3
	s_add_nc_u64 s[8:9], s[0:1], 64
	s_get_pc_i64 s[0:1]
	s_add_nc_u64 s[0:1], s[0:1], __assert_fail@rel64+4
	s_mov_b32 s32, 0
	s_swap_pc_i64 s[30:31], s[0:1]
	.section	.rodata,"a",@progbits
	.p2align	6, 0x0
	.amdhsa_kernel _Z35paged_attention_ll4mi_reduce_kernelI14__hip_bfloat16hLi64ELi64ELi256ELi15EEvPT0_PKfS4_PKT_PKiS9_iS4_
		.amdhsa_group_segment_fixed_size 0
		.amdhsa_private_segment_fixed_size 64
		.amdhsa_kernarg_size 320
		.amdhsa_user_sgpr_count 2
		.amdhsa_user_sgpr_dispatch_ptr 0
		.amdhsa_user_sgpr_queue_ptr 0
		.amdhsa_user_sgpr_kernarg_segment_ptr 1
		.amdhsa_user_sgpr_dispatch_id 0
		.amdhsa_user_sgpr_kernarg_preload_length 0
		.amdhsa_user_sgpr_kernarg_preload_offset 0
		.amdhsa_user_sgpr_private_segment_size 0
		.amdhsa_wavefront_size32 1
		.amdhsa_uses_dynamic_stack 0
		.amdhsa_enable_private_segment 1
		.amdhsa_system_sgpr_workgroup_id_x 1
		.amdhsa_system_sgpr_workgroup_id_y 0
		.amdhsa_system_sgpr_workgroup_id_z 0
		.amdhsa_system_sgpr_workgroup_info 0
		.amdhsa_system_vgpr_workitem_id 0
		.amdhsa_next_free_vgpr 51
		.amdhsa_next_free_sgpr 34
		.amdhsa_named_barrier_count 0
		.amdhsa_reserve_vcc 1
		.amdhsa_float_round_mode_32 0
		.amdhsa_float_round_mode_16_64 0
		.amdhsa_float_denorm_mode_32 3
		.amdhsa_float_denorm_mode_16_64 3
		.amdhsa_fp16_overflow 0
		.amdhsa_memory_ordered 1
		.amdhsa_forward_progress 1
		.amdhsa_inst_pref_size 1
		.amdhsa_round_robin_scheduling 0
		.amdhsa_exception_fp_ieee_invalid_op 0
		.amdhsa_exception_fp_denorm_src 0
		.amdhsa_exception_fp_ieee_div_zero 0
		.amdhsa_exception_fp_ieee_overflow 0
		.amdhsa_exception_fp_ieee_underflow 0
		.amdhsa_exception_fp_ieee_inexact 0
		.amdhsa_exception_int_div_zero 0
	.end_amdhsa_kernel
	.section	.text._Z35paged_attention_ll4mi_reduce_kernelI14__hip_bfloat16hLi64ELi64ELi256ELi15EEvPT0_PKfS4_PKT_PKiS9_iS4_,"axG",@progbits,_Z35paged_attention_ll4mi_reduce_kernelI14__hip_bfloat16hLi64ELi64ELi256ELi15EEvPT0_PKfS4_PKT_PKiS9_iS4_,comdat
.Lfunc_end420:
	.size	_Z35paged_attention_ll4mi_reduce_kernelI14__hip_bfloat16hLi64ELi64ELi256ELi15EEvPT0_PKfS4_PKT_PKiS9_iS4_, .Lfunc_end420-_Z35paged_attention_ll4mi_reduce_kernelI14__hip_bfloat16hLi64ELi64ELi256ELi15EEvPT0_PKfS4_PKT_PKiS9_iS4_
                                        ; -- End function
	.set _Z35paged_attention_ll4mi_reduce_kernelI14__hip_bfloat16hLi64ELi64ELi256ELi15EEvPT0_PKfS4_PKT_PKiS9_iS4_.num_vgpr, max(3, .L__assert_fail.num_vgpr)
	.set _Z35paged_attention_ll4mi_reduce_kernelI14__hip_bfloat16hLi64ELi64ELi256ELi15EEvPT0_PKfS4_PKT_PKiS9_iS4_.num_agpr, max(0, .L__assert_fail.num_agpr)
	.set _Z35paged_attention_ll4mi_reduce_kernelI14__hip_bfloat16hLi64ELi64ELi256ELi15EEvPT0_PKfS4_PKT_PKiS9_iS4_.numbered_sgpr, max(33, .L__assert_fail.numbered_sgpr)
	.set _Z35paged_attention_ll4mi_reduce_kernelI14__hip_bfloat16hLi64ELi64ELi256ELi15EEvPT0_PKfS4_PKT_PKiS9_iS4_.num_named_barrier, max(0, .L__assert_fail.num_named_barrier)
	.set _Z35paged_attention_ll4mi_reduce_kernelI14__hip_bfloat16hLi64ELi64ELi256ELi15EEvPT0_PKfS4_PKT_PKiS9_iS4_.private_seg_size, 0+max(.L__assert_fail.private_seg_size)
	.set _Z35paged_attention_ll4mi_reduce_kernelI14__hip_bfloat16hLi64ELi64ELi256ELi15EEvPT0_PKfS4_PKT_PKiS9_iS4_.uses_vcc, or(1, .L__assert_fail.uses_vcc)
	.set _Z35paged_attention_ll4mi_reduce_kernelI14__hip_bfloat16hLi64ELi64ELi256ELi15EEvPT0_PKfS4_PKT_PKiS9_iS4_.uses_flat_scratch, or(0, .L__assert_fail.uses_flat_scratch)
	.set _Z35paged_attention_ll4mi_reduce_kernelI14__hip_bfloat16hLi64ELi64ELi256ELi15EEvPT0_PKfS4_PKT_PKiS9_iS4_.has_dyn_sized_stack, or(0, .L__assert_fail.has_dyn_sized_stack)
	.set _Z35paged_attention_ll4mi_reduce_kernelI14__hip_bfloat16hLi64ELi64ELi256ELi15EEvPT0_PKfS4_PKT_PKiS9_iS4_.has_recursion, or(0, .L__assert_fail.has_recursion)
	.set _Z35paged_attention_ll4mi_reduce_kernelI14__hip_bfloat16hLi64ELi64ELi256ELi15EEvPT0_PKfS4_PKT_PKiS9_iS4_.has_indirect_call, or(0, .L__assert_fail.has_indirect_call)
	.section	.AMDGPU.csdata,"",@progbits
; Kernel info:
; codeLenInByte = 64
; TotalNumSgprs: 36
; NumVgprs: 51
; ScratchSize: 64
; MemoryBound: 0
; FloatMode: 240
; IeeeMode: 1
; LDSByteSize: 0 bytes/workgroup (compile time only)
; SGPRBlocks: 0
; VGPRBlocks: 3
; NumSGPRsForWavesPerEU: 36
; NumVGPRsForWavesPerEU: 51
; NamedBarCnt: 0
; Occupancy: 16
; WaveLimiterHint : 1
; COMPUTE_PGM_RSRC2:SCRATCH_EN: 1
; COMPUTE_PGM_RSRC2:USER_SGPR: 2
; COMPUTE_PGM_RSRC2:TRAP_HANDLER: 0
; COMPUTE_PGM_RSRC2:TGID_X_EN: 1
; COMPUTE_PGM_RSRC2:TGID_Y_EN: 0
; COMPUTE_PGM_RSRC2:TGID_Z_EN: 0
; COMPUTE_PGM_RSRC2:TIDIG_COMP_CNT: 0
	.section	.text._Z35paged_attention_ll4mi_reduce_kernelI14__hip_bfloat16hLi64ELi64ELi256ELi16EEvPT0_PKfS4_PKT_PKiS9_iS4_,"axG",@progbits,_Z35paged_attention_ll4mi_reduce_kernelI14__hip_bfloat16hLi64ELi64ELi256ELi16EEvPT0_PKfS4_PKT_PKiS9_iS4_,comdat
	.protected	_Z35paged_attention_ll4mi_reduce_kernelI14__hip_bfloat16hLi64ELi64ELi256ELi16EEvPT0_PKfS4_PKT_PKiS9_iS4_ ; -- Begin function _Z35paged_attention_ll4mi_reduce_kernelI14__hip_bfloat16hLi64ELi64ELi256ELi16EEvPT0_PKfS4_PKT_PKiS9_iS4_
	.globl	_Z35paged_attention_ll4mi_reduce_kernelI14__hip_bfloat16hLi64ELi64ELi256ELi16EEvPT0_PKfS4_PKT_PKiS9_iS4_
	.p2align	8
	.type	_Z35paged_attention_ll4mi_reduce_kernelI14__hip_bfloat16hLi64ELi64ELi256ELi16EEvPT0_PKfS4_PKT_PKiS9_iS4_,@function
_Z35paged_attention_ll4mi_reduce_kernelI14__hip_bfloat16hLi64ELi64ELi256ELi16EEvPT0_PKfS4_PKT_PKiS9_iS4_: ; @_Z35paged_attention_ll4mi_reduce_kernelI14__hip_bfloat16hLi64ELi64ELi256ELi16EEvPT0_PKfS4_PKT_PKiS9_iS4_
; %bb.0:
	s_get_pc_i64 s[2:3]
	s_add_nc_u64 s[2:3], s[2:3], __PRETTY_FUNCTION__._Z35paged_attention_ll4mi_reduce_kernelI14__hip_bfloat16hLi64ELi64ELi256ELi16EEvPT0_PKfS4_PKT_PKiS9_iS4_@rel64+4
	s_delay_alu instid0(SALU_CYCLE_1)
	v_dual_mov_b32 v0, 0xbdd :: v_dual_mov_b32 v1, s2
	v_mov_b32_e32 v2, s3
	s_add_nc_u64 s[8:9], s[0:1], 64
	s_get_pc_i64 s[0:1]
	s_add_nc_u64 s[0:1], s[0:1], __assert_fail@rel64+4
	s_mov_b32 s32, 0
	s_swap_pc_i64 s[30:31], s[0:1]
	.section	.rodata,"a",@progbits
	.p2align	6, 0x0
	.amdhsa_kernel _Z35paged_attention_ll4mi_reduce_kernelI14__hip_bfloat16hLi64ELi64ELi256ELi16EEvPT0_PKfS4_PKT_PKiS9_iS4_
		.amdhsa_group_segment_fixed_size 0
		.amdhsa_private_segment_fixed_size 64
		.amdhsa_kernarg_size 320
		.amdhsa_user_sgpr_count 2
		.amdhsa_user_sgpr_dispatch_ptr 0
		.amdhsa_user_sgpr_queue_ptr 0
		.amdhsa_user_sgpr_kernarg_segment_ptr 1
		.amdhsa_user_sgpr_dispatch_id 0
		.amdhsa_user_sgpr_kernarg_preload_length 0
		.amdhsa_user_sgpr_kernarg_preload_offset 0
		.amdhsa_user_sgpr_private_segment_size 0
		.amdhsa_wavefront_size32 1
		.amdhsa_uses_dynamic_stack 0
		.amdhsa_enable_private_segment 1
		.amdhsa_system_sgpr_workgroup_id_x 1
		.amdhsa_system_sgpr_workgroup_id_y 0
		.amdhsa_system_sgpr_workgroup_id_z 0
		.amdhsa_system_sgpr_workgroup_info 0
		.amdhsa_system_vgpr_workitem_id 0
		.amdhsa_next_free_vgpr 51
		.amdhsa_next_free_sgpr 34
		.amdhsa_named_barrier_count 0
		.amdhsa_reserve_vcc 1
		.amdhsa_float_round_mode_32 0
		.amdhsa_float_round_mode_16_64 0
		.amdhsa_float_denorm_mode_32 3
		.amdhsa_float_denorm_mode_16_64 3
		.amdhsa_fp16_overflow 0
		.amdhsa_memory_ordered 1
		.amdhsa_forward_progress 1
		.amdhsa_inst_pref_size 1
		.amdhsa_round_robin_scheduling 0
		.amdhsa_exception_fp_ieee_invalid_op 0
		.amdhsa_exception_fp_denorm_src 0
		.amdhsa_exception_fp_ieee_div_zero 0
		.amdhsa_exception_fp_ieee_overflow 0
		.amdhsa_exception_fp_ieee_underflow 0
		.amdhsa_exception_fp_ieee_inexact 0
		.amdhsa_exception_int_div_zero 0
	.end_amdhsa_kernel
	.section	.text._Z35paged_attention_ll4mi_reduce_kernelI14__hip_bfloat16hLi64ELi64ELi256ELi16EEvPT0_PKfS4_PKT_PKiS9_iS4_,"axG",@progbits,_Z35paged_attention_ll4mi_reduce_kernelI14__hip_bfloat16hLi64ELi64ELi256ELi16EEvPT0_PKfS4_PKT_PKiS9_iS4_,comdat
.Lfunc_end421:
	.size	_Z35paged_attention_ll4mi_reduce_kernelI14__hip_bfloat16hLi64ELi64ELi256ELi16EEvPT0_PKfS4_PKT_PKiS9_iS4_, .Lfunc_end421-_Z35paged_attention_ll4mi_reduce_kernelI14__hip_bfloat16hLi64ELi64ELi256ELi16EEvPT0_PKfS4_PKT_PKiS9_iS4_
                                        ; -- End function
	.set _Z35paged_attention_ll4mi_reduce_kernelI14__hip_bfloat16hLi64ELi64ELi256ELi16EEvPT0_PKfS4_PKT_PKiS9_iS4_.num_vgpr, max(3, .L__assert_fail.num_vgpr)
	.set _Z35paged_attention_ll4mi_reduce_kernelI14__hip_bfloat16hLi64ELi64ELi256ELi16EEvPT0_PKfS4_PKT_PKiS9_iS4_.num_agpr, max(0, .L__assert_fail.num_agpr)
	.set _Z35paged_attention_ll4mi_reduce_kernelI14__hip_bfloat16hLi64ELi64ELi256ELi16EEvPT0_PKfS4_PKT_PKiS9_iS4_.numbered_sgpr, max(33, .L__assert_fail.numbered_sgpr)
	.set _Z35paged_attention_ll4mi_reduce_kernelI14__hip_bfloat16hLi64ELi64ELi256ELi16EEvPT0_PKfS4_PKT_PKiS9_iS4_.num_named_barrier, max(0, .L__assert_fail.num_named_barrier)
	.set _Z35paged_attention_ll4mi_reduce_kernelI14__hip_bfloat16hLi64ELi64ELi256ELi16EEvPT0_PKfS4_PKT_PKiS9_iS4_.private_seg_size, 0+max(.L__assert_fail.private_seg_size)
	.set _Z35paged_attention_ll4mi_reduce_kernelI14__hip_bfloat16hLi64ELi64ELi256ELi16EEvPT0_PKfS4_PKT_PKiS9_iS4_.uses_vcc, or(1, .L__assert_fail.uses_vcc)
	.set _Z35paged_attention_ll4mi_reduce_kernelI14__hip_bfloat16hLi64ELi64ELi256ELi16EEvPT0_PKfS4_PKT_PKiS9_iS4_.uses_flat_scratch, or(0, .L__assert_fail.uses_flat_scratch)
	.set _Z35paged_attention_ll4mi_reduce_kernelI14__hip_bfloat16hLi64ELi64ELi256ELi16EEvPT0_PKfS4_PKT_PKiS9_iS4_.has_dyn_sized_stack, or(0, .L__assert_fail.has_dyn_sized_stack)
	.set _Z35paged_attention_ll4mi_reduce_kernelI14__hip_bfloat16hLi64ELi64ELi256ELi16EEvPT0_PKfS4_PKT_PKiS9_iS4_.has_recursion, or(0, .L__assert_fail.has_recursion)
	.set _Z35paged_attention_ll4mi_reduce_kernelI14__hip_bfloat16hLi64ELi64ELi256ELi16EEvPT0_PKfS4_PKT_PKiS9_iS4_.has_indirect_call, or(0, .L__assert_fail.has_indirect_call)
	.section	.AMDGPU.csdata,"",@progbits
; Kernel info:
; codeLenInByte = 64
; TotalNumSgprs: 36
; NumVgprs: 51
; ScratchSize: 64
; MemoryBound: 0
; FloatMode: 240
; IeeeMode: 1
; LDSByteSize: 0 bytes/workgroup (compile time only)
; SGPRBlocks: 0
; VGPRBlocks: 3
; NumSGPRsForWavesPerEU: 36
; NumVGPRsForWavesPerEU: 51
; NamedBarCnt: 0
; Occupancy: 16
; WaveLimiterHint : 1
; COMPUTE_PGM_RSRC2:SCRATCH_EN: 1
; COMPUTE_PGM_RSRC2:USER_SGPR: 2
; COMPUTE_PGM_RSRC2:TRAP_HANDLER: 0
; COMPUTE_PGM_RSRC2:TGID_X_EN: 1
; COMPUTE_PGM_RSRC2:TGID_Y_EN: 0
; COMPUTE_PGM_RSRC2:TGID_Z_EN: 0
; COMPUTE_PGM_RSRC2:TIDIG_COMP_CNT: 0
	.section	.text._Z38paged_attention_ll4mi_QKV_mfma4_kernelI14__hip_bfloat16S0_LN4vllm18Fp8KVCacheDataTypeE0EhLi16ELi64ELi256ELb0ELi1EEvPKT_PKT0_S8_ifPKiSA_SA_iPKfiiiPfSD_PS3_PT2_iSC_SC_,"axG",@progbits,_Z38paged_attention_ll4mi_QKV_mfma4_kernelI14__hip_bfloat16S0_LN4vllm18Fp8KVCacheDataTypeE0EhLi16ELi64ELi256ELb0ELi1EEvPKT_PKT0_S8_ifPKiSA_SA_iPKfiiiPfSD_PS3_PT2_iSC_SC_,comdat
	.protected	_Z38paged_attention_ll4mi_QKV_mfma4_kernelI14__hip_bfloat16S0_LN4vllm18Fp8KVCacheDataTypeE0EhLi16ELi64ELi256ELb0ELi1EEvPKT_PKT0_S8_ifPKiSA_SA_iPKfiiiPfSD_PS3_PT2_iSC_SC_ ; -- Begin function _Z38paged_attention_ll4mi_QKV_mfma4_kernelI14__hip_bfloat16S0_LN4vllm18Fp8KVCacheDataTypeE0EhLi16ELi64ELi256ELb0ELi1EEvPKT_PKT0_S8_ifPKiSA_SA_iPKfiiiPfSD_PS3_PT2_iSC_SC_
	.globl	_Z38paged_attention_ll4mi_QKV_mfma4_kernelI14__hip_bfloat16S0_LN4vllm18Fp8KVCacheDataTypeE0EhLi16ELi64ELi256ELb0ELi1EEvPKT_PKT0_S8_ifPKiSA_SA_iPKfiiiPfSD_PS3_PT2_iSC_SC_
	.p2align	8
	.type	_Z38paged_attention_ll4mi_QKV_mfma4_kernelI14__hip_bfloat16S0_LN4vllm18Fp8KVCacheDataTypeE0EhLi16ELi64ELi256ELb0ELi1EEvPKT_PKT0_S8_ifPKiSA_SA_iPKfiiiPfSD_PS3_PT2_iSC_SC_,@function
_Z38paged_attention_ll4mi_QKV_mfma4_kernelI14__hip_bfloat16S0_LN4vllm18Fp8KVCacheDataTypeE0EhLi16ELi64ELi256ELb0ELi1EEvPKT_PKT0_S8_ifPKiSA_SA_iPKfiiiPfSD_PS3_PT2_iSC_SC_: ; @_Z38paged_attention_ll4mi_QKV_mfma4_kernelI14__hip_bfloat16S0_LN4vllm18Fp8KVCacheDataTypeE0EhLi16ELi64ELi256ELb0ELi1EEvPKT_PKT0_S8_ifPKiSA_SA_iPKfiiiPfSD_PS3_PT2_iSC_SC_
; %bb.0:
	s_get_pc_i64 s[2:3]
	s_add_nc_u64 s[2:3], s[2:3], __PRETTY_FUNCTION__._Z38paged_attention_ll4mi_QKV_mfma4_kernelI14__hip_bfloat16S0_LN4vllm18Fp8KVCacheDataTypeE0EhLi16ELi64ELi256ELb0ELi1EEvPKT_PKT0_S8_ifPKiSA_SA_iPKfiiiPfSD_PS3_PT2_iSC_SC_@rel64+4
	s_delay_alu instid0(SALU_CYCLE_1)
	v_dual_mov_b32 v0, 0xbce :: v_dual_mov_b32 v1, s2
	v_mov_b32_e32 v2, s3
	s_add_nc_u64 s[8:9], s[0:1], 0x90
	s_get_pc_i64 s[0:1]
	s_add_nc_u64 s[0:1], s[0:1], __assert_fail@rel64+4
	s_mov_b32 s32, 0
	s_swap_pc_i64 s[30:31], s[0:1]
	.section	.rodata,"a",@progbits
	.p2align	6, 0x0
	.amdhsa_kernel _Z38paged_attention_ll4mi_QKV_mfma4_kernelI14__hip_bfloat16S0_LN4vllm18Fp8KVCacheDataTypeE0EhLi16ELi64ELi256ELb0ELi1EEvPKT_PKT0_S8_ifPKiSA_SA_iPKfiiiPfSD_PS3_PT2_iSC_SC_
		.amdhsa_group_segment_fixed_size 0
		.amdhsa_private_segment_fixed_size 64
		.amdhsa_kernarg_size 400
		.amdhsa_user_sgpr_count 2
		.amdhsa_user_sgpr_dispatch_ptr 0
		.amdhsa_user_sgpr_queue_ptr 0
		.amdhsa_user_sgpr_kernarg_segment_ptr 1
		.amdhsa_user_sgpr_dispatch_id 0
		.amdhsa_user_sgpr_kernarg_preload_length 0
		.amdhsa_user_sgpr_kernarg_preload_offset 0
		.amdhsa_user_sgpr_private_segment_size 0
		.amdhsa_wavefront_size32 1
		.amdhsa_uses_dynamic_stack 0
		.amdhsa_enable_private_segment 1
		.amdhsa_system_sgpr_workgroup_id_x 1
		.amdhsa_system_sgpr_workgroup_id_y 0
		.amdhsa_system_sgpr_workgroup_id_z 0
		.amdhsa_system_sgpr_workgroup_info 0
		.amdhsa_system_vgpr_workitem_id 0
		.amdhsa_next_free_vgpr 51
		.amdhsa_next_free_sgpr 34
		.amdhsa_named_barrier_count 0
		.amdhsa_reserve_vcc 1
		.amdhsa_float_round_mode_32 0
		.amdhsa_float_round_mode_16_64 0
		.amdhsa_float_denorm_mode_32 3
		.amdhsa_float_denorm_mode_16_64 3
		.amdhsa_fp16_overflow 0
		.amdhsa_memory_ordered 1
		.amdhsa_forward_progress 1
		.amdhsa_inst_pref_size 1
		.amdhsa_round_robin_scheduling 0
		.amdhsa_exception_fp_ieee_invalid_op 0
		.amdhsa_exception_fp_denorm_src 0
		.amdhsa_exception_fp_ieee_div_zero 0
		.amdhsa_exception_fp_ieee_overflow 0
		.amdhsa_exception_fp_ieee_underflow 0
		.amdhsa_exception_fp_ieee_inexact 0
		.amdhsa_exception_int_div_zero 0
	.end_amdhsa_kernel
	.section	.text._Z38paged_attention_ll4mi_QKV_mfma4_kernelI14__hip_bfloat16S0_LN4vllm18Fp8KVCacheDataTypeE0EhLi16ELi64ELi256ELb0ELi1EEvPKT_PKT0_S8_ifPKiSA_SA_iPKfiiiPfSD_PS3_PT2_iSC_SC_,"axG",@progbits,_Z38paged_attention_ll4mi_QKV_mfma4_kernelI14__hip_bfloat16S0_LN4vllm18Fp8KVCacheDataTypeE0EhLi16ELi64ELi256ELb0ELi1EEvPKT_PKT0_S8_ifPKiSA_SA_iPKfiiiPfSD_PS3_PT2_iSC_SC_,comdat
.Lfunc_end422:
	.size	_Z38paged_attention_ll4mi_QKV_mfma4_kernelI14__hip_bfloat16S0_LN4vllm18Fp8KVCacheDataTypeE0EhLi16ELi64ELi256ELb0ELi1EEvPKT_PKT0_S8_ifPKiSA_SA_iPKfiiiPfSD_PS3_PT2_iSC_SC_, .Lfunc_end422-_Z38paged_attention_ll4mi_QKV_mfma4_kernelI14__hip_bfloat16S0_LN4vllm18Fp8KVCacheDataTypeE0EhLi16ELi64ELi256ELb0ELi1EEvPKT_PKT0_S8_ifPKiSA_SA_iPKfiiiPfSD_PS3_PT2_iSC_SC_
                                        ; -- End function
	.set _Z38paged_attention_ll4mi_QKV_mfma4_kernelI14__hip_bfloat16S0_LN4vllm18Fp8KVCacheDataTypeE0EhLi16ELi64ELi256ELb0ELi1EEvPKT_PKT0_S8_ifPKiSA_SA_iPKfiiiPfSD_PS3_PT2_iSC_SC_.num_vgpr, max(3, .L__assert_fail.num_vgpr)
	.set _Z38paged_attention_ll4mi_QKV_mfma4_kernelI14__hip_bfloat16S0_LN4vllm18Fp8KVCacheDataTypeE0EhLi16ELi64ELi256ELb0ELi1EEvPKT_PKT0_S8_ifPKiSA_SA_iPKfiiiPfSD_PS3_PT2_iSC_SC_.num_agpr, max(0, .L__assert_fail.num_agpr)
	.set _Z38paged_attention_ll4mi_QKV_mfma4_kernelI14__hip_bfloat16S0_LN4vllm18Fp8KVCacheDataTypeE0EhLi16ELi64ELi256ELb0ELi1EEvPKT_PKT0_S8_ifPKiSA_SA_iPKfiiiPfSD_PS3_PT2_iSC_SC_.numbered_sgpr, max(33, .L__assert_fail.numbered_sgpr)
	.set _Z38paged_attention_ll4mi_QKV_mfma4_kernelI14__hip_bfloat16S0_LN4vllm18Fp8KVCacheDataTypeE0EhLi16ELi64ELi256ELb0ELi1EEvPKT_PKT0_S8_ifPKiSA_SA_iPKfiiiPfSD_PS3_PT2_iSC_SC_.num_named_barrier, max(0, .L__assert_fail.num_named_barrier)
	.set _Z38paged_attention_ll4mi_QKV_mfma4_kernelI14__hip_bfloat16S0_LN4vllm18Fp8KVCacheDataTypeE0EhLi16ELi64ELi256ELb0ELi1EEvPKT_PKT0_S8_ifPKiSA_SA_iPKfiiiPfSD_PS3_PT2_iSC_SC_.private_seg_size, 0+max(.L__assert_fail.private_seg_size)
	.set _Z38paged_attention_ll4mi_QKV_mfma4_kernelI14__hip_bfloat16S0_LN4vllm18Fp8KVCacheDataTypeE0EhLi16ELi64ELi256ELb0ELi1EEvPKT_PKT0_S8_ifPKiSA_SA_iPKfiiiPfSD_PS3_PT2_iSC_SC_.uses_vcc, or(1, .L__assert_fail.uses_vcc)
	.set _Z38paged_attention_ll4mi_QKV_mfma4_kernelI14__hip_bfloat16S0_LN4vllm18Fp8KVCacheDataTypeE0EhLi16ELi64ELi256ELb0ELi1EEvPKT_PKT0_S8_ifPKiSA_SA_iPKfiiiPfSD_PS3_PT2_iSC_SC_.uses_flat_scratch, or(0, .L__assert_fail.uses_flat_scratch)
	.set _Z38paged_attention_ll4mi_QKV_mfma4_kernelI14__hip_bfloat16S0_LN4vllm18Fp8KVCacheDataTypeE0EhLi16ELi64ELi256ELb0ELi1EEvPKT_PKT0_S8_ifPKiSA_SA_iPKfiiiPfSD_PS3_PT2_iSC_SC_.has_dyn_sized_stack, or(0, .L__assert_fail.has_dyn_sized_stack)
	.set _Z38paged_attention_ll4mi_QKV_mfma4_kernelI14__hip_bfloat16S0_LN4vllm18Fp8KVCacheDataTypeE0EhLi16ELi64ELi256ELb0ELi1EEvPKT_PKT0_S8_ifPKiSA_SA_iPKfiiiPfSD_PS3_PT2_iSC_SC_.has_recursion, or(0, .L__assert_fail.has_recursion)
	.set _Z38paged_attention_ll4mi_QKV_mfma4_kernelI14__hip_bfloat16S0_LN4vllm18Fp8KVCacheDataTypeE0EhLi16ELi64ELi256ELb0ELi1EEvPKT_PKT0_S8_ifPKiSA_SA_iPKfiiiPfSD_PS3_PT2_iSC_SC_.has_indirect_call, or(0, .L__assert_fail.has_indirect_call)
	.section	.AMDGPU.csdata,"",@progbits
; Kernel info:
; codeLenInByte = 68
; TotalNumSgprs: 36
; NumVgprs: 51
; ScratchSize: 64
; MemoryBound: 0
; FloatMode: 240
; IeeeMode: 1
; LDSByteSize: 0 bytes/workgroup (compile time only)
; SGPRBlocks: 0
; VGPRBlocks: 3
; NumSGPRsForWavesPerEU: 36
; NumVGPRsForWavesPerEU: 51
; NamedBarCnt: 0
; Occupancy: 16
; WaveLimiterHint : 1
; COMPUTE_PGM_RSRC2:SCRATCH_EN: 1
; COMPUTE_PGM_RSRC2:USER_SGPR: 2
; COMPUTE_PGM_RSRC2:TRAP_HANDLER: 0
; COMPUTE_PGM_RSRC2:TGID_X_EN: 1
; COMPUTE_PGM_RSRC2:TGID_Y_EN: 0
; COMPUTE_PGM_RSRC2:TGID_Z_EN: 0
; COMPUTE_PGM_RSRC2:TIDIG_COMP_CNT: 0
	.section	.text._Z38paged_attention_ll4mi_QKV_mfma4_kernelI14__hip_bfloat16S0_LN4vllm18Fp8KVCacheDataTypeE0EhLi16ELi64ELi256ELb0ELi2EEvPKT_PKT0_S8_ifPKiSA_SA_iPKfiiiPfSD_PS3_PT2_iSC_SC_,"axG",@progbits,_Z38paged_attention_ll4mi_QKV_mfma4_kernelI14__hip_bfloat16S0_LN4vllm18Fp8KVCacheDataTypeE0EhLi16ELi64ELi256ELb0ELi2EEvPKT_PKT0_S8_ifPKiSA_SA_iPKfiiiPfSD_PS3_PT2_iSC_SC_,comdat
	.protected	_Z38paged_attention_ll4mi_QKV_mfma4_kernelI14__hip_bfloat16S0_LN4vllm18Fp8KVCacheDataTypeE0EhLi16ELi64ELi256ELb0ELi2EEvPKT_PKT0_S8_ifPKiSA_SA_iPKfiiiPfSD_PS3_PT2_iSC_SC_ ; -- Begin function _Z38paged_attention_ll4mi_QKV_mfma4_kernelI14__hip_bfloat16S0_LN4vllm18Fp8KVCacheDataTypeE0EhLi16ELi64ELi256ELb0ELi2EEvPKT_PKT0_S8_ifPKiSA_SA_iPKfiiiPfSD_PS3_PT2_iSC_SC_
	.globl	_Z38paged_attention_ll4mi_QKV_mfma4_kernelI14__hip_bfloat16S0_LN4vllm18Fp8KVCacheDataTypeE0EhLi16ELi64ELi256ELb0ELi2EEvPKT_PKT0_S8_ifPKiSA_SA_iPKfiiiPfSD_PS3_PT2_iSC_SC_
	.p2align	8
	.type	_Z38paged_attention_ll4mi_QKV_mfma4_kernelI14__hip_bfloat16S0_LN4vllm18Fp8KVCacheDataTypeE0EhLi16ELi64ELi256ELb0ELi2EEvPKT_PKT0_S8_ifPKiSA_SA_iPKfiiiPfSD_PS3_PT2_iSC_SC_,@function
_Z38paged_attention_ll4mi_QKV_mfma4_kernelI14__hip_bfloat16S0_LN4vllm18Fp8KVCacheDataTypeE0EhLi16ELi64ELi256ELb0ELi2EEvPKT_PKT0_S8_ifPKiSA_SA_iPKfiiiPfSD_PS3_PT2_iSC_SC_: ; @_Z38paged_attention_ll4mi_QKV_mfma4_kernelI14__hip_bfloat16S0_LN4vllm18Fp8KVCacheDataTypeE0EhLi16ELi64ELi256ELb0ELi2EEvPKT_PKT0_S8_ifPKiSA_SA_iPKfiiiPfSD_PS3_PT2_iSC_SC_
; %bb.0:
	s_get_pc_i64 s[2:3]
	s_add_nc_u64 s[2:3], s[2:3], __PRETTY_FUNCTION__._Z38paged_attention_ll4mi_QKV_mfma4_kernelI14__hip_bfloat16S0_LN4vllm18Fp8KVCacheDataTypeE0EhLi16ELi64ELi256ELb0ELi2EEvPKT_PKT0_S8_ifPKiSA_SA_iPKfiiiPfSD_PS3_PT2_iSC_SC_@rel64+4
	s_delay_alu instid0(SALU_CYCLE_1)
	v_dual_mov_b32 v0, 0xbce :: v_dual_mov_b32 v1, s2
	v_mov_b32_e32 v2, s3
	s_add_nc_u64 s[8:9], s[0:1], 0x90
	s_get_pc_i64 s[0:1]
	s_add_nc_u64 s[0:1], s[0:1], __assert_fail@rel64+4
	s_mov_b32 s32, 0
	s_swap_pc_i64 s[30:31], s[0:1]
	.section	.rodata,"a",@progbits
	.p2align	6, 0x0
	.amdhsa_kernel _Z38paged_attention_ll4mi_QKV_mfma4_kernelI14__hip_bfloat16S0_LN4vllm18Fp8KVCacheDataTypeE0EhLi16ELi64ELi256ELb0ELi2EEvPKT_PKT0_S8_ifPKiSA_SA_iPKfiiiPfSD_PS3_PT2_iSC_SC_
		.amdhsa_group_segment_fixed_size 0
		.amdhsa_private_segment_fixed_size 64
		.amdhsa_kernarg_size 400
		.amdhsa_user_sgpr_count 2
		.amdhsa_user_sgpr_dispatch_ptr 0
		.amdhsa_user_sgpr_queue_ptr 0
		.amdhsa_user_sgpr_kernarg_segment_ptr 1
		.amdhsa_user_sgpr_dispatch_id 0
		.amdhsa_user_sgpr_kernarg_preload_length 0
		.amdhsa_user_sgpr_kernarg_preload_offset 0
		.amdhsa_user_sgpr_private_segment_size 0
		.amdhsa_wavefront_size32 1
		.amdhsa_uses_dynamic_stack 0
		.amdhsa_enable_private_segment 1
		.amdhsa_system_sgpr_workgroup_id_x 1
		.amdhsa_system_sgpr_workgroup_id_y 0
		.amdhsa_system_sgpr_workgroup_id_z 0
		.amdhsa_system_sgpr_workgroup_info 0
		.amdhsa_system_vgpr_workitem_id 0
		.amdhsa_next_free_vgpr 51
		.amdhsa_next_free_sgpr 34
		.amdhsa_named_barrier_count 0
		.amdhsa_reserve_vcc 1
		.amdhsa_float_round_mode_32 0
		.amdhsa_float_round_mode_16_64 0
		.amdhsa_float_denorm_mode_32 3
		.amdhsa_float_denorm_mode_16_64 3
		.amdhsa_fp16_overflow 0
		.amdhsa_memory_ordered 1
		.amdhsa_forward_progress 1
		.amdhsa_inst_pref_size 1
		.amdhsa_round_robin_scheduling 0
		.amdhsa_exception_fp_ieee_invalid_op 0
		.amdhsa_exception_fp_denorm_src 0
		.amdhsa_exception_fp_ieee_div_zero 0
		.amdhsa_exception_fp_ieee_overflow 0
		.amdhsa_exception_fp_ieee_underflow 0
		.amdhsa_exception_fp_ieee_inexact 0
		.amdhsa_exception_int_div_zero 0
	.end_amdhsa_kernel
	.section	.text._Z38paged_attention_ll4mi_QKV_mfma4_kernelI14__hip_bfloat16S0_LN4vllm18Fp8KVCacheDataTypeE0EhLi16ELi64ELi256ELb0ELi2EEvPKT_PKT0_S8_ifPKiSA_SA_iPKfiiiPfSD_PS3_PT2_iSC_SC_,"axG",@progbits,_Z38paged_attention_ll4mi_QKV_mfma4_kernelI14__hip_bfloat16S0_LN4vllm18Fp8KVCacheDataTypeE0EhLi16ELi64ELi256ELb0ELi2EEvPKT_PKT0_S8_ifPKiSA_SA_iPKfiiiPfSD_PS3_PT2_iSC_SC_,comdat
.Lfunc_end423:
	.size	_Z38paged_attention_ll4mi_QKV_mfma4_kernelI14__hip_bfloat16S0_LN4vllm18Fp8KVCacheDataTypeE0EhLi16ELi64ELi256ELb0ELi2EEvPKT_PKT0_S8_ifPKiSA_SA_iPKfiiiPfSD_PS3_PT2_iSC_SC_, .Lfunc_end423-_Z38paged_attention_ll4mi_QKV_mfma4_kernelI14__hip_bfloat16S0_LN4vllm18Fp8KVCacheDataTypeE0EhLi16ELi64ELi256ELb0ELi2EEvPKT_PKT0_S8_ifPKiSA_SA_iPKfiiiPfSD_PS3_PT2_iSC_SC_
                                        ; -- End function
	.set _Z38paged_attention_ll4mi_QKV_mfma4_kernelI14__hip_bfloat16S0_LN4vllm18Fp8KVCacheDataTypeE0EhLi16ELi64ELi256ELb0ELi2EEvPKT_PKT0_S8_ifPKiSA_SA_iPKfiiiPfSD_PS3_PT2_iSC_SC_.num_vgpr, max(3, .L__assert_fail.num_vgpr)
	.set _Z38paged_attention_ll4mi_QKV_mfma4_kernelI14__hip_bfloat16S0_LN4vllm18Fp8KVCacheDataTypeE0EhLi16ELi64ELi256ELb0ELi2EEvPKT_PKT0_S8_ifPKiSA_SA_iPKfiiiPfSD_PS3_PT2_iSC_SC_.num_agpr, max(0, .L__assert_fail.num_agpr)
	.set _Z38paged_attention_ll4mi_QKV_mfma4_kernelI14__hip_bfloat16S0_LN4vllm18Fp8KVCacheDataTypeE0EhLi16ELi64ELi256ELb0ELi2EEvPKT_PKT0_S8_ifPKiSA_SA_iPKfiiiPfSD_PS3_PT2_iSC_SC_.numbered_sgpr, max(33, .L__assert_fail.numbered_sgpr)
	.set _Z38paged_attention_ll4mi_QKV_mfma4_kernelI14__hip_bfloat16S0_LN4vllm18Fp8KVCacheDataTypeE0EhLi16ELi64ELi256ELb0ELi2EEvPKT_PKT0_S8_ifPKiSA_SA_iPKfiiiPfSD_PS3_PT2_iSC_SC_.num_named_barrier, max(0, .L__assert_fail.num_named_barrier)
	.set _Z38paged_attention_ll4mi_QKV_mfma4_kernelI14__hip_bfloat16S0_LN4vllm18Fp8KVCacheDataTypeE0EhLi16ELi64ELi256ELb0ELi2EEvPKT_PKT0_S8_ifPKiSA_SA_iPKfiiiPfSD_PS3_PT2_iSC_SC_.private_seg_size, 0+max(.L__assert_fail.private_seg_size)
	.set _Z38paged_attention_ll4mi_QKV_mfma4_kernelI14__hip_bfloat16S0_LN4vllm18Fp8KVCacheDataTypeE0EhLi16ELi64ELi256ELb0ELi2EEvPKT_PKT0_S8_ifPKiSA_SA_iPKfiiiPfSD_PS3_PT2_iSC_SC_.uses_vcc, or(1, .L__assert_fail.uses_vcc)
	.set _Z38paged_attention_ll4mi_QKV_mfma4_kernelI14__hip_bfloat16S0_LN4vllm18Fp8KVCacheDataTypeE0EhLi16ELi64ELi256ELb0ELi2EEvPKT_PKT0_S8_ifPKiSA_SA_iPKfiiiPfSD_PS3_PT2_iSC_SC_.uses_flat_scratch, or(0, .L__assert_fail.uses_flat_scratch)
	.set _Z38paged_attention_ll4mi_QKV_mfma4_kernelI14__hip_bfloat16S0_LN4vllm18Fp8KVCacheDataTypeE0EhLi16ELi64ELi256ELb0ELi2EEvPKT_PKT0_S8_ifPKiSA_SA_iPKfiiiPfSD_PS3_PT2_iSC_SC_.has_dyn_sized_stack, or(0, .L__assert_fail.has_dyn_sized_stack)
	.set _Z38paged_attention_ll4mi_QKV_mfma4_kernelI14__hip_bfloat16S0_LN4vllm18Fp8KVCacheDataTypeE0EhLi16ELi64ELi256ELb0ELi2EEvPKT_PKT0_S8_ifPKiSA_SA_iPKfiiiPfSD_PS3_PT2_iSC_SC_.has_recursion, or(0, .L__assert_fail.has_recursion)
	.set _Z38paged_attention_ll4mi_QKV_mfma4_kernelI14__hip_bfloat16S0_LN4vllm18Fp8KVCacheDataTypeE0EhLi16ELi64ELi256ELb0ELi2EEvPKT_PKT0_S8_ifPKiSA_SA_iPKfiiiPfSD_PS3_PT2_iSC_SC_.has_indirect_call, or(0, .L__assert_fail.has_indirect_call)
	.section	.AMDGPU.csdata,"",@progbits
; Kernel info:
; codeLenInByte = 68
; TotalNumSgprs: 36
; NumVgprs: 51
; ScratchSize: 64
; MemoryBound: 0
; FloatMode: 240
; IeeeMode: 1
; LDSByteSize: 0 bytes/workgroup (compile time only)
; SGPRBlocks: 0
; VGPRBlocks: 3
; NumSGPRsForWavesPerEU: 36
; NumVGPRsForWavesPerEU: 51
; NamedBarCnt: 0
; Occupancy: 16
; WaveLimiterHint : 1
; COMPUTE_PGM_RSRC2:SCRATCH_EN: 1
; COMPUTE_PGM_RSRC2:USER_SGPR: 2
; COMPUTE_PGM_RSRC2:TRAP_HANDLER: 0
; COMPUTE_PGM_RSRC2:TGID_X_EN: 1
; COMPUTE_PGM_RSRC2:TGID_Y_EN: 0
; COMPUTE_PGM_RSRC2:TGID_Z_EN: 0
; COMPUTE_PGM_RSRC2:TIDIG_COMP_CNT: 0
	.section	.text._Z38paged_attention_ll4mi_QKV_mfma4_kernelI14__hip_bfloat16S0_LN4vllm18Fp8KVCacheDataTypeE0EhLi16ELi64ELi256ELb0ELi3EEvPKT_PKT0_S8_ifPKiSA_SA_iPKfiiiPfSD_PS3_PT2_iSC_SC_,"axG",@progbits,_Z38paged_attention_ll4mi_QKV_mfma4_kernelI14__hip_bfloat16S0_LN4vllm18Fp8KVCacheDataTypeE0EhLi16ELi64ELi256ELb0ELi3EEvPKT_PKT0_S8_ifPKiSA_SA_iPKfiiiPfSD_PS3_PT2_iSC_SC_,comdat
	.protected	_Z38paged_attention_ll4mi_QKV_mfma4_kernelI14__hip_bfloat16S0_LN4vllm18Fp8KVCacheDataTypeE0EhLi16ELi64ELi256ELb0ELi3EEvPKT_PKT0_S8_ifPKiSA_SA_iPKfiiiPfSD_PS3_PT2_iSC_SC_ ; -- Begin function _Z38paged_attention_ll4mi_QKV_mfma4_kernelI14__hip_bfloat16S0_LN4vllm18Fp8KVCacheDataTypeE0EhLi16ELi64ELi256ELb0ELi3EEvPKT_PKT0_S8_ifPKiSA_SA_iPKfiiiPfSD_PS3_PT2_iSC_SC_
	.globl	_Z38paged_attention_ll4mi_QKV_mfma4_kernelI14__hip_bfloat16S0_LN4vllm18Fp8KVCacheDataTypeE0EhLi16ELi64ELi256ELb0ELi3EEvPKT_PKT0_S8_ifPKiSA_SA_iPKfiiiPfSD_PS3_PT2_iSC_SC_
	.p2align	8
	.type	_Z38paged_attention_ll4mi_QKV_mfma4_kernelI14__hip_bfloat16S0_LN4vllm18Fp8KVCacheDataTypeE0EhLi16ELi64ELi256ELb0ELi3EEvPKT_PKT0_S8_ifPKiSA_SA_iPKfiiiPfSD_PS3_PT2_iSC_SC_,@function
_Z38paged_attention_ll4mi_QKV_mfma4_kernelI14__hip_bfloat16S0_LN4vllm18Fp8KVCacheDataTypeE0EhLi16ELi64ELi256ELb0ELi3EEvPKT_PKT0_S8_ifPKiSA_SA_iPKfiiiPfSD_PS3_PT2_iSC_SC_: ; @_Z38paged_attention_ll4mi_QKV_mfma4_kernelI14__hip_bfloat16S0_LN4vllm18Fp8KVCacheDataTypeE0EhLi16ELi64ELi256ELb0ELi3EEvPKT_PKT0_S8_ifPKiSA_SA_iPKfiiiPfSD_PS3_PT2_iSC_SC_
; %bb.0:
	s_get_pc_i64 s[2:3]
	s_add_nc_u64 s[2:3], s[2:3], __PRETTY_FUNCTION__._Z38paged_attention_ll4mi_QKV_mfma4_kernelI14__hip_bfloat16S0_LN4vllm18Fp8KVCacheDataTypeE0EhLi16ELi64ELi256ELb0ELi3EEvPKT_PKT0_S8_ifPKiSA_SA_iPKfiiiPfSD_PS3_PT2_iSC_SC_@rel64+4
	s_delay_alu instid0(SALU_CYCLE_1)
	v_dual_mov_b32 v0, 0xbce :: v_dual_mov_b32 v1, s2
	v_mov_b32_e32 v2, s3
	s_add_nc_u64 s[8:9], s[0:1], 0x90
	s_get_pc_i64 s[0:1]
	s_add_nc_u64 s[0:1], s[0:1], __assert_fail@rel64+4
	s_mov_b32 s32, 0
	s_swap_pc_i64 s[30:31], s[0:1]
	.section	.rodata,"a",@progbits
	.p2align	6, 0x0
	.amdhsa_kernel _Z38paged_attention_ll4mi_QKV_mfma4_kernelI14__hip_bfloat16S0_LN4vllm18Fp8KVCacheDataTypeE0EhLi16ELi64ELi256ELb0ELi3EEvPKT_PKT0_S8_ifPKiSA_SA_iPKfiiiPfSD_PS3_PT2_iSC_SC_
		.amdhsa_group_segment_fixed_size 0
		.amdhsa_private_segment_fixed_size 64
		.amdhsa_kernarg_size 400
		.amdhsa_user_sgpr_count 2
		.amdhsa_user_sgpr_dispatch_ptr 0
		.amdhsa_user_sgpr_queue_ptr 0
		.amdhsa_user_sgpr_kernarg_segment_ptr 1
		.amdhsa_user_sgpr_dispatch_id 0
		.amdhsa_user_sgpr_kernarg_preload_length 0
		.amdhsa_user_sgpr_kernarg_preload_offset 0
		.amdhsa_user_sgpr_private_segment_size 0
		.amdhsa_wavefront_size32 1
		.amdhsa_uses_dynamic_stack 0
		.amdhsa_enable_private_segment 1
		.amdhsa_system_sgpr_workgroup_id_x 1
		.amdhsa_system_sgpr_workgroup_id_y 0
		.amdhsa_system_sgpr_workgroup_id_z 0
		.amdhsa_system_sgpr_workgroup_info 0
		.amdhsa_system_vgpr_workitem_id 0
		.amdhsa_next_free_vgpr 51
		.amdhsa_next_free_sgpr 34
		.amdhsa_named_barrier_count 0
		.amdhsa_reserve_vcc 1
		.amdhsa_float_round_mode_32 0
		.amdhsa_float_round_mode_16_64 0
		.amdhsa_float_denorm_mode_32 3
		.amdhsa_float_denorm_mode_16_64 3
		.amdhsa_fp16_overflow 0
		.amdhsa_memory_ordered 1
		.amdhsa_forward_progress 1
		.amdhsa_inst_pref_size 1
		.amdhsa_round_robin_scheduling 0
		.amdhsa_exception_fp_ieee_invalid_op 0
		.amdhsa_exception_fp_denorm_src 0
		.amdhsa_exception_fp_ieee_div_zero 0
		.amdhsa_exception_fp_ieee_overflow 0
		.amdhsa_exception_fp_ieee_underflow 0
		.amdhsa_exception_fp_ieee_inexact 0
		.amdhsa_exception_int_div_zero 0
	.end_amdhsa_kernel
	.section	.text._Z38paged_attention_ll4mi_QKV_mfma4_kernelI14__hip_bfloat16S0_LN4vllm18Fp8KVCacheDataTypeE0EhLi16ELi64ELi256ELb0ELi3EEvPKT_PKT0_S8_ifPKiSA_SA_iPKfiiiPfSD_PS3_PT2_iSC_SC_,"axG",@progbits,_Z38paged_attention_ll4mi_QKV_mfma4_kernelI14__hip_bfloat16S0_LN4vllm18Fp8KVCacheDataTypeE0EhLi16ELi64ELi256ELb0ELi3EEvPKT_PKT0_S8_ifPKiSA_SA_iPKfiiiPfSD_PS3_PT2_iSC_SC_,comdat
.Lfunc_end424:
	.size	_Z38paged_attention_ll4mi_QKV_mfma4_kernelI14__hip_bfloat16S0_LN4vllm18Fp8KVCacheDataTypeE0EhLi16ELi64ELi256ELb0ELi3EEvPKT_PKT0_S8_ifPKiSA_SA_iPKfiiiPfSD_PS3_PT2_iSC_SC_, .Lfunc_end424-_Z38paged_attention_ll4mi_QKV_mfma4_kernelI14__hip_bfloat16S0_LN4vllm18Fp8KVCacheDataTypeE0EhLi16ELi64ELi256ELb0ELi3EEvPKT_PKT0_S8_ifPKiSA_SA_iPKfiiiPfSD_PS3_PT2_iSC_SC_
                                        ; -- End function
	.set _Z38paged_attention_ll4mi_QKV_mfma4_kernelI14__hip_bfloat16S0_LN4vllm18Fp8KVCacheDataTypeE0EhLi16ELi64ELi256ELb0ELi3EEvPKT_PKT0_S8_ifPKiSA_SA_iPKfiiiPfSD_PS3_PT2_iSC_SC_.num_vgpr, max(3, .L__assert_fail.num_vgpr)
	.set _Z38paged_attention_ll4mi_QKV_mfma4_kernelI14__hip_bfloat16S0_LN4vllm18Fp8KVCacheDataTypeE0EhLi16ELi64ELi256ELb0ELi3EEvPKT_PKT0_S8_ifPKiSA_SA_iPKfiiiPfSD_PS3_PT2_iSC_SC_.num_agpr, max(0, .L__assert_fail.num_agpr)
	.set _Z38paged_attention_ll4mi_QKV_mfma4_kernelI14__hip_bfloat16S0_LN4vllm18Fp8KVCacheDataTypeE0EhLi16ELi64ELi256ELb0ELi3EEvPKT_PKT0_S8_ifPKiSA_SA_iPKfiiiPfSD_PS3_PT2_iSC_SC_.numbered_sgpr, max(33, .L__assert_fail.numbered_sgpr)
	.set _Z38paged_attention_ll4mi_QKV_mfma4_kernelI14__hip_bfloat16S0_LN4vllm18Fp8KVCacheDataTypeE0EhLi16ELi64ELi256ELb0ELi3EEvPKT_PKT0_S8_ifPKiSA_SA_iPKfiiiPfSD_PS3_PT2_iSC_SC_.num_named_barrier, max(0, .L__assert_fail.num_named_barrier)
	.set _Z38paged_attention_ll4mi_QKV_mfma4_kernelI14__hip_bfloat16S0_LN4vllm18Fp8KVCacheDataTypeE0EhLi16ELi64ELi256ELb0ELi3EEvPKT_PKT0_S8_ifPKiSA_SA_iPKfiiiPfSD_PS3_PT2_iSC_SC_.private_seg_size, 0+max(.L__assert_fail.private_seg_size)
	.set _Z38paged_attention_ll4mi_QKV_mfma4_kernelI14__hip_bfloat16S0_LN4vllm18Fp8KVCacheDataTypeE0EhLi16ELi64ELi256ELb0ELi3EEvPKT_PKT0_S8_ifPKiSA_SA_iPKfiiiPfSD_PS3_PT2_iSC_SC_.uses_vcc, or(1, .L__assert_fail.uses_vcc)
	.set _Z38paged_attention_ll4mi_QKV_mfma4_kernelI14__hip_bfloat16S0_LN4vllm18Fp8KVCacheDataTypeE0EhLi16ELi64ELi256ELb0ELi3EEvPKT_PKT0_S8_ifPKiSA_SA_iPKfiiiPfSD_PS3_PT2_iSC_SC_.uses_flat_scratch, or(0, .L__assert_fail.uses_flat_scratch)
	.set _Z38paged_attention_ll4mi_QKV_mfma4_kernelI14__hip_bfloat16S0_LN4vllm18Fp8KVCacheDataTypeE0EhLi16ELi64ELi256ELb0ELi3EEvPKT_PKT0_S8_ifPKiSA_SA_iPKfiiiPfSD_PS3_PT2_iSC_SC_.has_dyn_sized_stack, or(0, .L__assert_fail.has_dyn_sized_stack)
	.set _Z38paged_attention_ll4mi_QKV_mfma4_kernelI14__hip_bfloat16S0_LN4vllm18Fp8KVCacheDataTypeE0EhLi16ELi64ELi256ELb0ELi3EEvPKT_PKT0_S8_ifPKiSA_SA_iPKfiiiPfSD_PS3_PT2_iSC_SC_.has_recursion, or(0, .L__assert_fail.has_recursion)
	.set _Z38paged_attention_ll4mi_QKV_mfma4_kernelI14__hip_bfloat16S0_LN4vllm18Fp8KVCacheDataTypeE0EhLi16ELi64ELi256ELb0ELi3EEvPKT_PKT0_S8_ifPKiSA_SA_iPKfiiiPfSD_PS3_PT2_iSC_SC_.has_indirect_call, or(0, .L__assert_fail.has_indirect_call)
	.section	.AMDGPU.csdata,"",@progbits
; Kernel info:
; codeLenInByte = 68
; TotalNumSgprs: 36
; NumVgprs: 51
; ScratchSize: 64
; MemoryBound: 0
; FloatMode: 240
; IeeeMode: 1
; LDSByteSize: 0 bytes/workgroup (compile time only)
; SGPRBlocks: 0
; VGPRBlocks: 3
; NumSGPRsForWavesPerEU: 36
; NumVGPRsForWavesPerEU: 51
; NamedBarCnt: 0
; Occupancy: 16
; WaveLimiterHint : 1
; COMPUTE_PGM_RSRC2:SCRATCH_EN: 1
; COMPUTE_PGM_RSRC2:USER_SGPR: 2
; COMPUTE_PGM_RSRC2:TRAP_HANDLER: 0
; COMPUTE_PGM_RSRC2:TGID_X_EN: 1
; COMPUTE_PGM_RSRC2:TGID_Y_EN: 0
; COMPUTE_PGM_RSRC2:TGID_Z_EN: 0
; COMPUTE_PGM_RSRC2:TIDIG_COMP_CNT: 0
	.section	.text._Z38paged_attention_ll4mi_QKV_mfma4_kernelI14__hip_bfloat16S0_LN4vllm18Fp8KVCacheDataTypeE0EhLi16ELi64ELi256ELb0ELi4EEvPKT_PKT0_S8_ifPKiSA_SA_iPKfiiiPfSD_PS3_PT2_iSC_SC_,"axG",@progbits,_Z38paged_attention_ll4mi_QKV_mfma4_kernelI14__hip_bfloat16S0_LN4vllm18Fp8KVCacheDataTypeE0EhLi16ELi64ELi256ELb0ELi4EEvPKT_PKT0_S8_ifPKiSA_SA_iPKfiiiPfSD_PS3_PT2_iSC_SC_,comdat
	.protected	_Z38paged_attention_ll4mi_QKV_mfma4_kernelI14__hip_bfloat16S0_LN4vllm18Fp8KVCacheDataTypeE0EhLi16ELi64ELi256ELb0ELi4EEvPKT_PKT0_S8_ifPKiSA_SA_iPKfiiiPfSD_PS3_PT2_iSC_SC_ ; -- Begin function _Z38paged_attention_ll4mi_QKV_mfma4_kernelI14__hip_bfloat16S0_LN4vllm18Fp8KVCacheDataTypeE0EhLi16ELi64ELi256ELb0ELi4EEvPKT_PKT0_S8_ifPKiSA_SA_iPKfiiiPfSD_PS3_PT2_iSC_SC_
	.globl	_Z38paged_attention_ll4mi_QKV_mfma4_kernelI14__hip_bfloat16S0_LN4vllm18Fp8KVCacheDataTypeE0EhLi16ELi64ELi256ELb0ELi4EEvPKT_PKT0_S8_ifPKiSA_SA_iPKfiiiPfSD_PS3_PT2_iSC_SC_
	.p2align	8
	.type	_Z38paged_attention_ll4mi_QKV_mfma4_kernelI14__hip_bfloat16S0_LN4vllm18Fp8KVCacheDataTypeE0EhLi16ELi64ELi256ELb0ELi4EEvPKT_PKT0_S8_ifPKiSA_SA_iPKfiiiPfSD_PS3_PT2_iSC_SC_,@function
_Z38paged_attention_ll4mi_QKV_mfma4_kernelI14__hip_bfloat16S0_LN4vllm18Fp8KVCacheDataTypeE0EhLi16ELi64ELi256ELb0ELi4EEvPKT_PKT0_S8_ifPKiSA_SA_iPKfiiiPfSD_PS3_PT2_iSC_SC_: ; @_Z38paged_attention_ll4mi_QKV_mfma4_kernelI14__hip_bfloat16S0_LN4vllm18Fp8KVCacheDataTypeE0EhLi16ELi64ELi256ELb0ELi4EEvPKT_PKT0_S8_ifPKiSA_SA_iPKfiiiPfSD_PS3_PT2_iSC_SC_
; %bb.0:
	s_get_pc_i64 s[2:3]
	s_add_nc_u64 s[2:3], s[2:3], __PRETTY_FUNCTION__._Z38paged_attention_ll4mi_QKV_mfma4_kernelI14__hip_bfloat16S0_LN4vllm18Fp8KVCacheDataTypeE0EhLi16ELi64ELi256ELb0ELi4EEvPKT_PKT0_S8_ifPKiSA_SA_iPKfiiiPfSD_PS3_PT2_iSC_SC_@rel64+4
	s_delay_alu instid0(SALU_CYCLE_1)
	v_dual_mov_b32 v0, 0xbce :: v_dual_mov_b32 v1, s2
	v_mov_b32_e32 v2, s3
	s_add_nc_u64 s[8:9], s[0:1], 0x90
	s_get_pc_i64 s[0:1]
	s_add_nc_u64 s[0:1], s[0:1], __assert_fail@rel64+4
	s_mov_b32 s32, 0
	s_swap_pc_i64 s[30:31], s[0:1]
	.section	.rodata,"a",@progbits
	.p2align	6, 0x0
	.amdhsa_kernel _Z38paged_attention_ll4mi_QKV_mfma4_kernelI14__hip_bfloat16S0_LN4vllm18Fp8KVCacheDataTypeE0EhLi16ELi64ELi256ELb0ELi4EEvPKT_PKT0_S8_ifPKiSA_SA_iPKfiiiPfSD_PS3_PT2_iSC_SC_
		.amdhsa_group_segment_fixed_size 0
		.amdhsa_private_segment_fixed_size 64
		.amdhsa_kernarg_size 400
		.amdhsa_user_sgpr_count 2
		.amdhsa_user_sgpr_dispatch_ptr 0
		.amdhsa_user_sgpr_queue_ptr 0
		.amdhsa_user_sgpr_kernarg_segment_ptr 1
		.amdhsa_user_sgpr_dispatch_id 0
		.amdhsa_user_sgpr_kernarg_preload_length 0
		.amdhsa_user_sgpr_kernarg_preload_offset 0
		.amdhsa_user_sgpr_private_segment_size 0
		.amdhsa_wavefront_size32 1
		.amdhsa_uses_dynamic_stack 0
		.amdhsa_enable_private_segment 1
		.amdhsa_system_sgpr_workgroup_id_x 1
		.amdhsa_system_sgpr_workgroup_id_y 0
		.amdhsa_system_sgpr_workgroup_id_z 0
		.amdhsa_system_sgpr_workgroup_info 0
		.amdhsa_system_vgpr_workitem_id 0
		.amdhsa_next_free_vgpr 51
		.amdhsa_next_free_sgpr 34
		.amdhsa_named_barrier_count 0
		.amdhsa_reserve_vcc 1
		.amdhsa_float_round_mode_32 0
		.amdhsa_float_round_mode_16_64 0
		.amdhsa_float_denorm_mode_32 3
		.amdhsa_float_denorm_mode_16_64 3
		.amdhsa_fp16_overflow 0
		.amdhsa_memory_ordered 1
		.amdhsa_forward_progress 1
		.amdhsa_inst_pref_size 1
		.amdhsa_round_robin_scheduling 0
		.amdhsa_exception_fp_ieee_invalid_op 0
		.amdhsa_exception_fp_denorm_src 0
		.amdhsa_exception_fp_ieee_div_zero 0
		.amdhsa_exception_fp_ieee_overflow 0
		.amdhsa_exception_fp_ieee_underflow 0
		.amdhsa_exception_fp_ieee_inexact 0
		.amdhsa_exception_int_div_zero 0
	.end_amdhsa_kernel
	.section	.text._Z38paged_attention_ll4mi_QKV_mfma4_kernelI14__hip_bfloat16S0_LN4vllm18Fp8KVCacheDataTypeE0EhLi16ELi64ELi256ELb0ELi4EEvPKT_PKT0_S8_ifPKiSA_SA_iPKfiiiPfSD_PS3_PT2_iSC_SC_,"axG",@progbits,_Z38paged_attention_ll4mi_QKV_mfma4_kernelI14__hip_bfloat16S0_LN4vllm18Fp8KVCacheDataTypeE0EhLi16ELi64ELi256ELb0ELi4EEvPKT_PKT0_S8_ifPKiSA_SA_iPKfiiiPfSD_PS3_PT2_iSC_SC_,comdat
.Lfunc_end425:
	.size	_Z38paged_attention_ll4mi_QKV_mfma4_kernelI14__hip_bfloat16S0_LN4vllm18Fp8KVCacheDataTypeE0EhLi16ELi64ELi256ELb0ELi4EEvPKT_PKT0_S8_ifPKiSA_SA_iPKfiiiPfSD_PS3_PT2_iSC_SC_, .Lfunc_end425-_Z38paged_attention_ll4mi_QKV_mfma4_kernelI14__hip_bfloat16S0_LN4vllm18Fp8KVCacheDataTypeE0EhLi16ELi64ELi256ELb0ELi4EEvPKT_PKT0_S8_ifPKiSA_SA_iPKfiiiPfSD_PS3_PT2_iSC_SC_
                                        ; -- End function
	.set _Z38paged_attention_ll4mi_QKV_mfma4_kernelI14__hip_bfloat16S0_LN4vllm18Fp8KVCacheDataTypeE0EhLi16ELi64ELi256ELb0ELi4EEvPKT_PKT0_S8_ifPKiSA_SA_iPKfiiiPfSD_PS3_PT2_iSC_SC_.num_vgpr, max(3, .L__assert_fail.num_vgpr)
	.set _Z38paged_attention_ll4mi_QKV_mfma4_kernelI14__hip_bfloat16S0_LN4vllm18Fp8KVCacheDataTypeE0EhLi16ELi64ELi256ELb0ELi4EEvPKT_PKT0_S8_ifPKiSA_SA_iPKfiiiPfSD_PS3_PT2_iSC_SC_.num_agpr, max(0, .L__assert_fail.num_agpr)
	.set _Z38paged_attention_ll4mi_QKV_mfma4_kernelI14__hip_bfloat16S0_LN4vllm18Fp8KVCacheDataTypeE0EhLi16ELi64ELi256ELb0ELi4EEvPKT_PKT0_S8_ifPKiSA_SA_iPKfiiiPfSD_PS3_PT2_iSC_SC_.numbered_sgpr, max(33, .L__assert_fail.numbered_sgpr)
	.set _Z38paged_attention_ll4mi_QKV_mfma4_kernelI14__hip_bfloat16S0_LN4vllm18Fp8KVCacheDataTypeE0EhLi16ELi64ELi256ELb0ELi4EEvPKT_PKT0_S8_ifPKiSA_SA_iPKfiiiPfSD_PS3_PT2_iSC_SC_.num_named_barrier, max(0, .L__assert_fail.num_named_barrier)
	.set _Z38paged_attention_ll4mi_QKV_mfma4_kernelI14__hip_bfloat16S0_LN4vllm18Fp8KVCacheDataTypeE0EhLi16ELi64ELi256ELb0ELi4EEvPKT_PKT0_S8_ifPKiSA_SA_iPKfiiiPfSD_PS3_PT2_iSC_SC_.private_seg_size, 0+max(.L__assert_fail.private_seg_size)
	.set _Z38paged_attention_ll4mi_QKV_mfma4_kernelI14__hip_bfloat16S0_LN4vllm18Fp8KVCacheDataTypeE0EhLi16ELi64ELi256ELb0ELi4EEvPKT_PKT0_S8_ifPKiSA_SA_iPKfiiiPfSD_PS3_PT2_iSC_SC_.uses_vcc, or(1, .L__assert_fail.uses_vcc)
	.set _Z38paged_attention_ll4mi_QKV_mfma4_kernelI14__hip_bfloat16S0_LN4vllm18Fp8KVCacheDataTypeE0EhLi16ELi64ELi256ELb0ELi4EEvPKT_PKT0_S8_ifPKiSA_SA_iPKfiiiPfSD_PS3_PT2_iSC_SC_.uses_flat_scratch, or(0, .L__assert_fail.uses_flat_scratch)
	.set _Z38paged_attention_ll4mi_QKV_mfma4_kernelI14__hip_bfloat16S0_LN4vllm18Fp8KVCacheDataTypeE0EhLi16ELi64ELi256ELb0ELi4EEvPKT_PKT0_S8_ifPKiSA_SA_iPKfiiiPfSD_PS3_PT2_iSC_SC_.has_dyn_sized_stack, or(0, .L__assert_fail.has_dyn_sized_stack)
	.set _Z38paged_attention_ll4mi_QKV_mfma4_kernelI14__hip_bfloat16S0_LN4vllm18Fp8KVCacheDataTypeE0EhLi16ELi64ELi256ELb0ELi4EEvPKT_PKT0_S8_ifPKiSA_SA_iPKfiiiPfSD_PS3_PT2_iSC_SC_.has_recursion, or(0, .L__assert_fail.has_recursion)
	.set _Z38paged_attention_ll4mi_QKV_mfma4_kernelI14__hip_bfloat16S0_LN4vllm18Fp8KVCacheDataTypeE0EhLi16ELi64ELi256ELb0ELi4EEvPKT_PKT0_S8_ifPKiSA_SA_iPKfiiiPfSD_PS3_PT2_iSC_SC_.has_indirect_call, or(0, .L__assert_fail.has_indirect_call)
	.section	.AMDGPU.csdata,"",@progbits
; Kernel info:
; codeLenInByte = 68
; TotalNumSgprs: 36
; NumVgprs: 51
; ScratchSize: 64
; MemoryBound: 0
; FloatMode: 240
; IeeeMode: 1
; LDSByteSize: 0 bytes/workgroup (compile time only)
; SGPRBlocks: 0
; VGPRBlocks: 3
; NumSGPRsForWavesPerEU: 36
; NumVGPRsForWavesPerEU: 51
; NamedBarCnt: 0
; Occupancy: 16
; WaveLimiterHint : 1
; COMPUTE_PGM_RSRC2:SCRATCH_EN: 1
; COMPUTE_PGM_RSRC2:USER_SGPR: 2
; COMPUTE_PGM_RSRC2:TRAP_HANDLER: 0
; COMPUTE_PGM_RSRC2:TGID_X_EN: 1
; COMPUTE_PGM_RSRC2:TGID_Y_EN: 0
; COMPUTE_PGM_RSRC2:TGID_Z_EN: 0
; COMPUTE_PGM_RSRC2:TIDIG_COMP_CNT: 0
	.section	.text._Z39paged_attention_ll4mi_QKV_mfma16_kernelI14__hip_bfloat16S0_LN4vllm18Fp8KVCacheDataTypeE0EhLi16ELi64ELi256ELb0ELi5EEvPKT_PKT0_S8_ifPKiSA_SA_iPKfiiiPfSD_PS3_PT2_iSC_SC_,"axG",@progbits,_Z39paged_attention_ll4mi_QKV_mfma16_kernelI14__hip_bfloat16S0_LN4vllm18Fp8KVCacheDataTypeE0EhLi16ELi64ELi256ELb0ELi5EEvPKT_PKT0_S8_ifPKiSA_SA_iPKfiiiPfSD_PS3_PT2_iSC_SC_,comdat
	.protected	_Z39paged_attention_ll4mi_QKV_mfma16_kernelI14__hip_bfloat16S0_LN4vllm18Fp8KVCacheDataTypeE0EhLi16ELi64ELi256ELb0ELi5EEvPKT_PKT0_S8_ifPKiSA_SA_iPKfiiiPfSD_PS3_PT2_iSC_SC_ ; -- Begin function _Z39paged_attention_ll4mi_QKV_mfma16_kernelI14__hip_bfloat16S0_LN4vllm18Fp8KVCacheDataTypeE0EhLi16ELi64ELi256ELb0ELi5EEvPKT_PKT0_S8_ifPKiSA_SA_iPKfiiiPfSD_PS3_PT2_iSC_SC_
	.globl	_Z39paged_attention_ll4mi_QKV_mfma16_kernelI14__hip_bfloat16S0_LN4vllm18Fp8KVCacheDataTypeE0EhLi16ELi64ELi256ELb0ELi5EEvPKT_PKT0_S8_ifPKiSA_SA_iPKfiiiPfSD_PS3_PT2_iSC_SC_
	.p2align	8
	.type	_Z39paged_attention_ll4mi_QKV_mfma16_kernelI14__hip_bfloat16S0_LN4vllm18Fp8KVCacheDataTypeE0EhLi16ELi64ELi256ELb0ELi5EEvPKT_PKT0_S8_ifPKiSA_SA_iPKfiiiPfSD_PS3_PT2_iSC_SC_,@function
_Z39paged_attention_ll4mi_QKV_mfma16_kernelI14__hip_bfloat16S0_LN4vllm18Fp8KVCacheDataTypeE0EhLi16ELi64ELi256ELb0ELi5EEvPKT_PKT0_S8_ifPKiSA_SA_iPKfiiiPfSD_PS3_PT2_iSC_SC_: ; @_Z39paged_attention_ll4mi_QKV_mfma16_kernelI14__hip_bfloat16S0_LN4vllm18Fp8KVCacheDataTypeE0EhLi16ELi64ELi256ELb0ELi5EEvPKT_PKT0_S8_ifPKiSA_SA_iPKfiiiPfSD_PS3_PT2_iSC_SC_
; %bb.0:
	s_get_pc_i64 s[2:3]
	s_add_nc_u64 s[2:3], s[2:3], __PRETTY_FUNCTION__._Z39paged_attention_ll4mi_QKV_mfma16_kernelI14__hip_bfloat16S0_LN4vllm18Fp8KVCacheDataTypeE0EhLi16ELi64ELi256ELb0ELi5EEvPKT_PKT0_S8_ifPKiSA_SA_iPKfiiiPfSD_PS3_PT2_iSC_SC_@rel64+4
	s_delay_alu instid0(SALU_CYCLE_1)
	v_dual_mov_b32 v0, 0xbb3 :: v_dual_mov_b32 v1, s2
	v_mov_b32_e32 v2, s3
	s_add_nc_u64 s[8:9], s[0:1], 0x90
	s_get_pc_i64 s[0:1]
	s_add_nc_u64 s[0:1], s[0:1], __assert_fail@rel64+4
	s_mov_b32 s32, 0
	s_swap_pc_i64 s[30:31], s[0:1]
	.section	.rodata,"a",@progbits
	.p2align	6, 0x0
	.amdhsa_kernel _Z39paged_attention_ll4mi_QKV_mfma16_kernelI14__hip_bfloat16S0_LN4vllm18Fp8KVCacheDataTypeE0EhLi16ELi64ELi256ELb0ELi5EEvPKT_PKT0_S8_ifPKiSA_SA_iPKfiiiPfSD_PS3_PT2_iSC_SC_
		.amdhsa_group_segment_fixed_size 0
		.amdhsa_private_segment_fixed_size 64
		.amdhsa_kernarg_size 400
		.amdhsa_user_sgpr_count 2
		.amdhsa_user_sgpr_dispatch_ptr 0
		.amdhsa_user_sgpr_queue_ptr 0
		.amdhsa_user_sgpr_kernarg_segment_ptr 1
		.amdhsa_user_sgpr_dispatch_id 0
		.amdhsa_user_sgpr_kernarg_preload_length 0
		.amdhsa_user_sgpr_kernarg_preload_offset 0
		.amdhsa_user_sgpr_private_segment_size 0
		.amdhsa_wavefront_size32 1
		.amdhsa_uses_dynamic_stack 0
		.amdhsa_enable_private_segment 1
		.amdhsa_system_sgpr_workgroup_id_x 1
		.amdhsa_system_sgpr_workgroup_id_y 0
		.amdhsa_system_sgpr_workgroup_id_z 0
		.amdhsa_system_sgpr_workgroup_info 0
		.amdhsa_system_vgpr_workitem_id 0
		.amdhsa_next_free_vgpr 51
		.amdhsa_next_free_sgpr 34
		.amdhsa_named_barrier_count 0
		.amdhsa_reserve_vcc 1
		.amdhsa_float_round_mode_32 0
		.amdhsa_float_round_mode_16_64 0
		.amdhsa_float_denorm_mode_32 3
		.amdhsa_float_denorm_mode_16_64 3
		.amdhsa_fp16_overflow 0
		.amdhsa_memory_ordered 1
		.amdhsa_forward_progress 1
		.amdhsa_inst_pref_size 1
		.amdhsa_round_robin_scheduling 0
		.amdhsa_exception_fp_ieee_invalid_op 0
		.amdhsa_exception_fp_denorm_src 0
		.amdhsa_exception_fp_ieee_div_zero 0
		.amdhsa_exception_fp_ieee_overflow 0
		.amdhsa_exception_fp_ieee_underflow 0
		.amdhsa_exception_fp_ieee_inexact 0
		.amdhsa_exception_int_div_zero 0
	.end_amdhsa_kernel
	.section	.text._Z39paged_attention_ll4mi_QKV_mfma16_kernelI14__hip_bfloat16S0_LN4vllm18Fp8KVCacheDataTypeE0EhLi16ELi64ELi256ELb0ELi5EEvPKT_PKT0_S8_ifPKiSA_SA_iPKfiiiPfSD_PS3_PT2_iSC_SC_,"axG",@progbits,_Z39paged_attention_ll4mi_QKV_mfma16_kernelI14__hip_bfloat16S0_LN4vllm18Fp8KVCacheDataTypeE0EhLi16ELi64ELi256ELb0ELi5EEvPKT_PKT0_S8_ifPKiSA_SA_iPKfiiiPfSD_PS3_PT2_iSC_SC_,comdat
.Lfunc_end426:
	.size	_Z39paged_attention_ll4mi_QKV_mfma16_kernelI14__hip_bfloat16S0_LN4vllm18Fp8KVCacheDataTypeE0EhLi16ELi64ELi256ELb0ELi5EEvPKT_PKT0_S8_ifPKiSA_SA_iPKfiiiPfSD_PS3_PT2_iSC_SC_, .Lfunc_end426-_Z39paged_attention_ll4mi_QKV_mfma16_kernelI14__hip_bfloat16S0_LN4vllm18Fp8KVCacheDataTypeE0EhLi16ELi64ELi256ELb0ELi5EEvPKT_PKT0_S8_ifPKiSA_SA_iPKfiiiPfSD_PS3_PT2_iSC_SC_
                                        ; -- End function
	.set _Z39paged_attention_ll4mi_QKV_mfma16_kernelI14__hip_bfloat16S0_LN4vllm18Fp8KVCacheDataTypeE0EhLi16ELi64ELi256ELb0ELi5EEvPKT_PKT0_S8_ifPKiSA_SA_iPKfiiiPfSD_PS3_PT2_iSC_SC_.num_vgpr, max(3, .L__assert_fail.num_vgpr)
	.set _Z39paged_attention_ll4mi_QKV_mfma16_kernelI14__hip_bfloat16S0_LN4vllm18Fp8KVCacheDataTypeE0EhLi16ELi64ELi256ELb0ELi5EEvPKT_PKT0_S8_ifPKiSA_SA_iPKfiiiPfSD_PS3_PT2_iSC_SC_.num_agpr, max(0, .L__assert_fail.num_agpr)
	.set _Z39paged_attention_ll4mi_QKV_mfma16_kernelI14__hip_bfloat16S0_LN4vllm18Fp8KVCacheDataTypeE0EhLi16ELi64ELi256ELb0ELi5EEvPKT_PKT0_S8_ifPKiSA_SA_iPKfiiiPfSD_PS3_PT2_iSC_SC_.numbered_sgpr, max(33, .L__assert_fail.numbered_sgpr)
	.set _Z39paged_attention_ll4mi_QKV_mfma16_kernelI14__hip_bfloat16S0_LN4vllm18Fp8KVCacheDataTypeE0EhLi16ELi64ELi256ELb0ELi5EEvPKT_PKT0_S8_ifPKiSA_SA_iPKfiiiPfSD_PS3_PT2_iSC_SC_.num_named_barrier, max(0, .L__assert_fail.num_named_barrier)
	.set _Z39paged_attention_ll4mi_QKV_mfma16_kernelI14__hip_bfloat16S0_LN4vllm18Fp8KVCacheDataTypeE0EhLi16ELi64ELi256ELb0ELi5EEvPKT_PKT0_S8_ifPKiSA_SA_iPKfiiiPfSD_PS3_PT2_iSC_SC_.private_seg_size, 0+max(.L__assert_fail.private_seg_size)
	.set _Z39paged_attention_ll4mi_QKV_mfma16_kernelI14__hip_bfloat16S0_LN4vllm18Fp8KVCacheDataTypeE0EhLi16ELi64ELi256ELb0ELi5EEvPKT_PKT0_S8_ifPKiSA_SA_iPKfiiiPfSD_PS3_PT2_iSC_SC_.uses_vcc, or(1, .L__assert_fail.uses_vcc)
	.set _Z39paged_attention_ll4mi_QKV_mfma16_kernelI14__hip_bfloat16S0_LN4vllm18Fp8KVCacheDataTypeE0EhLi16ELi64ELi256ELb0ELi5EEvPKT_PKT0_S8_ifPKiSA_SA_iPKfiiiPfSD_PS3_PT2_iSC_SC_.uses_flat_scratch, or(0, .L__assert_fail.uses_flat_scratch)
	.set _Z39paged_attention_ll4mi_QKV_mfma16_kernelI14__hip_bfloat16S0_LN4vllm18Fp8KVCacheDataTypeE0EhLi16ELi64ELi256ELb0ELi5EEvPKT_PKT0_S8_ifPKiSA_SA_iPKfiiiPfSD_PS3_PT2_iSC_SC_.has_dyn_sized_stack, or(0, .L__assert_fail.has_dyn_sized_stack)
	.set _Z39paged_attention_ll4mi_QKV_mfma16_kernelI14__hip_bfloat16S0_LN4vllm18Fp8KVCacheDataTypeE0EhLi16ELi64ELi256ELb0ELi5EEvPKT_PKT0_S8_ifPKiSA_SA_iPKfiiiPfSD_PS3_PT2_iSC_SC_.has_recursion, or(0, .L__assert_fail.has_recursion)
	.set _Z39paged_attention_ll4mi_QKV_mfma16_kernelI14__hip_bfloat16S0_LN4vllm18Fp8KVCacheDataTypeE0EhLi16ELi64ELi256ELb0ELi5EEvPKT_PKT0_S8_ifPKiSA_SA_iPKfiiiPfSD_PS3_PT2_iSC_SC_.has_indirect_call, or(0, .L__assert_fail.has_indirect_call)
	.section	.AMDGPU.csdata,"",@progbits
; Kernel info:
; codeLenInByte = 68
; TotalNumSgprs: 36
; NumVgprs: 51
; ScratchSize: 64
; MemoryBound: 0
; FloatMode: 240
; IeeeMode: 1
; LDSByteSize: 0 bytes/workgroup (compile time only)
; SGPRBlocks: 0
; VGPRBlocks: 3
; NumSGPRsForWavesPerEU: 36
; NumVGPRsForWavesPerEU: 51
; NamedBarCnt: 0
; Occupancy: 16
; WaveLimiterHint : 1
; COMPUTE_PGM_RSRC2:SCRATCH_EN: 1
; COMPUTE_PGM_RSRC2:USER_SGPR: 2
; COMPUTE_PGM_RSRC2:TRAP_HANDLER: 0
; COMPUTE_PGM_RSRC2:TGID_X_EN: 1
; COMPUTE_PGM_RSRC2:TGID_Y_EN: 0
; COMPUTE_PGM_RSRC2:TGID_Z_EN: 0
; COMPUTE_PGM_RSRC2:TIDIG_COMP_CNT: 0
	.section	.text._Z39paged_attention_ll4mi_QKV_mfma16_kernelI14__hip_bfloat16S0_LN4vllm18Fp8KVCacheDataTypeE0EhLi16ELi64ELi256ELb0ELi6EEvPKT_PKT0_S8_ifPKiSA_SA_iPKfiiiPfSD_PS3_PT2_iSC_SC_,"axG",@progbits,_Z39paged_attention_ll4mi_QKV_mfma16_kernelI14__hip_bfloat16S0_LN4vllm18Fp8KVCacheDataTypeE0EhLi16ELi64ELi256ELb0ELi6EEvPKT_PKT0_S8_ifPKiSA_SA_iPKfiiiPfSD_PS3_PT2_iSC_SC_,comdat
	.protected	_Z39paged_attention_ll4mi_QKV_mfma16_kernelI14__hip_bfloat16S0_LN4vllm18Fp8KVCacheDataTypeE0EhLi16ELi64ELi256ELb0ELi6EEvPKT_PKT0_S8_ifPKiSA_SA_iPKfiiiPfSD_PS3_PT2_iSC_SC_ ; -- Begin function _Z39paged_attention_ll4mi_QKV_mfma16_kernelI14__hip_bfloat16S0_LN4vllm18Fp8KVCacheDataTypeE0EhLi16ELi64ELi256ELb0ELi6EEvPKT_PKT0_S8_ifPKiSA_SA_iPKfiiiPfSD_PS3_PT2_iSC_SC_
	.globl	_Z39paged_attention_ll4mi_QKV_mfma16_kernelI14__hip_bfloat16S0_LN4vllm18Fp8KVCacheDataTypeE0EhLi16ELi64ELi256ELb0ELi6EEvPKT_PKT0_S8_ifPKiSA_SA_iPKfiiiPfSD_PS3_PT2_iSC_SC_
	.p2align	8
	.type	_Z39paged_attention_ll4mi_QKV_mfma16_kernelI14__hip_bfloat16S0_LN4vllm18Fp8KVCacheDataTypeE0EhLi16ELi64ELi256ELb0ELi6EEvPKT_PKT0_S8_ifPKiSA_SA_iPKfiiiPfSD_PS3_PT2_iSC_SC_,@function
_Z39paged_attention_ll4mi_QKV_mfma16_kernelI14__hip_bfloat16S0_LN4vllm18Fp8KVCacheDataTypeE0EhLi16ELi64ELi256ELb0ELi6EEvPKT_PKT0_S8_ifPKiSA_SA_iPKfiiiPfSD_PS3_PT2_iSC_SC_: ; @_Z39paged_attention_ll4mi_QKV_mfma16_kernelI14__hip_bfloat16S0_LN4vllm18Fp8KVCacheDataTypeE0EhLi16ELi64ELi256ELb0ELi6EEvPKT_PKT0_S8_ifPKiSA_SA_iPKfiiiPfSD_PS3_PT2_iSC_SC_
; %bb.0:
	s_get_pc_i64 s[2:3]
	s_add_nc_u64 s[2:3], s[2:3], __PRETTY_FUNCTION__._Z39paged_attention_ll4mi_QKV_mfma16_kernelI14__hip_bfloat16S0_LN4vllm18Fp8KVCacheDataTypeE0EhLi16ELi64ELi256ELb0ELi6EEvPKT_PKT0_S8_ifPKiSA_SA_iPKfiiiPfSD_PS3_PT2_iSC_SC_@rel64+4
	s_delay_alu instid0(SALU_CYCLE_1)
	v_dual_mov_b32 v0, 0xbb3 :: v_dual_mov_b32 v1, s2
	v_mov_b32_e32 v2, s3
	s_add_nc_u64 s[8:9], s[0:1], 0x90
	s_get_pc_i64 s[0:1]
	s_add_nc_u64 s[0:1], s[0:1], __assert_fail@rel64+4
	s_mov_b32 s32, 0
	s_swap_pc_i64 s[30:31], s[0:1]
	.section	.rodata,"a",@progbits
	.p2align	6, 0x0
	.amdhsa_kernel _Z39paged_attention_ll4mi_QKV_mfma16_kernelI14__hip_bfloat16S0_LN4vllm18Fp8KVCacheDataTypeE0EhLi16ELi64ELi256ELb0ELi6EEvPKT_PKT0_S8_ifPKiSA_SA_iPKfiiiPfSD_PS3_PT2_iSC_SC_
		.amdhsa_group_segment_fixed_size 0
		.amdhsa_private_segment_fixed_size 64
		.amdhsa_kernarg_size 400
		.amdhsa_user_sgpr_count 2
		.amdhsa_user_sgpr_dispatch_ptr 0
		.amdhsa_user_sgpr_queue_ptr 0
		.amdhsa_user_sgpr_kernarg_segment_ptr 1
		.amdhsa_user_sgpr_dispatch_id 0
		.amdhsa_user_sgpr_kernarg_preload_length 0
		.amdhsa_user_sgpr_kernarg_preload_offset 0
		.amdhsa_user_sgpr_private_segment_size 0
		.amdhsa_wavefront_size32 1
		.amdhsa_uses_dynamic_stack 0
		.amdhsa_enable_private_segment 1
		.amdhsa_system_sgpr_workgroup_id_x 1
		.amdhsa_system_sgpr_workgroup_id_y 0
		.amdhsa_system_sgpr_workgroup_id_z 0
		.amdhsa_system_sgpr_workgroup_info 0
		.amdhsa_system_vgpr_workitem_id 0
		.amdhsa_next_free_vgpr 51
		.amdhsa_next_free_sgpr 34
		.amdhsa_named_barrier_count 0
		.amdhsa_reserve_vcc 1
		.amdhsa_float_round_mode_32 0
		.amdhsa_float_round_mode_16_64 0
		.amdhsa_float_denorm_mode_32 3
		.amdhsa_float_denorm_mode_16_64 3
		.amdhsa_fp16_overflow 0
		.amdhsa_memory_ordered 1
		.amdhsa_forward_progress 1
		.amdhsa_inst_pref_size 1
		.amdhsa_round_robin_scheduling 0
		.amdhsa_exception_fp_ieee_invalid_op 0
		.amdhsa_exception_fp_denorm_src 0
		.amdhsa_exception_fp_ieee_div_zero 0
		.amdhsa_exception_fp_ieee_overflow 0
		.amdhsa_exception_fp_ieee_underflow 0
		.amdhsa_exception_fp_ieee_inexact 0
		.amdhsa_exception_int_div_zero 0
	.end_amdhsa_kernel
	.section	.text._Z39paged_attention_ll4mi_QKV_mfma16_kernelI14__hip_bfloat16S0_LN4vllm18Fp8KVCacheDataTypeE0EhLi16ELi64ELi256ELb0ELi6EEvPKT_PKT0_S8_ifPKiSA_SA_iPKfiiiPfSD_PS3_PT2_iSC_SC_,"axG",@progbits,_Z39paged_attention_ll4mi_QKV_mfma16_kernelI14__hip_bfloat16S0_LN4vllm18Fp8KVCacheDataTypeE0EhLi16ELi64ELi256ELb0ELi6EEvPKT_PKT0_S8_ifPKiSA_SA_iPKfiiiPfSD_PS3_PT2_iSC_SC_,comdat
.Lfunc_end427:
	.size	_Z39paged_attention_ll4mi_QKV_mfma16_kernelI14__hip_bfloat16S0_LN4vllm18Fp8KVCacheDataTypeE0EhLi16ELi64ELi256ELb0ELi6EEvPKT_PKT0_S8_ifPKiSA_SA_iPKfiiiPfSD_PS3_PT2_iSC_SC_, .Lfunc_end427-_Z39paged_attention_ll4mi_QKV_mfma16_kernelI14__hip_bfloat16S0_LN4vllm18Fp8KVCacheDataTypeE0EhLi16ELi64ELi256ELb0ELi6EEvPKT_PKT0_S8_ifPKiSA_SA_iPKfiiiPfSD_PS3_PT2_iSC_SC_
                                        ; -- End function
	.set _Z39paged_attention_ll4mi_QKV_mfma16_kernelI14__hip_bfloat16S0_LN4vllm18Fp8KVCacheDataTypeE0EhLi16ELi64ELi256ELb0ELi6EEvPKT_PKT0_S8_ifPKiSA_SA_iPKfiiiPfSD_PS3_PT2_iSC_SC_.num_vgpr, max(3, .L__assert_fail.num_vgpr)
	.set _Z39paged_attention_ll4mi_QKV_mfma16_kernelI14__hip_bfloat16S0_LN4vllm18Fp8KVCacheDataTypeE0EhLi16ELi64ELi256ELb0ELi6EEvPKT_PKT0_S8_ifPKiSA_SA_iPKfiiiPfSD_PS3_PT2_iSC_SC_.num_agpr, max(0, .L__assert_fail.num_agpr)
	.set _Z39paged_attention_ll4mi_QKV_mfma16_kernelI14__hip_bfloat16S0_LN4vllm18Fp8KVCacheDataTypeE0EhLi16ELi64ELi256ELb0ELi6EEvPKT_PKT0_S8_ifPKiSA_SA_iPKfiiiPfSD_PS3_PT2_iSC_SC_.numbered_sgpr, max(33, .L__assert_fail.numbered_sgpr)
	.set _Z39paged_attention_ll4mi_QKV_mfma16_kernelI14__hip_bfloat16S0_LN4vllm18Fp8KVCacheDataTypeE0EhLi16ELi64ELi256ELb0ELi6EEvPKT_PKT0_S8_ifPKiSA_SA_iPKfiiiPfSD_PS3_PT2_iSC_SC_.num_named_barrier, max(0, .L__assert_fail.num_named_barrier)
	.set _Z39paged_attention_ll4mi_QKV_mfma16_kernelI14__hip_bfloat16S0_LN4vllm18Fp8KVCacheDataTypeE0EhLi16ELi64ELi256ELb0ELi6EEvPKT_PKT0_S8_ifPKiSA_SA_iPKfiiiPfSD_PS3_PT2_iSC_SC_.private_seg_size, 0+max(.L__assert_fail.private_seg_size)
	.set _Z39paged_attention_ll4mi_QKV_mfma16_kernelI14__hip_bfloat16S0_LN4vllm18Fp8KVCacheDataTypeE0EhLi16ELi64ELi256ELb0ELi6EEvPKT_PKT0_S8_ifPKiSA_SA_iPKfiiiPfSD_PS3_PT2_iSC_SC_.uses_vcc, or(1, .L__assert_fail.uses_vcc)
	.set _Z39paged_attention_ll4mi_QKV_mfma16_kernelI14__hip_bfloat16S0_LN4vllm18Fp8KVCacheDataTypeE0EhLi16ELi64ELi256ELb0ELi6EEvPKT_PKT0_S8_ifPKiSA_SA_iPKfiiiPfSD_PS3_PT2_iSC_SC_.uses_flat_scratch, or(0, .L__assert_fail.uses_flat_scratch)
	.set _Z39paged_attention_ll4mi_QKV_mfma16_kernelI14__hip_bfloat16S0_LN4vllm18Fp8KVCacheDataTypeE0EhLi16ELi64ELi256ELb0ELi6EEvPKT_PKT0_S8_ifPKiSA_SA_iPKfiiiPfSD_PS3_PT2_iSC_SC_.has_dyn_sized_stack, or(0, .L__assert_fail.has_dyn_sized_stack)
	.set _Z39paged_attention_ll4mi_QKV_mfma16_kernelI14__hip_bfloat16S0_LN4vllm18Fp8KVCacheDataTypeE0EhLi16ELi64ELi256ELb0ELi6EEvPKT_PKT0_S8_ifPKiSA_SA_iPKfiiiPfSD_PS3_PT2_iSC_SC_.has_recursion, or(0, .L__assert_fail.has_recursion)
	.set _Z39paged_attention_ll4mi_QKV_mfma16_kernelI14__hip_bfloat16S0_LN4vllm18Fp8KVCacheDataTypeE0EhLi16ELi64ELi256ELb0ELi6EEvPKT_PKT0_S8_ifPKiSA_SA_iPKfiiiPfSD_PS3_PT2_iSC_SC_.has_indirect_call, or(0, .L__assert_fail.has_indirect_call)
	.section	.AMDGPU.csdata,"",@progbits
; Kernel info:
; codeLenInByte = 68
; TotalNumSgprs: 36
; NumVgprs: 51
; ScratchSize: 64
; MemoryBound: 0
; FloatMode: 240
; IeeeMode: 1
; LDSByteSize: 0 bytes/workgroup (compile time only)
; SGPRBlocks: 0
; VGPRBlocks: 3
; NumSGPRsForWavesPerEU: 36
; NumVGPRsForWavesPerEU: 51
; NamedBarCnt: 0
; Occupancy: 16
; WaveLimiterHint : 1
; COMPUTE_PGM_RSRC2:SCRATCH_EN: 1
; COMPUTE_PGM_RSRC2:USER_SGPR: 2
; COMPUTE_PGM_RSRC2:TRAP_HANDLER: 0
; COMPUTE_PGM_RSRC2:TGID_X_EN: 1
; COMPUTE_PGM_RSRC2:TGID_Y_EN: 0
; COMPUTE_PGM_RSRC2:TGID_Z_EN: 0
; COMPUTE_PGM_RSRC2:TIDIG_COMP_CNT: 0
	.section	.text._Z39paged_attention_ll4mi_QKV_mfma16_kernelI14__hip_bfloat16S0_LN4vllm18Fp8KVCacheDataTypeE0EhLi16ELi64ELi256ELb0ELi7EEvPKT_PKT0_S8_ifPKiSA_SA_iPKfiiiPfSD_PS3_PT2_iSC_SC_,"axG",@progbits,_Z39paged_attention_ll4mi_QKV_mfma16_kernelI14__hip_bfloat16S0_LN4vllm18Fp8KVCacheDataTypeE0EhLi16ELi64ELi256ELb0ELi7EEvPKT_PKT0_S8_ifPKiSA_SA_iPKfiiiPfSD_PS3_PT2_iSC_SC_,comdat
	.protected	_Z39paged_attention_ll4mi_QKV_mfma16_kernelI14__hip_bfloat16S0_LN4vllm18Fp8KVCacheDataTypeE0EhLi16ELi64ELi256ELb0ELi7EEvPKT_PKT0_S8_ifPKiSA_SA_iPKfiiiPfSD_PS3_PT2_iSC_SC_ ; -- Begin function _Z39paged_attention_ll4mi_QKV_mfma16_kernelI14__hip_bfloat16S0_LN4vllm18Fp8KVCacheDataTypeE0EhLi16ELi64ELi256ELb0ELi7EEvPKT_PKT0_S8_ifPKiSA_SA_iPKfiiiPfSD_PS3_PT2_iSC_SC_
	.globl	_Z39paged_attention_ll4mi_QKV_mfma16_kernelI14__hip_bfloat16S0_LN4vllm18Fp8KVCacheDataTypeE0EhLi16ELi64ELi256ELb0ELi7EEvPKT_PKT0_S8_ifPKiSA_SA_iPKfiiiPfSD_PS3_PT2_iSC_SC_
	.p2align	8
	.type	_Z39paged_attention_ll4mi_QKV_mfma16_kernelI14__hip_bfloat16S0_LN4vllm18Fp8KVCacheDataTypeE0EhLi16ELi64ELi256ELb0ELi7EEvPKT_PKT0_S8_ifPKiSA_SA_iPKfiiiPfSD_PS3_PT2_iSC_SC_,@function
_Z39paged_attention_ll4mi_QKV_mfma16_kernelI14__hip_bfloat16S0_LN4vllm18Fp8KVCacheDataTypeE0EhLi16ELi64ELi256ELb0ELi7EEvPKT_PKT0_S8_ifPKiSA_SA_iPKfiiiPfSD_PS3_PT2_iSC_SC_: ; @_Z39paged_attention_ll4mi_QKV_mfma16_kernelI14__hip_bfloat16S0_LN4vllm18Fp8KVCacheDataTypeE0EhLi16ELi64ELi256ELb0ELi7EEvPKT_PKT0_S8_ifPKiSA_SA_iPKfiiiPfSD_PS3_PT2_iSC_SC_
; %bb.0:
	s_get_pc_i64 s[2:3]
	s_add_nc_u64 s[2:3], s[2:3], __PRETTY_FUNCTION__._Z39paged_attention_ll4mi_QKV_mfma16_kernelI14__hip_bfloat16S0_LN4vllm18Fp8KVCacheDataTypeE0EhLi16ELi64ELi256ELb0ELi7EEvPKT_PKT0_S8_ifPKiSA_SA_iPKfiiiPfSD_PS3_PT2_iSC_SC_@rel64+4
	s_delay_alu instid0(SALU_CYCLE_1)
	v_dual_mov_b32 v0, 0xbb3 :: v_dual_mov_b32 v1, s2
	v_mov_b32_e32 v2, s3
	s_add_nc_u64 s[8:9], s[0:1], 0x90
	s_get_pc_i64 s[0:1]
	s_add_nc_u64 s[0:1], s[0:1], __assert_fail@rel64+4
	s_mov_b32 s32, 0
	s_swap_pc_i64 s[30:31], s[0:1]
	.section	.rodata,"a",@progbits
	.p2align	6, 0x0
	.amdhsa_kernel _Z39paged_attention_ll4mi_QKV_mfma16_kernelI14__hip_bfloat16S0_LN4vllm18Fp8KVCacheDataTypeE0EhLi16ELi64ELi256ELb0ELi7EEvPKT_PKT0_S8_ifPKiSA_SA_iPKfiiiPfSD_PS3_PT2_iSC_SC_
		.amdhsa_group_segment_fixed_size 0
		.amdhsa_private_segment_fixed_size 64
		.amdhsa_kernarg_size 400
		.amdhsa_user_sgpr_count 2
		.amdhsa_user_sgpr_dispatch_ptr 0
		.amdhsa_user_sgpr_queue_ptr 0
		.amdhsa_user_sgpr_kernarg_segment_ptr 1
		.amdhsa_user_sgpr_dispatch_id 0
		.amdhsa_user_sgpr_kernarg_preload_length 0
		.amdhsa_user_sgpr_kernarg_preload_offset 0
		.amdhsa_user_sgpr_private_segment_size 0
		.amdhsa_wavefront_size32 1
		.amdhsa_uses_dynamic_stack 0
		.amdhsa_enable_private_segment 1
		.amdhsa_system_sgpr_workgroup_id_x 1
		.amdhsa_system_sgpr_workgroup_id_y 0
		.amdhsa_system_sgpr_workgroup_id_z 0
		.amdhsa_system_sgpr_workgroup_info 0
		.amdhsa_system_vgpr_workitem_id 0
		.amdhsa_next_free_vgpr 51
		.amdhsa_next_free_sgpr 34
		.amdhsa_named_barrier_count 0
		.amdhsa_reserve_vcc 1
		.amdhsa_float_round_mode_32 0
		.amdhsa_float_round_mode_16_64 0
		.amdhsa_float_denorm_mode_32 3
		.amdhsa_float_denorm_mode_16_64 3
		.amdhsa_fp16_overflow 0
		.amdhsa_memory_ordered 1
		.amdhsa_forward_progress 1
		.amdhsa_inst_pref_size 1
		.amdhsa_round_robin_scheduling 0
		.amdhsa_exception_fp_ieee_invalid_op 0
		.amdhsa_exception_fp_denorm_src 0
		.amdhsa_exception_fp_ieee_div_zero 0
		.amdhsa_exception_fp_ieee_overflow 0
		.amdhsa_exception_fp_ieee_underflow 0
		.amdhsa_exception_fp_ieee_inexact 0
		.amdhsa_exception_int_div_zero 0
	.end_amdhsa_kernel
	.section	.text._Z39paged_attention_ll4mi_QKV_mfma16_kernelI14__hip_bfloat16S0_LN4vllm18Fp8KVCacheDataTypeE0EhLi16ELi64ELi256ELb0ELi7EEvPKT_PKT0_S8_ifPKiSA_SA_iPKfiiiPfSD_PS3_PT2_iSC_SC_,"axG",@progbits,_Z39paged_attention_ll4mi_QKV_mfma16_kernelI14__hip_bfloat16S0_LN4vllm18Fp8KVCacheDataTypeE0EhLi16ELi64ELi256ELb0ELi7EEvPKT_PKT0_S8_ifPKiSA_SA_iPKfiiiPfSD_PS3_PT2_iSC_SC_,comdat
.Lfunc_end428:
	.size	_Z39paged_attention_ll4mi_QKV_mfma16_kernelI14__hip_bfloat16S0_LN4vllm18Fp8KVCacheDataTypeE0EhLi16ELi64ELi256ELb0ELi7EEvPKT_PKT0_S8_ifPKiSA_SA_iPKfiiiPfSD_PS3_PT2_iSC_SC_, .Lfunc_end428-_Z39paged_attention_ll4mi_QKV_mfma16_kernelI14__hip_bfloat16S0_LN4vllm18Fp8KVCacheDataTypeE0EhLi16ELi64ELi256ELb0ELi7EEvPKT_PKT0_S8_ifPKiSA_SA_iPKfiiiPfSD_PS3_PT2_iSC_SC_
                                        ; -- End function
	.set _Z39paged_attention_ll4mi_QKV_mfma16_kernelI14__hip_bfloat16S0_LN4vllm18Fp8KVCacheDataTypeE0EhLi16ELi64ELi256ELb0ELi7EEvPKT_PKT0_S8_ifPKiSA_SA_iPKfiiiPfSD_PS3_PT2_iSC_SC_.num_vgpr, max(3, .L__assert_fail.num_vgpr)
	.set _Z39paged_attention_ll4mi_QKV_mfma16_kernelI14__hip_bfloat16S0_LN4vllm18Fp8KVCacheDataTypeE0EhLi16ELi64ELi256ELb0ELi7EEvPKT_PKT0_S8_ifPKiSA_SA_iPKfiiiPfSD_PS3_PT2_iSC_SC_.num_agpr, max(0, .L__assert_fail.num_agpr)
	.set _Z39paged_attention_ll4mi_QKV_mfma16_kernelI14__hip_bfloat16S0_LN4vllm18Fp8KVCacheDataTypeE0EhLi16ELi64ELi256ELb0ELi7EEvPKT_PKT0_S8_ifPKiSA_SA_iPKfiiiPfSD_PS3_PT2_iSC_SC_.numbered_sgpr, max(33, .L__assert_fail.numbered_sgpr)
	.set _Z39paged_attention_ll4mi_QKV_mfma16_kernelI14__hip_bfloat16S0_LN4vllm18Fp8KVCacheDataTypeE0EhLi16ELi64ELi256ELb0ELi7EEvPKT_PKT0_S8_ifPKiSA_SA_iPKfiiiPfSD_PS3_PT2_iSC_SC_.num_named_barrier, max(0, .L__assert_fail.num_named_barrier)
	.set _Z39paged_attention_ll4mi_QKV_mfma16_kernelI14__hip_bfloat16S0_LN4vllm18Fp8KVCacheDataTypeE0EhLi16ELi64ELi256ELb0ELi7EEvPKT_PKT0_S8_ifPKiSA_SA_iPKfiiiPfSD_PS3_PT2_iSC_SC_.private_seg_size, 0+max(.L__assert_fail.private_seg_size)
	.set _Z39paged_attention_ll4mi_QKV_mfma16_kernelI14__hip_bfloat16S0_LN4vllm18Fp8KVCacheDataTypeE0EhLi16ELi64ELi256ELb0ELi7EEvPKT_PKT0_S8_ifPKiSA_SA_iPKfiiiPfSD_PS3_PT2_iSC_SC_.uses_vcc, or(1, .L__assert_fail.uses_vcc)
	.set _Z39paged_attention_ll4mi_QKV_mfma16_kernelI14__hip_bfloat16S0_LN4vllm18Fp8KVCacheDataTypeE0EhLi16ELi64ELi256ELb0ELi7EEvPKT_PKT0_S8_ifPKiSA_SA_iPKfiiiPfSD_PS3_PT2_iSC_SC_.uses_flat_scratch, or(0, .L__assert_fail.uses_flat_scratch)
	.set _Z39paged_attention_ll4mi_QKV_mfma16_kernelI14__hip_bfloat16S0_LN4vllm18Fp8KVCacheDataTypeE0EhLi16ELi64ELi256ELb0ELi7EEvPKT_PKT0_S8_ifPKiSA_SA_iPKfiiiPfSD_PS3_PT2_iSC_SC_.has_dyn_sized_stack, or(0, .L__assert_fail.has_dyn_sized_stack)
	.set _Z39paged_attention_ll4mi_QKV_mfma16_kernelI14__hip_bfloat16S0_LN4vllm18Fp8KVCacheDataTypeE0EhLi16ELi64ELi256ELb0ELi7EEvPKT_PKT0_S8_ifPKiSA_SA_iPKfiiiPfSD_PS3_PT2_iSC_SC_.has_recursion, or(0, .L__assert_fail.has_recursion)
	.set _Z39paged_attention_ll4mi_QKV_mfma16_kernelI14__hip_bfloat16S0_LN4vllm18Fp8KVCacheDataTypeE0EhLi16ELi64ELi256ELb0ELi7EEvPKT_PKT0_S8_ifPKiSA_SA_iPKfiiiPfSD_PS3_PT2_iSC_SC_.has_indirect_call, or(0, .L__assert_fail.has_indirect_call)
	.section	.AMDGPU.csdata,"",@progbits
; Kernel info:
; codeLenInByte = 68
; TotalNumSgprs: 36
; NumVgprs: 51
; ScratchSize: 64
; MemoryBound: 0
; FloatMode: 240
; IeeeMode: 1
; LDSByteSize: 0 bytes/workgroup (compile time only)
; SGPRBlocks: 0
; VGPRBlocks: 3
; NumSGPRsForWavesPerEU: 36
; NumVGPRsForWavesPerEU: 51
; NamedBarCnt: 0
; Occupancy: 16
; WaveLimiterHint : 1
; COMPUTE_PGM_RSRC2:SCRATCH_EN: 1
; COMPUTE_PGM_RSRC2:USER_SGPR: 2
; COMPUTE_PGM_RSRC2:TRAP_HANDLER: 0
; COMPUTE_PGM_RSRC2:TGID_X_EN: 1
; COMPUTE_PGM_RSRC2:TGID_Y_EN: 0
; COMPUTE_PGM_RSRC2:TGID_Z_EN: 0
; COMPUTE_PGM_RSRC2:TIDIG_COMP_CNT: 0
	.section	.text._Z39paged_attention_ll4mi_QKV_mfma16_kernelI14__hip_bfloat16S0_LN4vllm18Fp8KVCacheDataTypeE0EhLi16ELi64ELi256ELb0ELi8EEvPKT_PKT0_S8_ifPKiSA_SA_iPKfiiiPfSD_PS3_PT2_iSC_SC_,"axG",@progbits,_Z39paged_attention_ll4mi_QKV_mfma16_kernelI14__hip_bfloat16S0_LN4vllm18Fp8KVCacheDataTypeE0EhLi16ELi64ELi256ELb0ELi8EEvPKT_PKT0_S8_ifPKiSA_SA_iPKfiiiPfSD_PS3_PT2_iSC_SC_,comdat
	.protected	_Z39paged_attention_ll4mi_QKV_mfma16_kernelI14__hip_bfloat16S0_LN4vllm18Fp8KVCacheDataTypeE0EhLi16ELi64ELi256ELb0ELi8EEvPKT_PKT0_S8_ifPKiSA_SA_iPKfiiiPfSD_PS3_PT2_iSC_SC_ ; -- Begin function _Z39paged_attention_ll4mi_QKV_mfma16_kernelI14__hip_bfloat16S0_LN4vllm18Fp8KVCacheDataTypeE0EhLi16ELi64ELi256ELb0ELi8EEvPKT_PKT0_S8_ifPKiSA_SA_iPKfiiiPfSD_PS3_PT2_iSC_SC_
	.globl	_Z39paged_attention_ll4mi_QKV_mfma16_kernelI14__hip_bfloat16S0_LN4vllm18Fp8KVCacheDataTypeE0EhLi16ELi64ELi256ELb0ELi8EEvPKT_PKT0_S8_ifPKiSA_SA_iPKfiiiPfSD_PS3_PT2_iSC_SC_
	.p2align	8
	.type	_Z39paged_attention_ll4mi_QKV_mfma16_kernelI14__hip_bfloat16S0_LN4vllm18Fp8KVCacheDataTypeE0EhLi16ELi64ELi256ELb0ELi8EEvPKT_PKT0_S8_ifPKiSA_SA_iPKfiiiPfSD_PS3_PT2_iSC_SC_,@function
_Z39paged_attention_ll4mi_QKV_mfma16_kernelI14__hip_bfloat16S0_LN4vllm18Fp8KVCacheDataTypeE0EhLi16ELi64ELi256ELb0ELi8EEvPKT_PKT0_S8_ifPKiSA_SA_iPKfiiiPfSD_PS3_PT2_iSC_SC_: ; @_Z39paged_attention_ll4mi_QKV_mfma16_kernelI14__hip_bfloat16S0_LN4vllm18Fp8KVCacheDataTypeE0EhLi16ELi64ELi256ELb0ELi8EEvPKT_PKT0_S8_ifPKiSA_SA_iPKfiiiPfSD_PS3_PT2_iSC_SC_
; %bb.0:
	s_get_pc_i64 s[2:3]
	s_add_nc_u64 s[2:3], s[2:3], __PRETTY_FUNCTION__._Z39paged_attention_ll4mi_QKV_mfma16_kernelI14__hip_bfloat16S0_LN4vllm18Fp8KVCacheDataTypeE0EhLi16ELi64ELi256ELb0ELi8EEvPKT_PKT0_S8_ifPKiSA_SA_iPKfiiiPfSD_PS3_PT2_iSC_SC_@rel64+4
	s_delay_alu instid0(SALU_CYCLE_1)
	v_dual_mov_b32 v0, 0xbb3 :: v_dual_mov_b32 v1, s2
	v_mov_b32_e32 v2, s3
	s_add_nc_u64 s[8:9], s[0:1], 0x90
	s_get_pc_i64 s[0:1]
	s_add_nc_u64 s[0:1], s[0:1], __assert_fail@rel64+4
	s_mov_b32 s32, 0
	s_swap_pc_i64 s[30:31], s[0:1]
	.section	.rodata,"a",@progbits
	.p2align	6, 0x0
	.amdhsa_kernel _Z39paged_attention_ll4mi_QKV_mfma16_kernelI14__hip_bfloat16S0_LN4vllm18Fp8KVCacheDataTypeE0EhLi16ELi64ELi256ELb0ELi8EEvPKT_PKT0_S8_ifPKiSA_SA_iPKfiiiPfSD_PS3_PT2_iSC_SC_
		.amdhsa_group_segment_fixed_size 0
		.amdhsa_private_segment_fixed_size 64
		.amdhsa_kernarg_size 400
		.amdhsa_user_sgpr_count 2
		.amdhsa_user_sgpr_dispatch_ptr 0
		.amdhsa_user_sgpr_queue_ptr 0
		.amdhsa_user_sgpr_kernarg_segment_ptr 1
		.amdhsa_user_sgpr_dispatch_id 0
		.amdhsa_user_sgpr_kernarg_preload_length 0
		.amdhsa_user_sgpr_kernarg_preload_offset 0
		.amdhsa_user_sgpr_private_segment_size 0
		.amdhsa_wavefront_size32 1
		.amdhsa_uses_dynamic_stack 0
		.amdhsa_enable_private_segment 1
		.amdhsa_system_sgpr_workgroup_id_x 1
		.amdhsa_system_sgpr_workgroup_id_y 0
		.amdhsa_system_sgpr_workgroup_id_z 0
		.amdhsa_system_sgpr_workgroup_info 0
		.amdhsa_system_vgpr_workitem_id 0
		.amdhsa_next_free_vgpr 51
		.amdhsa_next_free_sgpr 34
		.amdhsa_named_barrier_count 0
		.amdhsa_reserve_vcc 1
		.amdhsa_float_round_mode_32 0
		.amdhsa_float_round_mode_16_64 0
		.amdhsa_float_denorm_mode_32 3
		.amdhsa_float_denorm_mode_16_64 3
		.amdhsa_fp16_overflow 0
		.amdhsa_memory_ordered 1
		.amdhsa_forward_progress 1
		.amdhsa_inst_pref_size 1
		.amdhsa_round_robin_scheduling 0
		.amdhsa_exception_fp_ieee_invalid_op 0
		.amdhsa_exception_fp_denorm_src 0
		.amdhsa_exception_fp_ieee_div_zero 0
		.amdhsa_exception_fp_ieee_overflow 0
		.amdhsa_exception_fp_ieee_underflow 0
		.amdhsa_exception_fp_ieee_inexact 0
		.amdhsa_exception_int_div_zero 0
	.end_amdhsa_kernel
	.section	.text._Z39paged_attention_ll4mi_QKV_mfma16_kernelI14__hip_bfloat16S0_LN4vllm18Fp8KVCacheDataTypeE0EhLi16ELi64ELi256ELb0ELi8EEvPKT_PKT0_S8_ifPKiSA_SA_iPKfiiiPfSD_PS3_PT2_iSC_SC_,"axG",@progbits,_Z39paged_attention_ll4mi_QKV_mfma16_kernelI14__hip_bfloat16S0_LN4vllm18Fp8KVCacheDataTypeE0EhLi16ELi64ELi256ELb0ELi8EEvPKT_PKT0_S8_ifPKiSA_SA_iPKfiiiPfSD_PS3_PT2_iSC_SC_,comdat
.Lfunc_end429:
	.size	_Z39paged_attention_ll4mi_QKV_mfma16_kernelI14__hip_bfloat16S0_LN4vllm18Fp8KVCacheDataTypeE0EhLi16ELi64ELi256ELb0ELi8EEvPKT_PKT0_S8_ifPKiSA_SA_iPKfiiiPfSD_PS3_PT2_iSC_SC_, .Lfunc_end429-_Z39paged_attention_ll4mi_QKV_mfma16_kernelI14__hip_bfloat16S0_LN4vllm18Fp8KVCacheDataTypeE0EhLi16ELi64ELi256ELb0ELi8EEvPKT_PKT0_S8_ifPKiSA_SA_iPKfiiiPfSD_PS3_PT2_iSC_SC_
                                        ; -- End function
	.set _Z39paged_attention_ll4mi_QKV_mfma16_kernelI14__hip_bfloat16S0_LN4vllm18Fp8KVCacheDataTypeE0EhLi16ELi64ELi256ELb0ELi8EEvPKT_PKT0_S8_ifPKiSA_SA_iPKfiiiPfSD_PS3_PT2_iSC_SC_.num_vgpr, max(3, .L__assert_fail.num_vgpr)
	.set _Z39paged_attention_ll4mi_QKV_mfma16_kernelI14__hip_bfloat16S0_LN4vllm18Fp8KVCacheDataTypeE0EhLi16ELi64ELi256ELb0ELi8EEvPKT_PKT0_S8_ifPKiSA_SA_iPKfiiiPfSD_PS3_PT2_iSC_SC_.num_agpr, max(0, .L__assert_fail.num_agpr)
	.set _Z39paged_attention_ll4mi_QKV_mfma16_kernelI14__hip_bfloat16S0_LN4vllm18Fp8KVCacheDataTypeE0EhLi16ELi64ELi256ELb0ELi8EEvPKT_PKT0_S8_ifPKiSA_SA_iPKfiiiPfSD_PS3_PT2_iSC_SC_.numbered_sgpr, max(33, .L__assert_fail.numbered_sgpr)
	.set _Z39paged_attention_ll4mi_QKV_mfma16_kernelI14__hip_bfloat16S0_LN4vllm18Fp8KVCacheDataTypeE0EhLi16ELi64ELi256ELb0ELi8EEvPKT_PKT0_S8_ifPKiSA_SA_iPKfiiiPfSD_PS3_PT2_iSC_SC_.num_named_barrier, max(0, .L__assert_fail.num_named_barrier)
	.set _Z39paged_attention_ll4mi_QKV_mfma16_kernelI14__hip_bfloat16S0_LN4vllm18Fp8KVCacheDataTypeE0EhLi16ELi64ELi256ELb0ELi8EEvPKT_PKT0_S8_ifPKiSA_SA_iPKfiiiPfSD_PS3_PT2_iSC_SC_.private_seg_size, 0+max(.L__assert_fail.private_seg_size)
	.set _Z39paged_attention_ll4mi_QKV_mfma16_kernelI14__hip_bfloat16S0_LN4vllm18Fp8KVCacheDataTypeE0EhLi16ELi64ELi256ELb0ELi8EEvPKT_PKT0_S8_ifPKiSA_SA_iPKfiiiPfSD_PS3_PT2_iSC_SC_.uses_vcc, or(1, .L__assert_fail.uses_vcc)
	.set _Z39paged_attention_ll4mi_QKV_mfma16_kernelI14__hip_bfloat16S0_LN4vllm18Fp8KVCacheDataTypeE0EhLi16ELi64ELi256ELb0ELi8EEvPKT_PKT0_S8_ifPKiSA_SA_iPKfiiiPfSD_PS3_PT2_iSC_SC_.uses_flat_scratch, or(0, .L__assert_fail.uses_flat_scratch)
	.set _Z39paged_attention_ll4mi_QKV_mfma16_kernelI14__hip_bfloat16S0_LN4vllm18Fp8KVCacheDataTypeE0EhLi16ELi64ELi256ELb0ELi8EEvPKT_PKT0_S8_ifPKiSA_SA_iPKfiiiPfSD_PS3_PT2_iSC_SC_.has_dyn_sized_stack, or(0, .L__assert_fail.has_dyn_sized_stack)
	.set _Z39paged_attention_ll4mi_QKV_mfma16_kernelI14__hip_bfloat16S0_LN4vllm18Fp8KVCacheDataTypeE0EhLi16ELi64ELi256ELb0ELi8EEvPKT_PKT0_S8_ifPKiSA_SA_iPKfiiiPfSD_PS3_PT2_iSC_SC_.has_recursion, or(0, .L__assert_fail.has_recursion)
	.set _Z39paged_attention_ll4mi_QKV_mfma16_kernelI14__hip_bfloat16S0_LN4vllm18Fp8KVCacheDataTypeE0EhLi16ELi64ELi256ELb0ELi8EEvPKT_PKT0_S8_ifPKiSA_SA_iPKfiiiPfSD_PS3_PT2_iSC_SC_.has_indirect_call, or(0, .L__assert_fail.has_indirect_call)
	.section	.AMDGPU.csdata,"",@progbits
; Kernel info:
; codeLenInByte = 68
; TotalNumSgprs: 36
; NumVgprs: 51
; ScratchSize: 64
; MemoryBound: 0
; FloatMode: 240
; IeeeMode: 1
; LDSByteSize: 0 bytes/workgroup (compile time only)
; SGPRBlocks: 0
; VGPRBlocks: 3
; NumSGPRsForWavesPerEU: 36
; NumVGPRsForWavesPerEU: 51
; NamedBarCnt: 0
; Occupancy: 16
; WaveLimiterHint : 1
; COMPUTE_PGM_RSRC2:SCRATCH_EN: 1
; COMPUTE_PGM_RSRC2:USER_SGPR: 2
; COMPUTE_PGM_RSRC2:TRAP_HANDLER: 0
; COMPUTE_PGM_RSRC2:TGID_X_EN: 1
; COMPUTE_PGM_RSRC2:TGID_Y_EN: 0
; COMPUTE_PGM_RSRC2:TGID_Z_EN: 0
; COMPUTE_PGM_RSRC2:TIDIG_COMP_CNT: 0
	.section	.text._Z39paged_attention_ll4mi_QKV_mfma16_kernelI14__hip_bfloat16S0_LN4vllm18Fp8KVCacheDataTypeE0EhLi16ELi64ELi256ELb0ELi9EEvPKT_PKT0_S8_ifPKiSA_SA_iPKfiiiPfSD_PS3_PT2_iSC_SC_,"axG",@progbits,_Z39paged_attention_ll4mi_QKV_mfma16_kernelI14__hip_bfloat16S0_LN4vllm18Fp8KVCacheDataTypeE0EhLi16ELi64ELi256ELb0ELi9EEvPKT_PKT0_S8_ifPKiSA_SA_iPKfiiiPfSD_PS3_PT2_iSC_SC_,comdat
	.protected	_Z39paged_attention_ll4mi_QKV_mfma16_kernelI14__hip_bfloat16S0_LN4vllm18Fp8KVCacheDataTypeE0EhLi16ELi64ELi256ELb0ELi9EEvPKT_PKT0_S8_ifPKiSA_SA_iPKfiiiPfSD_PS3_PT2_iSC_SC_ ; -- Begin function _Z39paged_attention_ll4mi_QKV_mfma16_kernelI14__hip_bfloat16S0_LN4vllm18Fp8KVCacheDataTypeE0EhLi16ELi64ELi256ELb0ELi9EEvPKT_PKT0_S8_ifPKiSA_SA_iPKfiiiPfSD_PS3_PT2_iSC_SC_
	.globl	_Z39paged_attention_ll4mi_QKV_mfma16_kernelI14__hip_bfloat16S0_LN4vllm18Fp8KVCacheDataTypeE0EhLi16ELi64ELi256ELb0ELi9EEvPKT_PKT0_S8_ifPKiSA_SA_iPKfiiiPfSD_PS3_PT2_iSC_SC_
	.p2align	8
	.type	_Z39paged_attention_ll4mi_QKV_mfma16_kernelI14__hip_bfloat16S0_LN4vllm18Fp8KVCacheDataTypeE0EhLi16ELi64ELi256ELb0ELi9EEvPKT_PKT0_S8_ifPKiSA_SA_iPKfiiiPfSD_PS3_PT2_iSC_SC_,@function
_Z39paged_attention_ll4mi_QKV_mfma16_kernelI14__hip_bfloat16S0_LN4vllm18Fp8KVCacheDataTypeE0EhLi16ELi64ELi256ELb0ELi9EEvPKT_PKT0_S8_ifPKiSA_SA_iPKfiiiPfSD_PS3_PT2_iSC_SC_: ; @_Z39paged_attention_ll4mi_QKV_mfma16_kernelI14__hip_bfloat16S0_LN4vllm18Fp8KVCacheDataTypeE0EhLi16ELi64ELi256ELb0ELi9EEvPKT_PKT0_S8_ifPKiSA_SA_iPKfiiiPfSD_PS3_PT2_iSC_SC_
; %bb.0:
	s_get_pc_i64 s[2:3]
	s_add_nc_u64 s[2:3], s[2:3], __PRETTY_FUNCTION__._Z39paged_attention_ll4mi_QKV_mfma16_kernelI14__hip_bfloat16S0_LN4vllm18Fp8KVCacheDataTypeE0EhLi16ELi64ELi256ELb0ELi9EEvPKT_PKT0_S8_ifPKiSA_SA_iPKfiiiPfSD_PS3_PT2_iSC_SC_@rel64+4
	s_delay_alu instid0(SALU_CYCLE_1)
	v_dual_mov_b32 v0, 0xbb3 :: v_dual_mov_b32 v1, s2
	v_mov_b32_e32 v2, s3
	s_add_nc_u64 s[8:9], s[0:1], 0x90
	s_get_pc_i64 s[0:1]
	s_add_nc_u64 s[0:1], s[0:1], __assert_fail@rel64+4
	s_mov_b32 s32, 0
	s_swap_pc_i64 s[30:31], s[0:1]
	.section	.rodata,"a",@progbits
	.p2align	6, 0x0
	.amdhsa_kernel _Z39paged_attention_ll4mi_QKV_mfma16_kernelI14__hip_bfloat16S0_LN4vllm18Fp8KVCacheDataTypeE0EhLi16ELi64ELi256ELb0ELi9EEvPKT_PKT0_S8_ifPKiSA_SA_iPKfiiiPfSD_PS3_PT2_iSC_SC_
		.amdhsa_group_segment_fixed_size 0
		.amdhsa_private_segment_fixed_size 64
		.amdhsa_kernarg_size 400
		.amdhsa_user_sgpr_count 2
		.amdhsa_user_sgpr_dispatch_ptr 0
		.amdhsa_user_sgpr_queue_ptr 0
		.amdhsa_user_sgpr_kernarg_segment_ptr 1
		.amdhsa_user_sgpr_dispatch_id 0
		.amdhsa_user_sgpr_kernarg_preload_length 0
		.amdhsa_user_sgpr_kernarg_preload_offset 0
		.amdhsa_user_sgpr_private_segment_size 0
		.amdhsa_wavefront_size32 1
		.amdhsa_uses_dynamic_stack 0
		.amdhsa_enable_private_segment 1
		.amdhsa_system_sgpr_workgroup_id_x 1
		.amdhsa_system_sgpr_workgroup_id_y 0
		.amdhsa_system_sgpr_workgroup_id_z 0
		.amdhsa_system_sgpr_workgroup_info 0
		.amdhsa_system_vgpr_workitem_id 0
		.amdhsa_next_free_vgpr 51
		.amdhsa_next_free_sgpr 34
		.amdhsa_named_barrier_count 0
		.amdhsa_reserve_vcc 1
		.amdhsa_float_round_mode_32 0
		.amdhsa_float_round_mode_16_64 0
		.amdhsa_float_denorm_mode_32 3
		.amdhsa_float_denorm_mode_16_64 3
		.amdhsa_fp16_overflow 0
		.amdhsa_memory_ordered 1
		.amdhsa_forward_progress 1
		.amdhsa_inst_pref_size 1
		.amdhsa_round_robin_scheduling 0
		.amdhsa_exception_fp_ieee_invalid_op 0
		.amdhsa_exception_fp_denorm_src 0
		.amdhsa_exception_fp_ieee_div_zero 0
		.amdhsa_exception_fp_ieee_overflow 0
		.amdhsa_exception_fp_ieee_underflow 0
		.amdhsa_exception_fp_ieee_inexact 0
		.amdhsa_exception_int_div_zero 0
	.end_amdhsa_kernel
	.section	.text._Z39paged_attention_ll4mi_QKV_mfma16_kernelI14__hip_bfloat16S0_LN4vllm18Fp8KVCacheDataTypeE0EhLi16ELi64ELi256ELb0ELi9EEvPKT_PKT0_S8_ifPKiSA_SA_iPKfiiiPfSD_PS3_PT2_iSC_SC_,"axG",@progbits,_Z39paged_attention_ll4mi_QKV_mfma16_kernelI14__hip_bfloat16S0_LN4vllm18Fp8KVCacheDataTypeE0EhLi16ELi64ELi256ELb0ELi9EEvPKT_PKT0_S8_ifPKiSA_SA_iPKfiiiPfSD_PS3_PT2_iSC_SC_,comdat
.Lfunc_end430:
	.size	_Z39paged_attention_ll4mi_QKV_mfma16_kernelI14__hip_bfloat16S0_LN4vllm18Fp8KVCacheDataTypeE0EhLi16ELi64ELi256ELb0ELi9EEvPKT_PKT0_S8_ifPKiSA_SA_iPKfiiiPfSD_PS3_PT2_iSC_SC_, .Lfunc_end430-_Z39paged_attention_ll4mi_QKV_mfma16_kernelI14__hip_bfloat16S0_LN4vllm18Fp8KVCacheDataTypeE0EhLi16ELi64ELi256ELb0ELi9EEvPKT_PKT0_S8_ifPKiSA_SA_iPKfiiiPfSD_PS3_PT2_iSC_SC_
                                        ; -- End function
	.set _Z39paged_attention_ll4mi_QKV_mfma16_kernelI14__hip_bfloat16S0_LN4vllm18Fp8KVCacheDataTypeE0EhLi16ELi64ELi256ELb0ELi9EEvPKT_PKT0_S8_ifPKiSA_SA_iPKfiiiPfSD_PS3_PT2_iSC_SC_.num_vgpr, max(3, .L__assert_fail.num_vgpr)
	.set _Z39paged_attention_ll4mi_QKV_mfma16_kernelI14__hip_bfloat16S0_LN4vllm18Fp8KVCacheDataTypeE0EhLi16ELi64ELi256ELb0ELi9EEvPKT_PKT0_S8_ifPKiSA_SA_iPKfiiiPfSD_PS3_PT2_iSC_SC_.num_agpr, max(0, .L__assert_fail.num_agpr)
	.set _Z39paged_attention_ll4mi_QKV_mfma16_kernelI14__hip_bfloat16S0_LN4vllm18Fp8KVCacheDataTypeE0EhLi16ELi64ELi256ELb0ELi9EEvPKT_PKT0_S8_ifPKiSA_SA_iPKfiiiPfSD_PS3_PT2_iSC_SC_.numbered_sgpr, max(33, .L__assert_fail.numbered_sgpr)
	.set _Z39paged_attention_ll4mi_QKV_mfma16_kernelI14__hip_bfloat16S0_LN4vllm18Fp8KVCacheDataTypeE0EhLi16ELi64ELi256ELb0ELi9EEvPKT_PKT0_S8_ifPKiSA_SA_iPKfiiiPfSD_PS3_PT2_iSC_SC_.num_named_barrier, max(0, .L__assert_fail.num_named_barrier)
	.set _Z39paged_attention_ll4mi_QKV_mfma16_kernelI14__hip_bfloat16S0_LN4vllm18Fp8KVCacheDataTypeE0EhLi16ELi64ELi256ELb0ELi9EEvPKT_PKT0_S8_ifPKiSA_SA_iPKfiiiPfSD_PS3_PT2_iSC_SC_.private_seg_size, 0+max(.L__assert_fail.private_seg_size)
	.set _Z39paged_attention_ll4mi_QKV_mfma16_kernelI14__hip_bfloat16S0_LN4vllm18Fp8KVCacheDataTypeE0EhLi16ELi64ELi256ELb0ELi9EEvPKT_PKT0_S8_ifPKiSA_SA_iPKfiiiPfSD_PS3_PT2_iSC_SC_.uses_vcc, or(1, .L__assert_fail.uses_vcc)
	.set _Z39paged_attention_ll4mi_QKV_mfma16_kernelI14__hip_bfloat16S0_LN4vllm18Fp8KVCacheDataTypeE0EhLi16ELi64ELi256ELb0ELi9EEvPKT_PKT0_S8_ifPKiSA_SA_iPKfiiiPfSD_PS3_PT2_iSC_SC_.uses_flat_scratch, or(0, .L__assert_fail.uses_flat_scratch)
	.set _Z39paged_attention_ll4mi_QKV_mfma16_kernelI14__hip_bfloat16S0_LN4vllm18Fp8KVCacheDataTypeE0EhLi16ELi64ELi256ELb0ELi9EEvPKT_PKT0_S8_ifPKiSA_SA_iPKfiiiPfSD_PS3_PT2_iSC_SC_.has_dyn_sized_stack, or(0, .L__assert_fail.has_dyn_sized_stack)
	.set _Z39paged_attention_ll4mi_QKV_mfma16_kernelI14__hip_bfloat16S0_LN4vllm18Fp8KVCacheDataTypeE0EhLi16ELi64ELi256ELb0ELi9EEvPKT_PKT0_S8_ifPKiSA_SA_iPKfiiiPfSD_PS3_PT2_iSC_SC_.has_recursion, or(0, .L__assert_fail.has_recursion)
	.set _Z39paged_attention_ll4mi_QKV_mfma16_kernelI14__hip_bfloat16S0_LN4vllm18Fp8KVCacheDataTypeE0EhLi16ELi64ELi256ELb0ELi9EEvPKT_PKT0_S8_ifPKiSA_SA_iPKfiiiPfSD_PS3_PT2_iSC_SC_.has_indirect_call, or(0, .L__assert_fail.has_indirect_call)
	.section	.AMDGPU.csdata,"",@progbits
; Kernel info:
; codeLenInByte = 68
; TotalNumSgprs: 36
; NumVgprs: 51
; ScratchSize: 64
; MemoryBound: 0
; FloatMode: 240
; IeeeMode: 1
; LDSByteSize: 0 bytes/workgroup (compile time only)
; SGPRBlocks: 0
; VGPRBlocks: 3
; NumSGPRsForWavesPerEU: 36
; NumVGPRsForWavesPerEU: 51
; NamedBarCnt: 0
; Occupancy: 16
; WaveLimiterHint : 1
; COMPUTE_PGM_RSRC2:SCRATCH_EN: 1
; COMPUTE_PGM_RSRC2:USER_SGPR: 2
; COMPUTE_PGM_RSRC2:TRAP_HANDLER: 0
; COMPUTE_PGM_RSRC2:TGID_X_EN: 1
; COMPUTE_PGM_RSRC2:TGID_Y_EN: 0
; COMPUTE_PGM_RSRC2:TGID_Z_EN: 0
; COMPUTE_PGM_RSRC2:TIDIG_COMP_CNT: 0
	.section	.text._Z39paged_attention_ll4mi_QKV_mfma16_kernelI14__hip_bfloat16S0_LN4vllm18Fp8KVCacheDataTypeE0EhLi16ELi64ELi256ELb0ELi10EEvPKT_PKT0_S8_ifPKiSA_SA_iPKfiiiPfSD_PS3_PT2_iSC_SC_,"axG",@progbits,_Z39paged_attention_ll4mi_QKV_mfma16_kernelI14__hip_bfloat16S0_LN4vllm18Fp8KVCacheDataTypeE0EhLi16ELi64ELi256ELb0ELi10EEvPKT_PKT0_S8_ifPKiSA_SA_iPKfiiiPfSD_PS3_PT2_iSC_SC_,comdat
	.protected	_Z39paged_attention_ll4mi_QKV_mfma16_kernelI14__hip_bfloat16S0_LN4vllm18Fp8KVCacheDataTypeE0EhLi16ELi64ELi256ELb0ELi10EEvPKT_PKT0_S8_ifPKiSA_SA_iPKfiiiPfSD_PS3_PT2_iSC_SC_ ; -- Begin function _Z39paged_attention_ll4mi_QKV_mfma16_kernelI14__hip_bfloat16S0_LN4vllm18Fp8KVCacheDataTypeE0EhLi16ELi64ELi256ELb0ELi10EEvPKT_PKT0_S8_ifPKiSA_SA_iPKfiiiPfSD_PS3_PT2_iSC_SC_
	.globl	_Z39paged_attention_ll4mi_QKV_mfma16_kernelI14__hip_bfloat16S0_LN4vllm18Fp8KVCacheDataTypeE0EhLi16ELi64ELi256ELb0ELi10EEvPKT_PKT0_S8_ifPKiSA_SA_iPKfiiiPfSD_PS3_PT2_iSC_SC_
	.p2align	8
	.type	_Z39paged_attention_ll4mi_QKV_mfma16_kernelI14__hip_bfloat16S0_LN4vllm18Fp8KVCacheDataTypeE0EhLi16ELi64ELi256ELb0ELi10EEvPKT_PKT0_S8_ifPKiSA_SA_iPKfiiiPfSD_PS3_PT2_iSC_SC_,@function
_Z39paged_attention_ll4mi_QKV_mfma16_kernelI14__hip_bfloat16S0_LN4vllm18Fp8KVCacheDataTypeE0EhLi16ELi64ELi256ELb0ELi10EEvPKT_PKT0_S8_ifPKiSA_SA_iPKfiiiPfSD_PS3_PT2_iSC_SC_: ; @_Z39paged_attention_ll4mi_QKV_mfma16_kernelI14__hip_bfloat16S0_LN4vllm18Fp8KVCacheDataTypeE0EhLi16ELi64ELi256ELb0ELi10EEvPKT_PKT0_S8_ifPKiSA_SA_iPKfiiiPfSD_PS3_PT2_iSC_SC_
; %bb.0:
	s_get_pc_i64 s[2:3]
	s_add_nc_u64 s[2:3], s[2:3], __PRETTY_FUNCTION__._Z39paged_attention_ll4mi_QKV_mfma16_kernelI14__hip_bfloat16S0_LN4vllm18Fp8KVCacheDataTypeE0EhLi16ELi64ELi256ELb0ELi10EEvPKT_PKT0_S8_ifPKiSA_SA_iPKfiiiPfSD_PS3_PT2_iSC_SC_@rel64+4
	s_delay_alu instid0(SALU_CYCLE_1)
	v_dual_mov_b32 v0, 0xbb3 :: v_dual_mov_b32 v1, s2
	v_mov_b32_e32 v2, s3
	s_add_nc_u64 s[8:9], s[0:1], 0x90
	s_get_pc_i64 s[0:1]
	s_add_nc_u64 s[0:1], s[0:1], __assert_fail@rel64+4
	s_mov_b32 s32, 0
	s_swap_pc_i64 s[30:31], s[0:1]
	.section	.rodata,"a",@progbits
	.p2align	6, 0x0
	.amdhsa_kernel _Z39paged_attention_ll4mi_QKV_mfma16_kernelI14__hip_bfloat16S0_LN4vllm18Fp8KVCacheDataTypeE0EhLi16ELi64ELi256ELb0ELi10EEvPKT_PKT0_S8_ifPKiSA_SA_iPKfiiiPfSD_PS3_PT2_iSC_SC_
		.amdhsa_group_segment_fixed_size 0
		.amdhsa_private_segment_fixed_size 64
		.amdhsa_kernarg_size 400
		.amdhsa_user_sgpr_count 2
		.amdhsa_user_sgpr_dispatch_ptr 0
		.amdhsa_user_sgpr_queue_ptr 0
		.amdhsa_user_sgpr_kernarg_segment_ptr 1
		.amdhsa_user_sgpr_dispatch_id 0
		.amdhsa_user_sgpr_kernarg_preload_length 0
		.amdhsa_user_sgpr_kernarg_preload_offset 0
		.amdhsa_user_sgpr_private_segment_size 0
		.amdhsa_wavefront_size32 1
		.amdhsa_uses_dynamic_stack 0
		.amdhsa_enable_private_segment 1
		.amdhsa_system_sgpr_workgroup_id_x 1
		.amdhsa_system_sgpr_workgroup_id_y 0
		.amdhsa_system_sgpr_workgroup_id_z 0
		.amdhsa_system_sgpr_workgroup_info 0
		.amdhsa_system_vgpr_workitem_id 0
		.amdhsa_next_free_vgpr 51
		.amdhsa_next_free_sgpr 34
		.amdhsa_named_barrier_count 0
		.amdhsa_reserve_vcc 1
		.amdhsa_float_round_mode_32 0
		.amdhsa_float_round_mode_16_64 0
		.amdhsa_float_denorm_mode_32 3
		.amdhsa_float_denorm_mode_16_64 3
		.amdhsa_fp16_overflow 0
		.amdhsa_memory_ordered 1
		.amdhsa_forward_progress 1
		.amdhsa_inst_pref_size 1
		.amdhsa_round_robin_scheduling 0
		.amdhsa_exception_fp_ieee_invalid_op 0
		.amdhsa_exception_fp_denorm_src 0
		.amdhsa_exception_fp_ieee_div_zero 0
		.amdhsa_exception_fp_ieee_overflow 0
		.amdhsa_exception_fp_ieee_underflow 0
		.amdhsa_exception_fp_ieee_inexact 0
		.amdhsa_exception_int_div_zero 0
	.end_amdhsa_kernel
	.section	.text._Z39paged_attention_ll4mi_QKV_mfma16_kernelI14__hip_bfloat16S0_LN4vllm18Fp8KVCacheDataTypeE0EhLi16ELi64ELi256ELb0ELi10EEvPKT_PKT0_S8_ifPKiSA_SA_iPKfiiiPfSD_PS3_PT2_iSC_SC_,"axG",@progbits,_Z39paged_attention_ll4mi_QKV_mfma16_kernelI14__hip_bfloat16S0_LN4vllm18Fp8KVCacheDataTypeE0EhLi16ELi64ELi256ELb0ELi10EEvPKT_PKT0_S8_ifPKiSA_SA_iPKfiiiPfSD_PS3_PT2_iSC_SC_,comdat
.Lfunc_end431:
	.size	_Z39paged_attention_ll4mi_QKV_mfma16_kernelI14__hip_bfloat16S0_LN4vllm18Fp8KVCacheDataTypeE0EhLi16ELi64ELi256ELb0ELi10EEvPKT_PKT0_S8_ifPKiSA_SA_iPKfiiiPfSD_PS3_PT2_iSC_SC_, .Lfunc_end431-_Z39paged_attention_ll4mi_QKV_mfma16_kernelI14__hip_bfloat16S0_LN4vllm18Fp8KVCacheDataTypeE0EhLi16ELi64ELi256ELb0ELi10EEvPKT_PKT0_S8_ifPKiSA_SA_iPKfiiiPfSD_PS3_PT2_iSC_SC_
                                        ; -- End function
	.set _Z39paged_attention_ll4mi_QKV_mfma16_kernelI14__hip_bfloat16S0_LN4vllm18Fp8KVCacheDataTypeE0EhLi16ELi64ELi256ELb0ELi10EEvPKT_PKT0_S8_ifPKiSA_SA_iPKfiiiPfSD_PS3_PT2_iSC_SC_.num_vgpr, max(3, .L__assert_fail.num_vgpr)
	.set _Z39paged_attention_ll4mi_QKV_mfma16_kernelI14__hip_bfloat16S0_LN4vllm18Fp8KVCacheDataTypeE0EhLi16ELi64ELi256ELb0ELi10EEvPKT_PKT0_S8_ifPKiSA_SA_iPKfiiiPfSD_PS3_PT2_iSC_SC_.num_agpr, max(0, .L__assert_fail.num_agpr)
	.set _Z39paged_attention_ll4mi_QKV_mfma16_kernelI14__hip_bfloat16S0_LN4vllm18Fp8KVCacheDataTypeE0EhLi16ELi64ELi256ELb0ELi10EEvPKT_PKT0_S8_ifPKiSA_SA_iPKfiiiPfSD_PS3_PT2_iSC_SC_.numbered_sgpr, max(33, .L__assert_fail.numbered_sgpr)
	.set _Z39paged_attention_ll4mi_QKV_mfma16_kernelI14__hip_bfloat16S0_LN4vllm18Fp8KVCacheDataTypeE0EhLi16ELi64ELi256ELb0ELi10EEvPKT_PKT0_S8_ifPKiSA_SA_iPKfiiiPfSD_PS3_PT2_iSC_SC_.num_named_barrier, max(0, .L__assert_fail.num_named_barrier)
	.set _Z39paged_attention_ll4mi_QKV_mfma16_kernelI14__hip_bfloat16S0_LN4vllm18Fp8KVCacheDataTypeE0EhLi16ELi64ELi256ELb0ELi10EEvPKT_PKT0_S8_ifPKiSA_SA_iPKfiiiPfSD_PS3_PT2_iSC_SC_.private_seg_size, 0+max(.L__assert_fail.private_seg_size)
	.set _Z39paged_attention_ll4mi_QKV_mfma16_kernelI14__hip_bfloat16S0_LN4vllm18Fp8KVCacheDataTypeE0EhLi16ELi64ELi256ELb0ELi10EEvPKT_PKT0_S8_ifPKiSA_SA_iPKfiiiPfSD_PS3_PT2_iSC_SC_.uses_vcc, or(1, .L__assert_fail.uses_vcc)
	.set _Z39paged_attention_ll4mi_QKV_mfma16_kernelI14__hip_bfloat16S0_LN4vllm18Fp8KVCacheDataTypeE0EhLi16ELi64ELi256ELb0ELi10EEvPKT_PKT0_S8_ifPKiSA_SA_iPKfiiiPfSD_PS3_PT2_iSC_SC_.uses_flat_scratch, or(0, .L__assert_fail.uses_flat_scratch)
	.set _Z39paged_attention_ll4mi_QKV_mfma16_kernelI14__hip_bfloat16S0_LN4vllm18Fp8KVCacheDataTypeE0EhLi16ELi64ELi256ELb0ELi10EEvPKT_PKT0_S8_ifPKiSA_SA_iPKfiiiPfSD_PS3_PT2_iSC_SC_.has_dyn_sized_stack, or(0, .L__assert_fail.has_dyn_sized_stack)
	.set _Z39paged_attention_ll4mi_QKV_mfma16_kernelI14__hip_bfloat16S0_LN4vllm18Fp8KVCacheDataTypeE0EhLi16ELi64ELi256ELb0ELi10EEvPKT_PKT0_S8_ifPKiSA_SA_iPKfiiiPfSD_PS3_PT2_iSC_SC_.has_recursion, or(0, .L__assert_fail.has_recursion)
	.set _Z39paged_attention_ll4mi_QKV_mfma16_kernelI14__hip_bfloat16S0_LN4vllm18Fp8KVCacheDataTypeE0EhLi16ELi64ELi256ELb0ELi10EEvPKT_PKT0_S8_ifPKiSA_SA_iPKfiiiPfSD_PS3_PT2_iSC_SC_.has_indirect_call, or(0, .L__assert_fail.has_indirect_call)
	.section	.AMDGPU.csdata,"",@progbits
; Kernel info:
; codeLenInByte = 68
; TotalNumSgprs: 36
; NumVgprs: 51
; ScratchSize: 64
; MemoryBound: 0
; FloatMode: 240
; IeeeMode: 1
; LDSByteSize: 0 bytes/workgroup (compile time only)
; SGPRBlocks: 0
; VGPRBlocks: 3
; NumSGPRsForWavesPerEU: 36
; NumVGPRsForWavesPerEU: 51
; NamedBarCnt: 0
; Occupancy: 16
; WaveLimiterHint : 1
; COMPUTE_PGM_RSRC2:SCRATCH_EN: 1
; COMPUTE_PGM_RSRC2:USER_SGPR: 2
; COMPUTE_PGM_RSRC2:TRAP_HANDLER: 0
; COMPUTE_PGM_RSRC2:TGID_X_EN: 1
; COMPUTE_PGM_RSRC2:TGID_Y_EN: 0
; COMPUTE_PGM_RSRC2:TGID_Z_EN: 0
; COMPUTE_PGM_RSRC2:TIDIG_COMP_CNT: 0
	.section	.text._Z39paged_attention_ll4mi_QKV_mfma16_kernelI14__hip_bfloat16S0_LN4vllm18Fp8KVCacheDataTypeE0EhLi16ELi64ELi256ELb0ELi11EEvPKT_PKT0_S8_ifPKiSA_SA_iPKfiiiPfSD_PS3_PT2_iSC_SC_,"axG",@progbits,_Z39paged_attention_ll4mi_QKV_mfma16_kernelI14__hip_bfloat16S0_LN4vllm18Fp8KVCacheDataTypeE0EhLi16ELi64ELi256ELb0ELi11EEvPKT_PKT0_S8_ifPKiSA_SA_iPKfiiiPfSD_PS3_PT2_iSC_SC_,comdat
	.protected	_Z39paged_attention_ll4mi_QKV_mfma16_kernelI14__hip_bfloat16S0_LN4vllm18Fp8KVCacheDataTypeE0EhLi16ELi64ELi256ELb0ELi11EEvPKT_PKT0_S8_ifPKiSA_SA_iPKfiiiPfSD_PS3_PT2_iSC_SC_ ; -- Begin function _Z39paged_attention_ll4mi_QKV_mfma16_kernelI14__hip_bfloat16S0_LN4vllm18Fp8KVCacheDataTypeE0EhLi16ELi64ELi256ELb0ELi11EEvPKT_PKT0_S8_ifPKiSA_SA_iPKfiiiPfSD_PS3_PT2_iSC_SC_
	.globl	_Z39paged_attention_ll4mi_QKV_mfma16_kernelI14__hip_bfloat16S0_LN4vllm18Fp8KVCacheDataTypeE0EhLi16ELi64ELi256ELb0ELi11EEvPKT_PKT0_S8_ifPKiSA_SA_iPKfiiiPfSD_PS3_PT2_iSC_SC_
	.p2align	8
	.type	_Z39paged_attention_ll4mi_QKV_mfma16_kernelI14__hip_bfloat16S0_LN4vllm18Fp8KVCacheDataTypeE0EhLi16ELi64ELi256ELb0ELi11EEvPKT_PKT0_S8_ifPKiSA_SA_iPKfiiiPfSD_PS3_PT2_iSC_SC_,@function
_Z39paged_attention_ll4mi_QKV_mfma16_kernelI14__hip_bfloat16S0_LN4vllm18Fp8KVCacheDataTypeE0EhLi16ELi64ELi256ELb0ELi11EEvPKT_PKT0_S8_ifPKiSA_SA_iPKfiiiPfSD_PS3_PT2_iSC_SC_: ; @_Z39paged_attention_ll4mi_QKV_mfma16_kernelI14__hip_bfloat16S0_LN4vllm18Fp8KVCacheDataTypeE0EhLi16ELi64ELi256ELb0ELi11EEvPKT_PKT0_S8_ifPKiSA_SA_iPKfiiiPfSD_PS3_PT2_iSC_SC_
; %bb.0:
	s_get_pc_i64 s[2:3]
	s_add_nc_u64 s[2:3], s[2:3], __PRETTY_FUNCTION__._Z39paged_attention_ll4mi_QKV_mfma16_kernelI14__hip_bfloat16S0_LN4vllm18Fp8KVCacheDataTypeE0EhLi16ELi64ELi256ELb0ELi11EEvPKT_PKT0_S8_ifPKiSA_SA_iPKfiiiPfSD_PS3_PT2_iSC_SC_@rel64+4
	s_delay_alu instid0(SALU_CYCLE_1)
	v_dual_mov_b32 v0, 0xbb3 :: v_dual_mov_b32 v1, s2
	v_mov_b32_e32 v2, s3
	s_add_nc_u64 s[8:9], s[0:1], 0x90
	s_get_pc_i64 s[0:1]
	s_add_nc_u64 s[0:1], s[0:1], __assert_fail@rel64+4
	s_mov_b32 s32, 0
	s_swap_pc_i64 s[30:31], s[0:1]
	.section	.rodata,"a",@progbits
	.p2align	6, 0x0
	.amdhsa_kernel _Z39paged_attention_ll4mi_QKV_mfma16_kernelI14__hip_bfloat16S0_LN4vllm18Fp8KVCacheDataTypeE0EhLi16ELi64ELi256ELb0ELi11EEvPKT_PKT0_S8_ifPKiSA_SA_iPKfiiiPfSD_PS3_PT2_iSC_SC_
		.amdhsa_group_segment_fixed_size 0
		.amdhsa_private_segment_fixed_size 64
		.amdhsa_kernarg_size 400
		.amdhsa_user_sgpr_count 2
		.amdhsa_user_sgpr_dispatch_ptr 0
		.amdhsa_user_sgpr_queue_ptr 0
		.amdhsa_user_sgpr_kernarg_segment_ptr 1
		.amdhsa_user_sgpr_dispatch_id 0
		.amdhsa_user_sgpr_kernarg_preload_length 0
		.amdhsa_user_sgpr_kernarg_preload_offset 0
		.amdhsa_user_sgpr_private_segment_size 0
		.amdhsa_wavefront_size32 1
		.amdhsa_uses_dynamic_stack 0
		.amdhsa_enable_private_segment 1
		.amdhsa_system_sgpr_workgroup_id_x 1
		.amdhsa_system_sgpr_workgroup_id_y 0
		.amdhsa_system_sgpr_workgroup_id_z 0
		.amdhsa_system_sgpr_workgroup_info 0
		.amdhsa_system_vgpr_workitem_id 0
		.amdhsa_next_free_vgpr 51
		.amdhsa_next_free_sgpr 34
		.amdhsa_named_barrier_count 0
		.amdhsa_reserve_vcc 1
		.amdhsa_float_round_mode_32 0
		.amdhsa_float_round_mode_16_64 0
		.amdhsa_float_denorm_mode_32 3
		.amdhsa_float_denorm_mode_16_64 3
		.amdhsa_fp16_overflow 0
		.amdhsa_memory_ordered 1
		.amdhsa_forward_progress 1
		.amdhsa_inst_pref_size 1
		.amdhsa_round_robin_scheduling 0
		.amdhsa_exception_fp_ieee_invalid_op 0
		.amdhsa_exception_fp_denorm_src 0
		.amdhsa_exception_fp_ieee_div_zero 0
		.amdhsa_exception_fp_ieee_overflow 0
		.amdhsa_exception_fp_ieee_underflow 0
		.amdhsa_exception_fp_ieee_inexact 0
		.amdhsa_exception_int_div_zero 0
	.end_amdhsa_kernel
	.section	.text._Z39paged_attention_ll4mi_QKV_mfma16_kernelI14__hip_bfloat16S0_LN4vllm18Fp8KVCacheDataTypeE0EhLi16ELi64ELi256ELb0ELi11EEvPKT_PKT0_S8_ifPKiSA_SA_iPKfiiiPfSD_PS3_PT2_iSC_SC_,"axG",@progbits,_Z39paged_attention_ll4mi_QKV_mfma16_kernelI14__hip_bfloat16S0_LN4vllm18Fp8KVCacheDataTypeE0EhLi16ELi64ELi256ELb0ELi11EEvPKT_PKT0_S8_ifPKiSA_SA_iPKfiiiPfSD_PS3_PT2_iSC_SC_,comdat
.Lfunc_end432:
	.size	_Z39paged_attention_ll4mi_QKV_mfma16_kernelI14__hip_bfloat16S0_LN4vllm18Fp8KVCacheDataTypeE0EhLi16ELi64ELi256ELb0ELi11EEvPKT_PKT0_S8_ifPKiSA_SA_iPKfiiiPfSD_PS3_PT2_iSC_SC_, .Lfunc_end432-_Z39paged_attention_ll4mi_QKV_mfma16_kernelI14__hip_bfloat16S0_LN4vllm18Fp8KVCacheDataTypeE0EhLi16ELi64ELi256ELb0ELi11EEvPKT_PKT0_S8_ifPKiSA_SA_iPKfiiiPfSD_PS3_PT2_iSC_SC_
                                        ; -- End function
	.set _Z39paged_attention_ll4mi_QKV_mfma16_kernelI14__hip_bfloat16S0_LN4vllm18Fp8KVCacheDataTypeE0EhLi16ELi64ELi256ELb0ELi11EEvPKT_PKT0_S8_ifPKiSA_SA_iPKfiiiPfSD_PS3_PT2_iSC_SC_.num_vgpr, max(3, .L__assert_fail.num_vgpr)
	.set _Z39paged_attention_ll4mi_QKV_mfma16_kernelI14__hip_bfloat16S0_LN4vllm18Fp8KVCacheDataTypeE0EhLi16ELi64ELi256ELb0ELi11EEvPKT_PKT0_S8_ifPKiSA_SA_iPKfiiiPfSD_PS3_PT2_iSC_SC_.num_agpr, max(0, .L__assert_fail.num_agpr)
	.set _Z39paged_attention_ll4mi_QKV_mfma16_kernelI14__hip_bfloat16S0_LN4vllm18Fp8KVCacheDataTypeE0EhLi16ELi64ELi256ELb0ELi11EEvPKT_PKT0_S8_ifPKiSA_SA_iPKfiiiPfSD_PS3_PT2_iSC_SC_.numbered_sgpr, max(33, .L__assert_fail.numbered_sgpr)
	.set _Z39paged_attention_ll4mi_QKV_mfma16_kernelI14__hip_bfloat16S0_LN4vllm18Fp8KVCacheDataTypeE0EhLi16ELi64ELi256ELb0ELi11EEvPKT_PKT0_S8_ifPKiSA_SA_iPKfiiiPfSD_PS3_PT2_iSC_SC_.num_named_barrier, max(0, .L__assert_fail.num_named_barrier)
	.set _Z39paged_attention_ll4mi_QKV_mfma16_kernelI14__hip_bfloat16S0_LN4vllm18Fp8KVCacheDataTypeE0EhLi16ELi64ELi256ELb0ELi11EEvPKT_PKT0_S8_ifPKiSA_SA_iPKfiiiPfSD_PS3_PT2_iSC_SC_.private_seg_size, 0+max(.L__assert_fail.private_seg_size)
	.set _Z39paged_attention_ll4mi_QKV_mfma16_kernelI14__hip_bfloat16S0_LN4vllm18Fp8KVCacheDataTypeE0EhLi16ELi64ELi256ELb0ELi11EEvPKT_PKT0_S8_ifPKiSA_SA_iPKfiiiPfSD_PS3_PT2_iSC_SC_.uses_vcc, or(1, .L__assert_fail.uses_vcc)
	.set _Z39paged_attention_ll4mi_QKV_mfma16_kernelI14__hip_bfloat16S0_LN4vllm18Fp8KVCacheDataTypeE0EhLi16ELi64ELi256ELb0ELi11EEvPKT_PKT0_S8_ifPKiSA_SA_iPKfiiiPfSD_PS3_PT2_iSC_SC_.uses_flat_scratch, or(0, .L__assert_fail.uses_flat_scratch)
	.set _Z39paged_attention_ll4mi_QKV_mfma16_kernelI14__hip_bfloat16S0_LN4vllm18Fp8KVCacheDataTypeE0EhLi16ELi64ELi256ELb0ELi11EEvPKT_PKT0_S8_ifPKiSA_SA_iPKfiiiPfSD_PS3_PT2_iSC_SC_.has_dyn_sized_stack, or(0, .L__assert_fail.has_dyn_sized_stack)
	.set _Z39paged_attention_ll4mi_QKV_mfma16_kernelI14__hip_bfloat16S0_LN4vllm18Fp8KVCacheDataTypeE0EhLi16ELi64ELi256ELb0ELi11EEvPKT_PKT0_S8_ifPKiSA_SA_iPKfiiiPfSD_PS3_PT2_iSC_SC_.has_recursion, or(0, .L__assert_fail.has_recursion)
	.set _Z39paged_attention_ll4mi_QKV_mfma16_kernelI14__hip_bfloat16S0_LN4vllm18Fp8KVCacheDataTypeE0EhLi16ELi64ELi256ELb0ELi11EEvPKT_PKT0_S8_ifPKiSA_SA_iPKfiiiPfSD_PS3_PT2_iSC_SC_.has_indirect_call, or(0, .L__assert_fail.has_indirect_call)
	.section	.AMDGPU.csdata,"",@progbits
; Kernel info:
; codeLenInByte = 68
; TotalNumSgprs: 36
; NumVgprs: 51
; ScratchSize: 64
; MemoryBound: 0
; FloatMode: 240
; IeeeMode: 1
; LDSByteSize: 0 bytes/workgroup (compile time only)
; SGPRBlocks: 0
; VGPRBlocks: 3
; NumSGPRsForWavesPerEU: 36
; NumVGPRsForWavesPerEU: 51
; NamedBarCnt: 0
; Occupancy: 16
; WaveLimiterHint : 1
; COMPUTE_PGM_RSRC2:SCRATCH_EN: 1
; COMPUTE_PGM_RSRC2:USER_SGPR: 2
; COMPUTE_PGM_RSRC2:TRAP_HANDLER: 0
; COMPUTE_PGM_RSRC2:TGID_X_EN: 1
; COMPUTE_PGM_RSRC2:TGID_Y_EN: 0
; COMPUTE_PGM_RSRC2:TGID_Z_EN: 0
; COMPUTE_PGM_RSRC2:TIDIG_COMP_CNT: 0
	.section	.text._Z39paged_attention_ll4mi_QKV_mfma16_kernelI14__hip_bfloat16S0_LN4vllm18Fp8KVCacheDataTypeE0EhLi16ELi64ELi256ELb0ELi12EEvPKT_PKT0_S8_ifPKiSA_SA_iPKfiiiPfSD_PS3_PT2_iSC_SC_,"axG",@progbits,_Z39paged_attention_ll4mi_QKV_mfma16_kernelI14__hip_bfloat16S0_LN4vllm18Fp8KVCacheDataTypeE0EhLi16ELi64ELi256ELb0ELi12EEvPKT_PKT0_S8_ifPKiSA_SA_iPKfiiiPfSD_PS3_PT2_iSC_SC_,comdat
	.protected	_Z39paged_attention_ll4mi_QKV_mfma16_kernelI14__hip_bfloat16S0_LN4vllm18Fp8KVCacheDataTypeE0EhLi16ELi64ELi256ELb0ELi12EEvPKT_PKT0_S8_ifPKiSA_SA_iPKfiiiPfSD_PS3_PT2_iSC_SC_ ; -- Begin function _Z39paged_attention_ll4mi_QKV_mfma16_kernelI14__hip_bfloat16S0_LN4vllm18Fp8KVCacheDataTypeE0EhLi16ELi64ELi256ELb0ELi12EEvPKT_PKT0_S8_ifPKiSA_SA_iPKfiiiPfSD_PS3_PT2_iSC_SC_
	.globl	_Z39paged_attention_ll4mi_QKV_mfma16_kernelI14__hip_bfloat16S0_LN4vllm18Fp8KVCacheDataTypeE0EhLi16ELi64ELi256ELb0ELi12EEvPKT_PKT0_S8_ifPKiSA_SA_iPKfiiiPfSD_PS3_PT2_iSC_SC_
	.p2align	8
	.type	_Z39paged_attention_ll4mi_QKV_mfma16_kernelI14__hip_bfloat16S0_LN4vllm18Fp8KVCacheDataTypeE0EhLi16ELi64ELi256ELb0ELi12EEvPKT_PKT0_S8_ifPKiSA_SA_iPKfiiiPfSD_PS3_PT2_iSC_SC_,@function
_Z39paged_attention_ll4mi_QKV_mfma16_kernelI14__hip_bfloat16S0_LN4vllm18Fp8KVCacheDataTypeE0EhLi16ELi64ELi256ELb0ELi12EEvPKT_PKT0_S8_ifPKiSA_SA_iPKfiiiPfSD_PS3_PT2_iSC_SC_: ; @_Z39paged_attention_ll4mi_QKV_mfma16_kernelI14__hip_bfloat16S0_LN4vllm18Fp8KVCacheDataTypeE0EhLi16ELi64ELi256ELb0ELi12EEvPKT_PKT0_S8_ifPKiSA_SA_iPKfiiiPfSD_PS3_PT2_iSC_SC_
; %bb.0:
	s_get_pc_i64 s[2:3]
	s_add_nc_u64 s[2:3], s[2:3], __PRETTY_FUNCTION__._Z39paged_attention_ll4mi_QKV_mfma16_kernelI14__hip_bfloat16S0_LN4vllm18Fp8KVCacheDataTypeE0EhLi16ELi64ELi256ELb0ELi12EEvPKT_PKT0_S8_ifPKiSA_SA_iPKfiiiPfSD_PS3_PT2_iSC_SC_@rel64+4
	s_delay_alu instid0(SALU_CYCLE_1)
	v_dual_mov_b32 v0, 0xbb3 :: v_dual_mov_b32 v1, s2
	v_mov_b32_e32 v2, s3
	s_add_nc_u64 s[8:9], s[0:1], 0x90
	s_get_pc_i64 s[0:1]
	s_add_nc_u64 s[0:1], s[0:1], __assert_fail@rel64+4
	s_mov_b32 s32, 0
	s_swap_pc_i64 s[30:31], s[0:1]
	.section	.rodata,"a",@progbits
	.p2align	6, 0x0
	.amdhsa_kernel _Z39paged_attention_ll4mi_QKV_mfma16_kernelI14__hip_bfloat16S0_LN4vllm18Fp8KVCacheDataTypeE0EhLi16ELi64ELi256ELb0ELi12EEvPKT_PKT0_S8_ifPKiSA_SA_iPKfiiiPfSD_PS3_PT2_iSC_SC_
		.amdhsa_group_segment_fixed_size 0
		.amdhsa_private_segment_fixed_size 64
		.amdhsa_kernarg_size 400
		.amdhsa_user_sgpr_count 2
		.amdhsa_user_sgpr_dispatch_ptr 0
		.amdhsa_user_sgpr_queue_ptr 0
		.amdhsa_user_sgpr_kernarg_segment_ptr 1
		.amdhsa_user_sgpr_dispatch_id 0
		.amdhsa_user_sgpr_kernarg_preload_length 0
		.amdhsa_user_sgpr_kernarg_preload_offset 0
		.amdhsa_user_sgpr_private_segment_size 0
		.amdhsa_wavefront_size32 1
		.amdhsa_uses_dynamic_stack 0
		.amdhsa_enable_private_segment 1
		.amdhsa_system_sgpr_workgroup_id_x 1
		.amdhsa_system_sgpr_workgroup_id_y 0
		.amdhsa_system_sgpr_workgroup_id_z 0
		.amdhsa_system_sgpr_workgroup_info 0
		.amdhsa_system_vgpr_workitem_id 0
		.amdhsa_next_free_vgpr 51
		.amdhsa_next_free_sgpr 34
		.amdhsa_named_barrier_count 0
		.amdhsa_reserve_vcc 1
		.amdhsa_float_round_mode_32 0
		.amdhsa_float_round_mode_16_64 0
		.amdhsa_float_denorm_mode_32 3
		.amdhsa_float_denorm_mode_16_64 3
		.amdhsa_fp16_overflow 0
		.amdhsa_memory_ordered 1
		.amdhsa_forward_progress 1
		.amdhsa_inst_pref_size 1
		.amdhsa_round_robin_scheduling 0
		.amdhsa_exception_fp_ieee_invalid_op 0
		.amdhsa_exception_fp_denorm_src 0
		.amdhsa_exception_fp_ieee_div_zero 0
		.amdhsa_exception_fp_ieee_overflow 0
		.amdhsa_exception_fp_ieee_underflow 0
		.amdhsa_exception_fp_ieee_inexact 0
		.amdhsa_exception_int_div_zero 0
	.end_amdhsa_kernel
	.section	.text._Z39paged_attention_ll4mi_QKV_mfma16_kernelI14__hip_bfloat16S0_LN4vllm18Fp8KVCacheDataTypeE0EhLi16ELi64ELi256ELb0ELi12EEvPKT_PKT0_S8_ifPKiSA_SA_iPKfiiiPfSD_PS3_PT2_iSC_SC_,"axG",@progbits,_Z39paged_attention_ll4mi_QKV_mfma16_kernelI14__hip_bfloat16S0_LN4vllm18Fp8KVCacheDataTypeE0EhLi16ELi64ELi256ELb0ELi12EEvPKT_PKT0_S8_ifPKiSA_SA_iPKfiiiPfSD_PS3_PT2_iSC_SC_,comdat
.Lfunc_end433:
	.size	_Z39paged_attention_ll4mi_QKV_mfma16_kernelI14__hip_bfloat16S0_LN4vllm18Fp8KVCacheDataTypeE0EhLi16ELi64ELi256ELb0ELi12EEvPKT_PKT0_S8_ifPKiSA_SA_iPKfiiiPfSD_PS3_PT2_iSC_SC_, .Lfunc_end433-_Z39paged_attention_ll4mi_QKV_mfma16_kernelI14__hip_bfloat16S0_LN4vllm18Fp8KVCacheDataTypeE0EhLi16ELi64ELi256ELb0ELi12EEvPKT_PKT0_S8_ifPKiSA_SA_iPKfiiiPfSD_PS3_PT2_iSC_SC_
                                        ; -- End function
	.set _Z39paged_attention_ll4mi_QKV_mfma16_kernelI14__hip_bfloat16S0_LN4vllm18Fp8KVCacheDataTypeE0EhLi16ELi64ELi256ELb0ELi12EEvPKT_PKT0_S8_ifPKiSA_SA_iPKfiiiPfSD_PS3_PT2_iSC_SC_.num_vgpr, max(3, .L__assert_fail.num_vgpr)
	.set _Z39paged_attention_ll4mi_QKV_mfma16_kernelI14__hip_bfloat16S0_LN4vllm18Fp8KVCacheDataTypeE0EhLi16ELi64ELi256ELb0ELi12EEvPKT_PKT0_S8_ifPKiSA_SA_iPKfiiiPfSD_PS3_PT2_iSC_SC_.num_agpr, max(0, .L__assert_fail.num_agpr)
	.set _Z39paged_attention_ll4mi_QKV_mfma16_kernelI14__hip_bfloat16S0_LN4vllm18Fp8KVCacheDataTypeE0EhLi16ELi64ELi256ELb0ELi12EEvPKT_PKT0_S8_ifPKiSA_SA_iPKfiiiPfSD_PS3_PT2_iSC_SC_.numbered_sgpr, max(33, .L__assert_fail.numbered_sgpr)
	.set _Z39paged_attention_ll4mi_QKV_mfma16_kernelI14__hip_bfloat16S0_LN4vllm18Fp8KVCacheDataTypeE0EhLi16ELi64ELi256ELb0ELi12EEvPKT_PKT0_S8_ifPKiSA_SA_iPKfiiiPfSD_PS3_PT2_iSC_SC_.num_named_barrier, max(0, .L__assert_fail.num_named_barrier)
	.set _Z39paged_attention_ll4mi_QKV_mfma16_kernelI14__hip_bfloat16S0_LN4vllm18Fp8KVCacheDataTypeE0EhLi16ELi64ELi256ELb0ELi12EEvPKT_PKT0_S8_ifPKiSA_SA_iPKfiiiPfSD_PS3_PT2_iSC_SC_.private_seg_size, 0+max(.L__assert_fail.private_seg_size)
	.set _Z39paged_attention_ll4mi_QKV_mfma16_kernelI14__hip_bfloat16S0_LN4vllm18Fp8KVCacheDataTypeE0EhLi16ELi64ELi256ELb0ELi12EEvPKT_PKT0_S8_ifPKiSA_SA_iPKfiiiPfSD_PS3_PT2_iSC_SC_.uses_vcc, or(1, .L__assert_fail.uses_vcc)
	.set _Z39paged_attention_ll4mi_QKV_mfma16_kernelI14__hip_bfloat16S0_LN4vllm18Fp8KVCacheDataTypeE0EhLi16ELi64ELi256ELb0ELi12EEvPKT_PKT0_S8_ifPKiSA_SA_iPKfiiiPfSD_PS3_PT2_iSC_SC_.uses_flat_scratch, or(0, .L__assert_fail.uses_flat_scratch)
	.set _Z39paged_attention_ll4mi_QKV_mfma16_kernelI14__hip_bfloat16S0_LN4vllm18Fp8KVCacheDataTypeE0EhLi16ELi64ELi256ELb0ELi12EEvPKT_PKT0_S8_ifPKiSA_SA_iPKfiiiPfSD_PS3_PT2_iSC_SC_.has_dyn_sized_stack, or(0, .L__assert_fail.has_dyn_sized_stack)
	.set _Z39paged_attention_ll4mi_QKV_mfma16_kernelI14__hip_bfloat16S0_LN4vllm18Fp8KVCacheDataTypeE0EhLi16ELi64ELi256ELb0ELi12EEvPKT_PKT0_S8_ifPKiSA_SA_iPKfiiiPfSD_PS3_PT2_iSC_SC_.has_recursion, or(0, .L__assert_fail.has_recursion)
	.set _Z39paged_attention_ll4mi_QKV_mfma16_kernelI14__hip_bfloat16S0_LN4vllm18Fp8KVCacheDataTypeE0EhLi16ELi64ELi256ELb0ELi12EEvPKT_PKT0_S8_ifPKiSA_SA_iPKfiiiPfSD_PS3_PT2_iSC_SC_.has_indirect_call, or(0, .L__assert_fail.has_indirect_call)
	.section	.AMDGPU.csdata,"",@progbits
; Kernel info:
; codeLenInByte = 68
; TotalNumSgprs: 36
; NumVgprs: 51
; ScratchSize: 64
; MemoryBound: 0
; FloatMode: 240
; IeeeMode: 1
; LDSByteSize: 0 bytes/workgroup (compile time only)
; SGPRBlocks: 0
; VGPRBlocks: 3
; NumSGPRsForWavesPerEU: 36
; NumVGPRsForWavesPerEU: 51
; NamedBarCnt: 0
; Occupancy: 16
; WaveLimiterHint : 1
; COMPUTE_PGM_RSRC2:SCRATCH_EN: 1
; COMPUTE_PGM_RSRC2:USER_SGPR: 2
; COMPUTE_PGM_RSRC2:TRAP_HANDLER: 0
; COMPUTE_PGM_RSRC2:TGID_X_EN: 1
; COMPUTE_PGM_RSRC2:TGID_Y_EN: 0
; COMPUTE_PGM_RSRC2:TGID_Z_EN: 0
; COMPUTE_PGM_RSRC2:TIDIG_COMP_CNT: 0
	.section	.text._Z39paged_attention_ll4mi_QKV_mfma16_kernelI14__hip_bfloat16S0_LN4vllm18Fp8KVCacheDataTypeE0EhLi16ELi64ELi256ELb0ELi13EEvPKT_PKT0_S8_ifPKiSA_SA_iPKfiiiPfSD_PS3_PT2_iSC_SC_,"axG",@progbits,_Z39paged_attention_ll4mi_QKV_mfma16_kernelI14__hip_bfloat16S0_LN4vllm18Fp8KVCacheDataTypeE0EhLi16ELi64ELi256ELb0ELi13EEvPKT_PKT0_S8_ifPKiSA_SA_iPKfiiiPfSD_PS3_PT2_iSC_SC_,comdat
	.protected	_Z39paged_attention_ll4mi_QKV_mfma16_kernelI14__hip_bfloat16S0_LN4vllm18Fp8KVCacheDataTypeE0EhLi16ELi64ELi256ELb0ELi13EEvPKT_PKT0_S8_ifPKiSA_SA_iPKfiiiPfSD_PS3_PT2_iSC_SC_ ; -- Begin function _Z39paged_attention_ll4mi_QKV_mfma16_kernelI14__hip_bfloat16S0_LN4vllm18Fp8KVCacheDataTypeE0EhLi16ELi64ELi256ELb0ELi13EEvPKT_PKT0_S8_ifPKiSA_SA_iPKfiiiPfSD_PS3_PT2_iSC_SC_
	.globl	_Z39paged_attention_ll4mi_QKV_mfma16_kernelI14__hip_bfloat16S0_LN4vllm18Fp8KVCacheDataTypeE0EhLi16ELi64ELi256ELb0ELi13EEvPKT_PKT0_S8_ifPKiSA_SA_iPKfiiiPfSD_PS3_PT2_iSC_SC_
	.p2align	8
	.type	_Z39paged_attention_ll4mi_QKV_mfma16_kernelI14__hip_bfloat16S0_LN4vllm18Fp8KVCacheDataTypeE0EhLi16ELi64ELi256ELb0ELi13EEvPKT_PKT0_S8_ifPKiSA_SA_iPKfiiiPfSD_PS3_PT2_iSC_SC_,@function
_Z39paged_attention_ll4mi_QKV_mfma16_kernelI14__hip_bfloat16S0_LN4vllm18Fp8KVCacheDataTypeE0EhLi16ELi64ELi256ELb0ELi13EEvPKT_PKT0_S8_ifPKiSA_SA_iPKfiiiPfSD_PS3_PT2_iSC_SC_: ; @_Z39paged_attention_ll4mi_QKV_mfma16_kernelI14__hip_bfloat16S0_LN4vllm18Fp8KVCacheDataTypeE0EhLi16ELi64ELi256ELb0ELi13EEvPKT_PKT0_S8_ifPKiSA_SA_iPKfiiiPfSD_PS3_PT2_iSC_SC_
; %bb.0:
	s_get_pc_i64 s[2:3]
	s_add_nc_u64 s[2:3], s[2:3], __PRETTY_FUNCTION__._Z39paged_attention_ll4mi_QKV_mfma16_kernelI14__hip_bfloat16S0_LN4vllm18Fp8KVCacheDataTypeE0EhLi16ELi64ELi256ELb0ELi13EEvPKT_PKT0_S8_ifPKiSA_SA_iPKfiiiPfSD_PS3_PT2_iSC_SC_@rel64+4
	s_delay_alu instid0(SALU_CYCLE_1)
	v_dual_mov_b32 v0, 0xbb3 :: v_dual_mov_b32 v1, s2
	v_mov_b32_e32 v2, s3
	s_add_nc_u64 s[8:9], s[0:1], 0x90
	s_get_pc_i64 s[0:1]
	s_add_nc_u64 s[0:1], s[0:1], __assert_fail@rel64+4
	s_mov_b32 s32, 0
	s_swap_pc_i64 s[30:31], s[0:1]
	.section	.rodata,"a",@progbits
	.p2align	6, 0x0
	.amdhsa_kernel _Z39paged_attention_ll4mi_QKV_mfma16_kernelI14__hip_bfloat16S0_LN4vllm18Fp8KVCacheDataTypeE0EhLi16ELi64ELi256ELb0ELi13EEvPKT_PKT0_S8_ifPKiSA_SA_iPKfiiiPfSD_PS3_PT2_iSC_SC_
		.amdhsa_group_segment_fixed_size 0
		.amdhsa_private_segment_fixed_size 64
		.amdhsa_kernarg_size 400
		.amdhsa_user_sgpr_count 2
		.amdhsa_user_sgpr_dispatch_ptr 0
		.amdhsa_user_sgpr_queue_ptr 0
		.amdhsa_user_sgpr_kernarg_segment_ptr 1
		.amdhsa_user_sgpr_dispatch_id 0
		.amdhsa_user_sgpr_kernarg_preload_length 0
		.amdhsa_user_sgpr_kernarg_preload_offset 0
		.amdhsa_user_sgpr_private_segment_size 0
		.amdhsa_wavefront_size32 1
		.amdhsa_uses_dynamic_stack 0
		.amdhsa_enable_private_segment 1
		.amdhsa_system_sgpr_workgroup_id_x 1
		.amdhsa_system_sgpr_workgroup_id_y 0
		.amdhsa_system_sgpr_workgroup_id_z 0
		.amdhsa_system_sgpr_workgroup_info 0
		.amdhsa_system_vgpr_workitem_id 0
		.amdhsa_next_free_vgpr 51
		.amdhsa_next_free_sgpr 34
		.amdhsa_named_barrier_count 0
		.amdhsa_reserve_vcc 1
		.amdhsa_float_round_mode_32 0
		.amdhsa_float_round_mode_16_64 0
		.amdhsa_float_denorm_mode_32 3
		.amdhsa_float_denorm_mode_16_64 3
		.amdhsa_fp16_overflow 0
		.amdhsa_memory_ordered 1
		.amdhsa_forward_progress 1
		.amdhsa_inst_pref_size 1
		.amdhsa_round_robin_scheduling 0
		.amdhsa_exception_fp_ieee_invalid_op 0
		.amdhsa_exception_fp_denorm_src 0
		.amdhsa_exception_fp_ieee_div_zero 0
		.amdhsa_exception_fp_ieee_overflow 0
		.amdhsa_exception_fp_ieee_underflow 0
		.amdhsa_exception_fp_ieee_inexact 0
		.amdhsa_exception_int_div_zero 0
	.end_amdhsa_kernel
	.section	.text._Z39paged_attention_ll4mi_QKV_mfma16_kernelI14__hip_bfloat16S0_LN4vllm18Fp8KVCacheDataTypeE0EhLi16ELi64ELi256ELb0ELi13EEvPKT_PKT0_S8_ifPKiSA_SA_iPKfiiiPfSD_PS3_PT2_iSC_SC_,"axG",@progbits,_Z39paged_attention_ll4mi_QKV_mfma16_kernelI14__hip_bfloat16S0_LN4vllm18Fp8KVCacheDataTypeE0EhLi16ELi64ELi256ELb0ELi13EEvPKT_PKT0_S8_ifPKiSA_SA_iPKfiiiPfSD_PS3_PT2_iSC_SC_,comdat
.Lfunc_end434:
	.size	_Z39paged_attention_ll4mi_QKV_mfma16_kernelI14__hip_bfloat16S0_LN4vllm18Fp8KVCacheDataTypeE0EhLi16ELi64ELi256ELb0ELi13EEvPKT_PKT0_S8_ifPKiSA_SA_iPKfiiiPfSD_PS3_PT2_iSC_SC_, .Lfunc_end434-_Z39paged_attention_ll4mi_QKV_mfma16_kernelI14__hip_bfloat16S0_LN4vllm18Fp8KVCacheDataTypeE0EhLi16ELi64ELi256ELb0ELi13EEvPKT_PKT0_S8_ifPKiSA_SA_iPKfiiiPfSD_PS3_PT2_iSC_SC_
                                        ; -- End function
	.set _Z39paged_attention_ll4mi_QKV_mfma16_kernelI14__hip_bfloat16S0_LN4vllm18Fp8KVCacheDataTypeE0EhLi16ELi64ELi256ELb0ELi13EEvPKT_PKT0_S8_ifPKiSA_SA_iPKfiiiPfSD_PS3_PT2_iSC_SC_.num_vgpr, max(3, .L__assert_fail.num_vgpr)
	.set _Z39paged_attention_ll4mi_QKV_mfma16_kernelI14__hip_bfloat16S0_LN4vllm18Fp8KVCacheDataTypeE0EhLi16ELi64ELi256ELb0ELi13EEvPKT_PKT0_S8_ifPKiSA_SA_iPKfiiiPfSD_PS3_PT2_iSC_SC_.num_agpr, max(0, .L__assert_fail.num_agpr)
	.set _Z39paged_attention_ll4mi_QKV_mfma16_kernelI14__hip_bfloat16S0_LN4vllm18Fp8KVCacheDataTypeE0EhLi16ELi64ELi256ELb0ELi13EEvPKT_PKT0_S8_ifPKiSA_SA_iPKfiiiPfSD_PS3_PT2_iSC_SC_.numbered_sgpr, max(33, .L__assert_fail.numbered_sgpr)
	.set _Z39paged_attention_ll4mi_QKV_mfma16_kernelI14__hip_bfloat16S0_LN4vllm18Fp8KVCacheDataTypeE0EhLi16ELi64ELi256ELb0ELi13EEvPKT_PKT0_S8_ifPKiSA_SA_iPKfiiiPfSD_PS3_PT2_iSC_SC_.num_named_barrier, max(0, .L__assert_fail.num_named_barrier)
	.set _Z39paged_attention_ll4mi_QKV_mfma16_kernelI14__hip_bfloat16S0_LN4vllm18Fp8KVCacheDataTypeE0EhLi16ELi64ELi256ELb0ELi13EEvPKT_PKT0_S8_ifPKiSA_SA_iPKfiiiPfSD_PS3_PT2_iSC_SC_.private_seg_size, 0+max(.L__assert_fail.private_seg_size)
	.set _Z39paged_attention_ll4mi_QKV_mfma16_kernelI14__hip_bfloat16S0_LN4vllm18Fp8KVCacheDataTypeE0EhLi16ELi64ELi256ELb0ELi13EEvPKT_PKT0_S8_ifPKiSA_SA_iPKfiiiPfSD_PS3_PT2_iSC_SC_.uses_vcc, or(1, .L__assert_fail.uses_vcc)
	.set _Z39paged_attention_ll4mi_QKV_mfma16_kernelI14__hip_bfloat16S0_LN4vllm18Fp8KVCacheDataTypeE0EhLi16ELi64ELi256ELb0ELi13EEvPKT_PKT0_S8_ifPKiSA_SA_iPKfiiiPfSD_PS3_PT2_iSC_SC_.uses_flat_scratch, or(0, .L__assert_fail.uses_flat_scratch)
	.set _Z39paged_attention_ll4mi_QKV_mfma16_kernelI14__hip_bfloat16S0_LN4vllm18Fp8KVCacheDataTypeE0EhLi16ELi64ELi256ELb0ELi13EEvPKT_PKT0_S8_ifPKiSA_SA_iPKfiiiPfSD_PS3_PT2_iSC_SC_.has_dyn_sized_stack, or(0, .L__assert_fail.has_dyn_sized_stack)
	.set _Z39paged_attention_ll4mi_QKV_mfma16_kernelI14__hip_bfloat16S0_LN4vllm18Fp8KVCacheDataTypeE0EhLi16ELi64ELi256ELb0ELi13EEvPKT_PKT0_S8_ifPKiSA_SA_iPKfiiiPfSD_PS3_PT2_iSC_SC_.has_recursion, or(0, .L__assert_fail.has_recursion)
	.set _Z39paged_attention_ll4mi_QKV_mfma16_kernelI14__hip_bfloat16S0_LN4vllm18Fp8KVCacheDataTypeE0EhLi16ELi64ELi256ELb0ELi13EEvPKT_PKT0_S8_ifPKiSA_SA_iPKfiiiPfSD_PS3_PT2_iSC_SC_.has_indirect_call, or(0, .L__assert_fail.has_indirect_call)
	.section	.AMDGPU.csdata,"",@progbits
; Kernel info:
; codeLenInByte = 68
; TotalNumSgprs: 36
; NumVgprs: 51
; ScratchSize: 64
; MemoryBound: 0
; FloatMode: 240
; IeeeMode: 1
; LDSByteSize: 0 bytes/workgroup (compile time only)
; SGPRBlocks: 0
; VGPRBlocks: 3
; NumSGPRsForWavesPerEU: 36
; NumVGPRsForWavesPerEU: 51
; NamedBarCnt: 0
; Occupancy: 16
; WaveLimiterHint : 1
; COMPUTE_PGM_RSRC2:SCRATCH_EN: 1
; COMPUTE_PGM_RSRC2:USER_SGPR: 2
; COMPUTE_PGM_RSRC2:TRAP_HANDLER: 0
; COMPUTE_PGM_RSRC2:TGID_X_EN: 1
; COMPUTE_PGM_RSRC2:TGID_Y_EN: 0
; COMPUTE_PGM_RSRC2:TGID_Z_EN: 0
; COMPUTE_PGM_RSRC2:TIDIG_COMP_CNT: 0
	.section	.text._Z39paged_attention_ll4mi_QKV_mfma16_kernelI14__hip_bfloat16S0_LN4vllm18Fp8KVCacheDataTypeE0EhLi16ELi64ELi256ELb0ELi14EEvPKT_PKT0_S8_ifPKiSA_SA_iPKfiiiPfSD_PS3_PT2_iSC_SC_,"axG",@progbits,_Z39paged_attention_ll4mi_QKV_mfma16_kernelI14__hip_bfloat16S0_LN4vllm18Fp8KVCacheDataTypeE0EhLi16ELi64ELi256ELb0ELi14EEvPKT_PKT0_S8_ifPKiSA_SA_iPKfiiiPfSD_PS3_PT2_iSC_SC_,comdat
	.protected	_Z39paged_attention_ll4mi_QKV_mfma16_kernelI14__hip_bfloat16S0_LN4vllm18Fp8KVCacheDataTypeE0EhLi16ELi64ELi256ELb0ELi14EEvPKT_PKT0_S8_ifPKiSA_SA_iPKfiiiPfSD_PS3_PT2_iSC_SC_ ; -- Begin function _Z39paged_attention_ll4mi_QKV_mfma16_kernelI14__hip_bfloat16S0_LN4vllm18Fp8KVCacheDataTypeE0EhLi16ELi64ELi256ELb0ELi14EEvPKT_PKT0_S8_ifPKiSA_SA_iPKfiiiPfSD_PS3_PT2_iSC_SC_
	.globl	_Z39paged_attention_ll4mi_QKV_mfma16_kernelI14__hip_bfloat16S0_LN4vllm18Fp8KVCacheDataTypeE0EhLi16ELi64ELi256ELb0ELi14EEvPKT_PKT0_S8_ifPKiSA_SA_iPKfiiiPfSD_PS3_PT2_iSC_SC_
	.p2align	8
	.type	_Z39paged_attention_ll4mi_QKV_mfma16_kernelI14__hip_bfloat16S0_LN4vllm18Fp8KVCacheDataTypeE0EhLi16ELi64ELi256ELb0ELi14EEvPKT_PKT0_S8_ifPKiSA_SA_iPKfiiiPfSD_PS3_PT2_iSC_SC_,@function
_Z39paged_attention_ll4mi_QKV_mfma16_kernelI14__hip_bfloat16S0_LN4vllm18Fp8KVCacheDataTypeE0EhLi16ELi64ELi256ELb0ELi14EEvPKT_PKT0_S8_ifPKiSA_SA_iPKfiiiPfSD_PS3_PT2_iSC_SC_: ; @_Z39paged_attention_ll4mi_QKV_mfma16_kernelI14__hip_bfloat16S0_LN4vllm18Fp8KVCacheDataTypeE0EhLi16ELi64ELi256ELb0ELi14EEvPKT_PKT0_S8_ifPKiSA_SA_iPKfiiiPfSD_PS3_PT2_iSC_SC_
; %bb.0:
	s_get_pc_i64 s[2:3]
	s_add_nc_u64 s[2:3], s[2:3], __PRETTY_FUNCTION__._Z39paged_attention_ll4mi_QKV_mfma16_kernelI14__hip_bfloat16S0_LN4vllm18Fp8KVCacheDataTypeE0EhLi16ELi64ELi256ELb0ELi14EEvPKT_PKT0_S8_ifPKiSA_SA_iPKfiiiPfSD_PS3_PT2_iSC_SC_@rel64+4
	s_delay_alu instid0(SALU_CYCLE_1)
	v_dual_mov_b32 v0, 0xbb3 :: v_dual_mov_b32 v1, s2
	v_mov_b32_e32 v2, s3
	s_add_nc_u64 s[8:9], s[0:1], 0x90
	s_get_pc_i64 s[0:1]
	s_add_nc_u64 s[0:1], s[0:1], __assert_fail@rel64+4
	s_mov_b32 s32, 0
	s_swap_pc_i64 s[30:31], s[0:1]
	.section	.rodata,"a",@progbits
	.p2align	6, 0x0
	.amdhsa_kernel _Z39paged_attention_ll4mi_QKV_mfma16_kernelI14__hip_bfloat16S0_LN4vllm18Fp8KVCacheDataTypeE0EhLi16ELi64ELi256ELb0ELi14EEvPKT_PKT0_S8_ifPKiSA_SA_iPKfiiiPfSD_PS3_PT2_iSC_SC_
		.amdhsa_group_segment_fixed_size 0
		.amdhsa_private_segment_fixed_size 64
		.amdhsa_kernarg_size 400
		.amdhsa_user_sgpr_count 2
		.amdhsa_user_sgpr_dispatch_ptr 0
		.amdhsa_user_sgpr_queue_ptr 0
		.amdhsa_user_sgpr_kernarg_segment_ptr 1
		.amdhsa_user_sgpr_dispatch_id 0
		.amdhsa_user_sgpr_kernarg_preload_length 0
		.amdhsa_user_sgpr_kernarg_preload_offset 0
		.amdhsa_user_sgpr_private_segment_size 0
		.amdhsa_wavefront_size32 1
		.amdhsa_uses_dynamic_stack 0
		.amdhsa_enable_private_segment 1
		.amdhsa_system_sgpr_workgroup_id_x 1
		.amdhsa_system_sgpr_workgroup_id_y 0
		.amdhsa_system_sgpr_workgroup_id_z 0
		.amdhsa_system_sgpr_workgroup_info 0
		.amdhsa_system_vgpr_workitem_id 0
		.amdhsa_next_free_vgpr 51
		.amdhsa_next_free_sgpr 34
		.amdhsa_named_barrier_count 0
		.amdhsa_reserve_vcc 1
		.amdhsa_float_round_mode_32 0
		.amdhsa_float_round_mode_16_64 0
		.amdhsa_float_denorm_mode_32 3
		.amdhsa_float_denorm_mode_16_64 3
		.amdhsa_fp16_overflow 0
		.amdhsa_memory_ordered 1
		.amdhsa_forward_progress 1
		.amdhsa_inst_pref_size 1
		.amdhsa_round_robin_scheduling 0
		.amdhsa_exception_fp_ieee_invalid_op 0
		.amdhsa_exception_fp_denorm_src 0
		.amdhsa_exception_fp_ieee_div_zero 0
		.amdhsa_exception_fp_ieee_overflow 0
		.amdhsa_exception_fp_ieee_underflow 0
		.amdhsa_exception_fp_ieee_inexact 0
		.amdhsa_exception_int_div_zero 0
	.end_amdhsa_kernel
	.section	.text._Z39paged_attention_ll4mi_QKV_mfma16_kernelI14__hip_bfloat16S0_LN4vllm18Fp8KVCacheDataTypeE0EhLi16ELi64ELi256ELb0ELi14EEvPKT_PKT0_S8_ifPKiSA_SA_iPKfiiiPfSD_PS3_PT2_iSC_SC_,"axG",@progbits,_Z39paged_attention_ll4mi_QKV_mfma16_kernelI14__hip_bfloat16S0_LN4vllm18Fp8KVCacheDataTypeE0EhLi16ELi64ELi256ELb0ELi14EEvPKT_PKT0_S8_ifPKiSA_SA_iPKfiiiPfSD_PS3_PT2_iSC_SC_,comdat
.Lfunc_end435:
	.size	_Z39paged_attention_ll4mi_QKV_mfma16_kernelI14__hip_bfloat16S0_LN4vllm18Fp8KVCacheDataTypeE0EhLi16ELi64ELi256ELb0ELi14EEvPKT_PKT0_S8_ifPKiSA_SA_iPKfiiiPfSD_PS3_PT2_iSC_SC_, .Lfunc_end435-_Z39paged_attention_ll4mi_QKV_mfma16_kernelI14__hip_bfloat16S0_LN4vllm18Fp8KVCacheDataTypeE0EhLi16ELi64ELi256ELb0ELi14EEvPKT_PKT0_S8_ifPKiSA_SA_iPKfiiiPfSD_PS3_PT2_iSC_SC_
                                        ; -- End function
	.set _Z39paged_attention_ll4mi_QKV_mfma16_kernelI14__hip_bfloat16S0_LN4vllm18Fp8KVCacheDataTypeE0EhLi16ELi64ELi256ELb0ELi14EEvPKT_PKT0_S8_ifPKiSA_SA_iPKfiiiPfSD_PS3_PT2_iSC_SC_.num_vgpr, max(3, .L__assert_fail.num_vgpr)
	.set _Z39paged_attention_ll4mi_QKV_mfma16_kernelI14__hip_bfloat16S0_LN4vllm18Fp8KVCacheDataTypeE0EhLi16ELi64ELi256ELb0ELi14EEvPKT_PKT0_S8_ifPKiSA_SA_iPKfiiiPfSD_PS3_PT2_iSC_SC_.num_agpr, max(0, .L__assert_fail.num_agpr)
	.set _Z39paged_attention_ll4mi_QKV_mfma16_kernelI14__hip_bfloat16S0_LN4vllm18Fp8KVCacheDataTypeE0EhLi16ELi64ELi256ELb0ELi14EEvPKT_PKT0_S8_ifPKiSA_SA_iPKfiiiPfSD_PS3_PT2_iSC_SC_.numbered_sgpr, max(33, .L__assert_fail.numbered_sgpr)
	.set _Z39paged_attention_ll4mi_QKV_mfma16_kernelI14__hip_bfloat16S0_LN4vllm18Fp8KVCacheDataTypeE0EhLi16ELi64ELi256ELb0ELi14EEvPKT_PKT0_S8_ifPKiSA_SA_iPKfiiiPfSD_PS3_PT2_iSC_SC_.num_named_barrier, max(0, .L__assert_fail.num_named_barrier)
	.set _Z39paged_attention_ll4mi_QKV_mfma16_kernelI14__hip_bfloat16S0_LN4vllm18Fp8KVCacheDataTypeE0EhLi16ELi64ELi256ELb0ELi14EEvPKT_PKT0_S8_ifPKiSA_SA_iPKfiiiPfSD_PS3_PT2_iSC_SC_.private_seg_size, 0+max(.L__assert_fail.private_seg_size)
	.set _Z39paged_attention_ll4mi_QKV_mfma16_kernelI14__hip_bfloat16S0_LN4vllm18Fp8KVCacheDataTypeE0EhLi16ELi64ELi256ELb0ELi14EEvPKT_PKT0_S8_ifPKiSA_SA_iPKfiiiPfSD_PS3_PT2_iSC_SC_.uses_vcc, or(1, .L__assert_fail.uses_vcc)
	.set _Z39paged_attention_ll4mi_QKV_mfma16_kernelI14__hip_bfloat16S0_LN4vllm18Fp8KVCacheDataTypeE0EhLi16ELi64ELi256ELb0ELi14EEvPKT_PKT0_S8_ifPKiSA_SA_iPKfiiiPfSD_PS3_PT2_iSC_SC_.uses_flat_scratch, or(0, .L__assert_fail.uses_flat_scratch)
	.set _Z39paged_attention_ll4mi_QKV_mfma16_kernelI14__hip_bfloat16S0_LN4vllm18Fp8KVCacheDataTypeE0EhLi16ELi64ELi256ELb0ELi14EEvPKT_PKT0_S8_ifPKiSA_SA_iPKfiiiPfSD_PS3_PT2_iSC_SC_.has_dyn_sized_stack, or(0, .L__assert_fail.has_dyn_sized_stack)
	.set _Z39paged_attention_ll4mi_QKV_mfma16_kernelI14__hip_bfloat16S0_LN4vllm18Fp8KVCacheDataTypeE0EhLi16ELi64ELi256ELb0ELi14EEvPKT_PKT0_S8_ifPKiSA_SA_iPKfiiiPfSD_PS3_PT2_iSC_SC_.has_recursion, or(0, .L__assert_fail.has_recursion)
	.set _Z39paged_attention_ll4mi_QKV_mfma16_kernelI14__hip_bfloat16S0_LN4vllm18Fp8KVCacheDataTypeE0EhLi16ELi64ELi256ELb0ELi14EEvPKT_PKT0_S8_ifPKiSA_SA_iPKfiiiPfSD_PS3_PT2_iSC_SC_.has_indirect_call, or(0, .L__assert_fail.has_indirect_call)
	.section	.AMDGPU.csdata,"",@progbits
; Kernel info:
; codeLenInByte = 68
; TotalNumSgprs: 36
; NumVgprs: 51
; ScratchSize: 64
; MemoryBound: 0
; FloatMode: 240
; IeeeMode: 1
; LDSByteSize: 0 bytes/workgroup (compile time only)
; SGPRBlocks: 0
; VGPRBlocks: 3
; NumSGPRsForWavesPerEU: 36
; NumVGPRsForWavesPerEU: 51
; NamedBarCnt: 0
; Occupancy: 16
; WaveLimiterHint : 1
; COMPUTE_PGM_RSRC2:SCRATCH_EN: 1
; COMPUTE_PGM_RSRC2:USER_SGPR: 2
; COMPUTE_PGM_RSRC2:TRAP_HANDLER: 0
; COMPUTE_PGM_RSRC2:TGID_X_EN: 1
; COMPUTE_PGM_RSRC2:TGID_Y_EN: 0
; COMPUTE_PGM_RSRC2:TGID_Z_EN: 0
; COMPUTE_PGM_RSRC2:TIDIG_COMP_CNT: 0
	.section	.text._Z39paged_attention_ll4mi_QKV_mfma16_kernelI14__hip_bfloat16S0_LN4vllm18Fp8KVCacheDataTypeE0EhLi16ELi64ELi256ELb0ELi15EEvPKT_PKT0_S8_ifPKiSA_SA_iPKfiiiPfSD_PS3_PT2_iSC_SC_,"axG",@progbits,_Z39paged_attention_ll4mi_QKV_mfma16_kernelI14__hip_bfloat16S0_LN4vllm18Fp8KVCacheDataTypeE0EhLi16ELi64ELi256ELb0ELi15EEvPKT_PKT0_S8_ifPKiSA_SA_iPKfiiiPfSD_PS3_PT2_iSC_SC_,comdat
	.protected	_Z39paged_attention_ll4mi_QKV_mfma16_kernelI14__hip_bfloat16S0_LN4vllm18Fp8KVCacheDataTypeE0EhLi16ELi64ELi256ELb0ELi15EEvPKT_PKT0_S8_ifPKiSA_SA_iPKfiiiPfSD_PS3_PT2_iSC_SC_ ; -- Begin function _Z39paged_attention_ll4mi_QKV_mfma16_kernelI14__hip_bfloat16S0_LN4vllm18Fp8KVCacheDataTypeE0EhLi16ELi64ELi256ELb0ELi15EEvPKT_PKT0_S8_ifPKiSA_SA_iPKfiiiPfSD_PS3_PT2_iSC_SC_
	.globl	_Z39paged_attention_ll4mi_QKV_mfma16_kernelI14__hip_bfloat16S0_LN4vllm18Fp8KVCacheDataTypeE0EhLi16ELi64ELi256ELb0ELi15EEvPKT_PKT0_S8_ifPKiSA_SA_iPKfiiiPfSD_PS3_PT2_iSC_SC_
	.p2align	8
	.type	_Z39paged_attention_ll4mi_QKV_mfma16_kernelI14__hip_bfloat16S0_LN4vllm18Fp8KVCacheDataTypeE0EhLi16ELi64ELi256ELb0ELi15EEvPKT_PKT0_S8_ifPKiSA_SA_iPKfiiiPfSD_PS3_PT2_iSC_SC_,@function
_Z39paged_attention_ll4mi_QKV_mfma16_kernelI14__hip_bfloat16S0_LN4vllm18Fp8KVCacheDataTypeE0EhLi16ELi64ELi256ELb0ELi15EEvPKT_PKT0_S8_ifPKiSA_SA_iPKfiiiPfSD_PS3_PT2_iSC_SC_: ; @_Z39paged_attention_ll4mi_QKV_mfma16_kernelI14__hip_bfloat16S0_LN4vllm18Fp8KVCacheDataTypeE0EhLi16ELi64ELi256ELb0ELi15EEvPKT_PKT0_S8_ifPKiSA_SA_iPKfiiiPfSD_PS3_PT2_iSC_SC_
; %bb.0:
	s_get_pc_i64 s[2:3]
	s_add_nc_u64 s[2:3], s[2:3], __PRETTY_FUNCTION__._Z39paged_attention_ll4mi_QKV_mfma16_kernelI14__hip_bfloat16S0_LN4vllm18Fp8KVCacheDataTypeE0EhLi16ELi64ELi256ELb0ELi15EEvPKT_PKT0_S8_ifPKiSA_SA_iPKfiiiPfSD_PS3_PT2_iSC_SC_@rel64+4
	s_delay_alu instid0(SALU_CYCLE_1)
	v_dual_mov_b32 v0, 0xbb3 :: v_dual_mov_b32 v1, s2
	v_mov_b32_e32 v2, s3
	s_add_nc_u64 s[8:9], s[0:1], 0x90
	s_get_pc_i64 s[0:1]
	s_add_nc_u64 s[0:1], s[0:1], __assert_fail@rel64+4
	s_mov_b32 s32, 0
	s_swap_pc_i64 s[30:31], s[0:1]
	.section	.rodata,"a",@progbits
	.p2align	6, 0x0
	.amdhsa_kernel _Z39paged_attention_ll4mi_QKV_mfma16_kernelI14__hip_bfloat16S0_LN4vllm18Fp8KVCacheDataTypeE0EhLi16ELi64ELi256ELb0ELi15EEvPKT_PKT0_S8_ifPKiSA_SA_iPKfiiiPfSD_PS3_PT2_iSC_SC_
		.amdhsa_group_segment_fixed_size 0
		.amdhsa_private_segment_fixed_size 64
		.amdhsa_kernarg_size 400
		.amdhsa_user_sgpr_count 2
		.amdhsa_user_sgpr_dispatch_ptr 0
		.amdhsa_user_sgpr_queue_ptr 0
		.amdhsa_user_sgpr_kernarg_segment_ptr 1
		.amdhsa_user_sgpr_dispatch_id 0
		.amdhsa_user_sgpr_kernarg_preload_length 0
		.amdhsa_user_sgpr_kernarg_preload_offset 0
		.amdhsa_user_sgpr_private_segment_size 0
		.amdhsa_wavefront_size32 1
		.amdhsa_uses_dynamic_stack 0
		.amdhsa_enable_private_segment 1
		.amdhsa_system_sgpr_workgroup_id_x 1
		.amdhsa_system_sgpr_workgroup_id_y 0
		.amdhsa_system_sgpr_workgroup_id_z 0
		.amdhsa_system_sgpr_workgroup_info 0
		.amdhsa_system_vgpr_workitem_id 0
		.amdhsa_next_free_vgpr 51
		.amdhsa_next_free_sgpr 34
		.amdhsa_named_barrier_count 0
		.amdhsa_reserve_vcc 1
		.amdhsa_float_round_mode_32 0
		.amdhsa_float_round_mode_16_64 0
		.amdhsa_float_denorm_mode_32 3
		.amdhsa_float_denorm_mode_16_64 3
		.amdhsa_fp16_overflow 0
		.amdhsa_memory_ordered 1
		.amdhsa_forward_progress 1
		.amdhsa_inst_pref_size 1
		.amdhsa_round_robin_scheduling 0
		.amdhsa_exception_fp_ieee_invalid_op 0
		.amdhsa_exception_fp_denorm_src 0
		.amdhsa_exception_fp_ieee_div_zero 0
		.amdhsa_exception_fp_ieee_overflow 0
		.amdhsa_exception_fp_ieee_underflow 0
		.amdhsa_exception_fp_ieee_inexact 0
		.amdhsa_exception_int_div_zero 0
	.end_amdhsa_kernel
	.section	.text._Z39paged_attention_ll4mi_QKV_mfma16_kernelI14__hip_bfloat16S0_LN4vllm18Fp8KVCacheDataTypeE0EhLi16ELi64ELi256ELb0ELi15EEvPKT_PKT0_S8_ifPKiSA_SA_iPKfiiiPfSD_PS3_PT2_iSC_SC_,"axG",@progbits,_Z39paged_attention_ll4mi_QKV_mfma16_kernelI14__hip_bfloat16S0_LN4vllm18Fp8KVCacheDataTypeE0EhLi16ELi64ELi256ELb0ELi15EEvPKT_PKT0_S8_ifPKiSA_SA_iPKfiiiPfSD_PS3_PT2_iSC_SC_,comdat
.Lfunc_end436:
	.size	_Z39paged_attention_ll4mi_QKV_mfma16_kernelI14__hip_bfloat16S0_LN4vllm18Fp8KVCacheDataTypeE0EhLi16ELi64ELi256ELb0ELi15EEvPKT_PKT0_S8_ifPKiSA_SA_iPKfiiiPfSD_PS3_PT2_iSC_SC_, .Lfunc_end436-_Z39paged_attention_ll4mi_QKV_mfma16_kernelI14__hip_bfloat16S0_LN4vllm18Fp8KVCacheDataTypeE0EhLi16ELi64ELi256ELb0ELi15EEvPKT_PKT0_S8_ifPKiSA_SA_iPKfiiiPfSD_PS3_PT2_iSC_SC_
                                        ; -- End function
	.set _Z39paged_attention_ll4mi_QKV_mfma16_kernelI14__hip_bfloat16S0_LN4vllm18Fp8KVCacheDataTypeE0EhLi16ELi64ELi256ELb0ELi15EEvPKT_PKT0_S8_ifPKiSA_SA_iPKfiiiPfSD_PS3_PT2_iSC_SC_.num_vgpr, max(3, .L__assert_fail.num_vgpr)
	.set _Z39paged_attention_ll4mi_QKV_mfma16_kernelI14__hip_bfloat16S0_LN4vllm18Fp8KVCacheDataTypeE0EhLi16ELi64ELi256ELb0ELi15EEvPKT_PKT0_S8_ifPKiSA_SA_iPKfiiiPfSD_PS3_PT2_iSC_SC_.num_agpr, max(0, .L__assert_fail.num_agpr)
	.set _Z39paged_attention_ll4mi_QKV_mfma16_kernelI14__hip_bfloat16S0_LN4vllm18Fp8KVCacheDataTypeE0EhLi16ELi64ELi256ELb0ELi15EEvPKT_PKT0_S8_ifPKiSA_SA_iPKfiiiPfSD_PS3_PT2_iSC_SC_.numbered_sgpr, max(33, .L__assert_fail.numbered_sgpr)
	.set _Z39paged_attention_ll4mi_QKV_mfma16_kernelI14__hip_bfloat16S0_LN4vllm18Fp8KVCacheDataTypeE0EhLi16ELi64ELi256ELb0ELi15EEvPKT_PKT0_S8_ifPKiSA_SA_iPKfiiiPfSD_PS3_PT2_iSC_SC_.num_named_barrier, max(0, .L__assert_fail.num_named_barrier)
	.set _Z39paged_attention_ll4mi_QKV_mfma16_kernelI14__hip_bfloat16S0_LN4vllm18Fp8KVCacheDataTypeE0EhLi16ELi64ELi256ELb0ELi15EEvPKT_PKT0_S8_ifPKiSA_SA_iPKfiiiPfSD_PS3_PT2_iSC_SC_.private_seg_size, 0+max(.L__assert_fail.private_seg_size)
	.set _Z39paged_attention_ll4mi_QKV_mfma16_kernelI14__hip_bfloat16S0_LN4vllm18Fp8KVCacheDataTypeE0EhLi16ELi64ELi256ELb0ELi15EEvPKT_PKT0_S8_ifPKiSA_SA_iPKfiiiPfSD_PS3_PT2_iSC_SC_.uses_vcc, or(1, .L__assert_fail.uses_vcc)
	.set _Z39paged_attention_ll4mi_QKV_mfma16_kernelI14__hip_bfloat16S0_LN4vllm18Fp8KVCacheDataTypeE0EhLi16ELi64ELi256ELb0ELi15EEvPKT_PKT0_S8_ifPKiSA_SA_iPKfiiiPfSD_PS3_PT2_iSC_SC_.uses_flat_scratch, or(0, .L__assert_fail.uses_flat_scratch)
	.set _Z39paged_attention_ll4mi_QKV_mfma16_kernelI14__hip_bfloat16S0_LN4vllm18Fp8KVCacheDataTypeE0EhLi16ELi64ELi256ELb0ELi15EEvPKT_PKT0_S8_ifPKiSA_SA_iPKfiiiPfSD_PS3_PT2_iSC_SC_.has_dyn_sized_stack, or(0, .L__assert_fail.has_dyn_sized_stack)
	.set _Z39paged_attention_ll4mi_QKV_mfma16_kernelI14__hip_bfloat16S0_LN4vllm18Fp8KVCacheDataTypeE0EhLi16ELi64ELi256ELb0ELi15EEvPKT_PKT0_S8_ifPKiSA_SA_iPKfiiiPfSD_PS3_PT2_iSC_SC_.has_recursion, or(0, .L__assert_fail.has_recursion)
	.set _Z39paged_attention_ll4mi_QKV_mfma16_kernelI14__hip_bfloat16S0_LN4vllm18Fp8KVCacheDataTypeE0EhLi16ELi64ELi256ELb0ELi15EEvPKT_PKT0_S8_ifPKiSA_SA_iPKfiiiPfSD_PS3_PT2_iSC_SC_.has_indirect_call, or(0, .L__assert_fail.has_indirect_call)
	.section	.AMDGPU.csdata,"",@progbits
; Kernel info:
; codeLenInByte = 68
; TotalNumSgprs: 36
; NumVgprs: 51
; ScratchSize: 64
; MemoryBound: 0
; FloatMode: 240
; IeeeMode: 1
; LDSByteSize: 0 bytes/workgroup (compile time only)
; SGPRBlocks: 0
; VGPRBlocks: 3
; NumSGPRsForWavesPerEU: 36
; NumVGPRsForWavesPerEU: 51
; NamedBarCnt: 0
; Occupancy: 16
; WaveLimiterHint : 1
; COMPUTE_PGM_RSRC2:SCRATCH_EN: 1
; COMPUTE_PGM_RSRC2:USER_SGPR: 2
; COMPUTE_PGM_RSRC2:TRAP_HANDLER: 0
; COMPUTE_PGM_RSRC2:TGID_X_EN: 1
; COMPUTE_PGM_RSRC2:TGID_Y_EN: 0
; COMPUTE_PGM_RSRC2:TGID_Z_EN: 0
; COMPUTE_PGM_RSRC2:TIDIG_COMP_CNT: 0
	.section	.text._Z39paged_attention_ll4mi_QKV_mfma16_kernelI14__hip_bfloat16S0_LN4vllm18Fp8KVCacheDataTypeE0EhLi16ELi64ELi256ELb0ELi16EEvPKT_PKT0_S8_ifPKiSA_SA_iPKfiiiPfSD_PS3_PT2_iSC_SC_,"axG",@progbits,_Z39paged_attention_ll4mi_QKV_mfma16_kernelI14__hip_bfloat16S0_LN4vllm18Fp8KVCacheDataTypeE0EhLi16ELi64ELi256ELb0ELi16EEvPKT_PKT0_S8_ifPKiSA_SA_iPKfiiiPfSD_PS3_PT2_iSC_SC_,comdat
	.protected	_Z39paged_attention_ll4mi_QKV_mfma16_kernelI14__hip_bfloat16S0_LN4vllm18Fp8KVCacheDataTypeE0EhLi16ELi64ELi256ELb0ELi16EEvPKT_PKT0_S8_ifPKiSA_SA_iPKfiiiPfSD_PS3_PT2_iSC_SC_ ; -- Begin function _Z39paged_attention_ll4mi_QKV_mfma16_kernelI14__hip_bfloat16S0_LN4vllm18Fp8KVCacheDataTypeE0EhLi16ELi64ELi256ELb0ELi16EEvPKT_PKT0_S8_ifPKiSA_SA_iPKfiiiPfSD_PS3_PT2_iSC_SC_
	.globl	_Z39paged_attention_ll4mi_QKV_mfma16_kernelI14__hip_bfloat16S0_LN4vllm18Fp8KVCacheDataTypeE0EhLi16ELi64ELi256ELb0ELi16EEvPKT_PKT0_S8_ifPKiSA_SA_iPKfiiiPfSD_PS3_PT2_iSC_SC_
	.p2align	8
	.type	_Z39paged_attention_ll4mi_QKV_mfma16_kernelI14__hip_bfloat16S0_LN4vllm18Fp8KVCacheDataTypeE0EhLi16ELi64ELi256ELb0ELi16EEvPKT_PKT0_S8_ifPKiSA_SA_iPKfiiiPfSD_PS3_PT2_iSC_SC_,@function
_Z39paged_attention_ll4mi_QKV_mfma16_kernelI14__hip_bfloat16S0_LN4vllm18Fp8KVCacheDataTypeE0EhLi16ELi64ELi256ELb0ELi16EEvPKT_PKT0_S8_ifPKiSA_SA_iPKfiiiPfSD_PS3_PT2_iSC_SC_: ; @_Z39paged_attention_ll4mi_QKV_mfma16_kernelI14__hip_bfloat16S0_LN4vllm18Fp8KVCacheDataTypeE0EhLi16ELi64ELi256ELb0ELi16EEvPKT_PKT0_S8_ifPKiSA_SA_iPKfiiiPfSD_PS3_PT2_iSC_SC_
; %bb.0:
	s_get_pc_i64 s[2:3]
	s_add_nc_u64 s[2:3], s[2:3], __PRETTY_FUNCTION__._Z39paged_attention_ll4mi_QKV_mfma16_kernelI14__hip_bfloat16S0_LN4vllm18Fp8KVCacheDataTypeE0EhLi16ELi64ELi256ELb0ELi16EEvPKT_PKT0_S8_ifPKiSA_SA_iPKfiiiPfSD_PS3_PT2_iSC_SC_@rel64+4
	s_delay_alu instid0(SALU_CYCLE_1)
	v_dual_mov_b32 v0, 0xbb3 :: v_dual_mov_b32 v1, s2
	v_mov_b32_e32 v2, s3
	s_add_nc_u64 s[8:9], s[0:1], 0x90
	s_get_pc_i64 s[0:1]
	s_add_nc_u64 s[0:1], s[0:1], __assert_fail@rel64+4
	s_mov_b32 s32, 0
	s_swap_pc_i64 s[30:31], s[0:1]
	.section	.rodata,"a",@progbits
	.p2align	6, 0x0
	.amdhsa_kernel _Z39paged_attention_ll4mi_QKV_mfma16_kernelI14__hip_bfloat16S0_LN4vllm18Fp8KVCacheDataTypeE0EhLi16ELi64ELi256ELb0ELi16EEvPKT_PKT0_S8_ifPKiSA_SA_iPKfiiiPfSD_PS3_PT2_iSC_SC_
		.amdhsa_group_segment_fixed_size 0
		.amdhsa_private_segment_fixed_size 64
		.amdhsa_kernarg_size 400
		.amdhsa_user_sgpr_count 2
		.amdhsa_user_sgpr_dispatch_ptr 0
		.amdhsa_user_sgpr_queue_ptr 0
		.amdhsa_user_sgpr_kernarg_segment_ptr 1
		.amdhsa_user_sgpr_dispatch_id 0
		.amdhsa_user_sgpr_kernarg_preload_length 0
		.amdhsa_user_sgpr_kernarg_preload_offset 0
		.amdhsa_user_sgpr_private_segment_size 0
		.amdhsa_wavefront_size32 1
		.amdhsa_uses_dynamic_stack 0
		.amdhsa_enable_private_segment 1
		.amdhsa_system_sgpr_workgroup_id_x 1
		.amdhsa_system_sgpr_workgroup_id_y 0
		.amdhsa_system_sgpr_workgroup_id_z 0
		.amdhsa_system_sgpr_workgroup_info 0
		.amdhsa_system_vgpr_workitem_id 0
		.amdhsa_next_free_vgpr 51
		.amdhsa_next_free_sgpr 34
		.amdhsa_named_barrier_count 0
		.amdhsa_reserve_vcc 1
		.amdhsa_float_round_mode_32 0
		.amdhsa_float_round_mode_16_64 0
		.amdhsa_float_denorm_mode_32 3
		.amdhsa_float_denorm_mode_16_64 3
		.amdhsa_fp16_overflow 0
		.amdhsa_memory_ordered 1
		.amdhsa_forward_progress 1
		.amdhsa_inst_pref_size 1
		.amdhsa_round_robin_scheduling 0
		.amdhsa_exception_fp_ieee_invalid_op 0
		.amdhsa_exception_fp_denorm_src 0
		.amdhsa_exception_fp_ieee_div_zero 0
		.amdhsa_exception_fp_ieee_overflow 0
		.amdhsa_exception_fp_ieee_underflow 0
		.amdhsa_exception_fp_ieee_inexact 0
		.amdhsa_exception_int_div_zero 0
	.end_amdhsa_kernel
	.section	.text._Z39paged_attention_ll4mi_QKV_mfma16_kernelI14__hip_bfloat16S0_LN4vllm18Fp8KVCacheDataTypeE0EhLi16ELi64ELi256ELb0ELi16EEvPKT_PKT0_S8_ifPKiSA_SA_iPKfiiiPfSD_PS3_PT2_iSC_SC_,"axG",@progbits,_Z39paged_attention_ll4mi_QKV_mfma16_kernelI14__hip_bfloat16S0_LN4vllm18Fp8KVCacheDataTypeE0EhLi16ELi64ELi256ELb0ELi16EEvPKT_PKT0_S8_ifPKiSA_SA_iPKfiiiPfSD_PS3_PT2_iSC_SC_,comdat
.Lfunc_end437:
	.size	_Z39paged_attention_ll4mi_QKV_mfma16_kernelI14__hip_bfloat16S0_LN4vllm18Fp8KVCacheDataTypeE0EhLi16ELi64ELi256ELb0ELi16EEvPKT_PKT0_S8_ifPKiSA_SA_iPKfiiiPfSD_PS3_PT2_iSC_SC_, .Lfunc_end437-_Z39paged_attention_ll4mi_QKV_mfma16_kernelI14__hip_bfloat16S0_LN4vllm18Fp8KVCacheDataTypeE0EhLi16ELi64ELi256ELb0ELi16EEvPKT_PKT0_S8_ifPKiSA_SA_iPKfiiiPfSD_PS3_PT2_iSC_SC_
                                        ; -- End function
	.set _Z39paged_attention_ll4mi_QKV_mfma16_kernelI14__hip_bfloat16S0_LN4vllm18Fp8KVCacheDataTypeE0EhLi16ELi64ELi256ELb0ELi16EEvPKT_PKT0_S8_ifPKiSA_SA_iPKfiiiPfSD_PS3_PT2_iSC_SC_.num_vgpr, max(3, .L__assert_fail.num_vgpr)
	.set _Z39paged_attention_ll4mi_QKV_mfma16_kernelI14__hip_bfloat16S0_LN4vllm18Fp8KVCacheDataTypeE0EhLi16ELi64ELi256ELb0ELi16EEvPKT_PKT0_S8_ifPKiSA_SA_iPKfiiiPfSD_PS3_PT2_iSC_SC_.num_agpr, max(0, .L__assert_fail.num_agpr)
	.set _Z39paged_attention_ll4mi_QKV_mfma16_kernelI14__hip_bfloat16S0_LN4vllm18Fp8KVCacheDataTypeE0EhLi16ELi64ELi256ELb0ELi16EEvPKT_PKT0_S8_ifPKiSA_SA_iPKfiiiPfSD_PS3_PT2_iSC_SC_.numbered_sgpr, max(33, .L__assert_fail.numbered_sgpr)
	.set _Z39paged_attention_ll4mi_QKV_mfma16_kernelI14__hip_bfloat16S0_LN4vllm18Fp8KVCacheDataTypeE0EhLi16ELi64ELi256ELb0ELi16EEvPKT_PKT0_S8_ifPKiSA_SA_iPKfiiiPfSD_PS3_PT2_iSC_SC_.num_named_barrier, max(0, .L__assert_fail.num_named_barrier)
	.set _Z39paged_attention_ll4mi_QKV_mfma16_kernelI14__hip_bfloat16S0_LN4vllm18Fp8KVCacheDataTypeE0EhLi16ELi64ELi256ELb0ELi16EEvPKT_PKT0_S8_ifPKiSA_SA_iPKfiiiPfSD_PS3_PT2_iSC_SC_.private_seg_size, 0+max(.L__assert_fail.private_seg_size)
	.set _Z39paged_attention_ll4mi_QKV_mfma16_kernelI14__hip_bfloat16S0_LN4vllm18Fp8KVCacheDataTypeE0EhLi16ELi64ELi256ELb0ELi16EEvPKT_PKT0_S8_ifPKiSA_SA_iPKfiiiPfSD_PS3_PT2_iSC_SC_.uses_vcc, or(1, .L__assert_fail.uses_vcc)
	.set _Z39paged_attention_ll4mi_QKV_mfma16_kernelI14__hip_bfloat16S0_LN4vllm18Fp8KVCacheDataTypeE0EhLi16ELi64ELi256ELb0ELi16EEvPKT_PKT0_S8_ifPKiSA_SA_iPKfiiiPfSD_PS3_PT2_iSC_SC_.uses_flat_scratch, or(0, .L__assert_fail.uses_flat_scratch)
	.set _Z39paged_attention_ll4mi_QKV_mfma16_kernelI14__hip_bfloat16S0_LN4vllm18Fp8KVCacheDataTypeE0EhLi16ELi64ELi256ELb0ELi16EEvPKT_PKT0_S8_ifPKiSA_SA_iPKfiiiPfSD_PS3_PT2_iSC_SC_.has_dyn_sized_stack, or(0, .L__assert_fail.has_dyn_sized_stack)
	.set _Z39paged_attention_ll4mi_QKV_mfma16_kernelI14__hip_bfloat16S0_LN4vllm18Fp8KVCacheDataTypeE0EhLi16ELi64ELi256ELb0ELi16EEvPKT_PKT0_S8_ifPKiSA_SA_iPKfiiiPfSD_PS3_PT2_iSC_SC_.has_recursion, or(0, .L__assert_fail.has_recursion)
	.set _Z39paged_attention_ll4mi_QKV_mfma16_kernelI14__hip_bfloat16S0_LN4vllm18Fp8KVCacheDataTypeE0EhLi16ELi64ELi256ELb0ELi16EEvPKT_PKT0_S8_ifPKiSA_SA_iPKfiiiPfSD_PS3_PT2_iSC_SC_.has_indirect_call, or(0, .L__assert_fail.has_indirect_call)
	.section	.AMDGPU.csdata,"",@progbits
; Kernel info:
; codeLenInByte = 68
; TotalNumSgprs: 36
; NumVgprs: 51
; ScratchSize: 64
; MemoryBound: 0
; FloatMode: 240
; IeeeMode: 1
; LDSByteSize: 0 bytes/workgroup (compile time only)
; SGPRBlocks: 0
; VGPRBlocks: 3
; NumSGPRsForWavesPerEU: 36
; NumVGPRsForWavesPerEU: 51
; NamedBarCnt: 0
; Occupancy: 16
; WaveLimiterHint : 1
; COMPUTE_PGM_RSRC2:SCRATCH_EN: 1
; COMPUTE_PGM_RSRC2:USER_SGPR: 2
; COMPUTE_PGM_RSRC2:TRAP_HANDLER: 0
; COMPUTE_PGM_RSRC2:TGID_X_EN: 1
; COMPUTE_PGM_RSRC2:TGID_Y_EN: 0
; COMPUTE_PGM_RSRC2:TGID_Z_EN: 0
; COMPUTE_PGM_RSRC2:TIDIG_COMP_CNT: 0
	.section	.text._Z39paged_attention_ll4mi_QKV_mfma16_kernelI14__hip_bfloat16S0_LN4vllm18Fp8KVCacheDataTypeE0EhLi16ELi64ELi256ELb0ELi1EEvPKT_PKT0_S8_ifPKiSA_SA_iPKfiiiPfSD_PS3_PT2_iSC_SC_,"axG",@progbits,_Z39paged_attention_ll4mi_QKV_mfma16_kernelI14__hip_bfloat16S0_LN4vllm18Fp8KVCacheDataTypeE0EhLi16ELi64ELi256ELb0ELi1EEvPKT_PKT0_S8_ifPKiSA_SA_iPKfiiiPfSD_PS3_PT2_iSC_SC_,comdat
	.protected	_Z39paged_attention_ll4mi_QKV_mfma16_kernelI14__hip_bfloat16S0_LN4vllm18Fp8KVCacheDataTypeE0EhLi16ELi64ELi256ELb0ELi1EEvPKT_PKT0_S8_ifPKiSA_SA_iPKfiiiPfSD_PS3_PT2_iSC_SC_ ; -- Begin function _Z39paged_attention_ll4mi_QKV_mfma16_kernelI14__hip_bfloat16S0_LN4vllm18Fp8KVCacheDataTypeE0EhLi16ELi64ELi256ELb0ELi1EEvPKT_PKT0_S8_ifPKiSA_SA_iPKfiiiPfSD_PS3_PT2_iSC_SC_
	.globl	_Z39paged_attention_ll4mi_QKV_mfma16_kernelI14__hip_bfloat16S0_LN4vllm18Fp8KVCacheDataTypeE0EhLi16ELi64ELi256ELb0ELi1EEvPKT_PKT0_S8_ifPKiSA_SA_iPKfiiiPfSD_PS3_PT2_iSC_SC_
	.p2align	8
	.type	_Z39paged_attention_ll4mi_QKV_mfma16_kernelI14__hip_bfloat16S0_LN4vllm18Fp8KVCacheDataTypeE0EhLi16ELi64ELi256ELb0ELi1EEvPKT_PKT0_S8_ifPKiSA_SA_iPKfiiiPfSD_PS3_PT2_iSC_SC_,@function
_Z39paged_attention_ll4mi_QKV_mfma16_kernelI14__hip_bfloat16S0_LN4vllm18Fp8KVCacheDataTypeE0EhLi16ELi64ELi256ELb0ELi1EEvPKT_PKT0_S8_ifPKiSA_SA_iPKfiiiPfSD_PS3_PT2_iSC_SC_: ; @_Z39paged_attention_ll4mi_QKV_mfma16_kernelI14__hip_bfloat16S0_LN4vllm18Fp8KVCacheDataTypeE0EhLi16ELi64ELi256ELb0ELi1EEvPKT_PKT0_S8_ifPKiSA_SA_iPKfiiiPfSD_PS3_PT2_iSC_SC_
; %bb.0:
	s_get_pc_i64 s[2:3]
	s_add_nc_u64 s[2:3], s[2:3], __PRETTY_FUNCTION__._Z39paged_attention_ll4mi_QKV_mfma16_kernelI14__hip_bfloat16S0_LN4vllm18Fp8KVCacheDataTypeE0EhLi16ELi64ELi256ELb0ELi1EEvPKT_PKT0_S8_ifPKiSA_SA_iPKfiiiPfSD_PS3_PT2_iSC_SC_@rel64+4
	s_delay_alu instid0(SALU_CYCLE_1)
	v_dual_mov_b32 v0, 0xbb3 :: v_dual_mov_b32 v1, s2
	v_mov_b32_e32 v2, s3
	s_add_nc_u64 s[8:9], s[0:1], 0x90
	s_get_pc_i64 s[0:1]
	s_add_nc_u64 s[0:1], s[0:1], __assert_fail@rel64+4
	s_mov_b32 s32, 0
	s_swap_pc_i64 s[30:31], s[0:1]
	.section	.rodata,"a",@progbits
	.p2align	6, 0x0
	.amdhsa_kernel _Z39paged_attention_ll4mi_QKV_mfma16_kernelI14__hip_bfloat16S0_LN4vllm18Fp8KVCacheDataTypeE0EhLi16ELi64ELi256ELb0ELi1EEvPKT_PKT0_S8_ifPKiSA_SA_iPKfiiiPfSD_PS3_PT2_iSC_SC_
		.amdhsa_group_segment_fixed_size 0
		.amdhsa_private_segment_fixed_size 64
		.amdhsa_kernarg_size 400
		.amdhsa_user_sgpr_count 2
		.amdhsa_user_sgpr_dispatch_ptr 0
		.amdhsa_user_sgpr_queue_ptr 0
		.amdhsa_user_sgpr_kernarg_segment_ptr 1
		.amdhsa_user_sgpr_dispatch_id 0
		.amdhsa_user_sgpr_kernarg_preload_length 0
		.amdhsa_user_sgpr_kernarg_preload_offset 0
		.amdhsa_user_sgpr_private_segment_size 0
		.amdhsa_wavefront_size32 1
		.amdhsa_uses_dynamic_stack 0
		.amdhsa_enable_private_segment 1
		.amdhsa_system_sgpr_workgroup_id_x 1
		.amdhsa_system_sgpr_workgroup_id_y 0
		.amdhsa_system_sgpr_workgroup_id_z 0
		.amdhsa_system_sgpr_workgroup_info 0
		.amdhsa_system_vgpr_workitem_id 0
		.amdhsa_next_free_vgpr 51
		.amdhsa_next_free_sgpr 34
		.amdhsa_named_barrier_count 0
		.amdhsa_reserve_vcc 1
		.amdhsa_float_round_mode_32 0
		.amdhsa_float_round_mode_16_64 0
		.amdhsa_float_denorm_mode_32 3
		.amdhsa_float_denorm_mode_16_64 3
		.amdhsa_fp16_overflow 0
		.amdhsa_memory_ordered 1
		.amdhsa_forward_progress 1
		.amdhsa_inst_pref_size 1
		.amdhsa_round_robin_scheduling 0
		.amdhsa_exception_fp_ieee_invalid_op 0
		.amdhsa_exception_fp_denorm_src 0
		.amdhsa_exception_fp_ieee_div_zero 0
		.amdhsa_exception_fp_ieee_overflow 0
		.amdhsa_exception_fp_ieee_underflow 0
		.amdhsa_exception_fp_ieee_inexact 0
		.amdhsa_exception_int_div_zero 0
	.end_amdhsa_kernel
	.section	.text._Z39paged_attention_ll4mi_QKV_mfma16_kernelI14__hip_bfloat16S0_LN4vllm18Fp8KVCacheDataTypeE0EhLi16ELi64ELi256ELb0ELi1EEvPKT_PKT0_S8_ifPKiSA_SA_iPKfiiiPfSD_PS3_PT2_iSC_SC_,"axG",@progbits,_Z39paged_attention_ll4mi_QKV_mfma16_kernelI14__hip_bfloat16S0_LN4vllm18Fp8KVCacheDataTypeE0EhLi16ELi64ELi256ELb0ELi1EEvPKT_PKT0_S8_ifPKiSA_SA_iPKfiiiPfSD_PS3_PT2_iSC_SC_,comdat
.Lfunc_end438:
	.size	_Z39paged_attention_ll4mi_QKV_mfma16_kernelI14__hip_bfloat16S0_LN4vllm18Fp8KVCacheDataTypeE0EhLi16ELi64ELi256ELb0ELi1EEvPKT_PKT0_S8_ifPKiSA_SA_iPKfiiiPfSD_PS3_PT2_iSC_SC_, .Lfunc_end438-_Z39paged_attention_ll4mi_QKV_mfma16_kernelI14__hip_bfloat16S0_LN4vllm18Fp8KVCacheDataTypeE0EhLi16ELi64ELi256ELb0ELi1EEvPKT_PKT0_S8_ifPKiSA_SA_iPKfiiiPfSD_PS3_PT2_iSC_SC_
                                        ; -- End function
	.set _Z39paged_attention_ll4mi_QKV_mfma16_kernelI14__hip_bfloat16S0_LN4vllm18Fp8KVCacheDataTypeE0EhLi16ELi64ELi256ELb0ELi1EEvPKT_PKT0_S8_ifPKiSA_SA_iPKfiiiPfSD_PS3_PT2_iSC_SC_.num_vgpr, max(3, .L__assert_fail.num_vgpr)
	.set _Z39paged_attention_ll4mi_QKV_mfma16_kernelI14__hip_bfloat16S0_LN4vllm18Fp8KVCacheDataTypeE0EhLi16ELi64ELi256ELb0ELi1EEvPKT_PKT0_S8_ifPKiSA_SA_iPKfiiiPfSD_PS3_PT2_iSC_SC_.num_agpr, max(0, .L__assert_fail.num_agpr)
	.set _Z39paged_attention_ll4mi_QKV_mfma16_kernelI14__hip_bfloat16S0_LN4vllm18Fp8KVCacheDataTypeE0EhLi16ELi64ELi256ELb0ELi1EEvPKT_PKT0_S8_ifPKiSA_SA_iPKfiiiPfSD_PS3_PT2_iSC_SC_.numbered_sgpr, max(33, .L__assert_fail.numbered_sgpr)
	.set _Z39paged_attention_ll4mi_QKV_mfma16_kernelI14__hip_bfloat16S0_LN4vllm18Fp8KVCacheDataTypeE0EhLi16ELi64ELi256ELb0ELi1EEvPKT_PKT0_S8_ifPKiSA_SA_iPKfiiiPfSD_PS3_PT2_iSC_SC_.num_named_barrier, max(0, .L__assert_fail.num_named_barrier)
	.set _Z39paged_attention_ll4mi_QKV_mfma16_kernelI14__hip_bfloat16S0_LN4vllm18Fp8KVCacheDataTypeE0EhLi16ELi64ELi256ELb0ELi1EEvPKT_PKT0_S8_ifPKiSA_SA_iPKfiiiPfSD_PS3_PT2_iSC_SC_.private_seg_size, 0+max(.L__assert_fail.private_seg_size)
	.set _Z39paged_attention_ll4mi_QKV_mfma16_kernelI14__hip_bfloat16S0_LN4vllm18Fp8KVCacheDataTypeE0EhLi16ELi64ELi256ELb0ELi1EEvPKT_PKT0_S8_ifPKiSA_SA_iPKfiiiPfSD_PS3_PT2_iSC_SC_.uses_vcc, or(1, .L__assert_fail.uses_vcc)
	.set _Z39paged_attention_ll4mi_QKV_mfma16_kernelI14__hip_bfloat16S0_LN4vllm18Fp8KVCacheDataTypeE0EhLi16ELi64ELi256ELb0ELi1EEvPKT_PKT0_S8_ifPKiSA_SA_iPKfiiiPfSD_PS3_PT2_iSC_SC_.uses_flat_scratch, or(0, .L__assert_fail.uses_flat_scratch)
	.set _Z39paged_attention_ll4mi_QKV_mfma16_kernelI14__hip_bfloat16S0_LN4vllm18Fp8KVCacheDataTypeE0EhLi16ELi64ELi256ELb0ELi1EEvPKT_PKT0_S8_ifPKiSA_SA_iPKfiiiPfSD_PS3_PT2_iSC_SC_.has_dyn_sized_stack, or(0, .L__assert_fail.has_dyn_sized_stack)
	.set _Z39paged_attention_ll4mi_QKV_mfma16_kernelI14__hip_bfloat16S0_LN4vllm18Fp8KVCacheDataTypeE0EhLi16ELi64ELi256ELb0ELi1EEvPKT_PKT0_S8_ifPKiSA_SA_iPKfiiiPfSD_PS3_PT2_iSC_SC_.has_recursion, or(0, .L__assert_fail.has_recursion)
	.set _Z39paged_attention_ll4mi_QKV_mfma16_kernelI14__hip_bfloat16S0_LN4vllm18Fp8KVCacheDataTypeE0EhLi16ELi64ELi256ELb0ELi1EEvPKT_PKT0_S8_ifPKiSA_SA_iPKfiiiPfSD_PS3_PT2_iSC_SC_.has_indirect_call, or(0, .L__assert_fail.has_indirect_call)
	.section	.AMDGPU.csdata,"",@progbits
; Kernel info:
; codeLenInByte = 68
; TotalNumSgprs: 36
; NumVgprs: 51
; ScratchSize: 64
; MemoryBound: 0
; FloatMode: 240
; IeeeMode: 1
; LDSByteSize: 0 bytes/workgroup (compile time only)
; SGPRBlocks: 0
; VGPRBlocks: 3
; NumSGPRsForWavesPerEU: 36
; NumVGPRsForWavesPerEU: 51
; NamedBarCnt: 0
; Occupancy: 16
; WaveLimiterHint : 1
; COMPUTE_PGM_RSRC2:SCRATCH_EN: 1
; COMPUTE_PGM_RSRC2:USER_SGPR: 2
; COMPUTE_PGM_RSRC2:TRAP_HANDLER: 0
; COMPUTE_PGM_RSRC2:TGID_X_EN: 1
; COMPUTE_PGM_RSRC2:TGID_Y_EN: 0
; COMPUTE_PGM_RSRC2:TGID_Z_EN: 0
; COMPUTE_PGM_RSRC2:TIDIG_COMP_CNT: 0
	.section	.text._Z39paged_attention_ll4mi_QKV_mfma16_kernelI14__hip_bfloat16S0_LN4vllm18Fp8KVCacheDataTypeE0EhLi16ELi64ELi256ELb0ELi2EEvPKT_PKT0_S8_ifPKiSA_SA_iPKfiiiPfSD_PS3_PT2_iSC_SC_,"axG",@progbits,_Z39paged_attention_ll4mi_QKV_mfma16_kernelI14__hip_bfloat16S0_LN4vllm18Fp8KVCacheDataTypeE0EhLi16ELi64ELi256ELb0ELi2EEvPKT_PKT0_S8_ifPKiSA_SA_iPKfiiiPfSD_PS3_PT2_iSC_SC_,comdat
	.protected	_Z39paged_attention_ll4mi_QKV_mfma16_kernelI14__hip_bfloat16S0_LN4vllm18Fp8KVCacheDataTypeE0EhLi16ELi64ELi256ELb0ELi2EEvPKT_PKT0_S8_ifPKiSA_SA_iPKfiiiPfSD_PS3_PT2_iSC_SC_ ; -- Begin function _Z39paged_attention_ll4mi_QKV_mfma16_kernelI14__hip_bfloat16S0_LN4vllm18Fp8KVCacheDataTypeE0EhLi16ELi64ELi256ELb0ELi2EEvPKT_PKT0_S8_ifPKiSA_SA_iPKfiiiPfSD_PS3_PT2_iSC_SC_
	.globl	_Z39paged_attention_ll4mi_QKV_mfma16_kernelI14__hip_bfloat16S0_LN4vllm18Fp8KVCacheDataTypeE0EhLi16ELi64ELi256ELb0ELi2EEvPKT_PKT0_S8_ifPKiSA_SA_iPKfiiiPfSD_PS3_PT2_iSC_SC_
	.p2align	8
	.type	_Z39paged_attention_ll4mi_QKV_mfma16_kernelI14__hip_bfloat16S0_LN4vllm18Fp8KVCacheDataTypeE0EhLi16ELi64ELi256ELb0ELi2EEvPKT_PKT0_S8_ifPKiSA_SA_iPKfiiiPfSD_PS3_PT2_iSC_SC_,@function
_Z39paged_attention_ll4mi_QKV_mfma16_kernelI14__hip_bfloat16S0_LN4vllm18Fp8KVCacheDataTypeE0EhLi16ELi64ELi256ELb0ELi2EEvPKT_PKT0_S8_ifPKiSA_SA_iPKfiiiPfSD_PS3_PT2_iSC_SC_: ; @_Z39paged_attention_ll4mi_QKV_mfma16_kernelI14__hip_bfloat16S0_LN4vllm18Fp8KVCacheDataTypeE0EhLi16ELi64ELi256ELb0ELi2EEvPKT_PKT0_S8_ifPKiSA_SA_iPKfiiiPfSD_PS3_PT2_iSC_SC_
; %bb.0:
	s_get_pc_i64 s[2:3]
	s_add_nc_u64 s[2:3], s[2:3], __PRETTY_FUNCTION__._Z39paged_attention_ll4mi_QKV_mfma16_kernelI14__hip_bfloat16S0_LN4vllm18Fp8KVCacheDataTypeE0EhLi16ELi64ELi256ELb0ELi2EEvPKT_PKT0_S8_ifPKiSA_SA_iPKfiiiPfSD_PS3_PT2_iSC_SC_@rel64+4
	s_delay_alu instid0(SALU_CYCLE_1)
	v_dual_mov_b32 v0, 0xbb3 :: v_dual_mov_b32 v1, s2
	v_mov_b32_e32 v2, s3
	s_add_nc_u64 s[8:9], s[0:1], 0x90
	s_get_pc_i64 s[0:1]
	s_add_nc_u64 s[0:1], s[0:1], __assert_fail@rel64+4
	s_mov_b32 s32, 0
	s_swap_pc_i64 s[30:31], s[0:1]
	.section	.rodata,"a",@progbits
	.p2align	6, 0x0
	.amdhsa_kernel _Z39paged_attention_ll4mi_QKV_mfma16_kernelI14__hip_bfloat16S0_LN4vllm18Fp8KVCacheDataTypeE0EhLi16ELi64ELi256ELb0ELi2EEvPKT_PKT0_S8_ifPKiSA_SA_iPKfiiiPfSD_PS3_PT2_iSC_SC_
		.amdhsa_group_segment_fixed_size 0
		.amdhsa_private_segment_fixed_size 64
		.amdhsa_kernarg_size 400
		.amdhsa_user_sgpr_count 2
		.amdhsa_user_sgpr_dispatch_ptr 0
		.amdhsa_user_sgpr_queue_ptr 0
		.amdhsa_user_sgpr_kernarg_segment_ptr 1
		.amdhsa_user_sgpr_dispatch_id 0
		.amdhsa_user_sgpr_kernarg_preload_length 0
		.amdhsa_user_sgpr_kernarg_preload_offset 0
		.amdhsa_user_sgpr_private_segment_size 0
		.amdhsa_wavefront_size32 1
		.amdhsa_uses_dynamic_stack 0
		.amdhsa_enable_private_segment 1
		.amdhsa_system_sgpr_workgroup_id_x 1
		.amdhsa_system_sgpr_workgroup_id_y 0
		.amdhsa_system_sgpr_workgroup_id_z 0
		.amdhsa_system_sgpr_workgroup_info 0
		.amdhsa_system_vgpr_workitem_id 0
		.amdhsa_next_free_vgpr 51
		.amdhsa_next_free_sgpr 34
		.amdhsa_named_barrier_count 0
		.amdhsa_reserve_vcc 1
		.amdhsa_float_round_mode_32 0
		.amdhsa_float_round_mode_16_64 0
		.amdhsa_float_denorm_mode_32 3
		.amdhsa_float_denorm_mode_16_64 3
		.amdhsa_fp16_overflow 0
		.amdhsa_memory_ordered 1
		.amdhsa_forward_progress 1
		.amdhsa_inst_pref_size 1
		.amdhsa_round_robin_scheduling 0
		.amdhsa_exception_fp_ieee_invalid_op 0
		.amdhsa_exception_fp_denorm_src 0
		.amdhsa_exception_fp_ieee_div_zero 0
		.amdhsa_exception_fp_ieee_overflow 0
		.amdhsa_exception_fp_ieee_underflow 0
		.amdhsa_exception_fp_ieee_inexact 0
		.amdhsa_exception_int_div_zero 0
	.end_amdhsa_kernel
	.section	.text._Z39paged_attention_ll4mi_QKV_mfma16_kernelI14__hip_bfloat16S0_LN4vllm18Fp8KVCacheDataTypeE0EhLi16ELi64ELi256ELb0ELi2EEvPKT_PKT0_S8_ifPKiSA_SA_iPKfiiiPfSD_PS3_PT2_iSC_SC_,"axG",@progbits,_Z39paged_attention_ll4mi_QKV_mfma16_kernelI14__hip_bfloat16S0_LN4vllm18Fp8KVCacheDataTypeE0EhLi16ELi64ELi256ELb0ELi2EEvPKT_PKT0_S8_ifPKiSA_SA_iPKfiiiPfSD_PS3_PT2_iSC_SC_,comdat
.Lfunc_end439:
	.size	_Z39paged_attention_ll4mi_QKV_mfma16_kernelI14__hip_bfloat16S0_LN4vllm18Fp8KVCacheDataTypeE0EhLi16ELi64ELi256ELb0ELi2EEvPKT_PKT0_S8_ifPKiSA_SA_iPKfiiiPfSD_PS3_PT2_iSC_SC_, .Lfunc_end439-_Z39paged_attention_ll4mi_QKV_mfma16_kernelI14__hip_bfloat16S0_LN4vllm18Fp8KVCacheDataTypeE0EhLi16ELi64ELi256ELb0ELi2EEvPKT_PKT0_S8_ifPKiSA_SA_iPKfiiiPfSD_PS3_PT2_iSC_SC_
                                        ; -- End function
	.set _Z39paged_attention_ll4mi_QKV_mfma16_kernelI14__hip_bfloat16S0_LN4vllm18Fp8KVCacheDataTypeE0EhLi16ELi64ELi256ELb0ELi2EEvPKT_PKT0_S8_ifPKiSA_SA_iPKfiiiPfSD_PS3_PT2_iSC_SC_.num_vgpr, max(3, .L__assert_fail.num_vgpr)
	.set _Z39paged_attention_ll4mi_QKV_mfma16_kernelI14__hip_bfloat16S0_LN4vllm18Fp8KVCacheDataTypeE0EhLi16ELi64ELi256ELb0ELi2EEvPKT_PKT0_S8_ifPKiSA_SA_iPKfiiiPfSD_PS3_PT2_iSC_SC_.num_agpr, max(0, .L__assert_fail.num_agpr)
	.set _Z39paged_attention_ll4mi_QKV_mfma16_kernelI14__hip_bfloat16S0_LN4vllm18Fp8KVCacheDataTypeE0EhLi16ELi64ELi256ELb0ELi2EEvPKT_PKT0_S8_ifPKiSA_SA_iPKfiiiPfSD_PS3_PT2_iSC_SC_.numbered_sgpr, max(33, .L__assert_fail.numbered_sgpr)
	.set _Z39paged_attention_ll4mi_QKV_mfma16_kernelI14__hip_bfloat16S0_LN4vllm18Fp8KVCacheDataTypeE0EhLi16ELi64ELi256ELb0ELi2EEvPKT_PKT0_S8_ifPKiSA_SA_iPKfiiiPfSD_PS3_PT2_iSC_SC_.num_named_barrier, max(0, .L__assert_fail.num_named_barrier)
	.set _Z39paged_attention_ll4mi_QKV_mfma16_kernelI14__hip_bfloat16S0_LN4vllm18Fp8KVCacheDataTypeE0EhLi16ELi64ELi256ELb0ELi2EEvPKT_PKT0_S8_ifPKiSA_SA_iPKfiiiPfSD_PS3_PT2_iSC_SC_.private_seg_size, 0+max(.L__assert_fail.private_seg_size)
	.set _Z39paged_attention_ll4mi_QKV_mfma16_kernelI14__hip_bfloat16S0_LN4vllm18Fp8KVCacheDataTypeE0EhLi16ELi64ELi256ELb0ELi2EEvPKT_PKT0_S8_ifPKiSA_SA_iPKfiiiPfSD_PS3_PT2_iSC_SC_.uses_vcc, or(1, .L__assert_fail.uses_vcc)
	.set _Z39paged_attention_ll4mi_QKV_mfma16_kernelI14__hip_bfloat16S0_LN4vllm18Fp8KVCacheDataTypeE0EhLi16ELi64ELi256ELb0ELi2EEvPKT_PKT0_S8_ifPKiSA_SA_iPKfiiiPfSD_PS3_PT2_iSC_SC_.uses_flat_scratch, or(0, .L__assert_fail.uses_flat_scratch)
	.set _Z39paged_attention_ll4mi_QKV_mfma16_kernelI14__hip_bfloat16S0_LN4vllm18Fp8KVCacheDataTypeE0EhLi16ELi64ELi256ELb0ELi2EEvPKT_PKT0_S8_ifPKiSA_SA_iPKfiiiPfSD_PS3_PT2_iSC_SC_.has_dyn_sized_stack, or(0, .L__assert_fail.has_dyn_sized_stack)
	.set _Z39paged_attention_ll4mi_QKV_mfma16_kernelI14__hip_bfloat16S0_LN4vllm18Fp8KVCacheDataTypeE0EhLi16ELi64ELi256ELb0ELi2EEvPKT_PKT0_S8_ifPKiSA_SA_iPKfiiiPfSD_PS3_PT2_iSC_SC_.has_recursion, or(0, .L__assert_fail.has_recursion)
	.set _Z39paged_attention_ll4mi_QKV_mfma16_kernelI14__hip_bfloat16S0_LN4vllm18Fp8KVCacheDataTypeE0EhLi16ELi64ELi256ELb0ELi2EEvPKT_PKT0_S8_ifPKiSA_SA_iPKfiiiPfSD_PS3_PT2_iSC_SC_.has_indirect_call, or(0, .L__assert_fail.has_indirect_call)
	.section	.AMDGPU.csdata,"",@progbits
; Kernel info:
; codeLenInByte = 68
; TotalNumSgprs: 36
; NumVgprs: 51
; ScratchSize: 64
; MemoryBound: 0
; FloatMode: 240
; IeeeMode: 1
; LDSByteSize: 0 bytes/workgroup (compile time only)
; SGPRBlocks: 0
; VGPRBlocks: 3
; NumSGPRsForWavesPerEU: 36
; NumVGPRsForWavesPerEU: 51
; NamedBarCnt: 0
; Occupancy: 16
; WaveLimiterHint : 1
; COMPUTE_PGM_RSRC2:SCRATCH_EN: 1
; COMPUTE_PGM_RSRC2:USER_SGPR: 2
; COMPUTE_PGM_RSRC2:TRAP_HANDLER: 0
; COMPUTE_PGM_RSRC2:TGID_X_EN: 1
; COMPUTE_PGM_RSRC2:TGID_Y_EN: 0
; COMPUTE_PGM_RSRC2:TGID_Z_EN: 0
; COMPUTE_PGM_RSRC2:TIDIG_COMP_CNT: 0
	.section	.text._Z39paged_attention_ll4mi_QKV_mfma16_kernelI14__hip_bfloat16S0_LN4vllm18Fp8KVCacheDataTypeE0EhLi16ELi64ELi256ELb0ELi3EEvPKT_PKT0_S8_ifPKiSA_SA_iPKfiiiPfSD_PS3_PT2_iSC_SC_,"axG",@progbits,_Z39paged_attention_ll4mi_QKV_mfma16_kernelI14__hip_bfloat16S0_LN4vllm18Fp8KVCacheDataTypeE0EhLi16ELi64ELi256ELb0ELi3EEvPKT_PKT0_S8_ifPKiSA_SA_iPKfiiiPfSD_PS3_PT2_iSC_SC_,comdat
	.protected	_Z39paged_attention_ll4mi_QKV_mfma16_kernelI14__hip_bfloat16S0_LN4vllm18Fp8KVCacheDataTypeE0EhLi16ELi64ELi256ELb0ELi3EEvPKT_PKT0_S8_ifPKiSA_SA_iPKfiiiPfSD_PS3_PT2_iSC_SC_ ; -- Begin function _Z39paged_attention_ll4mi_QKV_mfma16_kernelI14__hip_bfloat16S0_LN4vllm18Fp8KVCacheDataTypeE0EhLi16ELi64ELi256ELb0ELi3EEvPKT_PKT0_S8_ifPKiSA_SA_iPKfiiiPfSD_PS3_PT2_iSC_SC_
	.globl	_Z39paged_attention_ll4mi_QKV_mfma16_kernelI14__hip_bfloat16S0_LN4vllm18Fp8KVCacheDataTypeE0EhLi16ELi64ELi256ELb0ELi3EEvPKT_PKT0_S8_ifPKiSA_SA_iPKfiiiPfSD_PS3_PT2_iSC_SC_
	.p2align	8
	.type	_Z39paged_attention_ll4mi_QKV_mfma16_kernelI14__hip_bfloat16S0_LN4vllm18Fp8KVCacheDataTypeE0EhLi16ELi64ELi256ELb0ELi3EEvPKT_PKT0_S8_ifPKiSA_SA_iPKfiiiPfSD_PS3_PT2_iSC_SC_,@function
_Z39paged_attention_ll4mi_QKV_mfma16_kernelI14__hip_bfloat16S0_LN4vllm18Fp8KVCacheDataTypeE0EhLi16ELi64ELi256ELb0ELi3EEvPKT_PKT0_S8_ifPKiSA_SA_iPKfiiiPfSD_PS3_PT2_iSC_SC_: ; @_Z39paged_attention_ll4mi_QKV_mfma16_kernelI14__hip_bfloat16S0_LN4vllm18Fp8KVCacheDataTypeE0EhLi16ELi64ELi256ELb0ELi3EEvPKT_PKT0_S8_ifPKiSA_SA_iPKfiiiPfSD_PS3_PT2_iSC_SC_
; %bb.0:
	s_get_pc_i64 s[2:3]
	s_add_nc_u64 s[2:3], s[2:3], __PRETTY_FUNCTION__._Z39paged_attention_ll4mi_QKV_mfma16_kernelI14__hip_bfloat16S0_LN4vllm18Fp8KVCacheDataTypeE0EhLi16ELi64ELi256ELb0ELi3EEvPKT_PKT0_S8_ifPKiSA_SA_iPKfiiiPfSD_PS3_PT2_iSC_SC_@rel64+4
	s_delay_alu instid0(SALU_CYCLE_1)
	v_dual_mov_b32 v0, 0xbb3 :: v_dual_mov_b32 v1, s2
	v_mov_b32_e32 v2, s3
	s_add_nc_u64 s[8:9], s[0:1], 0x90
	s_get_pc_i64 s[0:1]
	s_add_nc_u64 s[0:1], s[0:1], __assert_fail@rel64+4
	s_mov_b32 s32, 0
	s_swap_pc_i64 s[30:31], s[0:1]
	.section	.rodata,"a",@progbits
	.p2align	6, 0x0
	.amdhsa_kernel _Z39paged_attention_ll4mi_QKV_mfma16_kernelI14__hip_bfloat16S0_LN4vllm18Fp8KVCacheDataTypeE0EhLi16ELi64ELi256ELb0ELi3EEvPKT_PKT0_S8_ifPKiSA_SA_iPKfiiiPfSD_PS3_PT2_iSC_SC_
		.amdhsa_group_segment_fixed_size 0
		.amdhsa_private_segment_fixed_size 64
		.amdhsa_kernarg_size 400
		.amdhsa_user_sgpr_count 2
		.amdhsa_user_sgpr_dispatch_ptr 0
		.amdhsa_user_sgpr_queue_ptr 0
		.amdhsa_user_sgpr_kernarg_segment_ptr 1
		.amdhsa_user_sgpr_dispatch_id 0
		.amdhsa_user_sgpr_kernarg_preload_length 0
		.amdhsa_user_sgpr_kernarg_preload_offset 0
		.amdhsa_user_sgpr_private_segment_size 0
		.amdhsa_wavefront_size32 1
		.amdhsa_uses_dynamic_stack 0
		.amdhsa_enable_private_segment 1
		.amdhsa_system_sgpr_workgroup_id_x 1
		.amdhsa_system_sgpr_workgroup_id_y 0
		.amdhsa_system_sgpr_workgroup_id_z 0
		.amdhsa_system_sgpr_workgroup_info 0
		.amdhsa_system_vgpr_workitem_id 0
		.amdhsa_next_free_vgpr 51
		.amdhsa_next_free_sgpr 34
		.amdhsa_named_barrier_count 0
		.amdhsa_reserve_vcc 1
		.amdhsa_float_round_mode_32 0
		.amdhsa_float_round_mode_16_64 0
		.amdhsa_float_denorm_mode_32 3
		.amdhsa_float_denorm_mode_16_64 3
		.amdhsa_fp16_overflow 0
		.amdhsa_memory_ordered 1
		.amdhsa_forward_progress 1
		.amdhsa_inst_pref_size 1
		.amdhsa_round_robin_scheduling 0
		.amdhsa_exception_fp_ieee_invalid_op 0
		.amdhsa_exception_fp_denorm_src 0
		.amdhsa_exception_fp_ieee_div_zero 0
		.amdhsa_exception_fp_ieee_overflow 0
		.amdhsa_exception_fp_ieee_underflow 0
		.amdhsa_exception_fp_ieee_inexact 0
		.amdhsa_exception_int_div_zero 0
	.end_amdhsa_kernel
	.section	.text._Z39paged_attention_ll4mi_QKV_mfma16_kernelI14__hip_bfloat16S0_LN4vllm18Fp8KVCacheDataTypeE0EhLi16ELi64ELi256ELb0ELi3EEvPKT_PKT0_S8_ifPKiSA_SA_iPKfiiiPfSD_PS3_PT2_iSC_SC_,"axG",@progbits,_Z39paged_attention_ll4mi_QKV_mfma16_kernelI14__hip_bfloat16S0_LN4vllm18Fp8KVCacheDataTypeE0EhLi16ELi64ELi256ELb0ELi3EEvPKT_PKT0_S8_ifPKiSA_SA_iPKfiiiPfSD_PS3_PT2_iSC_SC_,comdat
.Lfunc_end440:
	.size	_Z39paged_attention_ll4mi_QKV_mfma16_kernelI14__hip_bfloat16S0_LN4vllm18Fp8KVCacheDataTypeE0EhLi16ELi64ELi256ELb0ELi3EEvPKT_PKT0_S8_ifPKiSA_SA_iPKfiiiPfSD_PS3_PT2_iSC_SC_, .Lfunc_end440-_Z39paged_attention_ll4mi_QKV_mfma16_kernelI14__hip_bfloat16S0_LN4vllm18Fp8KVCacheDataTypeE0EhLi16ELi64ELi256ELb0ELi3EEvPKT_PKT0_S8_ifPKiSA_SA_iPKfiiiPfSD_PS3_PT2_iSC_SC_
                                        ; -- End function
	.set _Z39paged_attention_ll4mi_QKV_mfma16_kernelI14__hip_bfloat16S0_LN4vllm18Fp8KVCacheDataTypeE0EhLi16ELi64ELi256ELb0ELi3EEvPKT_PKT0_S8_ifPKiSA_SA_iPKfiiiPfSD_PS3_PT2_iSC_SC_.num_vgpr, max(3, .L__assert_fail.num_vgpr)
	.set _Z39paged_attention_ll4mi_QKV_mfma16_kernelI14__hip_bfloat16S0_LN4vllm18Fp8KVCacheDataTypeE0EhLi16ELi64ELi256ELb0ELi3EEvPKT_PKT0_S8_ifPKiSA_SA_iPKfiiiPfSD_PS3_PT2_iSC_SC_.num_agpr, max(0, .L__assert_fail.num_agpr)
	.set _Z39paged_attention_ll4mi_QKV_mfma16_kernelI14__hip_bfloat16S0_LN4vllm18Fp8KVCacheDataTypeE0EhLi16ELi64ELi256ELb0ELi3EEvPKT_PKT0_S8_ifPKiSA_SA_iPKfiiiPfSD_PS3_PT2_iSC_SC_.numbered_sgpr, max(33, .L__assert_fail.numbered_sgpr)
	.set _Z39paged_attention_ll4mi_QKV_mfma16_kernelI14__hip_bfloat16S0_LN4vllm18Fp8KVCacheDataTypeE0EhLi16ELi64ELi256ELb0ELi3EEvPKT_PKT0_S8_ifPKiSA_SA_iPKfiiiPfSD_PS3_PT2_iSC_SC_.num_named_barrier, max(0, .L__assert_fail.num_named_barrier)
	.set _Z39paged_attention_ll4mi_QKV_mfma16_kernelI14__hip_bfloat16S0_LN4vllm18Fp8KVCacheDataTypeE0EhLi16ELi64ELi256ELb0ELi3EEvPKT_PKT0_S8_ifPKiSA_SA_iPKfiiiPfSD_PS3_PT2_iSC_SC_.private_seg_size, 0+max(.L__assert_fail.private_seg_size)
	.set _Z39paged_attention_ll4mi_QKV_mfma16_kernelI14__hip_bfloat16S0_LN4vllm18Fp8KVCacheDataTypeE0EhLi16ELi64ELi256ELb0ELi3EEvPKT_PKT0_S8_ifPKiSA_SA_iPKfiiiPfSD_PS3_PT2_iSC_SC_.uses_vcc, or(1, .L__assert_fail.uses_vcc)
	.set _Z39paged_attention_ll4mi_QKV_mfma16_kernelI14__hip_bfloat16S0_LN4vllm18Fp8KVCacheDataTypeE0EhLi16ELi64ELi256ELb0ELi3EEvPKT_PKT0_S8_ifPKiSA_SA_iPKfiiiPfSD_PS3_PT2_iSC_SC_.uses_flat_scratch, or(0, .L__assert_fail.uses_flat_scratch)
	.set _Z39paged_attention_ll4mi_QKV_mfma16_kernelI14__hip_bfloat16S0_LN4vllm18Fp8KVCacheDataTypeE0EhLi16ELi64ELi256ELb0ELi3EEvPKT_PKT0_S8_ifPKiSA_SA_iPKfiiiPfSD_PS3_PT2_iSC_SC_.has_dyn_sized_stack, or(0, .L__assert_fail.has_dyn_sized_stack)
	.set _Z39paged_attention_ll4mi_QKV_mfma16_kernelI14__hip_bfloat16S0_LN4vllm18Fp8KVCacheDataTypeE0EhLi16ELi64ELi256ELb0ELi3EEvPKT_PKT0_S8_ifPKiSA_SA_iPKfiiiPfSD_PS3_PT2_iSC_SC_.has_recursion, or(0, .L__assert_fail.has_recursion)
	.set _Z39paged_attention_ll4mi_QKV_mfma16_kernelI14__hip_bfloat16S0_LN4vllm18Fp8KVCacheDataTypeE0EhLi16ELi64ELi256ELb0ELi3EEvPKT_PKT0_S8_ifPKiSA_SA_iPKfiiiPfSD_PS3_PT2_iSC_SC_.has_indirect_call, or(0, .L__assert_fail.has_indirect_call)
	.section	.AMDGPU.csdata,"",@progbits
; Kernel info:
; codeLenInByte = 68
; TotalNumSgprs: 36
; NumVgprs: 51
; ScratchSize: 64
; MemoryBound: 0
; FloatMode: 240
; IeeeMode: 1
; LDSByteSize: 0 bytes/workgroup (compile time only)
; SGPRBlocks: 0
; VGPRBlocks: 3
; NumSGPRsForWavesPerEU: 36
; NumVGPRsForWavesPerEU: 51
; NamedBarCnt: 0
; Occupancy: 16
; WaveLimiterHint : 1
; COMPUTE_PGM_RSRC2:SCRATCH_EN: 1
; COMPUTE_PGM_RSRC2:USER_SGPR: 2
; COMPUTE_PGM_RSRC2:TRAP_HANDLER: 0
; COMPUTE_PGM_RSRC2:TGID_X_EN: 1
; COMPUTE_PGM_RSRC2:TGID_Y_EN: 0
; COMPUTE_PGM_RSRC2:TGID_Z_EN: 0
; COMPUTE_PGM_RSRC2:TIDIG_COMP_CNT: 0
	.section	.text._Z39paged_attention_ll4mi_QKV_mfma16_kernelI14__hip_bfloat16S0_LN4vllm18Fp8KVCacheDataTypeE0EhLi16ELi64ELi256ELb0ELi4EEvPKT_PKT0_S8_ifPKiSA_SA_iPKfiiiPfSD_PS3_PT2_iSC_SC_,"axG",@progbits,_Z39paged_attention_ll4mi_QKV_mfma16_kernelI14__hip_bfloat16S0_LN4vllm18Fp8KVCacheDataTypeE0EhLi16ELi64ELi256ELb0ELi4EEvPKT_PKT0_S8_ifPKiSA_SA_iPKfiiiPfSD_PS3_PT2_iSC_SC_,comdat
	.protected	_Z39paged_attention_ll4mi_QKV_mfma16_kernelI14__hip_bfloat16S0_LN4vllm18Fp8KVCacheDataTypeE0EhLi16ELi64ELi256ELb0ELi4EEvPKT_PKT0_S8_ifPKiSA_SA_iPKfiiiPfSD_PS3_PT2_iSC_SC_ ; -- Begin function _Z39paged_attention_ll4mi_QKV_mfma16_kernelI14__hip_bfloat16S0_LN4vllm18Fp8KVCacheDataTypeE0EhLi16ELi64ELi256ELb0ELi4EEvPKT_PKT0_S8_ifPKiSA_SA_iPKfiiiPfSD_PS3_PT2_iSC_SC_
	.globl	_Z39paged_attention_ll4mi_QKV_mfma16_kernelI14__hip_bfloat16S0_LN4vllm18Fp8KVCacheDataTypeE0EhLi16ELi64ELi256ELb0ELi4EEvPKT_PKT0_S8_ifPKiSA_SA_iPKfiiiPfSD_PS3_PT2_iSC_SC_
	.p2align	8
	.type	_Z39paged_attention_ll4mi_QKV_mfma16_kernelI14__hip_bfloat16S0_LN4vllm18Fp8KVCacheDataTypeE0EhLi16ELi64ELi256ELb0ELi4EEvPKT_PKT0_S8_ifPKiSA_SA_iPKfiiiPfSD_PS3_PT2_iSC_SC_,@function
_Z39paged_attention_ll4mi_QKV_mfma16_kernelI14__hip_bfloat16S0_LN4vllm18Fp8KVCacheDataTypeE0EhLi16ELi64ELi256ELb0ELi4EEvPKT_PKT0_S8_ifPKiSA_SA_iPKfiiiPfSD_PS3_PT2_iSC_SC_: ; @_Z39paged_attention_ll4mi_QKV_mfma16_kernelI14__hip_bfloat16S0_LN4vllm18Fp8KVCacheDataTypeE0EhLi16ELi64ELi256ELb0ELi4EEvPKT_PKT0_S8_ifPKiSA_SA_iPKfiiiPfSD_PS3_PT2_iSC_SC_
; %bb.0:
	s_get_pc_i64 s[2:3]
	s_add_nc_u64 s[2:3], s[2:3], __PRETTY_FUNCTION__._Z39paged_attention_ll4mi_QKV_mfma16_kernelI14__hip_bfloat16S0_LN4vllm18Fp8KVCacheDataTypeE0EhLi16ELi64ELi256ELb0ELi4EEvPKT_PKT0_S8_ifPKiSA_SA_iPKfiiiPfSD_PS3_PT2_iSC_SC_@rel64+4
	s_delay_alu instid0(SALU_CYCLE_1)
	v_dual_mov_b32 v0, 0xbb3 :: v_dual_mov_b32 v1, s2
	v_mov_b32_e32 v2, s3
	s_add_nc_u64 s[8:9], s[0:1], 0x90
	s_get_pc_i64 s[0:1]
	s_add_nc_u64 s[0:1], s[0:1], __assert_fail@rel64+4
	s_mov_b32 s32, 0
	s_swap_pc_i64 s[30:31], s[0:1]
	.section	.rodata,"a",@progbits
	.p2align	6, 0x0
	.amdhsa_kernel _Z39paged_attention_ll4mi_QKV_mfma16_kernelI14__hip_bfloat16S0_LN4vllm18Fp8KVCacheDataTypeE0EhLi16ELi64ELi256ELb0ELi4EEvPKT_PKT0_S8_ifPKiSA_SA_iPKfiiiPfSD_PS3_PT2_iSC_SC_
		.amdhsa_group_segment_fixed_size 0
		.amdhsa_private_segment_fixed_size 64
		.amdhsa_kernarg_size 400
		.amdhsa_user_sgpr_count 2
		.amdhsa_user_sgpr_dispatch_ptr 0
		.amdhsa_user_sgpr_queue_ptr 0
		.amdhsa_user_sgpr_kernarg_segment_ptr 1
		.amdhsa_user_sgpr_dispatch_id 0
		.amdhsa_user_sgpr_kernarg_preload_length 0
		.amdhsa_user_sgpr_kernarg_preload_offset 0
		.amdhsa_user_sgpr_private_segment_size 0
		.amdhsa_wavefront_size32 1
		.amdhsa_uses_dynamic_stack 0
		.amdhsa_enable_private_segment 1
		.amdhsa_system_sgpr_workgroup_id_x 1
		.amdhsa_system_sgpr_workgroup_id_y 0
		.amdhsa_system_sgpr_workgroup_id_z 0
		.amdhsa_system_sgpr_workgroup_info 0
		.amdhsa_system_vgpr_workitem_id 0
		.amdhsa_next_free_vgpr 51
		.amdhsa_next_free_sgpr 34
		.amdhsa_named_barrier_count 0
		.amdhsa_reserve_vcc 1
		.amdhsa_float_round_mode_32 0
		.amdhsa_float_round_mode_16_64 0
		.amdhsa_float_denorm_mode_32 3
		.amdhsa_float_denorm_mode_16_64 3
		.amdhsa_fp16_overflow 0
		.amdhsa_memory_ordered 1
		.amdhsa_forward_progress 1
		.amdhsa_inst_pref_size 1
		.amdhsa_round_robin_scheduling 0
		.amdhsa_exception_fp_ieee_invalid_op 0
		.amdhsa_exception_fp_denorm_src 0
		.amdhsa_exception_fp_ieee_div_zero 0
		.amdhsa_exception_fp_ieee_overflow 0
		.amdhsa_exception_fp_ieee_underflow 0
		.amdhsa_exception_fp_ieee_inexact 0
		.amdhsa_exception_int_div_zero 0
	.end_amdhsa_kernel
	.section	.text._Z39paged_attention_ll4mi_QKV_mfma16_kernelI14__hip_bfloat16S0_LN4vllm18Fp8KVCacheDataTypeE0EhLi16ELi64ELi256ELb0ELi4EEvPKT_PKT0_S8_ifPKiSA_SA_iPKfiiiPfSD_PS3_PT2_iSC_SC_,"axG",@progbits,_Z39paged_attention_ll4mi_QKV_mfma16_kernelI14__hip_bfloat16S0_LN4vllm18Fp8KVCacheDataTypeE0EhLi16ELi64ELi256ELb0ELi4EEvPKT_PKT0_S8_ifPKiSA_SA_iPKfiiiPfSD_PS3_PT2_iSC_SC_,comdat
.Lfunc_end441:
	.size	_Z39paged_attention_ll4mi_QKV_mfma16_kernelI14__hip_bfloat16S0_LN4vllm18Fp8KVCacheDataTypeE0EhLi16ELi64ELi256ELb0ELi4EEvPKT_PKT0_S8_ifPKiSA_SA_iPKfiiiPfSD_PS3_PT2_iSC_SC_, .Lfunc_end441-_Z39paged_attention_ll4mi_QKV_mfma16_kernelI14__hip_bfloat16S0_LN4vllm18Fp8KVCacheDataTypeE0EhLi16ELi64ELi256ELb0ELi4EEvPKT_PKT0_S8_ifPKiSA_SA_iPKfiiiPfSD_PS3_PT2_iSC_SC_
                                        ; -- End function
	.set _Z39paged_attention_ll4mi_QKV_mfma16_kernelI14__hip_bfloat16S0_LN4vllm18Fp8KVCacheDataTypeE0EhLi16ELi64ELi256ELb0ELi4EEvPKT_PKT0_S8_ifPKiSA_SA_iPKfiiiPfSD_PS3_PT2_iSC_SC_.num_vgpr, max(3, .L__assert_fail.num_vgpr)
	.set _Z39paged_attention_ll4mi_QKV_mfma16_kernelI14__hip_bfloat16S0_LN4vllm18Fp8KVCacheDataTypeE0EhLi16ELi64ELi256ELb0ELi4EEvPKT_PKT0_S8_ifPKiSA_SA_iPKfiiiPfSD_PS3_PT2_iSC_SC_.num_agpr, max(0, .L__assert_fail.num_agpr)
	.set _Z39paged_attention_ll4mi_QKV_mfma16_kernelI14__hip_bfloat16S0_LN4vllm18Fp8KVCacheDataTypeE0EhLi16ELi64ELi256ELb0ELi4EEvPKT_PKT0_S8_ifPKiSA_SA_iPKfiiiPfSD_PS3_PT2_iSC_SC_.numbered_sgpr, max(33, .L__assert_fail.numbered_sgpr)
	.set _Z39paged_attention_ll4mi_QKV_mfma16_kernelI14__hip_bfloat16S0_LN4vllm18Fp8KVCacheDataTypeE0EhLi16ELi64ELi256ELb0ELi4EEvPKT_PKT0_S8_ifPKiSA_SA_iPKfiiiPfSD_PS3_PT2_iSC_SC_.num_named_barrier, max(0, .L__assert_fail.num_named_barrier)
	.set _Z39paged_attention_ll4mi_QKV_mfma16_kernelI14__hip_bfloat16S0_LN4vllm18Fp8KVCacheDataTypeE0EhLi16ELi64ELi256ELb0ELi4EEvPKT_PKT0_S8_ifPKiSA_SA_iPKfiiiPfSD_PS3_PT2_iSC_SC_.private_seg_size, 0+max(.L__assert_fail.private_seg_size)
	.set _Z39paged_attention_ll4mi_QKV_mfma16_kernelI14__hip_bfloat16S0_LN4vllm18Fp8KVCacheDataTypeE0EhLi16ELi64ELi256ELb0ELi4EEvPKT_PKT0_S8_ifPKiSA_SA_iPKfiiiPfSD_PS3_PT2_iSC_SC_.uses_vcc, or(1, .L__assert_fail.uses_vcc)
	.set _Z39paged_attention_ll4mi_QKV_mfma16_kernelI14__hip_bfloat16S0_LN4vllm18Fp8KVCacheDataTypeE0EhLi16ELi64ELi256ELb0ELi4EEvPKT_PKT0_S8_ifPKiSA_SA_iPKfiiiPfSD_PS3_PT2_iSC_SC_.uses_flat_scratch, or(0, .L__assert_fail.uses_flat_scratch)
	.set _Z39paged_attention_ll4mi_QKV_mfma16_kernelI14__hip_bfloat16S0_LN4vllm18Fp8KVCacheDataTypeE0EhLi16ELi64ELi256ELb0ELi4EEvPKT_PKT0_S8_ifPKiSA_SA_iPKfiiiPfSD_PS3_PT2_iSC_SC_.has_dyn_sized_stack, or(0, .L__assert_fail.has_dyn_sized_stack)
	.set _Z39paged_attention_ll4mi_QKV_mfma16_kernelI14__hip_bfloat16S0_LN4vllm18Fp8KVCacheDataTypeE0EhLi16ELi64ELi256ELb0ELi4EEvPKT_PKT0_S8_ifPKiSA_SA_iPKfiiiPfSD_PS3_PT2_iSC_SC_.has_recursion, or(0, .L__assert_fail.has_recursion)
	.set _Z39paged_attention_ll4mi_QKV_mfma16_kernelI14__hip_bfloat16S0_LN4vllm18Fp8KVCacheDataTypeE0EhLi16ELi64ELi256ELb0ELi4EEvPKT_PKT0_S8_ifPKiSA_SA_iPKfiiiPfSD_PS3_PT2_iSC_SC_.has_indirect_call, or(0, .L__assert_fail.has_indirect_call)
	.section	.AMDGPU.csdata,"",@progbits
; Kernel info:
; codeLenInByte = 68
; TotalNumSgprs: 36
; NumVgprs: 51
; ScratchSize: 64
; MemoryBound: 0
; FloatMode: 240
; IeeeMode: 1
; LDSByteSize: 0 bytes/workgroup (compile time only)
; SGPRBlocks: 0
; VGPRBlocks: 3
; NumSGPRsForWavesPerEU: 36
; NumVGPRsForWavesPerEU: 51
; NamedBarCnt: 0
; Occupancy: 16
; WaveLimiterHint : 1
; COMPUTE_PGM_RSRC2:SCRATCH_EN: 1
; COMPUTE_PGM_RSRC2:USER_SGPR: 2
; COMPUTE_PGM_RSRC2:TRAP_HANDLER: 0
; COMPUTE_PGM_RSRC2:TGID_X_EN: 1
; COMPUTE_PGM_RSRC2:TGID_Y_EN: 0
; COMPUTE_PGM_RSRC2:TGID_Z_EN: 0
; COMPUTE_PGM_RSRC2:TIDIG_COMP_CNT: 0
	.section	.text._Z38paged_attention_ll4mi_QKV_mfma4_kernelI14__hip_bfloat16S0_LN4vllm18Fp8KVCacheDataTypeE0ES0_Li16ELi64ELi256ELb1ELi1EEvPKT_PKT0_S8_ifPKiSA_SA_iPKfiiiPfSD_PS3_PT2_iSC_SC_,"axG",@progbits,_Z38paged_attention_ll4mi_QKV_mfma4_kernelI14__hip_bfloat16S0_LN4vllm18Fp8KVCacheDataTypeE0ES0_Li16ELi64ELi256ELb1ELi1EEvPKT_PKT0_S8_ifPKiSA_SA_iPKfiiiPfSD_PS3_PT2_iSC_SC_,comdat
	.protected	_Z38paged_attention_ll4mi_QKV_mfma4_kernelI14__hip_bfloat16S0_LN4vllm18Fp8KVCacheDataTypeE0ES0_Li16ELi64ELi256ELb1ELi1EEvPKT_PKT0_S8_ifPKiSA_SA_iPKfiiiPfSD_PS3_PT2_iSC_SC_ ; -- Begin function _Z38paged_attention_ll4mi_QKV_mfma4_kernelI14__hip_bfloat16S0_LN4vllm18Fp8KVCacheDataTypeE0ES0_Li16ELi64ELi256ELb1ELi1EEvPKT_PKT0_S8_ifPKiSA_SA_iPKfiiiPfSD_PS3_PT2_iSC_SC_
	.globl	_Z38paged_attention_ll4mi_QKV_mfma4_kernelI14__hip_bfloat16S0_LN4vllm18Fp8KVCacheDataTypeE0ES0_Li16ELi64ELi256ELb1ELi1EEvPKT_PKT0_S8_ifPKiSA_SA_iPKfiiiPfSD_PS3_PT2_iSC_SC_
	.p2align	8
	.type	_Z38paged_attention_ll4mi_QKV_mfma4_kernelI14__hip_bfloat16S0_LN4vllm18Fp8KVCacheDataTypeE0ES0_Li16ELi64ELi256ELb1ELi1EEvPKT_PKT0_S8_ifPKiSA_SA_iPKfiiiPfSD_PS3_PT2_iSC_SC_,@function
_Z38paged_attention_ll4mi_QKV_mfma4_kernelI14__hip_bfloat16S0_LN4vllm18Fp8KVCacheDataTypeE0ES0_Li16ELi64ELi256ELb1ELi1EEvPKT_PKT0_S8_ifPKiSA_SA_iPKfiiiPfSD_PS3_PT2_iSC_SC_: ; @_Z38paged_attention_ll4mi_QKV_mfma4_kernelI14__hip_bfloat16S0_LN4vllm18Fp8KVCacheDataTypeE0ES0_Li16ELi64ELi256ELb1ELi1EEvPKT_PKT0_S8_ifPKiSA_SA_iPKfiiiPfSD_PS3_PT2_iSC_SC_
; %bb.0:
	s_get_pc_i64 s[2:3]
	s_add_nc_u64 s[2:3], s[2:3], __PRETTY_FUNCTION__._Z38paged_attention_ll4mi_QKV_mfma4_kernelI14__hip_bfloat16S0_LN4vllm18Fp8KVCacheDataTypeE0ES0_Li16ELi64ELi256ELb1ELi1EEvPKT_PKT0_S8_ifPKiSA_SA_iPKfiiiPfSD_PS3_PT2_iSC_SC_@rel64+4
	s_delay_alu instid0(SALU_CYCLE_1)
	v_dual_mov_b32 v0, 0xbce :: v_dual_mov_b32 v1, s2
	v_mov_b32_e32 v2, s3
	s_add_nc_u64 s[8:9], s[0:1], 0x90
	s_get_pc_i64 s[0:1]
	s_add_nc_u64 s[0:1], s[0:1], __assert_fail@rel64+4
	s_mov_b32 s32, 0
	s_swap_pc_i64 s[30:31], s[0:1]
	.section	.rodata,"a",@progbits
	.p2align	6, 0x0
	.amdhsa_kernel _Z38paged_attention_ll4mi_QKV_mfma4_kernelI14__hip_bfloat16S0_LN4vllm18Fp8KVCacheDataTypeE0ES0_Li16ELi64ELi256ELb1ELi1EEvPKT_PKT0_S8_ifPKiSA_SA_iPKfiiiPfSD_PS3_PT2_iSC_SC_
		.amdhsa_group_segment_fixed_size 0
		.amdhsa_private_segment_fixed_size 64
		.amdhsa_kernarg_size 400
		.amdhsa_user_sgpr_count 2
		.amdhsa_user_sgpr_dispatch_ptr 0
		.amdhsa_user_sgpr_queue_ptr 0
		.amdhsa_user_sgpr_kernarg_segment_ptr 1
		.amdhsa_user_sgpr_dispatch_id 0
		.amdhsa_user_sgpr_kernarg_preload_length 0
		.amdhsa_user_sgpr_kernarg_preload_offset 0
		.amdhsa_user_sgpr_private_segment_size 0
		.amdhsa_wavefront_size32 1
		.amdhsa_uses_dynamic_stack 0
		.amdhsa_enable_private_segment 1
		.amdhsa_system_sgpr_workgroup_id_x 1
		.amdhsa_system_sgpr_workgroup_id_y 0
		.amdhsa_system_sgpr_workgroup_id_z 0
		.amdhsa_system_sgpr_workgroup_info 0
		.amdhsa_system_vgpr_workitem_id 0
		.amdhsa_next_free_vgpr 51
		.amdhsa_next_free_sgpr 34
		.amdhsa_named_barrier_count 0
		.amdhsa_reserve_vcc 1
		.amdhsa_float_round_mode_32 0
		.amdhsa_float_round_mode_16_64 0
		.amdhsa_float_denorm_mode_32 3
		.amdhsa_float_denorm_mode_16_64 3
		.amdhsa_fp16_overflow 0
		.amdhsa_memory_ordered 1
		.amdhsa_forward_progress 1
		.amdhsa_inst_pref_size 1
		.amdhsa_round_robin_scheduling 0
		.amdhsa_exception_fp_ieee_invalid_op 0
		.amdhsa_exception_fp_denorm_src 0
		.amdhsa_exception_fp_ieee_div_zero 0
		.amdhsa_exception_fp_ieee_overflow 0
		.amdhsa_exception_fp_ieee_underflow 0
		.amdhsa_exception_fp_ieee_inexact 0
		.amdhsa_exception_int_div_zero 0
	.end_amdhsa_kernel
	.section	.text._Z38paged_attention_ll4mi_QKV_mfma4_kernelI14__hip_bfloat16S0_LN4vllm18Fp8KVCacheDataTypeE0ES0_Li16ELi64ELi256ELb1ELi1EEvPKT_PKT0_S8_ifPKiSA_SA_iPKfiiiPfSD_PS3_PT2_iSC_SC_,"axG",@progbits,_Z38paged_attention_ll4mi_QKV_mfma4_kernelI14__hip_bfloat16S0_LN4vllm18Fp8KVCacheDataTypeE0ES0_Li16ELi64ELi256ELb1ELi1EEvPKT_PKT0_S8_ifPKiSA_SA_iPKfiiiPfSD_PS3_PT2_iSC_SC_,comdat
.Lfunc_end442:
	.size	_Z38paged_attention_ll4mi_QKV_mfma4_kernelI14__hip_bfloat16S0_LN4vllm18Fp8KVCacheDataTypeE0ES0_Li16ELi64ELi256ELb1ELi1EEvPKT_PKT0_S8_ifPKiSA_SA_iPKfiiiPfSD_PS3_PT2_iSC_SC_, .Lfunc_end442-_Z38paged_attention_ll4mi_QKV_mfma4_kernelI14__hip_bfloat16S0_LN4vllm18Fp8KVCacheDataTypeE0ES0_Li16ELi64ELi256ELb1ELi1EEvPKT_PKT0_S8_ifPKiSA_SA_iPKfiiiPfSD_PS3_PT2_iSC_SC_
                                        ; -- End function
	.set _Z38paged_attention_ll4mi_QKV_mfma4_kernelI14__hip_bfloat16S0_LN4vllm18Fp8KVCacheDataTypeE0ES0_Li16ELi64ELi256ELb1ELi1EEvPKT_PKT0_S8_ifPKiSA_SA_iPKfiiiPfSD_PS3_PT2_iSC_SC_.num_vgpr, max(3, .L__assert_fail.num_vgpr)
	.set _Z38paged_attention_ll4mi_QKV_mfma4_kernelI14__hip_bfloat16S0_LN4vllm18Fp8KVCacheDataTypeE0ES0_Li16ELi64ELi256ELb1ELi1EEvPKT_PKT0_S8_ifPKiSA_SA_iPKfiiiPfSD_PS3_PT2_iSC_SC_.num_agpr, max(0, .L__assert_fail.num_agpr)
	.set _Z38paged_attention_ll4mi_QKV_mfma4_kernelI14__hip_bfloat16S0_LN4vllm18Fp8KVCacheDataTypeE0ES0_Li16ELi64ELi256ELb1ELi1EEvPKT_PKT0_S8_ifPKiSA_SA_iPKfiiiPfSD_PS3_PT2_iSC_SC_.numbered_sgpr, max(33, .L__assert_fail.numbered_sgpr)
	.set _Z38paged_attention_ll4mi_QKV_mfma4_kernelI14__hip_bfloat16S0_LN4vllm18Fp8KVCacheDataTypeE0ES0_Li16ELi64ELi256ELb1ELi1EEvPKT_PKT0_S8_ifPKiSA_SA_iPKfiiiPfSD_PS3_PT2_iSC_SC_.num_named_barrier, max(0, .L__assert_fail.num_named_barrier)
	.set _Z38paged_attention_ll4mi_QKV_mfma4_kernelI14__hip_bfloat16S0_LN4vllm18Fp8KVCacheDataTypeE0ES0_Li16ELi64ELi256ELb1ELi1EEvPKT_PKT0_S8_ifPKiSA_SA_iPKfiiiPfSD_PS3_PT2_iSC_SC_.private_seg_size, 0+max(.L__assert_fail.private_seg_size)
	.set _Z38paged_attention_ll4mi_QKV_mfma4_kernelI14__hip_bfloat16S0_LN4vllm18Fp8KVCacheDataTypeE0ES0_Li16ELi64ELi256ELb1ELi1EEvPKT_PKT0_S8_ifPKiSA_SA_iPKfiiiPfSD_PS3_PT2_iSC_SC_.uses_vcc, or(1, .L__assert_fail.uses_vcc)
	.set _Z38paged_attention_ll4mi_QKV_mfma4_kernelI14__hip_bfloat16S0_LN4vllm18Fp8KVCacheDataTypeE0ES0_Li16ELi64ELi256ELb1ELi1EEvPKT_PKT0_S8_ifPKiSA_SA_iPKfiiiPfSD_PS3_PT2_iSC_SC_.uses_flat_scratch, or(0, .L__assert_fail.uses_flat_scratch)
	.set _Z38paged_attention_ll4mi_QKV_mfma4_kernelI14__hip_bfloat16S0_LN4vllm18Fp8KVCacheDataTypeE0ES0_Li16ELi64ELi256ELb1ELi1EEvPKT_PKT0_S8_ifPKiSA_SA_iPKfiiiPfSD_PS3_PT2_iSC_SC_.has_dyn_sized_stack, or(0, .L__assert_fail.has_dyn_sized_stack)
	.set _Z38paged_attention_ll4mi_QKV_mfma4_kernelI14__hip_bfloat16S0_LN4vllm18Fp8KVCacheDataTypeE0ES0_Li16ELi64ELi256ELb1ELi1EEvPKT_PKT0_S8_ifPKiSA_SA_iPKfiiiPfSD_PS3_PT2_iSC_SC_.has_recursion, or(0, .L__assert_fail.has_recursion)
	.set _Z38paged_attention_ll4mi_QKV_mfma4_kernelI14__hip_bfloat16S0_LN4vllm18Fp8KVCacheDataTypeE0ES0_Li16ELi64ELi256ELb1ELi1EEvPKT_PKT0_S8_ifPKiSA_SA_iPKfiiiPfSD_PS3_PT2_iSC_SC_.has_indirect_call, or(0, .L__assert_fail.has_indirect_call)
	.section	.AMDGPU.csdata,"",@progbits
; Kernel info:
; codeLenInByte = 68
; TotalNumSgprs: 36
; NumVgprs: 51
; ScratchSize: 64
; MemoryBound: 0
; FloatMode: 240
; IeeeMode: 1
; LDSByteSize: 0 bytes/workgroup (compile time only)
; SGPRBlocks: 0
; VGPRBlocks: 3
; NumSGPRsForWavesPerEU: 36
; NumVGPRsForWavesPerEU: 51
; NamedBarCnt: 0
; Occupancy: 16
; WaveLimiterHint : 1
; COMPUTE_PGM_RSRC2:SCRATCH_EN: 1
; COMPUTE_PGM_RSRC2:USER_SGPR: 2
; COMPUTE_PGM_RSRC2:TRAP_HANDLER: 0
; COMPUTE_PGM_RSRC2:TGID_X_EN: 1
; COMPUTE_PGM_RSRC2:TGID_Y_EN: 0
; COMPUTE_PGM_RSRC2:TGID_Z_EN: 0
; COMPUTE_PGM_RSRC2:TIDIG_COMP_CNT: 0
	.section	.text._Z38paged_attention_ll4mi_QKV_mfma4_kernelI14__hip_bfloat16S0_LN4vllm18Fp8KVCacheDataTypeE0ES0_Li16ELi64ELi256ELb1ELi2EEvPKT_PKT0_S8_ifPKiSA_SA_iPKfiiiPfSD_PS3_PT2_iSC_SC_,"axG",@progbits,_Z38paged_attention_ll4mi_QKV_mfma4_kernelI14__hip_bfloat16S0_LN4vllm18Fp8KVCacheDataTypeE0ES0_Li16ELi64ELi256ELb1ELi2EEvPKT_PKT0_S8_ifPKiSA_SA_iPKfiiiPfSD_PS3_PT2_iSC_SC_,comdat
	.protected	_Z38paged_attention_ll4mi_QKV_mfma4_kernelI14__hip_bfloat16S0_LN4vllm18Fp8KVCacheDataTypeE0ES0_Li16ELi64ELi256ELb1ELi2EEvPKT_PKT0_S8_ifPKiSA_SA_iPKfiiiPfSD_PS3_PT2_iSC_SC_ ; -- Begin function _Z38paged_attention_ll4mi_QKV_mfma4_kernelI14__hip_bfloat16S0_LN4vllm18Fp8KVCacheDataTypeE0ES0_Li16ELi64ELi256ELb1ELi2EEvPKT_PKT0_S8_ifPKiSA_SA_iPKfiiiPfSD_PS3_PT2_iSC_SC_
	.globl	_Z38paged_attention_ll4mi_QKV_mfma4_kernelI14__hip_bfloat16S0_LN4vllm18Fp8KVCacheDataTypeE0ES0_Li16ELi64ELi256ELb1ELi2EEvPKT_PKT0_S8_ifPKiSA_SA_iPKfiiiPfSD_PS3_PT2_iSC_SC_
	.p2align	8
	.type	_Z38paged_attention_ll4mi_QKV_mfma4_kernelI14__hip_bfloat16S0_LN4vllm18Fp8KVCacheDataTypeE0ES0_Li16ELi64ELi256ELb1ELi2EEvPKT_PKT0_S8_ifPKiSA_SA_iPKfiiiPfSD_PS3_PT2_iSC_SC_,@function
_Z38paged_attention_ll4mi_QKV_mfma4_kernelI14__hip_bfloat16S0_LN4vllm18Fp8KVCacheDataTypeE0ES0_Li16ELi64ELi256ELb1ELi2EEvPKT_PKT0_S8_ifPKiSA_SA_iPKfiiiPfSD_PS3_PT2_iSC_SC_: ; @_Z38paged_attention_ll4mi_QKV_mfma4_kernelI14__hip_bfloat16S0_LN4vllm18Fp8KVCacheDataTypeE0ES0_Li16ELi64ELi256ELb1ELi2EEvPKT_PKT0_S8_ifPKiSA_SA_iPKfiiiPfSD_PS3_PT2_iSC_SC_
; %bb.0:
	s_get_pc_i64 s[2:3]
	s_add_nc_u64 s[2:3], s[2:3], __PRETTY_FUNCTION__._Z38paged_attention_ll4mi_QKV_mfma4_kernelI14__hip_bfloat16S0_LN4vllm18Fp8KVCacheDataTypeE0ES0_Li16ELi64ELi256ELb1ELi2EEvPKT_PKT0_S8_ifPKiSA_SA_iPKfiiiPfSD_PS3_PT2_iSC_SC_@rel64+4
	s_delay_alu instid0(SALU_CYCLE_1)
	v_dual_mov_b32 v0, 0xbce :: v_dual_mov_b32 v1, s2
	v_mov_b32_e32 v2, s3
	s_add_nc_u64 s[8:9], s[0:1], 0x90
	s_get_pc_i64 s[0:1]
	s_add_nc_u64 s[0:1], s[0:1], __assert_fail@rel64+4
	s_mov_b32 s32, 0
	s_swap_pc_i64 s[30:31], s[0:1]
	.section	.rodata,"a",@progbits
	.p2align	6, 0x0
	.amdhsa_kernel _Z38paged_attention_ll4mi_QKV_mfma4_kernelI14__hip_bfloat16S0_LN4vllm18Fp8KVCacheDataTypeE0ES0_Li16ELi64ELi256ELb1ELi2EEvPKT_PKT0_S8_ifPKiSA_SA_iPKfiiiPfSD_PS3_PT2_iSC_SC_
		.amdhsa_group_segment_fixed_size 0
		.amdhsa_private_segment_fixed_size 64
		.amdhsa_kernarg_size 400
		.amdhsa_user_sgpr_count 2
		.amdhsa_user_sgpr_dispatch_ptr 0
		.amdhsa_user_sgpr_queue_ptr 0
		.amdhsa_user_sgpr_kernarg_segment_ptr 1
		.amdhsa_user_sgpr_dispatch_id 0
		.amdhsa_user_sgpr_kernarg_preload_length 0
		.amdhsa_user_sgpr_kernarg_preload_offset 0
		.amdhsa_user_sgpr_private_segment_size 0
		.amdhsa_wavefront_size32 1
		.amdhsa_uses_dynamic_stack 0
		.amdhsa_enable_private_segment 1
		.amdhsa_system_sgpr_workgroup_id_x 1
		.amdhsa_system_sgpr_workgroup_id_y 0
		.amdhsa_system_sgpr_workgroup_id_z 0
		.amdhsa_system_sgpr_workgroup_info 0
		.amdhsa_system_vgpr_workitem_id 0
		.amdhsa_next_free_vgpr 51
		.amdhsa_next_free_sgpr 34
		.amdhsa_named_barrier_count 0
		.amdhsa_reserve_vcc 1
		.amdhsa_float_round_mode_32 0
		.amdhsa_float_round_mode_16_64 0
		.amdhsa_float_denorm_mode_32 3
		.amdhsa_float_denorm_mode_16_64 3
		.amdhsa_fp16_overflow 0
		.amdhsa_memory_ordered 1
		.amdhsa_forward_progress 1
		.amdhsa_inst_pref_size 1
		.amdhsa_round_robin_scheduling 0
		.amdhsa_exception_fp_ieee_invalid_op 0
		.amdhsa_exception_fp_denorm_src 0
		.amdhsa_exception_fp_ieee_div_zero 0
		.amdhsa_exception_fp_ieee_overflow 0
		.amdhsa_exception_fp_ieee_underflow 0
		.amdhsa_exception_fp_ieee_inexact 0
		.amdhsa_exception_int_div_zero 0
	.end_amdhsa_kernel
	.section	.text._Z38paged_attention_ll4mi_QKV_mfma4_kernelI14__hip_bfloat16S0_LN4vllm18Fp8KVCacheDataTypeE0ES0_Li16ELi64ELi256ELb1ELi2EEvPKT_PKT0_S8_ifPKiSA_SA_iPKfiiiPfSD_PS3_PT2_iSC_SC_,"axG",@progbits,_Z38paged_attention_ll4mi_QKV_mfma4_kernelI14__hip_bfloat16S0_LN4vllm18Fp8KVCacheDataTypeE0ES0_Li16ELi64ELi256ELb1ELi2EEvPKT_PKT0_S8_ifPKiSA_SA_iPKfiiiPfSD_PS3_PT2_iSC_SC_,comdat
.Lfunc_end443:
	.size	_Z38paged_attention_ll4mi_QKV_mfma4_kernelI14__hip_bfloat16S0_LN4vllm18Fp8KVCacheDataTypeE0ES0_Li16ELi64ELi256ELb1ELi2EEvPKT_PKT0_S8_ifPKiSA_SA_iPKfiiiPfSD_PS3_PT2_iSC_SC_, .Lfunc_end443-_Z38paged_attention_ll4mi_QKV_mfma4_kernelI14__hip_bfloat16S0_LN4vllm18Fp8KVCacheDataTypeE0ES0_Li16ELi64ELi256ELb1ELi2EEvPKT_PKT0_S8_ifPKiSA_SA_iPKfiiiPfSD_PS3_PT2_iSC_SC_
                                        ; -- End function
	.set _Z38paged_attention_ll4mi_QKV_mfma4_kernelI14__hip_bfloat16S0_LN4vllm18Fp8KVCacheDataTypeE0ES0_Li16ELi64ELi256ELb1ELi2EEvPKT_PKT0_S8_ifPKiSA_SA_iPKfiiiPfSD_PS3_PT2_iSC_SC_.num_vgpr, max(3, .L__assert_fail.num_vgpr)
	.set _Z38paged_attention_ll4mi_QKV_mfma4_kernelI14__hip_bfloat16S0_LN4vllm18Fp8KVCacheDataTypeE0ES0_Li16ELi64ELi256ELb1ELi2EEvPKT_PKT0_S8_ifPKiSA_SA_iPKfiiiPfSD_PS3_PT2_iSC_SC_.num_agpr, max(0, .L__assert_fail.num_agpr)
	.set _Z38paged_attention_ll4mi_QKV_mfma4_kernelI14__hip_bfloat16S0_LN4vllm18Fp8KVCacheDataTypeE0ES0_Li16ELi64ELi256ELb1ELi2EEvPKT_PKT0_S8_ifPKiSA_SA_iPKfiiiPfSD_PS3_PT2_iSC_SC_.numbered_sgpr, max(33, .L__assert_fail.numbered_sgpr)
	.set _Z38paged_attention_ll4mi_QKV_mfma4_kernelI14__hip_bfloat16S0_LN4vllm18Fp8KVCacheDataTypeE0ES0_Li16ELi64ELi256ELb1ELi2EEvPKT_PKT0_S8_ifPKiSA_SA_iPKfiiiPfSD_PS3_PT2_iSC_SC_.num_named_barrier, max(0, .L__assert_fail.num_named_barrier)
	.set _Z38paged_attention_ll4mi_QKV_mfma4_kernelI14__hip_bfloat16S0_LN4vllm18Fp8KVCacheDataTypeE0ES0_Li16ELi64ELi256ELb1ELi2EEvPKT_PKT0_S8_ifPKiSA_SA_iPKfiiiPfSD_PS3_PT2_iSC_SC_.private_seg_size, 0+max(.L__assert_fail.private_seg_size)
	.set _Z38paged_attention_ll4mi_QKV_mfma4_kernelI14__hip_bfloat16S0_LN4vllm18Fp8KVCacheDataTypeE0ES0_Li16ELi64ELi256ELb1ELi2EEvPKT_PKT0_S8_ifPKiSA_SA_iPKfiiiPfSD_PS3_PT2_iSC_SC_.uses_vcc, or(1, .L__assert_fail.uses_vcc)
	.set _Z38paged_attention_ll4mi_QKV_mfma4_kernelI14__hip_bfloat16S0_LN4vllm18Fp8KVCacheDataTypeE0ES0_Li16ELi64ELi256ELb1ELi2EEvPKT_PKT0_S8_ifPKiSA_SA_iPKfiiiPfSD_PS3_PT2_iSC_SC_.uses_flat_scratch, or(0, .L__assert_fail.uses_flat_scratch)
	.set _Z38paged_attention_ll4mi_QKV_mfma4_kernelI14__hip_bfloat16S0_LN4vllm18Fp8KVCacheDataTypeE0ES0_Li16ELi64ELi256ELb1ELi2EEvPKT_PKT0_S8_ifPKiSA_SA_iPKfiiiPfSD_PS3_PT2_iSC_SC_.has_dyn_sized_stack, or(0, .L__assert_fail.has_dyn_sized_stack)
	.set _Z38paged_attention_ll4mi_QKV_mfma4_kernelI14__hip_bfloat16S0_LN4vllm18Fp8KVCacheDataTypeE0ES0_Li16ELi64ELi256ELb1ELi2EEvPKT_PKT0_S8_ifPKiSA_SA_iPKfiiiPfSD_PS3_PT2_iSC_SC_.has_recursion, or(0, .L__assert_fail.has_recursion)
	.set _Z38paged_attention_ll4mi_QKV_mfma4_kernelI14__hip_bfloat16S0_LN4vllm18Fp8KVCacheDataTypeE0ES0_Li16ELi64ELi256ELb1ELi2EEvPKT_PKT0_S8_ifPKiSA_SA_iPKfiiiPfSD_PS3_PT2_iSC_SC_.has_indirect_call, or(0, .L__assert_fail.has_indirect_call)
	.section	.AMDGPU.csdata,"",@progbits
; Kernel info:
; codeLenInByte = 68
; TotalNumSgprs: 36
; NumVgprs: 51
; ScratchSize: 64
; MemoryBound: 0
; FloatMode: 240
; IeeeMode: 1
; LDSByteSize: 0 bytes/workgroup (compile time only)
; SGPRBlocks: 0
; VGPRBlocks: 3
; NumSGPRsForWavesPerEU: 36
; NumVGPRsForWavesPerEU: 51
; NamedBarCnt: 0
; Occupancy: 16
; WaveLimiterHint : 1
; COMPUTE_PGM_RSRC2:SCRATCH_EN: 1
; COMPUTE_PGM_RSRC2:USER_SGPR: 2
; COMPUTE_PGM_RSRC2:TRAP_HANDLER: 0
; COMPUTE_PGM_RSRC2:TGID_X_EN: 1
; COMPUTE_PGM_RSRC2:TGID_Y_EN: 0
; COMPUTE_PGM_RSRC2:TGID_Z_EN: 0
; COMPUTE_PGM_RSRC2:TIDIG_COMP_CNT: 0
	.section	.text._Z38paged_attention_ll4mi_QKV_mfma4_kernelI14__hip_bfloat16S0_LN4vllm18Fp8KVCacheDataTypeE0ES0_Li16ELi64ELi256ELb1ELi3EEvPKT_PKT0_S8_ifPKiSA_SA_iPKfiiiPfSD_PS3_PT2_iSC_SC_,"axG",@progbits,_Z38paged_attention_ll4mi_QKV_mfma4_kernelI14__hip_bfloat16S0_LN4vllm18Fp8KVCacheDataTypeE0ES0_Li16ELi64ELi256ELb1ELi3EEvPKT_PKT0_S8_ifPKiSA_SA_iPKfiiiPfSD_PS3_PT2_iSC_SC_,comdat
	.protected	_Z38paged_attention_ll4mi_QKV_mfma4_kernelI14__hip_bfloat16S0_LN4vllm18Fp8KVCacheDataTypeE0ES0_Li16ELi64ELi256ELb1ELi3EEvPKT_PKT0_S8_ifPKiSA_SA_iPKfiiiPfSD_PS3_PT2_iSC_SC_ ; -- Begin function _Z38paged_attention_ll4mi_QKV_mfma4_kernelI14__hip_bfloat16S0_LN4vllm18Fp8KVCacheDataTypeE0ES0_Li16ELi64ELi256ELb1ELi3EEvPKT_PKT0_S8_ifPKiSA_SA_iPKfiiiPfSD_PS3_PT2_iSC_SC_
	.globl	_Z38paged_attention_ll4mi_QKV_mfma4_kernelI14__hip_bfloat16S0_LN4vllm18Fp8KVCacheDataTypeE0ES0_Li16ELi64ELi256ELb1ELi3EEvPKT_PKT0_S8_ifPKiSA_SA_iPKfiiiPfSD_PS3_PT2_iSC_SC_
	.p2align	8
	.type	_Z38paged_attention_ll4mi_QKV_mfma4_kernelI14__hip_bfloat16S0_LN4vllm18Fp8KVCacheDataTypeE0ES0_Li16ELi64ELi256ELb1ELi3EEvPKT_PKT0_S8_ifPKiSA_SA_iPKfiiiPfSD_PS3_PT2_iSC_SC_,@function
_Z38paged_attention_ll4mi_QKV_mfma4_kernelI14__hip_bfloat16S0_LN4vllm18Fp8KVCacheDataTypeE0ES0_Li16ELi64ELi256ELb1ELi3EEvPKT_PKT0_S8_ifPKiSA_SA_iPKfiiiPfSD_PS3_PT2_iSC_SC_: ; @_Z38paged_attention_ll4mi_QKV_mfma4_kernelI14__hip_bfloat16S0_LN4vllm18Fp8KVCacheDataTypeE0ES0_Li16ELi64ELi256ELb1ELi3EEvPKT_PKT0_S8_ifPKiSA_SA_iPKfiiiPfSD_PS3_PT2_iSC_SC_
; %bb.0:
	s_get_pc_i64 s[2:3]
	s_add_nc_u64 s[2:3], s[2:3], __PRETTY_FUNCTION__._Z38paged_attention_ll4mi_QKV_mfma4_kernelI14__hip_bfloat16S0_LN4vllm18Fp8KVCacheDataTypeE0ES0_Li16ELi64ELi256ELb1ELi3EEvPKT_PKT0_S8_ifPKiSA_SA_iPKfiiiPfSD_PS3_PT2_iSC_SC_@rel64+4
	s_delay_alu instid0(SALU_CYCLE_1)
	v_dual_mov_b32 v0, 0xbce :: v_dual_mov_b32 v1, s2
	v_mov_b32_e32 v2, s3
	s_add_nc_u64 s[8:9], s[0:1], 0x90
	s_get_pc_i64 s[0:1]
	s_add_nc_u64 s[0:1], s[0:1], __assert_fail@rel64+4
	s_mov_b32 s32, 0
	s_swap_pc_i64 s[30:31], s[0:1]
	.section	.rodata,"a",@progbits
	.p2align	6, 0x0
	.amdhsa_kernel _Z38paged_attention_ll4mi_QKV_mfma4_kernelI14__hip_bfloat16S0_LN4vllm18Fp8KVCacheDataTypeE0ES0_Li16ELi64ELi256ELb1ELi3EEvPKT_PKT0_S8_ifPKiSA_SA_iPKfiiiPfSD_PS3_PT2_iSC_SC_
		.amdhsa_group_segment_fixed_size 0
		.amdhsa_private_segment_fixed_size 64
		.amdhsa_kernarg_size 400
		.amdhsa_user_sgpr_count 2
		.amdhsa_user_sgpr_dispatch_ptr 0
		.amdhsa_user_sgpr_queue_ptr 0
		.amdhsa_user_sgpr_kernarg_segment_ptr 1
		.amdhsa_user_sgpr_dispatch_id 0
		.amdhsa_user_sgpr_kernarg_preload_length 0
		.amdhsa_user_sgpr_kernarg_preload_offset 0
		.amdhsa_user_sgpr_private_segment_size 0
		.amdhsa_wavefront_size32 1
		.amdhsa_uses_dynamic_stack 0
		.amdhsa_enable_private_segment 1
		.amdhsa_system_sgpr_workgroup_id_x 1
		.amdhsa_system_sgpr_workgroup_id_y 0
		.amdhsa_system_sgpr_workgroup_id_z 0
		.amdhsa_system_sgpr_workgroup_info 0
		.amdhsa_system_vgpr_workitem_id 0
		.amdhsa_next_free_vgpr 51
		.amdhsa_next_free_sgpr 34
		.amdhsa_named_barrier_count 0
		.amdhsa_reserve_vcc 1
		.amdhsa_float_round_mode_32 0
		.amdhsa_float_round_mode_16_64 0
		.amdhsa_float_denorm_mode_32 3
		.amdhsa_float_denorm_mode_16_64 3
		.amdhsa_fp16_overflow 0
		.amdhsa_memory_ordered 1
		.amdhsa_forward_progress 1
		.amdhsa_inst_pref_size 1
		.amdhsa_round_robin_scheduling 0
		.amdhsa_exception_fp_ieee_invalid_op 0
		.amdhsa_exception_fp_denorm_src 0
		.amdhsa_exception_fp_ieee_div_zero 0
		.amdhsa_exception_fp_ieee_overflow 0
		.amdhsa_exception_fp_ieee_underflow 0
		.amdhsa_exception_fp_ieee_inexact 0
		.amdhsa_exception_int_div_zero 0
	.end_amdhsa_kernel
	.section	.text._Z38paged_attention_ll4mi_QKV_mfma4_kernelI14__hip_bfloat16S0_LN4vllm18Fp8KVCacheDataTypeE0ES0_Li16ELi64ELi256ELb1ELi3EEvPKT_PKT0_S8_ifPKiSA_SA_iPKfiiiPfSD_PS3_PT2_iSC_SC_,"axG",@progbits,_Z38paged_attention_ll4mi_QKV_mfma4_kernelI14__hip_bfloat16S0_LN4vllm18Fp8KVCacheDataTypeE0ES0_Li16ELi64ELi256ELb1ELi3EEvPKT_PKT0_S8_ifPKiSA_SA_iPKfiiiPfSD_PS3_PT2_iSC_SC_,comdat
.Lfunc_end444:
	.size	_Z38paged_attention_ll4mi_QKV_mfma4_kernelI14__hip_bfloat16S0_LN4vllm18Fp8KVCacheDataTypeE0ES0_Li16ELi64ELi256ELb1ELi3EEvPKT_PKT0_S8_ifPKiSA_SA_iPKfiiiPfSD_PS3_PT2_iSC_SC_, .Lfunc_end444-_Z38paged_attention_ll4mi_QKV_mfma4_kernelI14__hip_bfloat16S0_LN4vllm18Fp8KVCacheDataTypeE0ES0_Li16ELi64ELi256ELb1ELi3EEvPKT_PKT0_S8_ifPKiSA_SA_iPKfiiiPfSD_PS3_PT2_iSC_SC_
                                        ; -- End function
	.set _Z38paged_attention_ll4mi_QKV_mfma4_kernelI14__hip_bfloat16S0_LN4vllm18Fp8KVCacheDataTypeE0ES0_Li16ELi64ELi256ELb1ELi3EEvPKT_PKT0_S8_ifPKiSA_SA_iPKfiiiPfSD_PS3_PT2_iSC_SC_.num_vgpr, max(3, .L__assert_fail.num_vgpr)
	.set _Z38paged_attention_ll4mi_QKV_mfma4_kernelI14__hip_bfloat16S0_LN4vllm18Fp8KVCacheDataTypeE0ES0_Li16ELi64ELi256ELb1ELi3EEvPKT_PKT0_S8_ifPKiSA_SA_iPKfiiiPfSD_PS3_PT2_iSC_SC_.num_agpr, max(0, .L__assert_fail.num_agpr)
	.set _Z38paged_attention_ll4mi_QKV_mfma4_kernelI14__hip_bfloat16S0_LN4vllm18Fp8KVCacheDataTypeE0ES0_Li16ELi64ELi256ELb1ELi3EEvPKT_PKT0_S8_ifPKiSA_SA_iPKfiiiPfSD_PS3_PT2_iSC_SC_.numbered_sgpr, max(33, .L__assert_fail.numbered_sgpr)
	.set _Z38paged_attention_ll4mi_QKV_mfma4_kernelI14__hip_bfloat16S0_LN4vllm18Fp8KVCacheDataTypeE0ES0_Li16ELi64ELi256ELb1ELi3EEvPKT_PKT0_S8_ifPKiSA_SA_iPKfiiiPfSD_PS3_PT2_iSC_SC_.num_named_barrier, max(0, .L__assert_fail.num_named_barrier)
	.set _Z38paged_attention_ll4mi_QKV_mfma4_kernelI14__hip_bfloat16S0_LN4vllm18Fp8KVCacheDataTypeE0ES0_Li16ELi64ELi256ELb1ELi3EEvPKT_PKT0_S8_ifPKiSA_SA_iPKfiiiPfSD_PS3_PT2_iSC_SC_.private_seg_size, 0+max(.L__assert_fail.private_seg_size)
	.set _Z38paged_attention_ll4mi_QKV_mfma4_kernelI14__hip_bfloat16S0_LN4vllm18Fp8KVCacheDataTypeE0ES0_Li16ELi64ELi256ELb1ELi3EEvPKT_PKT0_S8_ifPKiSA_SA_iPKfiiiPfSD_PS3_PT2_iSC_SC_.uses_vcc, or(1, .L__assert_fail.uses_vcc)
	.set _Z38paged_attention_ll4mi_QKV_mfma4_kernelI14__hip_bfloat16S0_LN4vllm18Fp8KVCacheDataTypeE0ES0_Li16ELi64ELi256ELb1ELi3EEvPKT_PKT0_S8_ifPKiSA_SA_iPKfiiiPfSD_PS3_PT2_iSC_SC_.uses_flat_scratch, or(0, .L__assert_fail.uses_flat_scratch)
	.set _Z38paged_attention_ll4mi_QKV_mfma4_kernelI14__hip_bfloat16S0_LN4vllm18Fp8KVCacheDataTypeE0ES0_Li16ELi64ELi256ELb1ELi3EEvPKT_PKT0_S8_ifPKiSA_SA_iPKfiiiPfSD_PS3_PT2_iSC_SC_.has_dyn_sized_stack, or(0, .L__assert_fail.has_dyn_sized_stack)
	.set _Z38paged_attention_ll4mi_QKV_mfma4_kernelI14__hip_bfloat16S0_LN4vllm18Fp8KVCacheDataTypeE0ES0_Li16ELi64ELi256ELb1ELi3EEvPKT_PKT0_S8_ifPKiSA_SA_iPKfiiiPfSD_PS3_PT2_iSC_SC_.has_recursion, or(0, .L__assert_fail.has_recursion)
	.set _Z38paged_attention_ll4mi_QKV_mfma4_kernelI14__hip_bfloat16S0_LN4vllm18Fp8KVCacheDataTypeE0ES0_Li16ELi64ELi256ELb1ELi3EEvPKT_PKT0_S8_ifPKiSA_SA_iPKfiiiPfSD_PS3_PT2_iSC_SC_.has_indirect_call, or(0, .L__assert_fail.has_indirect_call)
	.section	.AMDGPU.csdata,"",@progbits
; Kernel info:
; codeLenInByte = 68
; TotalNumSgprs: 36
; NumVgprs: 51
; ScratchSize: 64
; MemoryBound: 0
; FloatMode: 240
; IeeeMode: 1
; LDSByteSize: 0 bytes/workgroup (compile time only)
; SGPRBlocks: 0
; VGPRBlocks: 3
; NumSGPRsForWavesPerEU: 36
; NumVGPRsForWavesPerEU: 51
; NamedBarCnt: 0
; Occupancy: 16
; WaveLimiterHint : 1
; COMPUTE_PGM_RSRC2:SCRATCH_EN: 1
; COMPUTE_PGM_RSRC2:USER_SGPR: 2
; COMPUTE_PGM_RSRC2:TRAP_HANDLER: 0
; COMPUTE_PGM_RSRC2:TGID_X_EN: 1
; COMPUTE_PGM_RSRC2:TGID_Y_EN: 0
; COMPUTE_PGM_RSRC2:TGID_Z_EN: 0
; COMPUTE_PGM_RSRC2:TIDIG_COMP_CNT: 0
	.section	.text._Z38paged_attention_ll4mi_QKV_mfma4_kernelI14__hip_bfloat16S0_LN4vllm18Fp8KVCacheDataTypeE0ES0_Li16ELi64ELi256ELb1ELi4EEvPKT_PKT0_S8_ifPKiSA_SA_iPKfiiiPfSD_PS3_PT2_iSC_SC_,"axG",@progbits,_Z38paged_attention_ll4mi_QKV_mfma4_kernelI14__hip_bfloat16S0_LN4vllm18Fp8KVCacheDataTypeE0ES0_Li16ELi64ELi256ELb1ELi4EEvPKT_PKT0_S8_ifPKiSA_SA_iPKfiiiPfSD_PS3_PT2_iSC_SC_,comdat
	.protected	_Z38paged_attention_ll4mi_QKV_mfma4_kernelI14__hip_bfloat16S0_LN4vllm18Fp8KVCacheDataTypeE0ES0_Li16ELi64ELi256ELb1ELi4EEvPKT_PKT0_S8_ifPKiSA_SA_iPKfiiiPfSD_PS3_PT2_iSC_SC_ ; -- Begin function _Z38paged_attention_ll4mi_QKV_mfma4_kernelI14__hip_bfloat16S0_LN4vllm18Fp8KVCacheDataTypeE0ES0_Li16ELi64ELi256ELb1ELi4EEvPKT_PKT0_S8_ifPKiSA_SA_iPKfiiiPfSD_PS3_PT2_iSC_SC_
	.globl	_Z38paged_attention_ll4mi_QKV_mfma4_kernelI14__hip_bfloat16S0_LN4vllm18Fp8KVCacheDataTypeE0ES0_Li16ELi64ELi256ELb1ELi4EEvPKT_PKT0_S8_ifPKiSA_SA_iPKfiiiPfSD_PS3_PT2_iSC_SC_
	.p2align	8
	.type	_Z38paged_attention_ll4mi_QKV_mfma4_kernelI14__hip_bfloat16S0_LN4vllm18Fp8KVCacheDataTypeE0ES0_Li16ELi64ELi256ELb1ELi4EEvPKT_PKT0_S8_ifPKiSA_SA_iPKfiiiPfSD_PS3_PT2_iSC_SC_,@function
_Z38paged_attention_ll4mi_QKV_mfma4_kernelI14__hip_bfloat16S0_LN4vllm18Fp8KVCacheDataTypeE0ES0_Li16ELi64ELi256ELb1ELi4EEvPKT_PKT0_S8_ifPKiSA_SA_iPKfiiiPfSD_PS3_PT2_iSC_SC_: ; @_Z38paged_attention_ll4mi_QKV_mfma4_kernelI14__hip_bfloat16S0_LN4vllm18Fp8KVCacheDataTypeE0ES0_Li16ELi64ELi256ELb1ELi4EEvPKT_PKT0_S8_ifPKiSA_SA_iPKfiiiPfSD_PS3_PT2_iSC_SC_
; %bb.0:
	s_get_pc_i64 s[2:3]
	s_add_nc_u64 s[2:3], s[2:3], __PRETTY_FUNCTION__._Z38paged_attention_ll4mi_QKV_mfma4_kernelI14__hip_bfloat16S0_LN4vllm18Fp8KVCacheDataTypeE0ES0_Li16ELi64ELi256ELb1ELi4EEvPKT_PKT0_S8_ifPKiSA_SA_iPKfiiiPfSD_PS3_PT2_iSC_SC_@rel64+4
	s_delay_alu instid0(SALU_CYCLE_1)
	v_dual_mov_b32 v0, 0xbce :: v_dual_mov_b32 v1, s2
	v_mov_b32_e32 v2, s3
	s_add_nc_u64 s[8:9], s[0:1], 0x90
	s_get_pc_i64 s[0:1]
	s_add_nc_u64 s[0:1], s[0:1], __assert_fail@rel64+4
	s_mov_b32 s32, 0
	s_swap_pc_i64 s[30:31], s[0:1]
	.section	.rodata,"a",@progbits
	.p2align	6, 0x0
	.amdhsa_kernel _Z38paged_attention_ll4mi_QKV_mfma4_kernelI14__hip_bfloat16S0_LN4vllm18Fp8KVCacheDataTypeE0ES0_Li16ELi64ELi256ELb1ELi4EEvPKT_PKT0_S8_ifPKiSA_SA_iPKfiiiPfSD_PS3_PT2_iSC_SC_
		.amdhsa_group_segment_fixed_size 0
		.amdhsa_private_segment_fixed_size 64
		.amdhsa_kernarg_size 400
		.amdhsa_user_sgpr_count 2
		.amdhsa_user_sgpr_dispatch_ptr 0
		.amdhsa_user_sgpr_queue_ptr 0
		.amdhsa_user_sgpr_kernarg_segment_ptr 1
		.amdhsa_user_sgpr_dispatch_id 0
		.amdhsa_user_sgpr_kernarg_preload_length 0
		.amdhsa_user_sgpr_kernarg_preload_offset 0
		.amdhsa_user_sgpr_private_segment_size 0
		.amdhsa_wavefront_size32 1
		.amdhsa_uses_dynamic_stack 0
		.amdhsa_enable_private_segment 1
		.amdhsa_system_sgpr_workgroup_id_x 1
		.amdhsa_system_sgpr_workgroup_id_y 0
		.amdhsa_system_sgpr_workgroup_id_z 0
		.amdhsa_system_sgpr_workgroup_info 0
		.amdhsa_system_vgpr_workitem_id 0
		.amdhsa_next_free_vgpr 51
		.amdhsa_next_free_sgpr 34
		.amdhsa_named_barrier_count 0
		.amdhsa_reserve_vcc 1
		.amdhsa_float_round_mode_32 0
		.amdhsa_float_round_mode_16_64 0
		.amdhsa_float_denorm_mode_32 3
		.amdhsa_float_denorm_mode_16_64 3
		.amdhsa_fp16_overflow 0
		.amdhsa_memory_ordered 1
		.amdhsa_forward_progress 1
		.amdhsa_inst_pref_size 1
		.amdhsa_round_robin_scheduling 0
		.amdhsa_exception_fp_ieee_invalid_op 0
		.amdhsa_exception_fp_denorm_src 0
		.amdhsa_exception_fp_ieee_div_zero 0
		.amdhsa_exception_fp_ieee_overflow 0
		.amdhsa_exception_fp_ieee_underflow 0
		.amdhsa_exception_fp_ieee_inexact 0
		.amdhsa_exception_int_div_zero 0
	.end_amdhsa_kernel
	.section	.text._Z38paged_attention_ll4mi_QKV_mfma4_kernelI14__hip_bfloat16S0_LN4vllm18Fp8KVCacheDataTypeE0ES0_Li16ELi64ELi256ELb1ELi4EEvPKT_PKT0_S8_ifPKiSA_SA_iPKfiiiPfSD_PS3_PT2_iSC_SC_,"axG",@progbits,_Z38paged_attention_ll4mi_QKV_mfma4_kernelI14__hip_bfloat16S0_LN4vllm18Fp8KVCacheDataTypeE0ES0_Li16ELi64ELi256ELb1ELi4EEvPKT_PKT0_S8_ifPKiSA_SA_iPKfiiiPfSD_PS3_PT2_iSC_SC_,comdat
.Lfunc_end445:
	.size	_Z38paged_attention_ll4mi_QKV_mfma4_kernelI14__hip_bfloat16S0_LN4vllm18Fp8KVCacheDataTypeE0ES0_Li16ELi64ELi256ELb1ELi4EEvPKT_PKT0_S8_ifPKiSA_SA_iPKfiiiPfSD_PS3_PT2_iSC_SC_, .Lfunc_end445-_Z38paged_attention_ll4mi_QKV_mfma4_kernelI14__hip_bfloat16S0_LN4vllm18Fp8KVCacheDataTypeE0ES0_Li16ELi64ELi256ELb1ELi4EEvPKT_PKT0_S8_ifPKiSA_SA_iPKfiiiPfSD_PS3_PT2_iSC_SC_
                                        ; -- End function
	.set _Z38paged_attention_ll4mi_QKV_mfma4_kernelI14__hip_bfloat16S0_LN4vllm18Fp8KVCacheDataTypeE0ES0_Li16ELi64ELi256ELb1ELi4EEvPKT_PKT0_S8_ifPKiSA_SA_iPKfiiiPfSD_PS3_PT2_iSC_SC_.num_vgpr, max(3, .L__assert_fail.num_vgpr)
	.set _Z38paged_attention_ll4mi_QKV_mfma4_kernelI14__hip_bfloat16S0_LN4vllm18Fp8KVCacheDataTypeE0ES0_Li16ELi64ELi256ELb1ELi4EEvPKT_PKT0_S8_ifPKiSA_SA_iPKfiiiPfSD_PS3_PT2_iSC_SC_.num_agpr, max(0, .L__assert_fail.num_agpr)
	.set _Z38paged_attention_ll4mi_QKV_mfma4_kernelI14__hip_bfloat16S0_LN4vllm18Fp8KVCacheDataTypeE0ES0_Li16ELi64ELi256ELb1ELi4EEvPKT_PKT0_S8_ifPKiSA_SA_iPKfiiiPfSD_PS3_PT2_iSC_SC_.numbered_sgpr, max(33, .L__assert_fail.numbered_sgpr)
	.set _Z38paged_attention_ll4mi_QKV_mfma4_kernelI14__hip_bfloat16S0_LN4vllm18Fp8KVCacheDataTypeE0ES0_Li16ELi64ELi256ELb1ELi4EEvPKT_PKT0_S8_ifPKiSA_SA_iPKfiiiPfSD_PS3_PT2_iSC_SC_.num_named_barrier, max(0, .L__assert_fail.num_named_barrier)
	.set _Z38paged_attention_ll4mi_QKV_mfma4_kernelI14__hip_bfloat16S0_LN4vllm18Fp8KVCacheDataTypeE0ES0_Li16ELi64ELi256ELb1ELi4EEvPKT_PKT0_S8_ifPKiSA_SA_iPKfiiiPfSD_PS3_PT2_iSC_SC_.private_seg_size, 0+max(.L__assert_fail.private_seg_size)
	.set _Z38paged_attention_ll4mi_QKV_mfma4_kernelI14__hip_bfloat16S0_LN4vllm18Fp8KVCacheDataTypeE0ES0_Li16ELi64ELi256ELb1ELi4EEvPKT_PKT0_S8_ifPKiSA_SA_iPKfiiiPfSD_PS3_PT2_iSC_SC_.uses_vcc, or(1, .L__assert_fail.uses_vcc)
	.set _Z38paged_attention_ll4mi_QKV_mfma4_kernelI14__hip_bfloat16S0_LN4vllm18Fp8KVCacheDataTypeE0ES0_Li16ELi64ELi256ELb1ELi4EEvPKT_PKT0_S8_ifPKiSA_SA_iPKfiiiPfSD_PS3_PT2_iSC_SC_.uses_flat_scratch, or(0, .L__assert_fail.uses_flat_scratch)
	.set _Z38paged_attention_ll4mi_QKV_mfma4_kernelI14__hip_bfloat16S0_LN4vllm18Fp8KVCacheDataTypeE0ES0_Li16ELi64ELi256ELb1ELi4EEvPKT_PKT0_S8_ifPKiSA_SA_iPKfiiiPfSD_PS3_PT2_iSC_SC_.has_dyn_sized_stack, or(0, .L__assert_fail.has_dyn_sized_stack)
	.set _Z38paged_attention_ll4mi_QKV_mfma4_kernelI14__hip_bfloat16S0_LN4vllm18Fp8KVCacheDataTypeE0ES0_Li16ELi64ELi256ELb1ELi4EEvPKT_PKT0_S8_ifPKiSA_SA_iPKfiiiPfSD_PS3_PT2_iSC_SC_.has_recursion, or(0, .L__assert_fail.has_recursion)
	.set _Z38paged_attention_ll4mi_QKV_mfma4_kernelI14__hip_bfloat16S0_LN4vllm18Fp8KVCacheDataTypeE0ES0_Li16ELi64ELi256ELb1ELi4EEvPKT_PKT0_S8_ifPKiSA_SA_iPKfiiiPfSD_PS3_PT2_iSC_SC_.has_indirect_call, or(0, .L__assert_fail.has_indirect_call)
	.section	.AMDGPU.csdata,"",@progbits
; Kernel info:
; codeLenInByte = 68
; TotalNumSgprs: 36
; NumVgprs: 51
; ScratchSize: 64
; MemoryBound: 0
; FloatMode: 240
; IeeeMode: 1
; LDSByteSize: 0 bytes/workgroup (compile time only)
; SGPRBlocks: 0
; VGPRBlocks: 3
; NumSGPRsForWavesPerEU: 36
; NumVGPRsForWavesPerEU: 51
; NamedBarCnt: 0
; Occupancy: 16
; WaveLimiterHint : 1
; COMPUTE_PGM_RSRC2:SCRATCH_EN: 1
; COMPUTE_PGM_RSRC2:USER_SGPR: 2
; COMPUTE_PGM_RSRC2:TRAP_HANDLER: 0
; COMPUTE_PGM_RSRC2:TGID_X_EN: 1
; COMPUTE_PGM_RSRC2:TGID_Y_EN: 0
; COMPUTE_PGM_RSRC2:TGID_Z_EN: 0
; COMPUTE_PGM_RSRC2:TIDIG_COMP_CNT: 0
	.section	.text._Z39paged_attention_ll4mi_QKV_mfma16_kernelI14__hip_bfloat16S0_LN4vllm18Fp8KVCacheDataTypeE0ES0_Li16ELi64ELi256ELb1ELi5EEvPKT_PKT0_S8_ifPKiSA_SA_iPKfiiiPfSD_PS3_PT2_iSC_SC_,"axG",@progbits,_Z39paged_attention_ll4mi_QKV_mfma16_kernelI14__hip_bfloat16S0_LN4vllm18Fp8KVCacheDataTypeE0ES0_Li16ELi64ELi256ELb1ELi5EEvPKT_PKT0_S8_ifPKiSA_SA_iPKfiiiPfSD_PS3_PT2_iSC_SC_,comdat
	.protected	_Z39paged_attention_ll4mi_QKV_mfma16_kernelI14__hip_bfloat16S0_LN4vllm18Fp8KVCacheDataTypeE0ES0_Li16ELi64ELi256ELb1ELi5EEvPKT_PKT0_S8_ifPKiSA_SA_iPKfiiiPfSD_PS3_PT2_iSC_SC_ ; -- Begin function _Z39paged_attention_ll4mi_QKV_mfma16_kernelI14__hip_bfloat16S0_LN4vllm18Fp8KVCacheDataTypeE0ES0_Li16ELi64ELi256ELb1ELi5EEvPKT_PKT0_S8_ifPKiSA_SA_iPKfiiiPfSD_PS3_PT2_iSC_SC_
	.globl	_Z39paged_attention_ll4mi_QKV_mfma16_kernelI14__hip_bfloat16S0_LN4vllm18Fp8KVCacheDataTypeE0ES0_Li16ELi64ELi256ELb1ELi5EEvPKT_PKT0_S8_ifPKiSA_SA_iPKfiiiPfSD_PS3_PT2_iSC_SC_
	.p2align	8
	.type	_Z39paged_attention_ll4mi_QKV_mfma16_kernelI14__hip_bfloat16S0_LN4vllm18Fp8KVCacheDataTypeE0ES0_Li16ELi64ELi256ELb1ELi5EEvPKT_PKT0_S8_ifPKiSA_SA_iPKfiiiPfSD_PS3_PT2_iSC_SC_,@function
_Z39paged_attention_ll4mi_QKV_mfma16_kernelI14__hip_bfloat16S0_LN4vllm18Fp8KVCacheDataTypeE0ES0_Li16ELi64ELi256ELb1ELi5EEvPKT_PKT0_S8_ifPKiSA_SA_iPKfiiiPfSD_PS3_PT2_iSC_SC_: ; @_Z39paged_attention_ll4mi_QKV_mfma16_kernelI14__hip_bfloat16S0_LN4vllm18Fp8KVCacheDataTypeE0ES0_Li16ELi64ELi256ELb1ELi5EEvPKT_PKT0_S8_ifPKiSA_SA_iPKfiiiPfSD_PS3_PT2_iSC_SC_
; %bb.0:
	s_get_pc_i64 s[2:3]
	s_add_nc_u64 s[2:3], s[2:3], __PRETTY_FUNCTION__._Z39paged_attention_ll4mi_QKV_mfma16_kernelI14__hip_bfloat16S0_LN4vllm18Fp8KVCacheDataTypeE0ES0_Li16ELi64ELi256ELb1ELi5EEvPKT_PKT0_S8_ifPKiSA_SA_iPKfiiiPfSD_PS3_PT2_iSC_SC_@rel64+4
	s_delay_alu instid0(SALU_CYCLE_1)
	v_dual_mov_b32 v0, 0xbb3 :: v_dual_mov_b32 v1, s2
	v_mov_b32_e32 v2, s3
	s_add_nc_u64 s[8:9], s[0:1], 0x90
	s_get_pc_i64 s[0:1]
	s_add_nc_u64 s[0:1], s[0:1], __assert_fail@rel64+4
	s_mov_b32 s32, 0
	s_swap_pc_i64 s[30:31], s[0:1]
	.section	.rodata,"a",@progbits
	.p2align	6, 0x0
	.amdhsa_kernel _Z39paged_attention_ll4mi_QKV_mfma16_kernelI14__hip_bfloat16S0_LN4vllm18Fp8KVCacheDataTypeE0ES0_Li16ELi64ELi256ELb1ELi5EEvPKT_PKT0_S8_ifPKiSA_SA_iPKfiiiPfSD_PS3_PT2_iSC_SC_
		.amdhsa_group_segment_fixed_size 0
		.amdhsa_private_segment_fixed_size 64
		.amdhsa_kernarg_size 400
		.amdhsa_user_sgpr_count 2
		.amdhsa_user_sgpr_dispatch_ptr 0
		.amdhsa_user_sgpr_queue_ptr 0
		.amdhsa_user_sgpr_kernarg_segment_ptr 1
		.amdhsa_user_sgpr_dispatch_id 0
		.amdhsa_user_sgpr_kernarg_preload_length 0
		.amdhsa_user_sgpr_kernarg_preload_offset 0
		.amdhsa_user_sgpr_private_segment_size 0
		.amdhsa_wavefront_size32 1
		.amdhsa_uses_dynamic_stack 0
		.amdhsa_enable_private_segment 1
		.amdhsa_system_sgpr_workgroup_id_x 1
		.amdhsa_system_sgpr_workgroup_id_y 0
		.amdhsa_system_sgpr_workgroup_id_z 0
		.amdhsa_system_sgpr_workgroup_info 0
		.amdhsa_system_vgpr_workitem_id 0
		.amdhsa_next_free_vgpr 51
		.amdhsa_next_free_sgpr 34
		.amdhsa_named_barrier_count 0
		.amdhsa_reserve_vcc 1
		.amdhsa_float_round_mode_32 0
		.amdhsa_float_round_mode_16_64 0
		.amdhsa_float_denorm_mode_32 3
		.amdhsa_float_denorm_mode_16_64 3
		.amdhsa_fp16_overflow 0
		.amdhsa_memory_ordered 1
		.amdhsa_forward_progress 1
		.amdhsa_inst_pref_size 1
		.amdhsa_round_robin_scheduling 0
		.amdhsa_exception_fp_ieee_invalid_op 0
		.amdhsa_exception_fp_denorm_src 0
		.amdhsa_exception_fp_ieee_div_zero 0
		.amdhsa_exception_fp_ieee_overflow 0
		.amdhsa_exception_fp_ieee_underflow 0
		.amdhsa_exception_fp_ieee_inexact 0
		.amdhsa_exception_int_div_zero 0
	.end_amdhsa_kernel
	.section	.text._Z39paged_attention_ll4mi_QKV_mfma16_kernelI14__hip_bfloat16S0_LN4vllm18Fp8KVCacheDataTypeE0ES0_Li16ELi64ELi256ELb1ELi5EEvPKT_PKT0_S8_ifPKiSA_SA_iPKfiiiPfSD_PS3_PT2_iSC_SC_,"axG",@progbits,_Z39paged_attention_ll4mi_QKV_mfma16_kernelI14__hip_bfloat16S0_LN4vllm18Fp8KVCacheDataTypeE0ES0_Li16ELi64ELi256ELb1ELi5EEvPKT_PKT0_S8_ifPKiSA_SA_iPKfiiiPfSD_PS3_PT2_iSC_SC_,comdat
.Lfunc_end446:
	.size	_Z39paged_attention_ll4mi_QKV_mfma16_kernelI14__hip_bfloat16S0_LN4vllm18Fp8KVCacheDataTypeE0ES0_Li16ELi64ELi256ELb1ELi5EEvPKT_PKT0_S8_ifPKiSA_SA_iPKfiiiPfSD_PS3_PT2_iSC_SC_, .Lfunc_end446-_Z39paged_attention_ll4mi_QKV_mfma16_kernelI14__hip_bfloat16S0_LN4vllm18Fp8KVCacheDataTypeE0ES0_Li16ELi64ELi256ELb1ELi5EEvPKT_PKT0_S8_ifPKiSA_SA_iPKfiiiPfSD_PS3_PT2_iSC_SC_
                                        ; -- End function
	.set _Z39paged_attention_ll4mi_QKV_mfma16_kernelI14__hip_bfloat16S0_LN4vllm18Fp8KVCacheDataTypeE0ES0_Li16ELi64ELi256ELb1ELi5EEvPKT_PKT0_S8_ifPKiSA_SA_iPKfiiiPfSD_PS3_PT2_iSC_SC_.num_vgpr, max(3, .L__assert_fail.num_vgpr)
	.set _Z39paged_attention_ll4mi_QKV_mfma16_kernelI14__hip_bfloat16S0_LN4vllm18Fp8KVCacheDataTypeE0ES0_Li16ELi64ELi256ELb1ELi5EEvPKT_PKT0_S8_ifPKiSA_SA_iPKfiiiPfSD_PS3_PT2_iSC_SC_.num_agpr, max(0, .L__assert_fail.num_agpr)
	.set _Z39paged_attention_ll4mi_QKV_mfma16_kernelI14__hip_bfloat16S0_LN4vllm18Fp8KVCacheDataTypeE0ES0_Li16ELi64ELi256ELb1ELi5EEvPKT_PKT0_S8_ifPKiSA_SA_iPKfiiiPfSD_PS3_PT2_iSC_SC_.numbered_sgpr, max(33, .L__assert_fail.numbered_sgpr)
	.set _Z39paged_attention_ll4mi_QKV_mfma16_kernelI14__hip_bfloat16S0_LN4vllm18Fp8KVCacheDataTypeE0ES0_Li16ELi64ELi256ELb1ELi5EEvPKT_PKT0_S8_ifPKiSA_SA_iPKfiiiPfSD_PS3_PT2_iSC_SC_.num_named_barrier, max(0, .L__assert_fail.num_named_barrier)
	.set _Z39paged_attention_ll4mi_QKV_mfma16_kernelI14__hip_bfloat16S0_LN4vllm18Fp8KVCacheDataTypeE0ES0_Li16ELi64ELi256ELb1ELi5EEvPKT_PKT0_S8_ifPKiSA_SA_iPKfiiiPfSD_PS3_PT2_iSC_SC_.private_seg_size, 0+max(.L__assert_fail.private_seg_size)
	.set _Z39paged_attention_ll4mi_QKV_mfma16_kernelI14__hip_bfloat16S0_LN4vllm18Fp8KVCacheDataTypeE0ES0_Li16ELi64ELi256ELb1ELi5EEvPKT_PKT0_S8_ifPKiSA_SA_iPKfiiiPfSD_PS3_PT2_iSC_SC_.uses_vcc, or(1, .L__assert_fail.uses_vcc)
	.set _Z39paged_attention_ll4mi_QKV_mfma16_kernelI14__hip_bfloat16S0_LN4vllm18Fp8KVCacheDataTypeE0ES0_Li16ELi64ELi256ELb1ELi5EEvPKT_PKT0_S8_ifPKiSA_SA_iPKfiiiPfSD_PS3_PT2_iSC_SC_.uses_flat_scratch, or(0, .L__assert_fail.uses_flat_scratch)
	.set _Z39paged_attention_ll4mi_QKV_mfma16_kernelI14__hip_bfloat16S0_LN4vllm18Fp8KVCacheDataTypeE0ES0_Li16ELi64ELi256ELb1ELi5EEvPKT_PKT0_S8_ifPKiSA_SA_iPKfiiiPfSD_PS3_PT2_iSC_SC_.has_dyn_sized_stack, or(0, .L__assert_fail.has_dyn_sized_stack)
	.set _Z39paged_attention_ll4mi_QKV_mfma16_kernelI14__hip_bfloat16S0_LN4vllm18Fp8KVCacheDataTypeE0ES0_Li16ELi64ELi256ELb1ELi5EEvPKT_PKT0_S8_ifPKiSA_SA_iPKfiiiPfSD_PS3_PT2_iSC_SC_.has_recursion, or(0, .L__assert_fail.has_recursion)
	.set _Z39paged_attention_ll4mi_QKV_mfma16_kernelI14__hip_bfloat16S0_LN4vllm18Fp8KVCacheDataTypeE0ES0_Li16ELi64ELi256ELb1ELi5EEvPKT_PKT0_S8_ifPKiSA_SA_iPKfiiiPfSD_PS3_PT2_iSC_SC_.has_indirect_call, or(0, .L__assert_fail.has_indirect_call)
	.section	.AMDGPU.csdata,"",@progbits
; Kernel info:
; codeLenInByte = 68
; TotalNumSgprs: 36
; NumVgprs: 51
; ScratchSize: 64
; MemoryBound: 0
; FloatMode: 240
; IeeeMode: 1
; LDSByteSize: 0 bytes/workgroup (compile time only)
; SGPRBlocks: 0
; VGPRBlocks: 3
; NumSGPRsForWavesPerEU: 36
; NumVGPRsForWavesPerEU: 51
; NamedBarCnt: 0
; Occupancy: 16
; WaveLimiterHint : 1
; COMPUTE_PGM_RSRC2:SCRATCH_EN: 1
; COMPUTE_PGM_RSRC2:USER_SGPR: 2
; COMPUTE_PGM_RSRC2:TRAP_HANDLER: 0
; COMPUTE_PGM_RSRC2:TGID_X_EN: 1
; COMPUTE_PGM_RSRC2:TGID_Y_EN: 0
; COMPUTE_PGM_RSRC2:TGID_Z_EN: 0
; COMPUTE_PGM_RSRC2:TIDIG_COMP_CNT: 0
	.section	.text._Z39paged_attention_ll4mi_QKV_mfma16_kernelI14__hip_bfloat16S0_LN4vllm18Fp8KVCacheDataTypeE0ES0_Li16ELi64ELi256ELb1ELi6EEvPKT_PKT0_S8_ifPKiSA_SA_iPKfiiiPfSD_PS3_PT2_iSC_SC_,"axG",@progbits,_Z39paged_attention_ll4mi_QKV_mfma16_kernelI14__hip_bfloat16S0_LN4vllm18Fp8KVCacheDataTypeE0ES0_Li16ELi64ELi256ELb1ELi6EEvPKT_PKT0_S8_ifPKiSA_SA_iPKfiiiPfSD_PS3_PT2_iSC_SC_,comdat
	.protected	_Z39paged_attention_ll4mi_QKV_mfma16_kernelI14__hip_bfloat16S0_LN4vllm18Fp8KVCacheDataTypeE0ES0_Li16ELi64ELi256ELb1ELi6EEvPKT_PKT0_S8_ifPKiSA_SA_iPKfiiiPfSD_PS3_PT2_iSC_SC_ ; -- Begin function _Z39paged_attention_ll4mi_QKV_mfma16_kernelI14__hip_bfloat16S0_LN4vllm18Fp8KVCacheDataTypeE0ES0_Li16ELi64ELi256ELb1ELi6EEvPKT_PKT0_S8_ifPKiSA_SA_iPKfiiiPfSD_PS3_PT2_iSC_SC_
	.globl	_Z39paged_attention_ll4mi_QKV_mfma16_kernelI14__hip_bfloat16S0_LN4vllm18Fp8KVCacheDataTypeE0ES0_Li16ELi64ELi256ELb1ELi6EEvPKT_PKT0_S8_ifPKiSA_SA_iPKfiiiPfSD_PS3_PT2_iSC_SC_
	.p2align	8
	.type	_Z39paged_attention_ll4mi_QKV_mfma16_kernelI14__hip_bfloat16S0_LN4vllm18Fp8KVCacheDataTypeE0ES0_Li16ELi64ELi256ELb1ELi6EEvPKT_PKT0_S8_ifPKiSA_SA_iPKfiiiPfSD_PS3_PT2_iSC_SC_,@function
_Z39paged_attention_ll4mi_QKV_mfma16_kernelI14__hip_bfloat16S0_LN4vllm18Fp8KVCacheDataTypeE0ES0_Li16ELi64ELi256ELb1ELi6EEvPKT_PKT0_S8_ifPKiSA_SA_iPKfiiiPfSD_PS3_PT2_iSC_SC_: ; @_Z39paged_attention_ll4mi_QKV_mfma16_kernelI14__hip_bfloat16S0_LN4vllm18Fp8KVCacheDataTypeE0ES0_Li16ELi64ELi256ELb1ELi6EEvPKT_PKT0_S8_ifPKiSA_SA_iPKfiiiPfSD_PS3_PT2_iSC_SC_
; %bb.0:
	s_get_pc_i64 s[2:3]
	s_add_nc_u64 s[2:3], s[2:3], __PRETTY_FUNCTION__._Z39paged_attention_ll4mi_QKV_mfma16_kernelI14__hip_bfloat16S0_LN4vllm18Fp8KVCacheDataTypeE0ES0_Li16ELi64ELi256ELb1ELi6EEvPKT_PKT0_S8_ifPKiSA_SA_iPKfiiiPfSD_PS3_PT2_iSC_SC_@rel64+4
	s_delay_alu instid0(SALU_CYCLE_1)
	v_dual_mov_b32 v0, 0xbb3 :: v_dual_mov_b32 v1, s2
	v_mov_b32_e32 v2, s3
	s_add_nc_u64 s[8:9], s[0:1], 0x90
	s_get_pc_i64 s[0:1]
	s_add_nc_u64 s[0:1], s[0:1], __assert_fail@rel64+4
	s_mov_b32 s32, 0
	s_swap_pc_i64 s[30:31], s[0:1]
	.section	.rodata,"a",@progbits
	.p2align	6, 0x0
	.amdhsa_kernel _Z39paged_attention_ll4mi_QKV_mfma16_kernelI14__hip_bfloat16S0_LN4vllm18Fp8KVCacheDataTypeE0ES0_Li16ELi64ELi256ELb1ELi6EEvPKT_PKT0_S8_ifPKiSA_SA_iPKfiiiPfSD_PS3_PT2_iSC_SC_
		.amdhsa_group_segment_fixed_size 0
		.amdhsa_private_segment_fixed_size 64
		.amdhsa_kernarg_size 400
		.amdhsa_user_sgpr_count 2
		.amdhsa_user_sgpr_dispatch_ptr 0
		.amdhsa_user_sgpr_queue_ptr 0
		.amdhsa_user_sgpr_kernarg_segment_ptr 1
		.amdhsa_user_sgpr_dispatch_id 0
		.amdhsa_user_sgpr_kernarg_preload_length 0
		.amdhsa_user_sgpr_kernarg_preload_offset 0
		.amdhsa_user_sgpr_private_segment_size 0
		.amdhsa_wavefront_size32 1
		.amdhsa_uses_dynamic_stack 0
		.amdhsa_enable_private_segment 1
		.amdhsa_system_sgpr_workgroup_id_x 1
		.amdhsa_system_sgpr_workgroup_id_y 0
		.amdhsa_system_sgpr_workgroup_id_z 0
		.amdhsa_system_sgpr_workgroup_info 0
		.amdhsa_system_vgpr_workitem_id 0
		.amdhsa_next_free_vgpr 51
		.amdhsa_next_free_sgpr 34
		.amdhsa_named_barrier_count 0
		.amdhsa_reserve_vcc 1
		.amdhsa_float_round_mode_32 0
		.amdhsa_float_round_mode_16_64 0
		.amdhsa_float_denorm_mode_32 3
		.amdhsa_float_denorm_mode_16_64 3
		.amdhsa_fp16_overflow 0
		.amdhsa_memory_ordered 1
		.amdhsa_forward_progress 1
		.amdhsa_inst_pref_size 1
		.amdhsa_round_robin_scheduling 0
		.amdhsa_exception_fp_ieee_invalid_op 0
		.amdhsa_exception_fp_denorm_src 0
		.amdhsa_exception_fp_ieee_div_zero 0
		.amdhsa_exception_fp_ieee_overflow 0
		.amdhsa_exception_fp_ieee_underflow 0
		.amdhsa_exception_fp_ieee_inexact 0
		.amdhsa_exception_int_div_zero 0
	.end_amdhsa_kernel
	.section	.text._Z39paged_attention_ll4mi_QKV_mfma16_kernelI14__hip_bfloat16S0_LN4vllm18Fp8KVCacheDataTypeE0ES0_Li16ELi64ELi256ELb1ELi6EEvPKT_PKT0_S8_ifPKiSA_SA_iPKfiiiPfSD_PS3_PT2_iSC_SC_,"axG",@progbits,_Z39paged_attention_ll4mi_QKV_mfma16_kernelI14__hip_bfloat16S0_LN4vllm18Fp8KVCacheDataTypeE0ES0_Li16ELi64ELi256ELb1ELi6EEvPKT_PKT0_S8_ifPKiSA_SA_iPKfiiiPfSD_PS3_PT2_iSC_SC_,comdat
.Lfunc_end447:
	.size	_Z39paged_attention_ll4mi_QKV_mfma16_kernelI14__hip_bfloat16S0_LN4vllm18Fp8KVCacheDataTypeE0ES0_Li16ELi64ELi256ELb1ELi6EEvPKT_PKT0_S8_ifPKiSA_SA_iPKfiiiPfSD_PS3_PT2_iSC_SC_, .Lfunc_end447-_Z39paged_attention_ll4mi_QKV_mfma16_kernelI14__hip_bfloat16S0_LN4vllm18Fp8KVCacheDataTypeE0ES0_Li16ELi64ELi256ELb1ELi6EEvPKT_PKT0_S8_ifPKiSA_SA_iPKfiiiPfSD_PS3_PT2_iSC_SC_
                                        ; -- End function
	.set _Z39paged_attention_ll4mi_QKV_mfma16_kernelI14__hip_bfloat16S0_LN4vllm18Fp8KVCacheDataTypeE0ES0_Li16ELi64ELi256ELb1ELi6EEvPKT_PKT0_S8_ifPKiSA_SA_iPKfiiiPfSD_PS3_PT2_iSC_SC_.num_vgpr, max(3, .L__assert_fail.num_vgpr)
	.set _Z39paged_attention_ll4mi_QKV_mfma16_kernelI14__hip_bfloat16S0_LN4vllm18Fp8KVCacheDataTypeE0ES0_Li16ELi64ELi256ELb1ELi6EEvPKT_PKT0_S8_ifPKiSA_SA_iPKfiiiPfSD_PS3_PT2_iSC_SC_.num_agpr, max(0, .L__assert_fail.num_agpr)
	.set _Z39paged_attention_ll4mi_QKV_mfma16_kernelI14__hip_bfloat16S0_LN4vllm18Fp8KVCacheDataTypeE0ES0_Li16ELi64ELi256ELb1ELi6EEvPKT_PKT0_S8_ifPKiSA_SA_iPKfiiiPfSD_PS3_PT2_iSC_SC_.numbered_sgpr, max(33, .L__assert_fail.numbered_sgpr)
	.set _Z39paged_attention_ll4mi_QKV_mfma16_kernelI14__hip_bfloat16S0_LN4vllm18Fp8KVCacheDataTypeE0ES0_Li16ELi64ELi256ELb1ELi6EEvPKT_PKT0_S8_ifPKiSA_SA_iPKfiiiPfSD_PS3_PT2_iSC_SC_.num_named_barrier, max(0, .L__assert_fail.num_named_barrier)
	.set _Z39paged_attention_ll4mi_QKV_mfma16_kernelI14__hip_bfloat16S0_LN4vllm18Fp8KVCacheDataTypeE0ES0_Li16ELi64ELi256ELb1ELi6EEvPKT_PKT0_S8_ifPKiSA_SA_iPKfiiiPfSD_PS3_PT2_iSC_SC_.private_seg_size, 0+max(.L__assert_fail.private_seg_size)
	.set _Z39paged_attention_ll4mi_QKV_mfma16_kernelI14__hip_bfloat16S0_LN4vllm18Fp8KVCacheDataTypeE0ES0_Li16ELi64ELi256ELb1ELi6EEvPKT_PKT0_S8_ifPKiSA_SA_iPKfiiiPfSD_PS3_PT2_iSC_SC_.uses_vcc, or(1, .L__assert_fail.uses_vcc)
	.set _Z39paged_attention_ll4mi_QKV_mfma16_kernelI14__hip_bfloat16S0_LN4vllm18Fp8KVCacheDataTypeE0ES0_Li16ELi64ELi256ELb1ELi6EEvPKT_PKT0_S8_ifPKiSA_SA_iPKfiiiPfSD_PS3_PT2_iSC_SC_.uses_flat_scratch, or(0, .L__assert_fail.uses_flat_scratch)
	.set _Z39paged_attention_ll4mi_QKV_mfma16_kernelI14__hip_bfloat16S0_LN4vllm18Fp8KVCacheDataTypeE0ES0_Li16ELi64ELi256ELb1ELi6EEvPKT_PKT0_S8_ifPKiSA_SA_iPKfiiiPfSD_PS3_PT2_iSC_SC_.has_dyn_sized_stack, or(0, .L__assert_fail.has_dyn_sized_stack)
	.set _Z39paged_attention_ll4mi_QKV_mfma16_kernelI14__hip_bfloat16S0_LN4vllm18Fp8KVCacheDataTypeE0ES0_Li16ELi64ELi256ELb1ELi6EEvPKT_PKT0_S8_ifPKiSA_SA_iPKfiiiPfSD_PS3_PT2_iSC_SC_.has_recursion, or(0, .L__assert_fail.has_recursion)
	.set _Z39paged_attention_ll4mi_QKV_mfma16_kernelI14__hip_bfloat16S0_LN4vllm18Fp8KVCacheDataTypeE0ES0_Li16ELi64ELi256ELb1ELi6EEvPKT_PKT0_S8_ifPKiSA_SA_iPKfiiiPfSD_PS3_PT2_iSC_SC_.has_indirect_call, or(0, .L__assert_fail.has_indirect_call)
	.section	.AMDGPU.csdata,"",@progbits
; Kernel info:
; codeLenInByte = 68
; TotalNumSgprs: 36
; NumVgprs: 51
; ScratchSize: 64
; MemoryBound: 0
; FloatMode: 240
; IeeeMode: 1
; LDSByteSize: 0 bytes/workgroup (compile time only)
; SGPRBlocks: 0
; VGPRBlocks: 3
; NumSGPRsForWavesPerEU: 36
; NumVGPRsForWavesPerEU: 51
; NamedBarCnt: 0
; Occupancy: 16
; WaveLimiterHint : 1
; COMPUTE_PGM_RSRC2:SCRATCH_EN: 1
; COMPUTE_PGM_RSRC2:USER_SGPR: 2
; COMPUTE_PGM_RSRC2:TRAP_HANDLER: 0
; COMPUTE_PGM_RSRC2:TGID_X_EN: 1
; COMPUTE_PGM_RSRC2:TGID_Y_EN: 0
; COMPUTE_PGM_RSRC2:TGID_Z_EN: 0
; COMPUTE_PGM_RSRC2:TIDIG_COMP_CNT: 0
	.section	.text._Z39paged_attention_ll4mi_QKV_mfma16_kernelI14__hip_bfloat16S0_LN4vllm18Fp8KVCacheDataTypeE0ES0_Li16ELi64ELi256ELb1ELi7EEvPKT_PKT0_S8_ifPKiSA_SA_iPKfiiiPfSD_PS3_PT2_iSC_SC_,"axG",@progbits,_Z39paged_attention_ll4mi_QKV_mfma16_kernelI14__hip_bfloat16S0_LN4vllm18Fp8KVCacheDataTypeE0ES0_Li16ELi64ELi256ELb1ELi7EEvPKT_PKT0_S8_ifPKiSA_SA_iPKfiiiPfSD_PS3_PT2_iSC_SC_,comdat
	.protected	_Z39paged_attention_ll4mi_QKV_mfma16_kernelI14__hip_bfloat16S0_LN4vllm18Fp8KVCacheDataTypeE0ES0_Li16ELi64ELi256ELb1ELi7EEvPKT_PKT0_S8_ifPKiSA_SA_iPKfiiiPfSD_PS3_PT2_iSC_SC_ ; -- Begin function _Z39paged_attention_ll4mi_QKV_mfma16_kernelI14__hip_bfloat16S0_LN4vllm18Fp8KVCacheDataTypeE0ES0_Li16ELi64ELi256ELb1ELi7EEvPKT_PKT0_S8_ifPKiSA_SA_iPKfiiiPfSD_PS3_PT2_iSC_SC_
	.globl	_Z39paged_attention_ll4mi_QKV_mfma16_kernelI14__hip_bfloat16S0_LN4vllm18Fp8KVCacheDataTypeE0ES0_Li16ELi64ELi256ELb1ELi7EEvPKT_PKT0_S8_ifPKiSA_SA_iPKfiiiPfSD_PS3_PT2_iSC_SC_
	.p2align	8
	.type	_Z39paged_attention_ll4mi_QKV_mfma16_kernelI14__hip_bfloat16S0_LN4vllm18Fp8KVCacheDataTypeE0ES0_Li16ELi64ELi256ELb1ELi7EEvPKT_PKT0_S8_ifPKiSA_SA_iPKfiiiPfSD_PS3_PT2_iSC_SC_,@function
_Z39paged_attention_ll4mi_QKV_mfma16_kernelI14__hip_bfloat16S0_LN4vllm18Fp8KVCacheDataTypeE0ES0_Li16ELi64ELi256ELb1ELi7EEvPKT_PKT0_S8_ifPKiSA_SA_iPKfiiiPfSD_PS3_PT2_iSC_SC_: ; @_Z39paged_attention_ll4mi_QKV_mfma16_kernelI14__hip_bfloat16S0_LN4vllm18Fp8KVCacheDataTypeE0ES0_Li16ELi64ELi256ELb1ELi7EEvPKT_PKT0_S8_ifPKiSA_SA_iPKfiiiPfSD_PS3_PT2_iSC_SC_
; %bb.0:
	s_get_pc_i64 s[2:3]
	s_add_nc_u64 s[2:3], s[2:3], __PRETTY_FUNCTION__._Z39paged_attention_ll4mi_QKV_mfma16_kernelI14__hip_bfloat16S0_LN4vllm18Fp8KVCacheDataTypeE0ES0_Li16ELi64ELi256ELb1ELi7EEvPKT_PKT0_S8_ifPKiSA_SA_iPKfiiiPfSD_PS3_PT2_iSC_SC_@rel64+4
	s_delay_alu instid0(SALU_CYCLE_1)
	v_dual_mov_b32 v0, 0xbb3 :: v_dual_mov_b32 v1, s2
	v_mov_b32_e32 v2, s3
	s_add_nc_u64 s[8:9], s[0:1], 0x90
	s_get_pc_i64 s[0:1]
	s_add_nc_u64 s[0:1], s[0:1], __assert_fail@rel64+4
	s_mov_b32 s32, 0
	s_swap_pc_i64 s[30:31], s[0:1]
	.section	.rodata,"a",@progbits
	.p2align	6, 0x0
	.amdhsa_kernel _Z39paged_attention_ll4mi_QKV_mfma16_kernelI14__hip_bfloat16S0_LN4vllm18Fp8KVCacheDataTypeE0ES0_Li16ELi64ELi256ELb1ELi7EEvPKT_PKT0_S8_ifPKiSA_SA_iPKfiiiPfSD_PS3_PT2_iSC_SC_
		.amdhsa_group_segment_fixed_size 0
		.amdhsa_private_segment_fixed_size 64
		.amdhsa_kernarg_size 400
		.amdhsa_user_sgpr_count 2
		.amdhsa_user_sgpr_dispatch_ptr 0
		.amdhsa_user_sgpr_queue_ptr 0
		.amdhsa_user_sgpr_kernarg_segment_ptr 1
		.amdhsa_user_sgpr_dispatch_id 0
		.amdhsa_user_sgpr_kernarg_preload_length 0
		.amdhsa_user_sgpr_kernarg_preload_offset 0
		.amdhsa_user_sgpr_private_segment_size 0
		.amdhsa_wavefront_size32 1
		.amdhsa_uses_dynamic_stack 0
		.amdhsa_enable_private_segment 1
		.amdhsa_system_sgpr_workgroup_id_x 1
		.amdhsa_system_sgpr_workgroup_id_y 0
		.amdhsa_system_sgpr_workgroup_id_z 0
		.amdhsa_system_sgpr_workgroup_info 0
		.amdhsa_system_vgpr_workitem_id 0
		.amdhsa_next_free_vgpr 51
		.amdhsa_next_free_sgpr 34
		.amdhsa_named_barrier_count 0
		.amdhsa_reserve_vcc 1
		.amdhsa_float_round_mode_32 0
		.amdhsa_float_round_mode_16_64 0
		.amdhsa_float_denorm_mode_32 3
		.amdhsa_float_denorm_mode_16_64 3
		.amdhsa_fp16_overflow 0
		.amdhsa_memory_ordered 1
		.amdhsa_forward_progress 1
		.amdhsa_inst_pref_size 1
		.amdhsa_round_robin_scheduling 0
		.amdhsa_exception_fp_ieee_invalid_op 0
		.amdhsa_exception_fp_denorm_src 0
		.amdhsa_exception_fp_ieee_div_zero 0
		.amdhsa_exception_fp_ieee_overflow 0
		.amdhsa_exception_fp_ieee_underflow 0
		.amdhsa_exception_fp_ieee_inexact 0
		.amdhsa_exception_int_div_zero 0
	.end_amdhsa_kernel
	.section	.text._Z39paged_attention_ll4mi_QKV_mfma16_kernelI14__hip_bfloat16S0_LN4vllm18Fp8KVCacheDataTypeE0ES0_Li16ELi64ELi256ELb1ELi7EEvPKT_PKT0_S8_ifPKiSA_SA_iPKfiiiPfSD_PS3_PT2_iSC_SC_,"axG",@progbits,_Z39paged_attention_ll4mi_QKV_mfma16_kernelI14__hip_bfloat16S0_LN4vllm18Fp8KVCacheDataTypeE0ES0_Li16ELi64ELi256ELb1ELi7EEvPKT_PKT0_S8_ifPKiSA_SA_iPKfiiiPfSD_PS3_PT2_iSC_SC_,comdat
.Lfunc_end448:
	.size	_Z39paged_attention_ll4mi_QKV_mfma16_kernelI14__hip_bfloat16S0_LN4vllm18Fp8KVCacheDataTypeE0ES0_Li16ELi64ELi256ELb1ELi7EEvPKT_PKT0_S8_ifPKiSA_SA_iPKfiiiPfSD_PS3_PT2_iSC_SC_, .Lfunc_end448-_Z39paged_attention_ll4mi_QKV_mfma16_kernelI14__hip_bfloat16S0_LN4vllm18Fp8KVCacheDataTypeE0ES0_Li16ELi64ELi256ELb1ELi7EEvPKT_PKT0_S8_ifPKiSA_SA_iPKfiiiPfSD_PS3_PT2_iSC_SC_
                                        ; -- End function
	.set _Z39paged_attention_ll4mi_QKV_mfma16_kernelI14__hip_bfloat16S0_LN4vllm18Fp8KVCacheDataTypeE0ES0_Li16ELi64ELi256ELb1ELi7EEvPKT_PKT0_S8_ifPKiSA_SA_iPKfiiiPfSD_PS3_PT2_iSC_SC_.num_vgpr, max(3, .L__assert_fail.num_vgpr)
	.set _Z39paged_attention_ll4mi_QKV_mfma16_kernelI14__hip_bfloat16S0_LN4vllm18Fp8KVCacheDataTypeE0ES0_Li16ELi64ELi256ELb1ELi7EEvPKT_PKT0_S8_ifPKiSA_SA_iPKfiiiPfSD_PS3_PT2_iSC_SC_.num_agpr, max(0, .L__assert_fail.num_agpr)
	.set _Z39paged_attention_ll4mi_QKV_mfma16_kernelI14__hip_bfloat16S0_LN4vllm18Fp8KVCacheDataTypeE0ES0_Li16ELi64ELi256ELb1ELi7EEvPKT_PKT0_S8_ifPKiSA_SA_iPKfiiiPfSD_PS3_PT2_iSC_SC_.numbered_sgpr, max(33, .L__assert_fail.numbered_sgpr)
	.set _Z39paged_attention_ll4mi_QKV_mfma16_kernelI14__hip_bfloat16S0_LN4vllm18Fp8KVCacheDataTypeE0ES0_Li16ELi64ELi256ELb1ELi7EEvPKT_PKT0_S8_ifPKiSA_SA_iPKfiiiPfSD_PS3_PT2_iSC_SC_.num_named_barrier, max(0, .L__assert_fail.num_named_barrier)
	.set _Z39paged_attention_ll4mi_QKV_mfma16_kernelI14__hip_bfloat16S0_LN4vllm18Fp8KVCacheDataTypeE0ES0_Li16ELi64ELi256ELb1ELi7EEvPKT_PKT0_S8_ifPKiSA_SA_iPKfiiiPfSD_PS3_PT2_iSC_SC_.private_seg_size, 0+max(.L__assert_fail.private_seg_size)
	.set _Z39paged_attention_ll4mi_QKV_mfma16_kernelI14__hip_bfloat16S0_LN4vllm18Fp8KVCacheDataTypeE0ES0_Li16ELi64ELi256ELb1ELi7EEvPKT_PKT0_S8_ifPKiSA_SA_iPKfiiiPfSD_PS3_PT2_iSC_SC_.uses_vcc, or(1, .L__assert_fail.uses_vcc)
	.set _Z39paged_attention_ll4mi_QKV_mfma16_kernelI14__hip_bfloat16S0_LN4vllm18Fp8KVCacheDataTypeE0ES0_Li16ELi64ELi256ELb1ELi7EEvPKT_PKT0_S8_ifPKiSA_SA_iPKfiiiPfSD_PS3_PT2_iSC_SC_.uses_flat_scratch, or(0, .L__assert_fail.uses_flat_scratch)
	.set _Z39paged_attention_ll4mi_QKV_mfma16_kernelI14__hip_bfloat16S0_LN4vllm18Fp8KVCacheDataTypeE0ES0_Li16ELi64ELi256ELb1ELi7EEvPKT_PKT0_S8_ifPKiSA_SA_iPKfiiiPfSD_PS3_PT2_iSC_SC_.has_dyn_sized_stack, or(0, .L__assert_fail.has_dyn_sized_stack)
	.set _Z39paged_attention_ll4mi_QKV_mfma16_kernelI14__hip_bfloat16S0_LN4vllm18Fp8KVCacheDataTypeE0ES0_Li16ELi64ELi256ELb1ELi7EEvPKT_PKT0_S8_ifPKiSA_SA_iPKfiiiPfSD_PS3_PT2_iSC_SC_.has_recursion, or(0, .L__assert_fail.has_recursion)
	.set _Z39paged_attention_ll4mi_QKV_mfma16_kernelI14__hip_bfloat16S0_LN4vllm18Fp8KVCacheDataTypeE0ES0_Li16ELi64ELi256ELb1ELi7EEvPKT_PKT0_S8_ifPKiSA_SA_iPKfiiiPfSD_PS3_PT2_iSC_SC_.has_indirect_call, or(0, .L__assert_fail.has_indirect_call)
	.section	.AMDGPU.csdata,"",@progbits
; Kernel info:
; codeLenInByte = 68
; TotalNumSgprs: 36
; NumVgprs: 51
; ScratchSize: 64
; MemoryBound: 0
; FloatMode: 240
; IeeeMode: 1
; LDSByteSize: 0 bytes/workgroup (compile time only)
; SGPRBlocks: 0
; VGPRBlocks: 3
; NumSGPRsForWavesPerEU: 36
; NumVGPRsForWavesPerEU: 51
; NamedBarCnt: 0
; Occupancy: 16
; WaveLimiterHint : 1
; COMPUTE_PGM_RSRC2:SCRATCH_EN: 1
; COMPUTE_PGM_RSRC2:USER_SGPR: 2
; COMPUTE_PGM_RSRC2:TRAP_HANDLER: 0
; COMPUTE_PGM_RSRC2:TGID_X_EN: 1
; COMPUTE_PGM_RSRC2:TGID_Y_EN: 0
; COMPUTE_PGM_RSRC2:TGID_Z_EN: 0
; COMPUTE_PGM_RSRC2:TIDIG_COMP_CNT: 0
	.section	.text._Z39paged_attention_ll4mi_QKV_mfma16_kernelI14__hip_bfloat16S0_LN4vllm18Fp8KVCacheDataTypeE0ES0_Li16ELi64ELi256ELb1ELi8EEvPKT_PKT0_S8_ifPKiSA_SA_iPKfiiiPfSD_PS3_PT2_iSC_SC_,"axG",@progbits,_Z39paged_attention_ll4mi_QKV_mfma16_kernelI14__hip_bfloat16S0_LN4vllm18Fp8KVCacheDataTypeE0ES0_Li16ELi64ELi256ELb1ELi8EEvPKT_PKT0_S8_ifPKiSA_SA_iPKfiiiPfSD_PS3_PT2_iSC_SC_,comdat
	.protected	_Z39paged_attention_ll4mi_QKV_mfma16_kernelI14__hip_bfloat16S0_LN4vllm18Fp8KVCacheDataTypeE0ES0_Li16ELi64ELi256ELb1ELi8EEvPKT_PKT0_S8_ifPKiSA_SA_iPKfiiiPfSD_PS3_PT2_iSC_SC_ ; -- Begin function _Z39paged_attention_ll4mi_QKV_mfma16_kernelI14__hip_bfloat16S0_LN4vllm18Fp8KVCacheDataTypeE0ES0_Li16ELi64ELi256ELb1ELi8EEvPKT_PKT0_S8_ifPKiSA_SA_iPKfiiiPfSD_PS3_PT2_iSC_SC_
	.globl	_Z39paged_attention_ll4mi_QKV_mfma16_kernelI14__hip_bfloat16S0_LN4vllm18Fp8KVCacheDataTypeE0ES0_Li16ELi64ELi256ELb1ELi8EEvPKT_PKT0_S8_ifPKiSA_SA_iPKfiiiPfSD_PS3_PT2_iSC_SC_
	.p2align	8
	.type	_Z39paged_attention_ll4mi_QKV_mfma16_kernelI14__hip_bfloat16S0_LN4vllm18Fp8KVCacheDataTypeE0ES0_Li16ELi64ELi256ELb1ELi8EEvPKT_PKT0_S8_ifPKiSA_SA_iPKfiiiPfSD_PS3_PT2_iSC_SC_,@function
_Z39paged_attention_ll4mi_QKV_mfma16_kernelI14__hip_bfloat16S0_LN4vllm18Fp8KVCacheDataTypeE0ES0_Li16ELi64ELi256ELb1ELi8EEvPKT_PKT0_S8_ifPKiSA_SA_iPKfiiiPfSD_PS3_PT2_iSC_SC_: ; @_Z39paged_attention_ll4mi_QKV_mfma16_kernelI14__hip_bfloat16S0_LN4vllm18Fp8KVCacheDataTypeE0ES0_Li16ELi64ELi256ELb1ELi8EEvPKT_PKT0_S8_ifPKiSA_SA_iPKfiiiPfSD_PS3_PT2_iSC_SC_
; %bb.0:
	s_get_pc_i64 s[2:3]
	s_add_nc_u64 s[2:3], s[2:3], __PRETTY_FUNCTION__._Z39paged_attention_ll4mi_QKV_mfma16_kernelI14__hip_bfloat16S0_LN4vllm18Fp8KVCacheDataTypeE0ES0_Li16ELi64ELi256ELb1ELi8EEvPKT_PKT0_S8_ifPKiSA_SA_iPKfiiiPfSD_PS3_PT2_iSC_SC_@rel64+4
	s_delay_alu instid0(SALU_CYCLE_1)
	v_dual_mov_b32 v0, 0xbb3 :: v_dual_mov_b32 v1, s2
	v_mov_b32_e32 v2, s3
	s_add_nc_u64 s[8:9], s[0:1], 0x90
	s_get_pc_i64 s[0:1]
	s_add_nc_u64 s[0:1], s[0:1], __assert_fail@rel64+4
	s_mov_b32 s32, 0
	s_swap_pc_i64 s[30:31], s[0:1]
	.section	.rodata,"a",@progbits
	.p2align	6, 0x0
	.amdhsa_kernel _Z39paged_attention_ll4mi_QKV_mfma16_kernelI14__hip_bfloat16S0_LN4vllm18Fp8KVCacheDataTypeE0ES0_Li16ELi64ELi256ELb1ELi8EEvPKT_PKT0_S8_ifPKiSA_SA_iPKfiiiPfSD_PS3_PT2_iSC_SC_
		.amdhsa_group_segment_fixed_size 0
		.amdhsa_private_segment_fixed_size 64
		.amdhsa_kernarg_size 400
		.amdhsa_user_sgpr_count 2
		.amdhsa_user_sgpr_dispatch_ptr 0
		.amdhsa_user_sgpr_queue_ptr 0
		.amdhsa_user_sgpr_kernarg_segment_ptr 1
		.amdhsa_user_sgpr_dispatch_id 0
		.amdhsa_user_sgpr_kernarg_preload_length 0
		.amdhsa_user_sgpr_kernarg_preload_offset 0
		.amdhsa_user_sgpr_private_segment_size 0
		.amdhsa_wavefront_size32 1
		.amdhsa_uses_dynamic_stack 0
		.amdhsa_enable_private_segment 1
		.amdhsa_system_sgpr_workgroup_id_x 1
		.amdhsa_system_sgpr_workgroup_id_y 0
		.amdhsa_system_sgpr_workgroup_id_z 0
		.amdhsa_system_sgpr_workgroup_info 0
		.amdhsa_system_vgpr_workitem_id 0
		.amdhsa_next_free_vgpr 51
		.amdhsa_next_free_sgpr 34
		.amdhsa_named_barrier_count 0
		.amdhsa_reserve_vcc 1
		.amdhsa_float_round_mode_32 0
		.amdhsa_float_round_mode_16_64 0
		.amdhsa_float_denorm_mode_32 3
		.amdhsa_float_denorm_mode_16_64 3
		.amdhsa_fp16_overflow 0
		.amdhsa_memory_ordered 1
		.amdhsa_forward_progress 1
		.amdhsa_inst_pref_size 1
		.amdhsa_round_robin_scheduling 0
		.amdhsa_exception_fp_ieee_invalid_op 0
		.amdhsa_exception_fp_denorm_src 0
		.amdhsa_exception_fp_ieee_div_zero 0
		.amdhsa_exception_fp_ieee_overflow 0
		.amdhsa_exception_fp_ieee_underflow 0
		.amdhsa_exception_fp_ieee_inexact 0
		.amdhsa_exception_int_div_zero 0
	.end_amdhsa_kernel
	.section	.text._Z39paged_attention_ll4mi_QKV_mfma16_kernelI14__hip_bfloat16S0_LN4vllm18Fp8KVCacheDataTypeE0ES0_Li16ELi64ELi256ELb1ELi8EEvPKT_PKT0_S8_ifPKiSA_SA_iPKfiiiPfSD_PS3_PT2_iSC_SC_,"axG",@progbits,_Z39paged_attention_ll4mi_QKV_mfma16_kernelI14__hip_bfloat16S0_LN4vllm18Fp8KVCacheDataTypeE0ES0_Li16ELi64ELi256ELb1ELi8EEvPKT_PKT0_S8_ifPKiSA_SA_iPKfiiiPfSD_PS3_PT2_iSC_SC_,comdat
.Lfunc_end449:
	.size	_Z39paged_attention_ll4mi_QKV_mfma16_kernelI14__hip_bfloat16S0_LN4vllm18Fp8KVCacheDataTypeE0ES0_Li16ELi64ELi256ELb1ELi8EEvPKT_PKT0_S8_ifPKiSA_SA_iPKfiiiPfSD_PS3_PT2_iSC_SC_, .Lfunc_end449-_Z39paged_attention_ll4mi_QKV_mfma16_kernelI14__hip_bfloat16S0_LN4vllm18Fp8KVCacheDataTypeE0ES0_Li16ELi64ELi256ELb1ELi8EEvPKT_PKT0_S8_ifPKiSA_SA_iPKfiiiPfSD_PS3_PT2_iSC_SC_
                                        ; -- End function
	.set _Z39paged_attention_ll4mi_QKV_mfma16_kernelI14__hip_bfloat16S0_LN4vllm18Fp8KVCacheDataTypeE0ES0_Li16ELi64ELi256ELb1ELi8EEvPKT_PKT0_S8_ifPKiSA_SA_iPKfiiiPfSD_PS3_PT2_iSC_SC_.num_vgpr, max(3, .L__assert_fail.num_vgpr)
	.set _Z39paged_attention_ll4mi_QKV_mfma16_kernelI14__hip_bfloat16S0_LN4vllm18Fp8KVCacheDataTypeE0ES0_Li16ELi64ELi256ELb1ELi8EEvPKT_PKT0_S8_ifPKiSA_SA_iPKfiiiPfSD_PS3_PT2_iSC_SC_.num_agpr, max(0, .L__assert_fail.num_agpr)
	.set _Z39paged_attention_ll4mi_QKV_mfma16_kernelI14__hip_bfloat16S0_LN4vllm18Fp8KVCacheDataTypeE0ES0_Li16ELi64ELi256ELb1ELi8EEvPKT_PKT0_S8_ifPKiSA_SA_iPKfiiiPfSD_PS3_PT2_iSC_SC_.numbered_sgpr, max(33, .L__assert_fail.numbered_sgpr)
	.set _Z39paged_attention_ll4mi_QKV_mfma16_kernelI14__hip_bfloat16S0_LN4vllm18Fp8KVCacheDataTypeE0ES0_Li16ELi64ELi256ELb1ELi8EEvPKT_PKT0_S8_ifPKiSA_SA_iPKfiiiPfSD_PS3_PT2_iSC_SC_.num_named_barrier, max(0, .L__assert_fail.num_named_barrier)
	.set _Z39paged_attention_ll4mi_QKV_mfma16_kernelI14__hip_bfloat16S0_LN4vllm18Fp8KVCacheDataTypeE0ES0_Li16ELi64ELi256ELb1ELi8EEvPKT_PKT0_S8_ifPKiSA_SA_iPKfiiiPfSD_PS3_PT2_iSC_SC_.private_seg_size, 0+max(.L__assert_fail.private_seg_size)
	.set _Z39paged_attention_ll4mi_QKV_mfma16_kernelI14__hip_bfloat16S0_LN4vllm18Fp8KVCacheDataTypeE0ES0_Li16ELi64ELi256ELb1ELi8EEvPKT_PKT0_S8_ifPKiSA_SA_iPKfiiiPfSD_PS3_PT2_iSC_SC_.uses_vcc, or(1, .L__assert_fail.uses_vcc)
	.set _Z39paged_attention_ll4mi_QKV_mfma16_kernelI14__hip_bfloat16S0_LN4vllm18Fp8KVCacheDataTypeE0ES0_Li16ELi64ELi256ELb1ELi8EEvPKT_PKT0_S8_ifPKiSA_SA_iPKfiiiPfSD_PS3_PT2_iSC_SC_.uses_flat_scratch, or(0, .L__assert_fail.uses_flat_scratch)
	.set _Z39paged_attention_ll4mi_QKV_mfma16_kernelI14__hip_bfloat16S0_LN4vllm18Fp8KVCacheDataTypeE0ES0_Li16ELi64ELi256ELb1ELi8EEvPKT_PKT0_S8_ifPKiSA_SA_iPKfiiiPfSD_PS3_PT2_iSC_SC_.has_dyn_sized_stack, or(0, .L__assert_fail.has_dyn_sized_stack)
	.set _Z39paged_attention_ll4mi_QKV_mfma16_kernelI14__hip_bfloat16S0_LN4vllm18Fp8KVCacheDataTypeE0ES0_Li16ELi64ELi256ELb1ELi8EEvPKT_PKT0_S8_ifPKiSA_SA_iPKfiiiPfSD_PS3_PT2_iSC_SC_.has_recursion, or(0, .L__assert_fail.has_recursion)
	.set _Z39paged_attention_ll4mi_QKV_mfma16_kernelI14__hip_bfloat16S0_LN4vllm18Fp8KVCacheDataTypeE0ES0_Li16ELi64ELi256ELb1ELi8EEvPKT_PKT0_S8_ifPKiSA_SA_iPKfiiiPfSD_PS3_PT2_iSC_SC_.has_indirect_call, or(0, .L__assert_fail.has_indirect_call)
	.section	.AMDGPU.csdata,"",@progbits
; Kernel info:
; codeLenInByte = 68
; TotalNumSgprs: 36
; NumVgprs: 51
; ScratchSize: 64
; MemoryBound: 0
; FloatMode: 240
; IeeeMode: 1
; LDSByteSize: 0 bytes/workgroup (compile time only)
; SGPRBlocks: 0
; VGPRBlocks: 3
; NumSGPRsForWavesPerEU: 36
; NumVGPRsForWavesPerEU: 51
; NamedBarCnt: 0
; Occupancy: 16
; WaveLimiterHint : 1
; COMPUTE_PGM_RSRC2:SCRATCH_EN: 1
; COMPUTE_PGM_RSRC2:USER_SGPR: 2
; COMPUTE_PGM_RSRC2:TRAP_HANDLER: 0
; COMPUTE_PGM_RSRC2:TGID_X_EN: 1
; COMPUTE_PGM_RSRC2:TGID_Y_EN: 0
; COMPUTE_PGM_RSRC2:TGID_Z_EN: 0
; COMPUTE_PGM_RSRC2:TIDIG_COMP_CNT: 0
	.section	.text._Z39paged_attention_ll4mi_QKV_mfma16_kernelI14__hip_bfloat16S0_LN4vllm18Fp8KVCacheDataTypeE0ES0_Li16ELi64ELi256ELb1ELi9EEvPKT_PKT0_S8_ifPKiSA_SA_iPKfiiiPfSD_PS3_PT2_iSC_SC_,"axG",@progbits,_Z39paged_attention_ll4mi_QKV_mfma16_kernelI14__hip_bfloat16S0_LN4vllm18Fp8KVCacheDataTypeE0ES0_Li16ELi64ELi256ELb1ELi9EEvPKT_PKT0_S8_ifPKiSA_SA_iPKfiiiPfSD_PS3_PT2_iSC_SC_,comdat
	.protected	_Z39paged_attention_ll4mi_QKV_mfma16_kernelI14__hip_bfloat16S0_LN4vllm18Fp8KVCacheDataTypeE0ES0_Li16ELi64ELi256ELb1ELi9EEvPKT_PKT0_S8_ifPKiSA_SA_iPKfiiiPfSD_PS3_PT2_iSC_SC_ ; -- Begin function _Z39paged_attention_ll4mi_QKV_mfma16_kernelI14__hip_bfloat16S0_LN4vllm18Fp8KVCacheDataTypeE0ES0_Li16ELi64ELi256ELb1ELi9EEvPKT_PKT0_S8_ifPKiSA_SA_iPKfiiiPfSD_PS3_PT2_iSC_SC_
	.globl	_Z39paged_attention_ll4mi_QKV_mfma16_kernelI14__hip_bfloat16S0_LN4vllm18Fp8KVCacheDataTypeE0ES0_Li16ELi64ELi256ELb1ELi9EEvPKT_PKT0_S8_ifPKiSA_SA_iPKfiiiPfSD_PS3_PT2_iSC_SC_
	.p2align	8
	.type	_Z39paged_attention_ll4mi_QKV_mfma16_kernelI14__hip_bfloat16S0_LN4vllm18Fp8KVCacheDataTypeE0ES0_Li16ELi64ELi256ELb1ELi9EEvPKT_PKT0_S8_ifPKiSA_SA_iPKfiiiPfSD_PS3_PT2_iSC_SC_,@function
_Z39paged_attention_ll4mi_QKV_mfma16_kernelI14__hip_bfloat16S0_LN4vllm18Fp8KVCacheDataTypeE0ES0_Li16ELi64ELi256ELb1ELi9EEvPKT_PKT0_S8_ifPKiSA_SA_iPKfiiiPfSD_PS3_PT2_iSC_SC_: ; @_Z39paged_attention_ll4mi_QKV_mfma16_kernelI14__hip_bfloat16S0_LN4vllm18Fp8KVCacheDataTypeE0ES0_Li16ELi64ELi256ELb1ELi9EEvPKT_PKT0_S8_ifPKiSA_SA_iPKfiiiPfSD_PS3_PT2_iSC_SC_
; %bb.0:
	s_get_pc_i64 s[2:3]
	s_add_nc_u64 s[2:3], s[2:3], __PRETTY_FUNCTION__._Z39paged_attention_ll4mi_QKV_mfma16_kernelI14__hip_bfloat16S0_LN4vllm18Fp8KVCacheDataTypeE0ES0_Li16ELi64ELi256ELb1ELi9EEvPKT_PKT0_S8_ifPKiSA_SA_iPKfiiiPfSD_PS3_PT2_iSC_SC_@rel64+4
	s_delay_alu instid0(SALU_CYCLE_1)
	v_dual_mov_b32 v0, 0xbb3 :: v_dual_mov_b32 v1, s2
	v_mov_b32_e32 v2, s3
	s_add_nc_u64 s[8:9], s[0:1], 0x90
	s_get_pc_i64 s[0:1]
	s_add_nc_u64 s[0:1], s[0:1], __assert_fail@rel64+4
	s_mov_b32 s32, 0
	s_swap_pc_i64 s[30:31], s[0:1]
	.section	.rodata,"a",@progbits
	.p2align	6, 0x0
	.amdhsa_kernel _Z39paged_attention_ll4mi_QKV_mfma16_kernelI14__hip_bfloat16S0_LN4vllm18Fp8KVCacheDataTypeE0ES0_Li16ELi64ELi256ELb1ELi9EEvPKT_PKT0_S8_ifPKiSA_SA_iPKfiiiPfSD_PS3_PT2_iSC_SC_
		.amdhsa_group_segment_fixed_size 0
		.amdhsa_private_segment_fixed_size 64
		.amdhsa_kernarg_size 400
		.amdhsa_user_sgpr_count 2
		.amdhsa_user_sgpr_dispatch_ptr 0
		.amdhsa_user_sgpr_queue_ptr 0
		.amdhsa_user_sgpr_kernarg_segment_ptr 1
		.amdhsa_user_sgpr_dispatch_id 0
		.amdhsa_user_sgpr_kernarg_preload_length 0
		.amdhsa_user_sgpr_kernarg_preload_offset 0
		.amdhsa_user_sgpr_private_segment_size 0
		.amdhsa_wavefront_size32 1
		.amdhsa_uses_dynamic_stack 0
		.amdhsa_enable_private_segment 1
		.amdhsa_system_sgpr_workgroup_id_x 1
		.amdhsa_system_sgpr_workgroup_id_y 0
		.amdhsa_system_sgpr_workgroup_id_z 0
		.amdhsa_system_sgpr_workgroup_info 0
		.amdhsa_system_vgpr_workitem_id 0
		.amdhsa_next_free_vgpr 51
		.amdhsa_next_free_sgpr 34
		.amdhsa_named_barrier_count 0
		.amdhsa_reserve_vcc 1
		.amdhsa_float_round_mode_32 0
		.amdhsa_float_round_mode_16_64 0
		.amdhsa_float_denorm_mode_32 3
		.amdhsa_float_denorm_mode_16_64 3
		.amdhsa_fp16_overflow 0
		.amdhsa_memory_ordered 1
		.amdhsa_forward_progress 1
		.amdhsa_inst_pref_size 1
		.amdhsa_round_robin_scheduling 0
		.amdhsa_exception_fp_ieee_invalid_op 0
		.amdhsa_exception_fp_denorm_src 0
		.amdhsa_exception_fp_ieee_div_zero 0
		.amdhsa_exception_fp_ieee_overflow 0
		.amdhsa_exception_fp_ieee_underflow 0
		.amdhsa_exception_fp_ieee_inexact 0
		.amdhsa_exception_int_div_zero 0
	.end_amdhsa_kernel
	.section	.text._Z39paged_attention_ll4mi_QKV_mfma16_kernelI14__hip_bfloat16S0_LN4vllm18Fp8KVCacheDataTypeE0ES0_Li16ELi64ELi256ELb1ELi9EEvPKT_PKT0_S8_ifPKiSA_SA_iPKfiiiPfSD_PS3_PT2_iSC_SC_,"axG",@progbits,_Z39paged_attention_ll4mi_QKV_mfma16_kernelI14__hip_bfloat16S0_LN4vllm18Fp8KVCacheDataTypeE0ES0_Li16ELi64ELi256ELb1ELi9EEvPKT_PKT0_S8_ifPKiSA_SA_iPKfiiiPfSD_PS3_PT2_iSC_SC_,comdat
.Lfunc_end450:
	.size	_Z39paged_attention_ll4mi_QKV_mfma16_kernelI14__hip_bfloat16S0_LN4vllm18Fp8KVCacheDataTypeE0ES0_Li16ELi64ELi256ELb1ELi9EEvPKT_PKT0_S8_ifPKiSA_SA_iPKfiiiPfSD_PS3_PT2_iSC_SC_, .Lfunc_end450-_Z39paged_attention_ll4mi_QKV_mfma16_kernelI14__hip_bfloat16S0_LN4vllm18Fp8KVCacheDataTypeE0ES0_Li16ELi64ELi256ELb1ELi9EEvPKT_PKT0_S8_ifPKiSA_SA_iPKfiiiPfSD_PS3_PT2_iSC_SC_
                                        ; -- End function
	.set _Z39paged_attention_ll4mi_QKV_mfma16_kernelI14__hip_bfloat16S0_LN4vllm18Fp8KVCacheDataTypeE0ES0_Li16ELi64ELi256ELb1ELi9EEvPKT_PKT0_S8_ifPKiSA_SA_iPKfiiiPfSD_PS3_PT2_iSC_SC_.num_vgpr, max(3, .L__assert_fail.num_vgpr)
	.set _Z39paged_attention_ll4mi_QKV_mfma16_kernelI14__hip_bfloat16S0_LN4vllm18Fp8KVCacheDataTypeE0ES0_Li16ELi64ELi256ELb1ELi9EEvPKT_PKT0_S8_ifPKiSA_SA_iPKfiiiPfSD_PS3_PT2_iSC_SC_.num_agpr, max(0, .L__assert_fail.num_agpr)
	.set _Z39paged_attention_ll4mi_QKV_mfma16_kernelI14__hip_bfloat16S0_LN4vllm18Fp8KVCacheDataTypeE0ES0_Li16ELi64ELi256ELb1ELi9EEvPKT_PKT0_S8_ifPKiSA_SA_iPKfiiiPfSD_PS3_PT2_iSC_SC_.numbered_sgpr, max(33, .L__assert_fail.numbered_sgpr)
	.set _Z39paged_attention_ll4mi_QKV_mfma16_kernelI14__hip_bfloat16S0_LN4vllm18Fp8KVCacheDataTypeE0ES0_Li16ELi64ELi256ELb1ELi9EEvPKT_PKT0_S8_ifPKiSA_SA_iPKfiiiPfSD_PS3_PT2_iSC_SC_.num_named_barrier, max(0, .L__assert_fail.num_named_barrier)
	.set _Z39paged_attention_ll4mi_QKV_mfma16_kernelI14__hip_bfloat16S0_LN4vllm18Fp8KVCacheDataTypeE0ES0_Li16ELi64ELi256ELb1ELi9EEvPKT_PKT0_S8_ifPKiSA_SA_iPKfiiiPfSD_PS3_PT2_iSC_SC_.private_seg_size, 0+max(.L__assert_fail.private_seg_size)
	.set _Z39paged_attention_ll4mi_QKV_mfma16_kernelI14__hip_bfloat16S0_LN4vllm18Fp8KVCacheDataTypeE0ES0_Li16ELi64ELi256ELb1ELi9EEvPKT_PKT0_S8_ifPKiSA_SA_iPKfiiiPfSD_PS3_PT2_iSC_SC_.uses_vcc, or(1, .L__assert_fail.uses_vcc)
	.set _Z39paged_attention_ll4mi_QKV_mfma16_kernelI14__hip_bfloat16S0_LN4vllm18Fp8KVCacheDataTypeE0ES0_Li16ELi64ELi256ELb1ELi9EEvPKT_PKT0_S8_ifPKiSA_SA_iPKfiiiPfSD_PS3_PT2_iSC_SC_.uses_flat_scratch, or(0, .L__assert_fail.uses_flat_scratch)
	.set _Z39paged_attention_ll4mi_QKV_mfma16_kernelI14__hip_bfloat16S0_LN4vllm18Fp8KVCacheDataTypeE0ES0_Li16ELi64ELi256ELb1ELi9EEvPKT_PKT0_S8_ifPKiSA_SA_iPKfiiiPfSD_PS3_PT2_iSC_SC_.has_dyn_sized_stack, or(0, .L__assert_fail.has_dyn_sized_stack)
	.set _Z39paged_attention_ll4mi_QKV_mfma16_kernelI14__hip_bfloat16S0_LN4vllm18Fp8KVCacheDataTypeE0ES0_Li16ELi64ELi256ELb1ELi9EEvPKT_PKT0_S8_ifPKiSA_SA_iPKfiiiPfSD_PS3_PT2_iSC_SC_.has_recursion, or(0, .L__assert_fail.has_recursion)
	.set _Z39paged_attention_ll4mi_QKV_mfma16_kernelI14__hip_bfloat16S0_LN4vllm18Fp8KVCacheDataTypeE0ES0_Li16ELi64ELi256ELb1ELi9EEvPKT_PKT0_S8_ifPKiSA_SA_iPKfiiiPfSD_PS3_PT2_iSC_SC_.has_indirect_call, or(0, .L__assert_fail.has_indirect_call)
	.section	.AMDGPU.csdata,"",@progbits
; Kernel info:
; codeLenInByte = 68
; TotalNumSgprs: 36
; NumVgprs: 51
; ScratchSize: 64
; MemoryBound: 0
; FloatMode: 240
; IeeeMode: 1
; LDSByteSize: 0 bytes/workgroup (compile time only)
; SGPRBlocks: 0
; VGPRBlocks: 3
; NumSGPRsForWavesPerEU: 36
; NumVGPRsForWavesPerEU: 51
; NamedBarCnt: 0
; Occupancy: 16
; WaveLimiterHint : 1
; COMPUTE_PGM_RSRC2:SCRATCH_EN: 1
; COMPUTE_PGM_RSRC2:USER_SGPR: 2
; COMPUTE_PGM_RSRC2:TRAP_HANDLER: 0
; COMPUTE_PGM_RSRC2:TGID_X_EN: 1
; COMPUTE_PGM_RSRC2:TGID_Y_EN: 0
; COMPUTE_PGM_RSRC2:TGID_Z_EN: 0
; COMPUTE_PGM_RSRC2:TIDIG_COMP_CNT: 0
	.section	.text._Z39paged_attention_ll4mi_QKV_mfma16_kernelI14__hip_bfloat16S0_LN4vllm18Fp8KVCacheDataTypeE0ES0_Li16ELi64ELi256ELb1ELi10EEvPKT_PKT0_S8_ifPKiSA_SA_iPKfiiiPfSD_PS3_PT2_iSC_SC_,"axG",@progbits,_Z39paged_attention_ll4mi_QKV_mfma16_kernelI14__hip_bfloat16S0_LN4vllm18Fp8KVCacheDataTypeE0ES0_Li16ELi64ELi256ELb1ELi10EEvPKT_PKT0_S8_ifPKiSA_SA_iPKfiiiPfSD_PS3_PT2_iSC_SC_,comdat
	.protected	_Z39paged_attention_ll4mi_QKV_mfma16_kernelI14__hip_bfloat16S0_LN4vllm18Fp8KVCacheDataTypeE0ES0_Li16ELi64ELi256ELb1ELi10EEvPKT_PKT0_S8_ifPKiSA_SA_iPKfiiiPfSD_PS3_PT2_iSC_SC_ ; -- Begin function _Z39paged_attention_ll4mi_QKV_mfma16_kernelI14__hip_bfloat16S0_LN4vllm18Fp8KVCacheDataTypeE0ES0_Li16ELi64ELi256ELb1ELi10EEvPKT_PKT0_S8_ifPKiSA_SA_iPKfiiiPfSD_PS3_PT2_iSC_SC_
	.globl	_Z39paged_attention_ll4mi_QKV_mfma16_kernelI14__hip_bfloat16S0_LN4vllm18Fp8KVCacheDataTypeE0ES0_Li16ELi64ELi256ELb1ELi10EEvPKT_PKT0_S8_ifPKiSA_SA_iPKfiiiPfSD_PS3_PT2_iSC_SC_
	.p2align	8
	.type	_Z39paged_attention_ll4mi_QKV_mfma16_kernelI14__hip_bfloat16S0_LN4vllm18Fp8KVCacheDataTypeE0ES0_Li16ELi64ELi256ELb1ELi10EEvPKT_PKT0_S8_ifPKiSA_SA_iPKfiiiPfSD_PS3_PT2_iSC_SC_,@function
_Z39paged_attention_ll4mi_QKV_mfma16_kernelI14__hip_bfloat16S0_LN4vllm18Fp8KVCacheDataTypeE0ES0_Li16ELi64ELi256ELb1ELi10EEvPKT_PKT0_S8_ifPKiSA_SA_iPKfiiiPfSD_PS3_PT2_iSC_SC_: ; @_Z39paged_attention_ll4mi_QKV_mfma16_kernelI14__hip_bfloat16S0_LN4vllm18Fp8KVCacheDataTypeE0ES0_Li16ELi64ELi256ELb1ELi10EEvPKT_PKT0_S8_ifPKiSA_SA_iPKfiiiPfSD_PS3_PT2_iSC_SC_
; %bb.0:
	s_get_pc_i64 s[2:3]
	s_add_nc_u64 s[2:3], s[2:3], __PRETTY_FUNCTION__._Z39paged_attention_ll4mi_QKV_mfma16_kernelI14__hip_bfloat16S0_LN4vllm18Fp8KVCacheDataTypeE0ES0_Li16ELi64ELi256ELb1ELi10EEvPKT_PKT0_S8_ifPKiSA_SA_iPKfiiiPfSD_PS3_PT2_iSC_SC_@rel64+4
	s_delay_alu instid0(SALU_CYCLE_1)
	v_dual_mov_b32 v0, 0xbb3 :: v_dual_mov_b32 v1, s2
	v_mov_b32_e32 v2, s3
	s_add_nc_u64 s[8:9], s[0:1], 0x90
	s_get_pc_i64 s[0:1]
	s_add_nc_u64 s[0:1], s[0:1], __assert_fail@rel64+4
	s_mov_b32 s32, 0
	s_swap_pc_i64 s[30:31], s[0:1]
	.section	.rodata,"a",@progbits
	.p2align	6, 0x0
	.amdhsa_kernel _Z39paged_attention_ll4mi_QKV_mfma16_kernelI14__hip_bfloat16S0_LN4vllm18Fp8KVCacheDataTypeE0ES0_Li16ELi64ELi256ELb1ELi10EEvPKT_PKT0_S8_ifPKiSA_SA_iPKfiiiPfSD_PS3_PT2_iSC_SC_
		.amdhsa_group_segment_fixed_size 0
		.amdhsa_private_segment_fixed_size 64
		.amdhsa_kernarg_size 400
		.amdhsa_user_sgpr_count 2
		.amdhsa_user_sgpr_dispatch_ptr 0
		.amdhsa_user_sgpr_queue_ptr 0
		.amdhsa_user_sgpr_kernarg_segment_ptr 1
		.amdhsa_user_sgpr_dispatch_id 0
		.amdhsa_user_sgpr_kernarg_preload_length 0
		.amdhsa_user_sgpr_kernarg_preload_offset 0
		.amdhsa_user_sgpr_private_segment_size 0
		.amdhsa_wavefront_size32 1
		.amdhsa_uses_dynamic_stack 0
		.amdhsa_enable_private_segment 1
		.amdhsa_system_sgpr_workgroup_id_x 1
		.amdhsa_system_sgpr_workgroup_id_y 0
		.amdhsa_system_sgpr_workgroup_id_z 0
		.amdhsa_system_sgpr_workgroup_info 0
		.amdhsa_system_vgpr_workitem_id 0
		.amdhsa_next_free_vgpr 51
		.amdhsa_next_free_sgpr 34
		.amdhsa_named_barrier_count 0
		.amdhsa_reserve_vcc 1
		.amdhsa_float_round_mode_32 0
		.amdhsa_float_round_mode_16_64 0
		.amdhsa_float_denorm_mode_32 3
		.amdhsa_float_denorm_mode_16_64 3
		.amdhsa_fp16_overflow 0
		.amdhsa_memory_ordered 1
		.amdhsa_forward_progress 1
		.amdhsa_inst_pref_size 1
		.amdhsa_round_robin_scheduling 0
		.amdhsa_exception_fp_ieee_invalid_op 0
		.amdhsa_exception_fp_denorm_src 0
		.amdhsa_exception_fp_ieee_div_zero 0
		.amdhsa_exception_fp_ieee_overflow 0
		.amdhsa_exception_fp_ieee_underflow 0
		.amdhsa_exception_fp_ieee_inexact 0
		.amdhsa_exception_int_div_zero 0
	.end_amdhsa_kernel
	.section	.text._Z39paged_attention_ll4mi_QKV_mfma16_kernelI14__hip_bfloat16S0_LN4vllm18Fp8KVCacheDataTypeE0ES0_Li16ELi64ELi256ELb1ELi10EEvPKT_PKT0_S8_ifPKiSA_SA_iPKfiiiPfSD_PS3_PT2_iSC_SC_,"axG",@progbits,_Z39paged_attention_ll4mi_QKV_mfma16_kernelI14__hip_bfloat16S0_LN4vllm18Fp8KVCacheDataTypeE0ES0_Li16ELi64ELi256ELb1ELi10EEvPKT_PKT0_S8_ifPKiSA_SA_iPKfiiiPfSD_PS3_PT2_iSC_SC_,comdat
.Lfunc_end451:
	.size	_Z39paged_attention_ll4mi_QKV_mfma16_kernelI14__hip_bfloat16S0_LN4vllm18Fp8KVCacheDataTypeE0ES0_Li16ELi64ELi256ELb1ELi10EEvPKT_PKT0_S8_ifPKiSA_SA_iPKfiiiPfSD_PS3_PT2_iSC_SC_, .Lfunc_end451-_Z39paged_attention_ll4mi_QKV_mfma16_kernelI14__hip_bfloat16S0_LN4vllm18Fp8KVCacheDataTypeE0ES0_Li16ELi64ELi256ELb1ELi10EEvPKT_PKT0_S8_ifPKiSA_SA_iPKfiiiPfSD_PS3_PT2_iSC_SC_
                                        ; -- End function
	.set _Z39paged_attention_ll4mi_QKV_mfma16_kernelI14__hip_bfloat16S0_LN4vllm18Fp8KVCacheDataTypeE0ES0_Li16ELi64ELi256ELb1ELi10EEvPKT_PKT0_S8_ifPKiSA_SA_iPKfiiiPfSD_PS3_PT2_iSC_SC_.num_vgpr, max(3, .L__assert_fail.num_vgpr)
	.set _Z39paged_attention_ll4mi_QKV_mfma16_kernelI14__hip_bfloat16S0_LN4vllm18Fp8KVCacheDataTypeE0ES0_Li16ELi64ELi256ELb1ELi10EEvPKT_PKT0_S8_ifPKiSA_SA_iPKfiiiPfSD_PS3_PT2_iSC_SC_.num_agpr, max(0, .L__assert_fail.num_agpr)
	.set _Z39paged_attention_ll4mi_QKV_mfma16_kernelI14__hip_bfloat16S0_LN4vllm18Fp8KVCacheDataTypeE0ES0_Li16ELi64ELi256ELb1ELi10EEvPKT_PKT0_S8_ifPKiSA_SA_iPKfiiiPfSD_PS3_PT2_iSC_SC_.numbered_sgpr, max(33, .L__assert_fail.numbered_sgpr)
	.set _Z39paged_attention_ll4mi_QKV_mfma16_kernelI14__hip_bfloat16S0_LN4vllm18Fp8KVCacheDataTypeE0ES0_Li16ELi64ELi256ELb1ELi10EEvPKT_PKT0_S8_ifPKiSA_SA_iPKfiiiPfSD_PS3_PT2_iSC_SC_.num_named_barrier, max(0, .L__assert_fail.num_named_barrier)
	.set _Z39paged_attention_ll4mi_QKV_mfma16_kernelI14__hip_bfloat16S0_LN4vllm18Fp8KVCacheDataTypeE0ES0_Li16ELi64ELi256ELb1ELi10EEvPKT_PKT0_S8_ifPKiSA_SA_iPKfiiiPfSD_PS3_PT2_iSC_SC_.private_seg_size, 0+max(.L__assert_fail.private_seg_size)
	.set _Z39paged_attention_ll4mi_QKV_mfma16_kernelI14__hip_bfloat16S0_LN4vllm18Fp8KVCacheDataTypeE0ES0_Li16ELi64ELi256ELb1ELi10EEvPKT_PKT0_S8_ifPKiSA_SA_iPKfiiiPfSD_PS3_PT2_iSC_SC_.uses_vcc, or(1, .L__assert_fail.uses_vcc)
	.set _Z39paged_attention_ll4mi_QKV_mfma16_kernelI14__hip_bfloat16S0_LN4vllm18Fp8KVCacheDataTypeE0ES0_Li16ELi64ELi256ELb1ELi10EEvPKT_PKT0_S8_ifPKiSA_SA_iPKfiiiPfSD_PS3_PT2_iSC_SC_.uses_flat_scratch, or(0, .L__assert_fail.uses_flat_scratch)
	.set _Z39paged_attention_ll4mi_QKV_mfma16_kernelI14__hip_bfloat16S0_LN4vllm18Fp8KVCacheDataTypeE0ES0_Li16ELi64ELi256ELb1ELi10EEvPKT_PKT0_S8_ifPKiSA_SA_iPKfiiiPfSD_PS3_PT2_iSC_SC_.has_dyn_sized_stack, or(0, .L__assert_fail.has_dyn_sized_stack)
	.set _Z39paged_attention_ll4mi_QKV_mfma16_kernelI14__hip_bfloat16S0_LN4vllm18Fp8KVCacheDataTypeE0ES0_Li16ELi64ELi256ELb1ELi10EEvPKT_PKT0_S8_ifPKiSA_SA_iPKfiiiPfSD_PS3_PT2_iSC_SC_.has_recursion, or(0, .L__assert_fail.has_recursion)
	.set _Z39paged_attention_ll4mi_QKV_mfma16_kernelI14__hip_bfloat16S0_LN4vllm18Fp8KVCacheDataTypeE0ES0_Li16ELi64ELi256ELb1ELi10EEvPKT_PKT0_S8_ifPKiSA_SA_iPKfiiiPfSD_PS3_PT2_iSC_SC_.has_indirect_call, or(0, .L__assert_fail.has_indirect_call)
	.section	.AMDGPU.csdata,"",@progbits
; Kernel info:
; codeLenInByte = 68
; TotalNumSgprs: 36
; NumVgprs: 51
; ScratchSize: 64
; MemoryBound: 0
; FloatMode: 240
; IeeeMode: 1
; LDSByteSize: 0 bytes/workgroup (compile time only)
; SGPRBlocks: 0
; VGPRBlocks: 3
; NumSGPRsForWavesPerEU: 36
; NumVGPRsForWavesPerEU: 51
; NamedBarCnt: 0
; Occupancy: 16
; WaveLimiterHint : 1
; COMPUTE_PGM_RSRC2:SCRATCH_EN: 1
; COMPUTE_PGM_RSRC2:USER_SGPR: 2
; COMPUTE_PGM_RSRC2:TRAP_HANDLER: 0
; COMPUTE_PGM_RSRC2:TGID_X_EN: 1
; COMPUTE_PGM_RSRC2:TGID_Y_EN: 0
; COMPUTE_PGM_RSRC2:TGID_Z_EN: 0
; COMPUTE_PGM_RSRC2:TIDIG_COMP_CNT: 0
	.section	.text._Z39paged_attention_ll4mi_QKV_mfma16_kernelI14__hip_bfloat16S0_LN4vllm18Fp8KVCacheDataTypeE0ES0_Li16ELi64ELi256ELb1ELi11EEvPKT_PKT0_S8_ifPKiSA_SA_iPKfiiiPfSD_PS3_PT2_iSC_SC_,"axG",@progbits,_Z39paged_attention_ll4mi_QKV_mfma16_kernelI14__hip_bfloat16S0_LN4vllm18Fp8KVCacheDataTypeE0ES0_Li16ELi64ELi256ELb1ELi11EEvPKT_PKT0_S8_ifPKiSA_SA_iPKfiiiPfSD_PS3_PT2_iSC_SC_,comdat
	.protected	_Z39paged_attention_ll4mi_QKV_mfma16_kernelI14__hip_bfloat16S0_LN4vllm18Fp8KVCacheDataTypeE0ES0_Li16ELi64ELi256ELb1ELi11EEvPKT_PKT0_S8_ifPKiSA_SA_iPKfiiiPfSD_PS3_PT2_iSC_SC_ ; -- Begin function _Z39paged_attention_ll4mi_QKV_mfma16_kernelI14__hip_bfloat16S0_LN4vllm18Fp8KVCacheDataTypeE0ES0_Li16ELi64ELi256ELb1ELi11EEvPKT_PKT0_S8_ifPKiSA_SA_iPKfiiiPfSD_PS3_PT2_iSC_SC_
	.globl	_Z39paged_attention_ll4mi_QKV_mfma16_kernelI14__hip_bfloat16S0_LN4vllm18Fp8KVCacheDataTypeE0ES0_Li16ELi64ELi256ELb1ELi11EEvPKT_PKT0_S8_ifPKiSA_SA_iPKfiiiPfSD_PS3_PT2_iSC_SC_
	.p2align	8
	.type	_Z39paged_attention_ll4mi_QKV_mfma16_kernelI14__hip_bfloat16S0_LN4vllm18Fp8KVCacheDataTypeE0ES0_Li16ELi64ELi256ELb1ELi11EEvPKT_PKT0_S8_ifPKiSA_SA_iPKfiiiPfSD_PS3_PT2_iSC_SC_,@function
_Z39paged_attention_ll4mi_QKV_mfma16_kernelI14__hip_bfloat16S0_LN4vllm18Fp8KVCacheDataTypeE0ES0_Li16ELi64ELi256ELb1ELi11EEvPKT_PKT0_S8_ifPKiSA_SA_iPKfiiiPfSD_PS3_PT2_iSC_SC_: ; @_Z39paged_attention_ll4mi_QKV_mfma16_kernelI14__hip_bfloat16S0_LN4vllm18Fp8KVCacheDataTypeE0ES0_Li16ELi64ELi256ELb1ELi11EEvPKT_PKT0_S8_ifPKiSA_SA_iPKfiiiPfSD_PS3_PT2_iSC_SC_
; %bb.0:
	s_get_pc_i64 s[2:3]
	s_add_nc_u64 s[2:3], s[2:3], __PRETTY_FUNCTION__._Z39paged_attention_ll4mi_QKV_mfma16_kernelI14__hip_bfloat16S0_LN4vllm18Fp8KVCacheDataTypeE0ES0_Li16ELi64ELi256ELb1ELi11EEvPKT_PKT0_S8_ifPKiSA_SA_iPKfiiiPfSD_PS3_PT2_iSC_SC_@rel64+4
	s_delay_alu instid0(SALU_CYCLE_1)
	v_dual_mov_b32 v0, 0xbb3 :: v_dual_mov_b32 v1, s2
	v_mov_b32_e32 v2, s3
	s_add_nc_u64 s[8:9], s[0:1], 0x90
	s_get_pc_i64 s[0:1]
	s_add_nc_u64 s[0:1], s[0:1], __assert_fail@rel64+4
	s_mov_b32 s32, 0
	s_swap_pc_i64 s[30:31], s[0:1]
	.section	.rodata,"a",@progbits
	.p2align	6, 0x0
	.amdhsa_kernel _Z39paged_attention_ll4mi_QKV_mfma16_kernelI14__hip_bfloat16S0_LN4vllm18Fp8KVCacheDataTypeE0ES0_Li16ELi64ELi256ELb1ELi11EEvPKT_PKT0_S8_ifPKiSA_SA_iPKfiiiPfSD_PS3_PT2_iSC_SC_
		.amdhsa_group_segment_fixed_size 0
		.amdhsa_private_segment_fixed_size 64
		.amdhsa_kernarg_size 400
		.amdhsa_user_sgpr_count 2
		.amdhsa_user_sgpr_dispatch_ptr 0
		.amdhsa_user_sgpr_queue_ptr 0
		.amdhsa_user_sgpr_kernarg_segment_ptr 1
		.amdhsa_user_sgpr_dispatch_id 0
		.amdhsa_user_sgpr_kernarg_preload_length 0
		.amdhsa_user_sgpr_kernarg_preload_offset 0
		.amdhsa_user_sgpr_private_segment_size 0
		.amdhsa_wavefront_size32 1
		.amdhsa_uses_dynamic_stack 0
		.amdhsa_enable_private_segment 1
		.amdhsa_system_sgpr_workgroup_id_x 1
		.amdhsa_system_sgpr_workgroup_id_y 0
		.amdhsa_system_sgpr_workgroup_id_z 0
		.amdhsa_system_sgpr_workgroup_info 0
		.amdhsa_system_vgpr_workitem_id 0
		.amdhsa_next_free_vgpr 51
		.amdhsa_next_free_sgpr 34
		.amdhsa_named_barrier_count 0
		.amdhsa_reserve_vcc 1
		.amdhsa_float_round_mode_32 0
		.amdhsa_float_round_mode_16_64 0
		.amdhsa_float_denorm_mode_32 3
		.amdhsa_float_denorm_mode_16_64 3
		.amdhsa_fp16_overflow 0
		.amdhsa_memory_ordered 1
		.amdhsa_forward_progress 1
		.amdhsa_inst_pref_size 1
		.amdhsa_round_robin_scheduling 0
		.amdhsa_exception_fp_ieee_invalid_op 0
		.amdhsa_exception_fp_denorm_src 0
		.amdhsa_exception_fp_ieee_div_zero 0
		.amdhsa_exception_fp_ieee_overflow 0
		.amdhsa_exception_fp_ieee_underflow 0
		.amdhsa_exception_fp_ieee_inexact 0
		.amdhsa_exception_int_div_zero 0
	.end_amdhsa_kernel
	.section	.text._Z39paged_attention_ll4mi_QKV_mfma16_kernelI14__hip_bfloat16S0_LN4vllm18Fp8KVCacheDataTypeE0ES0_Li16ELi64ELi256ELb1ELi11EEvPKT_PKT0_S8_ifPKiSA_SA_iPKfiiiPfSD_PS3_PT2_iSC_SC_,"axG",@progbits,_Z39paged_attention_ll4mi_QKV_mfma16_kernelI14__hip_bfloat16S0_LN4vllm18Fp8KVCacheDataTypeE0ES0_Li16ELi64ELi256ELb1ELi11EEvPKT_PKT0_S8_ifPKiSA_SA_iPKfiiiPfSD_PS3_PT2_iSC_SC_,comdat
.Lfunc_end452:
	.size	_Z39paged_attention_ll4mi_QKV_mfma16_kernelI14__hip_bfloat16S0_LN4vllm18Fp8KVCacheDataTypeE0ES0_Li16ELi64ELi256ELb1ELi11EEvPKT_PKT0_S8_ifPKiSA_SA_iPKfiiiPfSD_PS3_PT2_iSC_SC_, .Lfunc_end452-_Z39paged_attention_ll4mi_QKV_mfma16_kernelI14__hip_bfloat16S0_LN4vllm18Fp8KVCacheDataTypeE0ES0_Li16ELi64ELi256ELb1ELi11EEvPKT_PKT0_S8_ifPKiSA_SA_iPKfiiiPfSD_PS3_PT2_iSC_SC_
                                        ; -- End function
	.set _Z39paged_attention_ll4mi_QKV_mfma16_kernelI14__hip_bfloat16S0_LN4vllm18Fp8KVCacheDataTypeE0ES0_Li16ELi64ELi256ELb1ELi11EEvPKT_PKT0_S8_ifPKiSA_SA_iPKfiiiPfSD_PS3_PT2_iSC_SC_.num_vgpr, max(3, .L__assert_fail.num_vgpr)
	.set _Z39paged_attention_ll4mi_QKV_mfma16_kernelI14__hip_bfloat16S0_LN4vllm18Fp8KVCacheDataTypeE0ES0_Li16ELi64ELi256ELb1ELi11EEvPKT_PKT0_S8_ifPKiSA_SA_iPKfiiiPfSD_PS3_PT2_iSC_SC_.num_agpr, max(0, .L__assert_fail.num_agpr)
	.set _Z39paged_attention_ll4mi_QKV_mfma16_kernelI14__hip_bfloat16S0_LN4vllm18Fp8KVCacheDataTypeE0ES0_Li16ELi64ELi256ELb1ELi11EEvPKT_PKT0_S8_ifPKiSA_SA_iPKfiiiPfSD_PS3_PT2_iSC_SC_.numbered_sgpr, max(33, .L__assert_fail.numbered_sgpr)
	.set _Z39paged_attention_ll4mi_QKV_mfma16_kernelI14__hip_bfloat16S0_LN4vllm18Fp8KVCacheDataTypeE0ES0_Li16ELi64ELi256ELb1ELi11EEvPKT_PKT0_S8_ifPKiSA_SA_iPKfiiiPfSD_PS3_PT2_iSC_SC_.num_named_barrier, max(0, .L__assert_fail.num_named_barrier)
	.set _Z39paged_attention_ll4mi_QKV_mfma16_kernelI14__hip_bfloat16S0_LN4vllm18Fp8KVCacheDataTypeE0ES0_Li16ELi64ELi256ELb1ELi11EEvPKT_PKT0_S8_ifPKiSA_SA_iPKfiiiPfSD_PS3_PT2_iSC_SC_.private_seg_size, 0+max(.L__assert_fail.private_seg_size)
	.set _Z39paged_attention_ll4mi_QKV_mfma16_kernelI14__hip_bfloat16S0_LN4vllm18Fp8KVCacheDataTypeE0ES0_Li16ELi64ELi256ELb1ELi11EEvPKT_PKT0_S8_ifPKiSA_SA_iPKfiiiPfSD_PS3_PT2_iSC_SC_.uses_vcc, or(1, .L__assert_fail.uses_vcc)
	.set _Z39paged_attention_ll4mi_QKV_mfma16_kernelI14__hip_bfloat16S0_LN4vllm18Fp8KVCacheDataTypeE0ES0_Li16ELi64ELi256ELb1ELi11EEvPKT_PKT0_S8_ifPKiSA_SA_iPKfiiiPfSD_PS3_PT2_iSC_SC_.uses_flat_scratch, or(0, .L__assert_fail.uses_flat_scratch)
	.set _Z39paged_attention_ll4mi_QKV_mfma16_kernelI14__hip_bfloat16S0_LN4vllm18Fp8KVCacheDataTypeE0ES0_Li16ELi64ELi256ELb1ELi11EEvPKT_PKT0_S8_ifPKiSA_SA_iPKfiiiPfSD_PS3_PT2_iSC_SC_.has_dyn_sized_stack, or(0, .L__assert_fail.has_dyn_sized_stack)
	.set _Z39paged_attention_ll4mi_QKV_mfma16_kernelI14__hip_bfloat16S0_LN4vllm18Fp8KVCacheDataTypeE0ES0_Li16ELi64ELi256ELb1ELi11EEvPKT_PKT0_S8_ifPKiSA_SA_iPKfiiiPfSD_PS3_PT2_iSC_SC_.has_recursion, or(0, .L__assert_fail.has_recursion)
	.set _Z39paged_attention_ll4mi_QKV_mfma16_kernelI14__hip_bfloat16S0_LN4vllm18Fp8KVCacheDataTypeE0ES0_Li16ELi64ELi256ELb1ELi11EEvPKT_PKT0_S8_ifPKiSA_SA_iPKfiiiPfSD_PS3_PT2_iSC_SC_.has_indirect_call, or(0, .L__assert_fail.has_indirect_call)
	.section	.AMDGPU.csdata,"",@progbits
; Kernel info:
; codeLenInByte = 68
; TotalNumSgprs: 36
; NumVgprs: 51
; ScratchSize: 64
; MemoryBound: 0
; FloatMode: 240
; IeeeMode: 1
; LDSByteSize: 0 bytes/workgroup (compile time only)
; SGPRBlocks: 0
; VGPRBlocks: 3
; NumSGPRsForWavesPerEU: 36
; NumVGPRsForWavesPerEU: 51
; NamedBarCnt: 0
; Occupancy: 16
; WaveLimiterHint : 1
; COMPUTE_PGM_RSRC2:SCRATCH_EN: 1
; COMPUTE_PGM_RSRC2:USER_SGPR: 2
; COMPUTE_PGM_RSRC2:TRAP_HANDLER: 0
; COMPUTE_PGM_RSRC2:TGID_X_EN: 1
; COMPUTE_PGM_RSRC2:TGID_Y_EN: 0
; COMPUTE_PGM_RSRC2:TGID_Z_EN: 0
; COMPUTE_PGM_RSRC2:TIDIG_COMP_CNT: 0
	.section	.text._Z39paged_attention_ll4mi_QKV_mfma16_kernelI14__hip_bfloat16S0_LN4vllm18Fp8KVCacheDataTypeE0ES0_Li16ELi64ELi256ELb1ELi12EEvPKT_PKT0_S8_ifPKiSA_SA_iPKfiiiPfSD_PS3_PT2_iSC_SC_,"axG",@progbits,_Z39paged_attention_ll4mi_QKV_mfma16_kernelI14__hip_bfloat16S0_LN4vllm18Fp8KVCacheDataTypeE0ES0_Li16ELi64ELi256ELb1ELi12EEvPKT_PKT0_S8_ifPKiSA_SA_iPKfiiiPfSD_PS3_PT2_iSC_SC_,comdat
	.protected	_Z39paged_attention_ll4mi_QKV_mfma16_kernelI14__hip_bfloat16S0_LN4vllm18Fp8KVCacheDataTypeE0ES0_Li16ELi64ELi256ELb1ELi12EEvPKT_PKT0_S8_ifPKiSA_SA_iPKfiiiPfSD_PS3_PT2_iSC_SC_ ; -- Begin function _Z39paged_attention_ll4mi_QKV_mfma16_kernelI14__hip_bfloat16S0_LN4vllm18Fp8KVCacheDataTypeE0ES0_Li16ELi64ELi256ELb1ELi12EEvPKT_PKT0_S8_ifPKiSA_SA_iPKfiiiPfSD_PS3_PT2_iSC_SC_
	.globl	_Z39paged_attention_ll4mi_QKV_mfma16_kernelI14__hip_bfloat16S0_LN4vllm18Fp8KVCacheDataTypeE0ES0_Li16ELi64ELi256ELb1ELi12EEvPKT_PKT0_S8_ifPKiSA_SA_iPKfiiiPfSD_PS3_PT2_iSC_SC_
	.p2align	8
	.type	_Z39paged_attention_ll4mi_QKV_mfma16_kernelI14__hip_bfloat16S0_LN4vllm18Fp8KVCacheDataTypeE0ES0_Li16ELi64ELi256ELb1ELi12EEvPKT_PKT0_S8_ifPKiSA_SA_iPKfiiiPfSD_PS3_PT2_iSC_SC_,@function
_Z39paged_attention_ll4mi_QKV_mfma16_kernelI14__hip_bfloat16S0_LN4vllm18Fp8KVCacheDataTypeE0ES0_Li16ELi64ELi256ELb1ELi12EEvPKT_PKT0_S8_ifPKiSA_SA_iPKfiiiPfSD_PS3_PT2_iSC_SC_: ; @_Z39paged_attention_ll4mi_QKV_mfma16_kernelI14__hip_bfloat16S0_LN4vllm18Fp8KVCacheDataTypeE0ES0_Li16ELi64ELi256ELb1ELi12EEvPKT_PKT0_S8_ifPKiSA_SA_iPKfiiiPfSD_PS3_PT2_iSC_SC_
; %bb.0:
	s_get_pc_i64 s[2:3]
	s_add_nc_u64 s[2:3], s[2:3], __PRETTY_FUNCTION__._Z39paged_attention_ll4mi_QKV_mfma16_kernelI14__hip_bfloat16S0_LN4vllm18Fp8KVCacheDataTypeE0ES0_Li16ELi64ELi256ELb1ELi12EEvPKT_PKT0_S8_ifPKiSA_SA_iPKfiiiPfSD_PS3_PT2_iSC_SC_@rel64+4
	s_delay_alu instid0(SALU_CYCLE_1)
	v_dual_mov_b32 v0, 0xbb3 :: v_dual_mov_b32 v1, s2
	v_mov_b32_e32 v2, s3
	s_add_nc_u64 s[8:9], s[0:1], 0x90
	s_get_pc_i64 s[0:1]
	s_add_nc_u64 s[0:1], s[0:1], __assert_fail@rel64+4
	s_mov_b32 s32, 0
	s_swap_pc_i64 s[30:31], s[0:1]
	.section	.rodata,"a",@progbits
	.p2align	6, 0x0
	.amdhsa_kernel _Z39paged_attention_ll4mi_QKV_mfma16_kernelI14__hip_bfloat16S0_LN4vllm18Fp8KVCacheDataTypeE0ES0_Li16ELi64ELi256ELb1ELi12EEvPKT_PKT0_S8_ifPKiSA_SA_iPKfiiiPfSD_PS3_PT2_iSC_SC_
		.amdhsa_group_segment_fixed_size 0
		.amdhsa_private_segment_fixed_size 64
		.amdhsa_kernarg_size 400
		.amdhsa_user_sgpr_count 2
		.amdhsa_user_sgpr_dispatch_ptr 0
		.amdhsa_user_sgpr_queue_ptr 0
		.amdhsa_user_sgpr_kernarg_segment_ptr 1
		.amdhsa_user_sgpr_dispatch_id 0
		.amdhsa_user_sgpr_kernarg_preload_length 0
		.amdhsa_user_sgpr_kernarg_preload_offset 0
		.amdhsa_user_sgpr_private_segment_size 0
		.amdhsa_wavefront_size32 1
		.amdhsa_uses_dynamic_stack 0
		.amdhsa_enable_private_segment 1
		.amdhsa_system_sgpr_workgroup_id_x 1
		.amdhsa_system_sgpr_workgroup_id_y 0
		.amdhsa_system_sgpr_workgroup_id_z 0
		.amdhsa_system_sgpr_workgroup_info 0
		.amdhsa_system_vgpr_workitem_id 0
		.amdhsa_next_free_vgpr 51
		.amdhsa_next_free_sgpr 34
		.amdhsa_named_barrier_count 0
		.amdhsa_reserve_vcc 1
		.amdhsa_float_round_mode_32 0
		.amdhsa_float_round_mode_16_64 0
		.amdhsa_float_denorm_mode_32 3
		.amdhsa_float_denorm_mode_16_64 3
		.amdhsa_fp16_overflow 0
		.amdhsa_memory_ordered 1
		.amdhsa_forward_progress 1
		.amdhsa_inst_pref_size 1
		.amdhsa_round_robin_scheduling 0
		.amdhsa_exception_fp_ieee_invalid_op 0
		.amdhsa_exception_fp_denorm_src 0
		.amdhsa_exception_fp_ieee_div_zero 0
		.amdhsa_exception_fp_ieee_overflow 0
		.amdhsa_exception_fp_ieee_underflow 0
		.amdhsa_exception_fp_ieee_inexact 0
		.amdhsa_exception_int_div_zero 0
	.end_amdhsa_kernel
	.section	.text._Z39paged_attention_ll4mi_QKV_mfma16_kernelI14__hip_bfloat16S0_LN4vllm18Fp8KVCacheDataTypeE0ES0_Li16ELi64ELi256ELb1ELi12EEvPKT_PKT0_S8_ifPKiSA_SA_iPKfiiiPfSD_PS3_PT2_iSC_SC_,"axG",@progbits,_Z39paged_attention_ll4mi_QKV_mfma16_kernelI14__hip_bfloat16S0_LN4vllm18Fp8KVCacheDataTypeE0ES0_Li16ELi64ELi256ELb1ELi12EEvPKT_PKT0_S8_ifPKiSA_SA_iPKfiiiPfSD_PS3_PT2_iSC_SC_,comdat
.Lfunc_end453:
	.size	_Z39paged_attention_ll4mi_QKV_mfma16_kernelI14__hip_bfloat16S0_LN4vllm18Fp8KVCacheDataTypeE0ES0_Li16ELi64ELi256ELb1ELi12EEvPKT_PKT0_S8_ifPKiSA_SA_iPKfiiiPfSD_PS3_PT2_iSC_SC_, .Lfunc_end453-_Z39paged_attention_ll4mi_QKV_mfma16_kernelI14__hip_bfloat16S0_LN4vllm18Fp8KVCacheDataTypeE0ES0_Li16ELi64ELi256ELb1ELi12EEvPKT_PKT0_S8_ifPKiSA_SA_iPKfiiiPfSD_PS3_PT2_iSC_SC_
                                        ; -- End function
	.set _Z39paged_attention_ll4mi_QKV_mfma16_kernelI14__hip_bfloat16S0_LN4vllm18Fp8KVCacheDataTypeE0ES0_Li16ELi64ELi256ELb1ELi12EEvPKT_PKT0_S8_ifPKiSA_SA_iPKfiiiPfSD_PS3_PT2_iSC_SC_.num_vgpr, max(3, .L__assert_fail.num_vgpr)
	.set _Z39paged_attention_ll4mi_QKV_mfma16_kernelI14__hip_bfloat16S0_LN4vllm18Fp8KVCacheDataTypeE0ES0_Li16ELi64ELi256ELb1ELi12EEvPKT_PKT0_S8_ifPKiSA_SA_iPKfiiiPfSD_PS3_PT2_iSC_SC_.num_agpr, max(0, .L__assert_fail.num_agpr)
	.set _Z39paged_attention_ll4mi_QKV_mfma16_kernelI14__hip_bfloat16S0_LN4vllm18Fp8KVCacheDataTypeE0ES0_Li16ELi64ELi256ELb1ELi12EEvPKT_PKT0_S8_ifPKiSA_SA_iPKfiiiPfSD_PS3_PT2_iSC_SC_.numbered_sgpr, max(33, .L__assert_fail.numbered_sgpr)
	.set _Z39paged_attention_ll4mi_QKV_mfma16_kernelI14__hip_bfloat16S0_LN4vllm18Fp8KVCacheDataTypeE0ES0_Li16ELi64ELi256ELb1ELi12EEvPKT_PKT0_S8_ifPKiSA_SA_iPKfiiiPfSD_PS3_PT2_iSC_SC_.num_named_barrier, max(0, .L__assert_fail.num_named_barrier)
	.set _Z39paged_attention_ll4mi_QKV_mfma16_kernelI14__hip_bfloat16S0_LN4vllm18Fp8KVCacheDataTypeE0ES0_Li16ELi64ELi256ELb1ELi12EEvPKT_PKT0_S8_ifPKiSA_SA_iPKfiiiPfSD_PS3_PT2_iSC_SC_.private_seg_size, 0+max(.L__assert_fail.private_seg_size)
	.set _Z39paged_attention_ll4mi_QKV_mfma16_kernelI14__hip_bfloat16S0_LN4vllm18Fp8KVCacheDataTypeE0ES0_Li16ELi64ELi256ELb1ELi12EEvPKT_PKT0_S8_ifPKiSA_SA_iPKfiiiPfSD_PS3_PT2_iSC_SC_.uses_vcc, or(1, .L__assert_fail.uses_vcc)
	.set _Z39paged_attention_ll4mi_QKV_mfma16_kernelI14__hip_bfloat16S0_LN4vllm18Fp8KVCacheDataTypeE0ES0_Li16ELi64ELi256ELb1ELi12EEvPKT_PKT0_S8_ifPKiSA_SA_iPKfiiiPfSD_PS3_PT2_iSC_SC_.uses_flat_scratch, or(0, .L__assert_fail.uses_flat_scratch)
	.set _Z39paged_attention_ll4mi_QKV_mfma16_kernelI14__hip_bfloat16S0_LN4vllm18Fp8KVCacheDataTypeE0ES0_Li16ELi64ELi256ELb1ELi12EEvPKT_PKT0_S8_ifPKiSA_SA_iPKfiiiPfSD_PS3_PT2_iSC_SC_.has_dyn_sized_stack, or(0, .L__assert_fail.has_dyn_sized_stack)
	.set _Z39paged_attention_ll4mi_QKV_mfma16_kernelI14__hip_bfloat16S0_LN4vllm18Fp8KVCacheDataTypeE0ES0_Li16ELi64ELi256ELb1ELi12EEvPKT_PKT0_S8_ifPKiSA_SA_iPKfiiiPfSD_PS3_PT2_iSC_SC_.has_recursion, or(0, .L__assert_fail.has_recursion)
	.set _Z39paged_attention_ll4mi_QKV_mfma16_kernelI14__hip_bfloat16S0_LN4vllm18Fp8KVCacheDataTypeE0ES0_Li16ELi64ELi256ELb1ELi12EEvPKT_PKT0_S8_ifPKiSA_SA_iPKfiiiPfSD_PS3_PT2_iSC_SC_.has_indirect_call, or(0, .L__assert_fail.has_indirect_call)
	.section	.AMDGPU.csdata,"",@progbits
; Kernel info:
; codeLenInByte = 68
; TotalNumSgprs: 36
; NumVgprs: 51
; ScratchSize: 64
; MemoryBound: 0
; FloatMode: 240
; IeeeMode: 1
; LDSByteSize: 0 bytes/workgroup (compile time only)
; SGPRBlocks: 0
; VGPRBlocks: 3
; NumSGPRsForWavesPerEU: 36
; NumVGPRsForWavesPerEU: 51
; NamedBarCnt: 0
; Occupancy: 16
; WaveLimiterHint : 1
; COMPUTE_PGM_RSRC2:SCRATCH_EN: 1
; COMPUTE_PGM_RSRC2:USER_SGPR: 2
; COMPUTE_PGM_RSRC2:TRAP_HANDLER: 0
; COMPUTE_PGM_RSRC2:TGID_X_EN: 1
; COMPUTE_PGM_RSRC2:TGID_Y_EN: 0
; COMPUTE_PGM_RSRC2:TGID_Z_EN: 0
; COMPUTE_PGM_RSRC2:TIDIG_COMP_CNT: 0
	.section	.text._Z39paged_attention_ll4mi_QKV_mfma16_kernelI14__hip_bfloat16S0_LN4vllm18Fp8KVCacheDataTypeE0ES0_Li16ELi64ELi256ELb1ELi13EEvPKT_PKT0_S8_ifPKiSA_SA_iPKfiiiPfSD_PS3_PT2_iSC_SC_,"axG",@progbits,_Z39paged_attention_ll4mi_QKV_mfma16_kernelI14__hip_bfloat16S0_LN4vllm18Fp8KVCacheDataTypeE0ES0_Li16ELi64ELi256ELb1ELi13EEvPKT_PKT0_S8_ifPKiSA_SA_iPKfiiiPfSD_PS3_PT2_iSC_SC_,comdat
	.protected	_Z39paged_attention_ll4mi_QKV_mfma16_kernelI14__hip_bfloat16S0_LN4vllm18Fp8KVCacheDataTypeE0ES0_Li16ELi64ELi256ELb1ELi13EEvPKT_PKT0_S8_ifPKiSA_SA_iPKfiiiPfSD_PS3_PT2_iSC_SC_ ; -- Begin function _Z39paged_attention_ll4mi_QKV_mfma16_kernelI14__hip_bfloat16S0_LN4vllm18Fp8KVCacheDataTypeE0ES0_Li16ELi64ELi256ELb1ELi13EEvPKT_PKT0_S8_ifPKiSA_SA_iPKfiiiPfSD_PS3_PT2_iSC_SC_
	.globl	_Z39paged_attention_ll4mi_QKV_mfma16_kernelI14__hip_bfloat16S0_LN4vllm18Fp8KVCacheDataTypeE0ES0_Li16ELi64ELi256ELb1ELi13EEvPKT_PKT0_S8_ifPKiSA_SA_iPKfiiiPfSD_PS3_PT2_iSC_SC_
	.p2align	8
	.type	_Z39paged_attention_ll4mi_QKV_mfma16_kernelI14__hip_bfloat16S0_LN4vllm18Fp8KVCacheDataTypeE0ES0_Li16ELi64ELi256ELb1ELi13EEvPKT_PKT0_S8_ifPKiSA_SA_iPKfiiiPfSD_PS3_PT2_iSC_SC_,@function
_Z39paged_attention_ll4mi_QKV_mfma16_kernelI14__hip_bfloat16S0_LN4vllm18Fp8KVCacheDataTypeE0ES0_Li16ELi64ELi256ELb1ELi13EEvPKT_PKT0_S8_ifPKiSA_SA_iPKfiiiPfSD_PS3_PT2_iSC_SC_: ; @_Z39paged_attention_ll4mi_QKV_mfma16_kernelI14__hip_bfloat16S0_LN4vllm18Fp8KVCacheDataTypeE0ES0_Li16ELi64ELi256ELb1ELi13EEvPKT_PKT0_S8_ifPKiSA_SA_iPKfiiiPfSD_PS3_PT2_iSC_SC_
; %bb.0:
	s_get_pc_i64 s[2:3]
	s_add_nc_u64 s[2:3], s[2:3], __PRETTY_FUNCTION__._Z39paged_attention_ll4mi_QKV_mfma16_kernelI14__hip_bfloat16S0_LN4vllm18Fp8KVCacheDataTypeE0ES0_Li16ELi64ELi256ELb1ELi13EEvPKT_PKT0_S8_ifPKiSA_SA_iPKfiiiPfSD_PS3_PT2_iSC_SC_@rel64+4
	s_delay_alu instid0(SALU_CYCLE_1)
	v_dual_mov_b32 v0, 0xbb3 :: v_dual_mov_b32 v1, s2
	v_mov_b32_e32 v2, s3
	s_add_nc_u64 s[8:9], s[0:1], 0x90
	s_get_pc_i64 s[0:1]
	s_add_nc_u64 s[0:1], s[0:1], __assert_fail@rel64+4
	s_mov_b32 s32, 0
	s_swap_pc_i64 s[30:31], s[0:1]
	.section	.rodata,"a",@progbits
	.p2align	6, 0x0
	.amdhsa_kernel _Z39paged_attention_ll4mi_QKV_mfma16_kernelI14__hip_bfloat16S0_LN4vllm18Fp8KVCacheDataTypeE0ES0_Li16ELi64ELi256ELb1ELi13EEvPKT_PKT0_S8_ifPKiSA_SA_iPKfiiiPfSD_PS3_PT2_iSC_SC_
		.amdhsa_group_segment_fixed_size 0
		.amdhsa_private_segment_fixed_size 64
		.amdhsa_kernarg_size 400
		.amdhsa_user_sgpr_count 2
		.amdhsa_user_sgpr_dispatch_ptr 0
		.amdhsa_user_sgpr_queue_ptr 0
		.amdhsa_user_sgpr_kernarg_segment_ptr 1
		.amdhsa_user_sgpr_dispatch_id 0
		.amdhsa_user_sgpr_kernarg_preload_length 0
		.amdhsa_user_sgpr_kernarg_preload_offset 0
		.amdhsa_user_sgpr_private_segment_size 0
		.amdhsa_wavefront_size32 1
		.amdhsa_uses_dynamic_stack 0
		.amdhsa_enable_private_segment 1
		.amdhsa_system_sgpr_workgroup_id_x 1
		.amdhsa_system_sgpr_workgroup_id_y 0
		.amdhsa_system_sgpr_workgroup_id_z 0
		.amdhsa_system_sgpr_workgroup_info 0
		.amdhsa_system_vgpr_workitem_id 0
		.amdhsa_next_free_vgpr 51
		.amdhsa_next_free_sgpr 34
		.amdhsa_named_barrier_count 0
		.amdhsa_reserve_vcc 1
		.amdhsa_float_round_mode_32 0
		.amdhsa_float_round_mode_16_64 0
		.amdhsa_float_denorm_mode_32 3
		.amdhsa_float_denorm_mode_16_64 3
		.amdhsa_fp16_overflow 0
		.amdhsa_memory_ordered 1
		.amdhsa_forward_progress 1
		.amdhsa_inst_pref_size 1
		.amdhsa_round_robin_scheduling 0
		.amdhsa_exception_fp_ieee_invalid_op 0
		.amdhsa_exception_fp_denorm_src 0
		.amdhsa_exception_fp_ieee_div_zero 0
		.amdhsa_exception_fp_ieee_overflow 0
		.amdhsa_exception_fp_ieee_underflow 0
		.amdhsa_exception_fp_ieee_inexact 0
		.amdhsa_exception_int_div_zero 0
	.end_amdhsa_kernel
	.section	.text._Z39paged_attention_ll4mi_QKV_mfma16_kernelI14__hip_bfloat16S0_LN4vllm18Fp8KVCacheDataTypeE0ES0_Li16ELi64ELi256ELb1ELi13EEvPKT_PKT0_S8_ifPKiSA_SA_iPKfiiiPfSD_PS3_PT2_iSC_SC_,"axG",@progbits,_Z39paged_attention_ll4mi_QKV_mfma16_kernelI14__hip_bfloat16S0_LN4vllm18Fp8KVCacheDataTypeE0ES0_Li16ELi64ELi256ELb1ELi13EEvPKT_PKT0_S8_ifPKiSA_SA_iPKfiiiPfSD_PS3_PT2_iSC_SC_,comdat
.Lfunc_end454:
	.size	_Z39paged_attention_ll4mi_QKV_mfma16_kernelI14__hip_bfloat16S0_LN4vllm18Fp8KVCacheDataTypeE0ES0_Li16ELi64ELi256ELb1ELi13EEvPKT_PKT0_S8_ifPKiSA_SA_iPKfiiiPfSD_PS3_PT2_iSC_SC_, .Lfunc_end454-_Z39paged_attention_ll4mi_QKV_mfma16_kernelI14__hip_bfloat16S0_LN4vllm18Fp8KVCacheDataTypeE0ES0_Li16ELi64ELi256ELb1ELi13EEvPKT_PKT0_S8_ifPKiSA_SA_iPKfiiiPfSD_PS3_PT2_iSC_SC_
                                        ; -- End function
	.set _Z39paged_attention_ll4mi_QKV_mfma16_kernelI14__hip_bfloat16S0_LN4vllm18Fp8KVCacheDataTypeE0ES0_Li16ELi64ELi256ELb1ELi13EEvPKT_PKT0_S8_ifPKiSA_SA_iPKfiiiPfSD_PS3_PT2_iSC_SC_.num_vgpr, max(3, .L__assert_fail.num_vgpr)
	.set _Z39paged_attention_ll4mi_QKV_mfma16_kernelI14__hip_bfloat16S0_LN4vllm18Fp8KVCacheDataTypeE0ES0_Li16ELi64ELi256ELb1ELi13EEvPKT_PKT0_S8_ifPKiSA_SA_iPKfiiiPfSD_PS3_PT2_iSC_SC_.num_agpr, max(0, .L__assert_fail.num_agpr)
	.set _Z39paged_attention_ll4mi_QKV_mfma16_kernelI14__hip_bfloat16S0_LN4vllm18Fp8KVCacheDataTypeE0ES0_Li16ELi64ELi256ELb1ELi13EEvPKT_PKT0_S8_ifPKiSA_SA_iPKfiiiPfSD_PS3_PT2_iSC_SC_.numbered_sgpr, max(33, .L__assert_fail.numbered_sgpr)
	.set _Z39paged_attention_ll4mi_QKV_mfma16_kernelI14__hip_bfloat16S0_LN4vllm18Fp8KVCacheDataTypeE0ES0_Li16ELi64ELi256ELb1ELi13EEvPKT_PKT0_S8_ifPKiSA_SA_iPKfiiiPfSD_PS3_PT2_iSC_SC_.num_named_barrier, max(0, .L__assert_fail.num_named_barrier)
	.set _Z39paged_attention_ll4mi_QKV_mfma16_kernelI14__hip_bfloat16S0_LN4vllm18Fp8KVCacheDataTypeE0ES0_Li16ELi64ELi256ELb1ELi13EEvPKT_PKT0_S8_ifPKiSA_SA_iPKfiiiPfSD_PS3_PT2_iSC_SC_.private_seg_size, 0+max(.L__assert_fail.private_seg_size)
	.set _Z39paged_attention_ll4mi_QKV_mfma16_kernelI14__hip_bfloat16S0_LN4vllm18Fp8KVCacheDataTypeE0ES0_Li16ELi64ELi256ELb1ELi13EEvPKT_PKT0_S8_ifPKiSA_SA_iPKfiiiPfSD_PS3_PT2_iSC_SC_.uses_vcc, or(1, .L__assert_fail.uses_vcc)
	.set _Z39paged_attention_ll4mi_QKV_mfma16_kernelI14__hip_bfloat16S0_LN4vllm18Fp8KVCacheDataTypeE0ES0_Li16ELi64ELi256ELb1ELi13EEvPKT_PKT0_S8_ifPKiSA_SA_iPKfiiiPfSD_PS3_PT2_iSC_SC_.uses_flat_scratch, or(0, .L__assert_fail.uses_flat_scratch)
	.set _Z39paged_attention_ll4mi_QKV_mfma16_kernelI14__hip_bfloat16S0_LN4vllm18Fp8KVCacheDataTypeE0ES0_Li16ELi64ELi256ELb1ELi13EEvPKT_PKT0_S8_ifPKiSA_SA_iPKfiiiPfSD_PS3_PT2_iSC_SC_.has_dyn_sized_stack, or(0, .L__assert_fail.has_dyn_sized_stack)
	.set _Z39paged_attention_ll4mi_QKV_mfma16_kernelI14__hip_bfloat16S0_LN4vllm18Fp8KVCacheDataTypeE0ES0_Li16ELi64ELi256ELb1ELi13EEvPKT_PKT0_S8_ifPKiSA_SA_iPKfiiiPfSD_PS3_PT2_iSC_SC_.has_recursion, or(0, .L__assert_fail.has_recursion)
	.set _Z39paged_attention_ll4mi_QKV_mfma16_kernelI14__hip_bfloat16S0_LN4vllm18Fp8KVCacheDataTypeE0ES0_Li16ELi64ELi256ELb1ELi13EEvPKT_PKT0_S8_ifPKiSA_SA_iPKfiiiPfSD_PS3_PT2_iSC_SC_.has_indirect_call, or(0, .L__assert_fail.has_indirect_call)
	.section	.AMDGPU.csdata,"",@progbits
; Kernel info:
; codeLenInByte = 68
; TotalNumSgprs: 36
; NumVgprs: 51
; ScratchSize: 64
; MemoryBound: 0
; FloatMode: 240
; IeeeMode: 1
; LDSByteSize: 0 bytes/workgroup (compile time only)
; SGPRBlocks: 0
; VGPRBlocks: 3
; NumSGPRsForWavesPerEU: 36
; NumVGPRsForWavesPerEU: 51
; NamedBarCnt: 0
; Occupancy: 16
; WaveLimiterHint : 1
; COMPUTE_PGM_RSRC2:SCRATCH_EN: 1
; COMPUTE_PGM_RSRC2:USER_SGPR: 2
; COMPUTE_PGM_RSRC2:TRAP_HANDLER: 0
; COMPUTE_PGM_RSRC2:TGID_X_EN: 1
; COMPUTE_PGM_RSRC2:TGID_Y_EN: 0
; COMPUTE_PGM_RSRC2:TGID_Z_EN: 0
; COMPUTE_PGM_RSRC2:TIDIG_COMP_CNT: 0
	.section	.text._Z39paged_attention_ll4mi_QKV_mfma16_kernelI14__hip_bfloat16S0_LN4vllm18Fp8KVCacheDataTypeE0ES0_Li16ELi64ELi256ELb1ELi14EEvPKT_PKT0_S8_ifPKiSA_SA_iPKfiiiPfSD_PS3_PT2_iSC_SC_,"axG",@progbits,_Z39paged_attention_ll4mi_QKV_mfma16_kernelI14__hip_bfloat16S0_LN4vllm18Fp8KVCacheDataTypeE0ES0_Li16ELi64ELi256ELb1ELi14EEvPKT_PKT0_S8_ifPKiSA_SA_iPKfiiiPfSD_PS3_PT2_iSC_SC_,comdat
	.protected	_Z39paged_attention_ll4mi_QKV_mfma16_kernelI14__hip_bfloat16S0_LN4vllm18Fp8KVCacheDataTypeE0ES0_Li16ELi64ELi256ELb1ELi14EEvPKT_PKT0_S8_ifPKiSA_SA_iPKfiiiPfSD_PS3_PT2_iSC_SC_ ; -- Begin function _Z39paged_attention_ll4mi_QKV_mfma16_kernelI14__hip_bfloat16S0_LN4vllm18Fp8KVCacheDataTypeE0ES0_Li16ELi64ELi256ELb1ELi14EEvPKT_PKT0_S8_ifPKiSA_SA_iPKfiiiPfSD_PS3_PT2_iSC_SC_
	.globl	_Z39paged_attention_ll4mi_QKV_mfma16_kernelI14__hip_bfloat16S0_LN4vllm18Fp8KVCacheDataTypeE0ES0_Li16ELi64ELi256ELb1ELi14EEvPKT_PKT0_S8_ifPKiSA_SA_iPKfiiiPfSD_PS3_PT2_iSC_SC_
	.p2align	8
	.type	_Z39paged_attention_ll4mi_QKV_mfma16_kernelI14__hip_bfloat16S0_LN4vllm18Fp8KVCacheDataTypeE0ES0_Li16ELi64ELi256ELb1ELi14EEvPKT_PKT0_S8_ifPKiSA_SA_iPKfiiiPfSD_PS3_PT2_iSC_SC_,@function
_Z39paged_attention_ll4mi_QKV_mfma16_kernelI14__hip_bfloat16S0_LN4vllm18Fp8KVCacheDataTypeE0ES0_Li16ELi64ELi256ELb1ELi14EEvPKT_PKT0_S8_ifPKiSA_SA_iPKfiiiPfSD_PS3_PT2_iSC_SC_: ; @_Z39paged_attention_ll4mi_QKV_mfma16_kernelI14__hip_bfloat16S0_LN4vllm18Fp8KVCacheDataTypeE0ES0_Li16ELi64ELi256ELb1ELi14EEvPKT_PKT0_S8_ifPKiSA_SA_iPKfiiiPfSD_PS3_PT2_iSC_SC_
; %bb.0:
	s_get_pc_i64 s[2:3]
	s_add_nc_u64 s[2:3], s[2:3], __PRETTY_FUNCTION__._Z39paged_attention_ll4mi_QKV_mfma16_kernelI14__hip_bfloat16S0_LN4vllm18Fp8KVCacheDataTypeE0ES0_Li16ELi64ELi256ELb1ELi14EEvPKT_PKT0_S8_ifPKiSA_SA_iPKfiiiPfSD_PS3_PT2_iSC_SC_@rel64+4
	s_delay_alu instid0(SALU_CYCLE_1)
	v_dual_mov_b32 v0, 0xbb3 :: v_dual_mov_b32 v1, s2
	v_mov_b32_e32 v2, s3
	s_add_nc_u64 s[8:9], s[0:1], 0x90
	s_get_pc_i64 s[0:1]
	s_add_nc_u64 s[0:1], s[0:1], __assert_fail@rel64+4
	s_mov_b32 s32, 0
	s_swap_pc_i64 s[30:31], s[0:1]
	.section	.rodata,"a",@progbits
	.p2align	6, 0x0
	.amdhsa_kernel _Z39paged_attention_ll4mi_QKV_mfma16_kernelI14__hip_bfloat16S0_LN4vllm18Fp8KVCacheDataTypeE0ES0_Li16ELi64ELi256ELb1ELi14EEvPKT_PKT0_S8_ifPKiSA_SA_iPKfiiiPfSD_PS3_PT2_iSC_SC_
		.amdhsa_group_segment_fixed_size 0
		.amdhsa_private_segment_fixed_size 64
		.amdhsa_kernarg_size 400
		.amdhsa_user_sgpr_count 2
		.amdhsa_user_sgpr_dispatch_ptr 0
		.amdhsa_user_sgpr_queue_ptr 0
		.amdhsa_user_sgpr_kernarg_segment_ptr 1
		.amdhsa_user_sgpr_dispatch_id 0
		.amdhsa_user_sgpr_kernarg_preload_length 0
		.amdhsa_user_sgpr_kernarg_preload_offset 0
		.amdhsa_user_sgpr_private_segment_size 0
		.amdhsa_wavefront_size32 1
		.amdhsa_uses_dynamic_stack 0
		.amdhsa_enable_private_segment 1
		.amdhsa_system_sgpr_workgroup_id_x 1
		.amdhsa_system_sgpr_workgroup_id_y 0
		.amdhsa_system_sgpr_workgroup_id_z 0
		.amdhsa_system_sgpr_workgroup_info 0
		.amdhsa_system_vgpr_workitem_id 0
		.amdhsa_next_free_vgpr 51
		.amdhsa_next_free_sgpr 34
		.amdhsa_named_barrier_count 0
		.amdhsa_reserve_vcc 1
		.amdhsa_float_round_mode_32 0
		.amdhsa_float_round_mode_16_64 0
		.amdhsa_float_denorm_mode_32 3
		.amdhsa_float_denorm_mode_16_64 3
		.amdhsa_fp16_overflow 0
		.amdhsa_memory_ordered 1
		.amdhsa_forward_progress 1
		.amdhsa_inst_pref_size 1
		.amdhsa_round_robin_scheduling 0
		.amdhsa_exception_fp_ieee_invalid_op 0
		.amdhsa_exception_fp_denorm_src 0
		.amdhsa_exception_fp_ieee_div_zero 0
		.amdhsa_exception_fp_ieee_overflow 0
		.amdhsa_exception_fp_ieee_underflow 0
		.amdhsa_exception_fp_ieee_inexact 0
		.amdhsa_exception_int_div_zero 0
	.end_amdhsa_kernel
	.section	.text._Z39paged_attention_ll4mi_QKV_mfma16_kernelI14__hip_bfloat16S0_LN4vllm18Fp8KVCacheDataTypeE0ES0_Li16ELi64ELi256ELb1ELi14EEvPKT_PKT0_S8_ifPKiSA_SA_iPKfiiiPfSD_PS3_PT2_iSC_SC_,"axG",@progbits,_Z39paged_attention_ll4mi_QKV_mfma16_kernelI14__hip_bfloat16S0_LN4vllm18Fp8KVCacheDataTypeE0ES0_Li16ELi64ELi256ELb1ELi14EEvPKT_PKT0_S8_ifPKiSA_SA_iPKfiiiPfSD_PS3_PT2_iSC_SC_,comdat
.Lfunc_end455:
	.size	_Z39paged_attention_ll4mi_QKV_mfma16_kernelI14__hip_bfloat16S0_LN4vllm18Fp8KVCacheDataTypeE0ES0_Li16ELi64ELi256ELb1ELi14EEvPKT_PKT0_S8_ifPKiSA_SA_iPKfiiiPfSD_PS3_PT2_iSC_SC_, .Lfunc_end455-_Z39paged_attention_ll4mi_QKV_mfma16_kernelI14__hip_bfloat16S0_LN4vllm18Fp8KVCacheDataTypeE0ES0_Li16ELi64ELi256ELb1ELi14EEvPKT_PKT0_S8_ifPKiSA_SA_iPKfiiiPfSD_PS3_PT2_iSC_SC_
                                        ; -- End function
	.set _Z39paged_attention_ll4mi_QKV_mfma16_kernelI14__hip_bfloat16S0_LN4vllm18Fp8KVCacheDataTypeE0ES0_Li16ELi64ELi256ELb1ELi14EEvPKT_PKT0_S8_ifPKiSA_SA_iPKfiiiPfSD_PS3_PT2_iSC_SC_.num_vgpr, max(3, .L__assert_fail.num_vgpr)
	.set _Z39paged_attention_ll4mi_QKV_mfma16_kernelI14__hip_bfloat16S0_LN4vllm18Fp8KVCacheDataTypeE0ES0_Li16ELi64ELi256ELb1ELi14EEvPKT_PKT0_S8_ifPKiSA_SA_iPKfiiiPfSD_PS3_PT2_iSC_SC_.num_agpr, max(0, .L__assert_fail.num_agpr)
	.set _Z39paged_attention_ll4mi_QKV_mfma16_kernelI14__hip_bfloat16S0_LN4vllm18Fp8KVCacheDataTypeE0ES0_Li16ELi64ELi256ELb1ELi14EEvPKT_PKT0_S8_ifPKiSA_SA_iPKfiiiPfSD_PS3_PT2_iSC_SC_.numbered_sgpr, max(33, .L__assert_fail.numbered_sgpr)
	.set _Z39paged_attention_ll4mi_QKV_mfma16_kernelI14__hip_bfloat16S0_LN4vllm18Fp8KVCacheDataTypeE0ES0_Li16ELi64ELi256ELb1ELi14EEvPKT_PKT0_S8_ifPKiSA_SA_iPKfiiiPfSD_PS3_PT2_iSC_SC_.num_named_barrier, max(0, .L__assert_fail.num_named_barrier)
	.set _Z39paged_attention_ll4mi_QKV_mfma16_kernelI14__hip_bfloat16S0_LN4vllm18Fp8KVCacheDataTypeE0ES0_Li16ELi64ELi256ELb1ELi14EEvPKT_PKT0_S8_ifPKiSA_SA_iPKfiiiPfSD_PS3_PT2_iSC_SC_.private_seg_size, 0+max(.L__assert_fail.private_seg_size)
	.set _Z39paged_attention_ll4mi_QKV_mfma16_kernelI14__hip_bfloat16S0_LN4vllm18Fp8KVCacheDataTypeE0ES0_Li16ELi64ELi256ELb1ELi14EEvPKT_PKT0_S8_ifPKiSA_SA_iPKfiiiPfSD_PS3_PT2_iSC_SC_.uses_vcc, or(1, .L__assert_fail.uses_vcc)
	.set _Z39paged_attention_ll4mi_QKV_mfma16_kernelI14__hip_bfloat16S0_LN4vllm18Fp8KVCacheDataTypeE0ES0_Li16ELi64ELi256ELb1ELi14EEvPKT_PKT0_S8_ifPKiSA_SA_iPKfiiiPfSD_PS3_PT2_iSC_SC_.uses_flat_scratch, or(0, .L__assert_fail.uses_flat_scratch)
	.set _Z39paged_attention_ll4mi_QKV_mfma16_kernelI14__hip_bfloat16S0_LN4vllm18Fp8KVCacheDataTypeE0ES0_Li16ELi64ELi256ELb1ELi14EEvPKT_PKT0_S8_ifPKiSA_SA_iPKfiiiPfSD_PS3_PT2_iSC_SC_.has_dyn_sized_stack, or(0, .L__assert_fail.has_dyn_sized_stack)
	.set _Z39paged_attention_ll4mi_QKV_mfma16_kernelI14__hip_bfloat16S0_LN4vllm18Fp8KVCacheDataTypeE0ES0_Li16ELi64ELi256ELb1ELi14EEvPKT_PKT0_S8_ifPKiSA_SA_iPKfiiiPfSD_PS3_PT2_iSC_SC_.has_recursion, or(0, .L__assert_fail.has_recursion)
	.set _Z39paged_attention_ll4mi_QKV_mfma16_kernelI14__hip_bfloat16S0_LN4vllm18Fp8KVCacheDataTypeE0ES0_Li16ELi64ELi256ELb1ELi14EEvPKT_PKT0_S8_ifPKiSA_SA_iPKfiiiPfSD_PS3_PT2_iSC_SC_.has_indirect_call, or(0, .L__assert_fail.has_indirect_call)
	.section	.AMDGPU.csdata,"",@progbits
; Kernel info:
; codeLenInByte = 68
; TotalNumSgprs: 36
; NumVgprs: 51
; ScratchSize: 64
; MemoryBound: 0
; FloatMode: 240
; IeeeMode: 1
; LDSByteSize: 0 bytes/workgroup (compile time only)
; SGPRBlocks: 0
; VGPRBlocks: 3
; NumSGPRsForWavesPerEU: 36
; NumVGPRsForWavesPerEU: 51
; NamedBarCnt: 0
; Occupancy: 16
; WaveLimiterHint : 1
; COMPUTE_PGM_RSRC2:SCRATCH_EN: 1
; COMPUTE_PGM_RSRC2:USER_SGPR: 2
; COMPUTE_PGM_RSRC2:TRAP_HANDLER: 0
; COMPUTE_PGM_RSRC2:TGID_X_EN: 1
; COMPUTE_PGM_RSRC2:TGID_Y_EN: 0
; COMPUTE_PGM_RSRC2:TGID_Z_EN: 0
; COMPUTE_PGM_RSRC2:TIDIG_COMP_CNT: 0
	.section	.text._Z39paged_attention_ll4mi_QKV_mfma16_kernelI14__hip_bfloat16S0_LN4vllm18Fp8KVCacheDataTypeE0ES0_Li16ELi64ELi256ELb1ELi15EEvPKT_PKT0_S8_ifPKiSA_SA_iPKfiiiPfSD_PS3_PT2_iSC_SC_,"axG",@progbits,_Z39paged_attention_ll4mi_QKV_mfma16_kernelI14__hip_bfloat16S0_LN4vllm18Fp8KVCacheDataTypeE0ES0_Li16ELi64ELi256ELb1ELi15EEvPKT_PKT0_S8_ifPKiSA_SA_iPKfiiiPfSD_PS3_PT2_iSC_SC_,comdat
	.protected	_Z39paged_attention_ll4mi_QKV_mfma16_kernelI14__hip_bfloat16S0_LN4vllm18Fp8KVCacheDataTypeE0ES0_Li16ELi64ELi256ELb1ELi15EEvPKT_PKT0_S8_ifPKiSA_SA_iPKfiiiPfSD_PS3_PT2_iSC_SC_ ; -- Begin function _Z39paged_attention_ll4mi_QKV_mfma16_kernelI14__hip_bfloat16S0_LN4vllm18Fp8KVCacheDataTypeE0ES0_Li16ELi64ELi256ELb1ELi15EEvPKT_PKT0_S8_ifPKiSA_SA_iPKfiiiPfSD_PS3_PT2_iSC_SC_
	.globl	_Z39paged_attention_ll4mi_QKV_mfma16_kernelI14__hip_bfloat16S0_LN4vllm18Fp8KVCacheDataTypeE0ES0_Li16ELi64ELi256ELb1ELi15EEvPKT_PKT0_S8_ifPKiSA_SA_iPKfiiiPfSD_PS3_PT2_iSC_SC_
	.p2align	8
	.type	_Z39paged_attention_ll4mi_QKV_mfma16_kernelI14__hip_bfloat16S0_LN4vllm18Fp8KVCacheDataTypeE0ES0_Li16ELi64ELi256ELb1ELi15EEvPKT_PKT0_S8_ifPKiSA_SA_iPKfiiiPfSD_PS3_PT2_iSC_SC_,@function
_Z39paged_attention_ll4mi_QKV_mfma16_kernelI14__hip_bfloat16S0_LN4vllm18Fp8KVCacheDataTypeE0ES0_Li16ELi64ELi256ELb1ELi15EEvPKT_PKT0_S8_ifPKiSA_SA_iPKfiiiPfSD_PS3_PT2_iSC_SC_: ; @_Z39paged_attention_ll4mi_QKV_mfma16_kernelI14__hip_bfloat16S0_LN4vllm18Fp8KVCacheDataTypeE0ES0_Li16ELi64ELi256ELb1ELi15EEvPKT_PKT0_S8_ifPKiSA_SA_iPKfiiiPfSD_PS3_PT2_iSC_SC_
; %bb.0:
	s_get_pc_i64 s[2:3]
	s_add_nc_u64 s[2:3], s[2:3], __PRETTY_FUNCTION__._Z39paged_attention_ll4mi_QKV_mfma16_kernelI14__hip_bfloat16S0_LN4vllm18Fp8KVCacheDataTypeE0ES0_Li16ELi64ELi256ELb1ELi15EEvPKT_PKT0_S8_ifPKiSA_SA_iPKfiiiPfSD_PS3_PT2_iSC_SC_@rel64+4
	s_delay_alu instid0(SALU_CYCLE_1)
	v_dual_mov_b32 v0, 0xbb3 :: v_dual_mov_b32 v1, s2
	v_mov_b32_e32 v2, s3
	s_add_nc_u64 s[8:9], s[0:1], 0x90
	s_get_pc_i64 s[0:1]
	s_add_nc_u64 s[0:1], s[0:1], __assert_fail@rel64+4
	s_mov_b32 s32, 0
	s_swap_pc_i64 s[30:31], s[0:1]
	.section	.rodata,"a",@progbits
	.p2align	6, 0x0
	.amdhsa_kernel _Z39paged_attention_ll4mi_QKV_mfma16_kernelI14__hip_bfloat16S0_LN4vllm18Fp8KVCacheDataTypeE0ES0_Li16ELi64ELi256ELb1ELi15EEvPKT_PKT0_S8_ifPKiSA_SA_iPKfiiiPfSD_PS3_PT2_iSC_SC_
		.amdhsa_group_segment_fixed_size 0
		.amdhsa_private_segment_fixed_size 64
		.amdhsa_kernarg_size 400
		.amdhsa_user_sgpr_count 2
		.amdhsa_user_sgpr_dispatch_ptr 0
		.amdhsa_user_sgpr_queue_ptr 0
		.amdhsa_user_sgpr_kernarg_segment_ptr 1
		.amdhsa_user_sgpr_dispatch_id 0
		.amdhsa_user_sgpr_kernarg_preload_length 0
		.amdhsa_user_sgpr_kernarg_preload_offset 0
		.amdhsa_user_sgpr_private_segment_size 0
		.amdhsa_wavefront_size32 1
		.amdhsa_uses_dynamic_stack 0
		.amdhsa_enable_private_segment 1
		.amdhsa_system_sgpr_workgroup_id_x 1
		.amdhsa_system_sgpr_workgroup_id_y 0
		.amdhsa_system_sgpr_workgroup_id_z 0
		.amdhsa_system_sgpr_workgroup_info 0
		.amdhsa_system_vgpr_workitem_id 0
		.amdhsa_next_free_vgpr 51
		.amdhsa_next_free_sgpr 34
		.amdhsa_named_barrier_count 0
		.amdhsa_reserve_vcc 1
		.amdhsa_float_round_mode_32 0
		.amdhsa_float_round_mode_16_64 0
		.amdhsa_float_denorm_mode_32 3
		.amdhsa_float_denorm_mode_16_64 3
		.amdhsa_fp16_overflow 0
		.amdhsa_memory_ordered 1
		.amdhsa_forward_progress 1
		.amdhsa_inst_pref_size 1
		.amdhsa_round_robin_scheduling 0
		.amdhsa_exception_fp_ieee_invalid_op 0
		.amdhsa_exception_fp_denorm_src 0
		.amdhsa_exception_fp_ieee_div_zero 0
		.amdhsa_exception_fp_ieee_overflow 0
		.amdhsa_exception_fp_ieee_underflow 0
		.amdhsa_exception_fp_ieee_inexact 0
		.amdhsa_exception_int_div_zero 0
	.end_amdhsa_kernel
	.section	.text._Z39paged_attention_ll4mi_QKV_mfma16_kernelI14__hip_bfloat16S0_LN4vllm18Fp8KVCacheDataTypeE0ES0_Li16ELi64ELi256ELb1ELi15EEvPKT_PKT0_S8_ifPKiSA_SA_iPKfiiiPfSD_PS3_PT2_iSC_SC_,"axG",@progbits,_Z39paged_attention_ll4mi_QKV_mfma16_kernelI14__hip_bfloat16S0_LN4vllm18Fp8KVCacheDataTypeE0ES0_Li16ELi64ELi256ELb1ELi15EEvPKT_PKT0_S8_ifPKiSA_SA_iPKfiiiPfSD_PS3_PT2_iSC_SC_,comdat
.Lfunc_end456:
	.size	_Z39paged_attention_ll4mi_QKV_mfma16_kernelI14__hip_bfloat16S0_LN4vllm18Fp8KVCacheDataTypeE0ES0_Li16ELi64ELi256ELb1ELi15EEvPKT_PKT0_S8_ifPKiSA_SA_iPKfiiiPfSD_PS3_PT2_iSC_SC_, .Lfunc_end456-_Z39paged_attention_ll4mi_QKV_mfma16_kernelI14__hip_bfloat16S0_LN4vllm18Fp8KVCacheDataTypeE0ES0_Li16ELi64ELi256ELb1ELi15EEvPKT_PKT0_S8_ifPKiSA_SA_iPKfiiiPfSD_PS3_PT2_iSC_SC_
                                        ; -- End function
	.set _Z39paged_attention_ll4mi_QKV_mfma16_kernelI14__hip_bfloat16S0_LN4vllm18Fp8KVCacheDataTypeE0ES0_Li16ELi64ELi256ELb1ELi15EEvPKT_PKT0_S8_ifPKiSA_SA_iPKfiiiPfSD_PS3_PT2_iSC_SC_.num_vgpr, max(3, .L__assert_fail.num_vgpr)
	.set _Z39paged_attention_ll4mi_QKV_mfma16_kernelI14__hip_bfloat16S0_LN4vllm18Fp8KVCacheDataTypeE0ES0_Li16ELi64ELi256ELb1ELi15EEvPKT_PKT0_S8_ifPKiSA_SA_iPKfiiiPfSD_PS3_PT2_iSC_SC_.num_agpr, max(0, .L__assert_fail.num_agpr)
	.set _Z39paged_attention_ll4mi_QKV_mfma16_kernelI14__hip_bfloat16S0_LN4vllm18Fp8KVCacheDataTypeE0ES0_Li16ELi64ELi256ELb1ELi15EEvPKT_PKT0_S8_ifPKiSA_SA_iPKfiiiPfSD_PS3_PT2_iSC_SC_.numbered_sgpr, max(33, .L__assert_fail.numbered_sgpr)
	.set _Z39paged_attention_ll4mi_QKV_mfma16_kernelI14__hip_bfloat16S0_LN4vllm18Fp8KVCacheDataTypeE0ES0_Li16ELi64ELi256ELb1ELi15EEvPKT_PKT0_S8_ifPKiSA_SA_iPKfiiiPfSD_PS3_PT2_iSC_SC_.num_named_barrier, max(0, .L__assert_fail.num_named_barrier)
	.set _Z39paged_attention_ll4mi_QKV_mfma16_kernelI14__hip_bfloat16S0_LN4vllm18Fp8KVCacheDataTypeE0ES0_Li16ELi64ELi256ELb1ELi15EEvPKT_PKT0_S8_ifPKiSA_SA_iPKfiiiPfSD_PS3_PT2_iSC_SC_.private_seg_size, 0+max(.L__assert_fail.private_seg_size)
	.set _Z39paged_attention_ll4mi_QKV_mfma16_kernelI14__hip_bfloat16S0_LN4vllm18Fp8KVCacheDataTypeE0ES0_Li16ELi64ELi256ELb1ELi15EEvPKT_PKT0_S8_ifPKiSA_SA_iPKfiiiPfSD_PS3_PT2_iSC_SC_.uses_vcc, or(1, .L__assert_fail.uses_vcc)
	.set _Z39paged_attention_ll4mi_QKV_mfma16_kernelI14__hip_bfloat16S0_LN4vllm18Fp8KVCacheDataTypeE0ES0_Li16ELi64ELi256ELb1ELi15EEvPKT_PKT0_S8_ifPKiSA_SA_iPKfiiiPfSD_PS3_PT2_iSC_SC_.uses_flat_scratch, or(0, .L__assert_fail.uses_flat_scratch)
	.set _Z39paged_attention_ll4mi_QKV_mfma16_kernelI14__hip_bfloat16S0_LN4vllm18Fp8KVCacheDataTypeE0ES0_Li16ELi64ELi256ELb1ELi15EEvPKT_PKT0_S8_ifPKiSA_SA_iPKfiiiPfSD_PS3_PT2_iSC_SC_.has_dyn_sized_stack, or(0, .L__assert_fail.has_dyn_sized_stack)
	.set _Z39paged_attention_ll4mi_QKV_mfma16_kernelI14__hip_bfloat16S0_LN4vllm18Fp8KVCacheDataTypeE0ES0_Li16ELi64ELi256ELb1ELi15EEvPKT_PKT0_S8_ifPKiSA_SA_iPKfiiiPfSD_PS3_PT2_iSC_SC_.has_recursion, or(0, .L__assert_fail.has_recursion)
	.set _Z39paged_attention_ll4mi_QKV_mfma16_kernelI14__hip_bfloat16S0_LN4vllm18Fp8KVCacheDataTypeE0ES0_Li16ELi64ELi256ELb1ELi15EEvPKT_PKT0_S8_ifPKiSA_SA_iPKfiiiPfSD_PS3_PT2_iSC_SC_.has_indirect_call, or(0, .L__assert_fail.has_indirect_call)
	.section	.AMDGPU.csdata,"",@progbits
; Kernel info:
; codeLenInByte = 68
; TotalNumSgprs: 36
; NumVgprs: 51
; ScratchSize: 64
; MemoryBound: 0
; FloatMode: 240
; IeeeMode: 1
; LDSByteSize: 0 bytes/workgroup (compile time only)
; SGPRBlocks: 0
; VGPRBlocks: 3
; NumSGPRsForWavesPerEU: 36
; NumVGPRsForWavesPerEU: 51
; NamedBarCnt: 0
; Occupancy: 16
; WaveLimiterHint : 1
; COMPUTE_PGM_RSRC2:SCRATCH_EN: 1
; COMPUTE_PGM_RSRC2:USER_SGPR: 2
; COMPUTE_PGM_RSRC2:TRAP_HANDLER: 0
; COMPUTE_PGM_RSRC2:TGID_X_EN: 1
; COMPUTE_PGM_RSRC2:TGID_Y_EN: 0
; COMPUTE_PGM_RSRC2:TGID_Z_EN: 0
; COMPUTE_PGM_RSRC2:TIDIG_COMP_CNT: 0
	.section	.text._Z39paged_attention_ll4mi_QKV_mfma16_kernelI14__hip_bfloat16S0_LN4vllm18Fp8KVCacheDataTypeE0ES0_Li16ELi64ELi256ELb1ELi16EEvPKT_PKT0_S8_ifPKiSA_SA_iPKfiiiPfSD_PS3_PT2_iSC_SC_,"axG",@progbits,_Z39paged_attention_ll4mi_QKV_mfma16_kernelI14__hip_bfloat16S0_LN4vllm18Fp8KVCacheDataTypeE0ES0_Li16ELi64ELi256ELb1ELi16EEvPKT_PKT0_S8_ifPKiSA_SA_iPKfiiiPfSD_PS3_PT2_iSC_SC_,comdat
	.protected	_Z39paged_attention_ll4mi_QKV_mfma16_kernelI14__hip_bfloat16S0_LN4vllm18Fp8KVCacheDataTypeE0ES0_Li16ELi64ELi256ELb1ELi16EEvPKT_PKT0_S8_ifPKiSA_SA_iPKfiiiPfSD_PS3_PT2_iSC_SC_ ; -- Begin function _Z39paged_attention_ll4mi_QKV_mfma16_kernelI14__hip_bfloat16S0_LN4vllm18Fp8KVCacheDataTypeE0ES0_Li16ELi64ELi256ELb1ELi16EEvPKT_PKT0_S8_ifPKiSA_SA_iPKfiiiPfSD_PS3_PT2_iSC_SC_
	.globl	_Z39paged_attention_ll4mi_QKV_mfma16_kernelI14__hip_bfloat16S0_LN4vllm18Fp8KVCacheDataTypeE0ES0_Li16ELi64ELi256ELb1ELi16EEvPKT_PKT0_S8_ifPKiSA_SA_iPKfiiiPfSD_PS3_PT2_iSC_SC_
	.p2align	8
	.type	_Z39paged_attention_ll4mi_QKV_mfma16_kernelI14__hip_bfloat16S0_LN4vllm18Fp8KVCacheDataTypeE0ES0_Li16ELi64ELi256ELb1ELi16EEvPKT_PKT0_S8_ifPKiSA_SA_iPKfiiiPfSD_PS3_PT2_iSC_SC_,@function
_Z39paged_attention_ll4mi_QKV_mfma16_kernelI14__hip_bfloat16S0_LN4vllm18Fp8KVCacheDataTypeE0ES0_Li16ELi64ELi256ELb1ELi16EEvPKT_PKT0_S8_ifPKiSA_SA_iPKfiiiPfSD_PS3_PT2_iSC_SC_: ; @_Z39paged_attention_ll4mi_QKV_mfma16_kernelI14__hip_bfloat16S0_LN4vllm18Fp8KVCacheDataTypeE0ES0_Li16ELi64ELi256ELb1ELi16EEvPKT_PKT0_S8_ifPKiSA_SA_iPKfiiiPfSD_PS3_PT2_iSC_SC_
; %bb.0:
	s_get_pc_i64 s[2:3]
	s_add_nc_u64 s[2:3], s[2:3], __PRETTY_FUNCTION__._Z39paged_attention_ll4mi_QKV_mfma16_kernelI14__hip_bfloat16S0_LN4vllm18Fp8KVCacheDataTypeE0ES0_Li16ELi64ELi256ELb1ELi16EEvPKT_PKT0_S8_ifPKiSA_SA_iPKfiiiPfSD_PS3_PT2_iSC_SC_@rel64+4
	s_delay_alu instid0(SALU_CYCLE_1)
	v_dual_mov_b32 v0, 0xbb3 :: v_dual_mov_b32 v1, s2
	v_mov_b32_e32 v2, s3
	s_add_nc_u64 s[8:9], s[0:1], 0x90
	s_get_pc_i64 s[0:1]
	s_add_nc_u64 s[0:1], s[0:1], __assert_fail@rel64+4
	s_mov_b32 s32, 0
	s_swap_pc_i64 s[30:31], s[0:1]
	.section	.rodata,"a",@progbits
	.p2align	6, 0x0
	.amdhsa_kernel _Z39paged_attention_ll4mi_QKV_mfma16_kernelI14__hip_bfloat16S0_LN4vllm18Fp8KVCacheDataTypeE0ES0_Li16ELi64ELi256ELb1ELi16EEvPKT_PKT0_S8_ifPKiSA_SA_iPKfiiiPfSD_PS3_PT2_iSC_SC_
		.amdhsa_group_segment_fixed_size 0
		.amdhsa_private_segment_fixed_size 64
		.amdhsa_kernarg_size 400
		.amdhsa_user_sgpr_count 2
		.amdhsa_user_sgpr_dispatch_ptr 0
		.amdhsa_user_sgpr_queue_ptr 0
		.amdhsa_user_sgpr_kernarg_segment_ptr 1
		.amdhsa_user_sgpr_dispatch_id 0
		.amdhsa_user_sgpr_kernarg_preload_length 0
		.amdhsa_user_sgpr_kernarg_preload_offset 0
		.amdhsa_user_sgpr_private_segment_size 0
		.amdhsa_wavefront_size32 1
		.amdhsa_uses_dynamic_stack 0
		.amdhsa_enable_private_segment 1
		.amdhsa_system_sgpr_workgroup_id_x 1
		.amdhsa_system_sgpr_workgroup_id_y 0
		.amdhsa_system_sgpr_workgroup_id_z 0
		.amdhsa_system_sgpr_workgroup_info 0
		.amdhsa_system_vgpr_workitem_id 0
		.amdhsa_next_free_vgpr 51
		.amdhsa_next_free_sgpr 34
		.amdhsa_named_barrier_count 0
		.amdhsa_reserve_vcc 1
		.amdhsa_float_round_mode_32 0
		.amdhsa_float_round_mode_16_64 0
		.amdhsa_float_denorm_mode_32 3
		.amdhsa_float_denorm_mode_16_64 3
		.amdhsa_fp16_overflow 0
		.amdhsa_memory_ordered 1
		.amdhsa_forward_progress 1
		.amdhsa_inst_pref_size 1
		.amdhsa_round_robin_scheduling 0
		.amdhsa_exception_fp_ieee_invalid_op 0
		.amdhsa_exception_fp_denorm_src 0
		.amdhsa_exception_fp_ieee_div_zero 0
		.amdhsa_exception_fp_ieee_overflow 0
		.amdhsa_exception_fp_ieee_underflow 0
		.amdhsa_exception_fp_ieee_inexact 0
		.amdhsa_exception_int_div_zero 0
	.end_amdhsa_kernel
	.section	.text._Z39paged_attention_ll4mi_QKV_mfma16_kernelI14__hip_bfloat16S0_LN4vllm18Fp8KVCacheDataTypeE0ES0_Li16ELi64ELi256ELb1ELi16EEvPKT_PKT0_S8_ifPKiSA_SA_iPKfiiiPfSD_PS3_PT2_iSC_SC_,"axG",@progbits,_Z39paged_attention_ll4mi_QKV_mfma16_kernelI14__hip_bfloat16S0_LN4vllm18Fp8KVCacheDataTypeE0ES0_Li16ELi64ELi256ELb1ELi16EEvPKT_PKT0_S8_ifPKiSA_SA_iPKfiiiPfSD_PS3_PT2_iSC_SC_,comdat
.Lfunc_end457:
	.size	_Z39paged_attention_ll4mi_QKV_mfma16_kernelI14__hip_bfloat16S0_LN4vllm18Fp8KVCacheDataTypeE0ES0_Li16ELi64ELi256ELb1ELi16EEvPKT_PKT0_S8_ifPKiSA_SA_iPKfiiiPfSD_PS3_PT2_iSC_SC_, .Lfunc_end457-_Z39paged_attention_ll4mi_QKV_mfma16_kernelI14__hip_bfloat16S0_LN4vllm18Fp8KVCacheDataTypeE0ES0_Li16ELi64ELi256ELb1ELi16EEvPKT_PKT0_S8_ifPKiSA_SA_iPKfiiiPfSD_PS3_PT2_iSC_SC_
                                        ; -- End function
	.set _Z39paged_attention_ll4mi_QKV_mfma16_kernelI14__hip_bfloat16S0_LN4vllm18Fp8KVCacheDataTypeE0ES0_Li16ELi64ELi256ELb1ELi16EEvPKT_PKT0_S8_ifPKiSA_SA_iPKfiiiPfSD_PS3_PT2_iSC_SC_.num_vgpr, max(3, .L__assert_fail.num_vgpr)
	.set _Z39paged_attention_ll4mi_QKV_mfma16_kernelI14__hip_bfloat16S0_LN4vllm18Fp8KVCacheDataTypeE0ES0_Li16ELi64ELi256ELb1ELi16EEvPKT_PKT0_S8_ifPKiSA_SA_iPKfiiiPfSD_PS3_PT2_iSC_SC_.num_agpr, max(0, .L__assert_fail.num_agpr)
	.set _Z39paged_attention_ll4mi_QKV_mfma16_kernelI14__hip_bfloat16S0_LN4vllm18Fp8KVCacheDataTypeE0ES0_Li16ELi64ELi256ELb1ELi16EEvPKT_PKT0_S8_ifPKiSA_SA_iPKfiiiPfSD_PS3_PT2_iSC_SC_.numbered_sgpr, max(33, .L__assert_fail.numbered_sgpr)
	.set _Z39paged_attention_ll4mi_QKV_mfma16_kernelI14__hip_bfloat16S0_LN4vllm18Fp8KVCacheDataTypeE0ES0_Li16ELi64ELi256ELb1ELi16EEvPKT_PKT0_S8_ifPKiSA_SA_iPKfiiiPfSD_PS3_PT2_iSC_SC_.num_named_barrier, max(0, .L__assert_fail.num_named_barrier)
	.set _Z39paged_attention_ll4mi_QKV_mfma16_kernelI14__hip_bfloat16S0_LN4vllm18Fp8KVCacheDataTypeE0ES0_Li16ELi64ELi256ELb1ELi16EEvPKT_PKT0_S8_ifPKiSA_SA_iPKfiiiPfSD_PS3_PT2_iSC_SC_.private_seg_size, 0+max(.L__assert_fail.private_seg_size)
	.set _Z39paged_attention_ll4mi_QKV_mfma16_kernelI14__hip_bfloat16S0_LN4vllm18Fp8KVCacheDataTypeE0ES0_Li16ELi64ELi256ELb1ELi16EEvPKT_PKT0_S8_ifPKiSA_SA_iPKfiiiPfSD_PS3_PT2_iSC_SC_.uses_vcc, or(1, .L__assert_fail.uses_vcc)
	.set _Z39paged_attention_ll4mi_QKV_mfma16_kernelI14__hip_bfloat16S0_LN4vllm18Fp8KVCacheDataTypeE0ES0_Li16ELi64ELi256ELb1ELi16EEvPKT_PKT0_S8_ifPKiSA_SA_iPKfiiiPfSD_PS3_PT2_iSC_SC_.uses_flat_scratch, or(0, .L__assert_fail.uses_flat_scratch)
	.set _Z39paged_attention_ll4mi_QKV_mfma16_kernelI14__hip_bfloat16S0_LN4vllm18Fp8KVCacheDataTypeE0ES0_Li16ELi64ELi256ELb1ELi16EEvPKT_PKT0_S8_ifPKiSA_SA_iPKfiiiPfSD_PS3_PT2_iSC_SC_.has_dyn_sized_stack, or(0, .L__assert_fail.has_dyn_sized_stack)
	.set _Z39paged_attention_ll4mi_QKV_mfma16_kernelI14__hip_bfloat16S0_LN4vllm18Fp8KVCacheDataTypeE0ES0_Li16ELi64ELi256ELb1ELi16EEvPKT_PKT0_S8_ifPKiSA_SA_iPKfiiiPfSD_PS3_PT2_iSC_SC_.has_recursion, or(0, .L__assert_fail.has_recursion)
	.set _Z39paged_attention_ll4mi_QKV_mfma16_kernelI14__hip_bfloat16S0_LN4vllm18Fp8KVCacheDataTypeE0ES0_Li16ELi64ELi256ELb1ELi16EEvPKT_PKT0_S8_ifPKiSA_SA_iPKfiiiPfSD_PS3_PT2_iSC_SC_.has_indirect_call, or(0, .L__assert_fail.has_indirect_call)
	.section	.AMDGPU.csdata,"",@progbits
; Kernel info:
; codeLenInByte = 68
; TotalNumSgprs: 36
; NumVgprs: 51
; ScratchSize: 64
; MemoryBound: 0
; FloatMode: 240
; IeeeMode: 1
; LDSByteSize: 0 bytes/workgroup (compile time only)
; SGPRBlocks: 0
; VGPRBlocks: 3
; NumSGPRsForWavesPerEU: 36
; NumVGPRsForWavesPerEU: 51
; NamedBarCnt: 0
; Occupancy: 16
; WaveLimiterHint : 1
; COMPUTE_PGM_RSRC2:SCRATCH_EN: 1
; COMPUTE_PGM_RSRC2:USER_SGPR: 2
; COMPUTE_PGM_RSRC2:TRAP_HANDLER: 0
; COMPUTE_PGM_RSRC2:TGID_X_EN: 1
; COMPUTE_PGM_RSRC2:TGID_Y_EN: 0
; COMPUTE_PGM_RSRC2:TGID_Z_EN: 0
; COMPUTE_PGM_RSRC2:TIDIG_COMP_CNT: 0
	.section	.text._Z35paged_attention_ll4mi_reduce_kernelI14__hip_bfloat16S0_Li64ELi64ELi256ELi1EEvPT0_PKfS4_PKT_PKiS9_iS4_,"axG",@progbits,_Z35paged_attention_ll4mi_reduce_kernelI14__hip_bfloat16S0_Li64ELi64ELi256ELi1EEvPT0_PKfS4_PKT_PKiS9_iS4_,comdat
	.protected	_Z35paged_attention_ll4mi_reduce_kernelI14__hip_bfloat16S0_Li64ELi64ELi256ELi1EEvPT0_PKfS4_PKT_PKiS9_iS4_ ; -- Begin function _Z35paged_attention_ll4mi_reduce_kernelI14__hip_bfloat16S0_Li64ELi64ELi256ELi1EEvPT0_PKfS4_PKT_PKiS9_iS4_
	.globl	_Z35paged_attention_ll4mi_reduce_kernelI14__hip_bfloat16S0_Li64ELi64ELi256ELi1EEvPT0_PKfS4_PKT_PKiS9_iS4_
	.p2align	8
	.type	_Z35paged_attention_ll4mi_reduce_kernelI14__hip_bfloat16S0_Li64ELi64ELi256ELi1EEvPT0_PKfS4_PKT_PKiS9_iS4_,@function
_Z35paged_attention_ll4mi_reduce_kernelI14__hip_bfloat16S0_Li64ELi64ELi256ELi1EEvPT0_PKfS4_PKT_PKiS9_iS4_: ; @_Z35paged_attention_ll4mi_reduce_kernelI14__hip_bfloat16S0_Li64ELi64ELi256ELi1EEvPT0_PKfS4_PKT_PKiS9_iS4_
; %bb.0:
	s_get_pc_i64 s[2:3]
	s_add_nc_u64 s[2:3], s[2:3], __PRETTY_FUNCTION__._Z35paged_attention_ll4mi_reduce_kernelI14__hip_bfloat16S0_Li64ELi64ELi256ELi1EEvPT0_PKfS4_PKT_PKiS9_iS4_@rel64+4
	s_delay_alu instid0(SALU_CYCLE_1)
	v_dual_mov_b32 v0, 0xbdd :: v_dual_mov_b32 v1, s2
	v_mov_b32_e32 v2, s3
	s_add_nc_u64 s[8:9], s[0:1], 64
	s_get_pc_i64 s[0:1]
	s_add_nc_u64 s[0:1], s[0:1], __assert_fail@rel64+4
	s_mov_b32 s32, 0
	s_swap_pc_i64 s[30:31], s[0:1]
	.section	.rodata,"a",@progbits
	.p2align	6, 0x0
	.amdhsa_kernel _Z35paged_attention_ll4mi_reduce_kernelI14__hip_bfloat16S0_Li64ELi64ELi256ELi1EEvPT0_PKfS4_PKT_PKiS9_iS4_
		.amdhsa_group_segment_fixed_size 0
		.amdhsa_private_segment_fixed_size 64
		.amdhsa_kernarg_size 320
		.amdhsa_user_sgpr_count 2
		.amdhsa_user_sgpr_dispatch_ptr 0
		.amdhsa_user_sgpr_queue_ptr 0
		.amdhsa_user_sgpr_kernarg_segment_ptr 1
		.amdhsa_user_sgpr_dispatch_id 0
		.amdhsa_user_sgpr_kernarg_preload_length 0
		.amdhsa_user_sgpr_kernarg_preload_offset 0
		.amdhsa_user_sgpr_private_segment_size 0
		.amdhsa_wavefront_size32 1
		.amdhsa_uses_dynamic_stack 0
		.amdhsa_enable_private_segment 1
		.amdhsa_system_sgpr_workgroup_id_x 1
		.amdhsa_system_sgpr_workgroup_id_y 0
		.amdhsa_system_sgpr_workgroup_id_z 0
		.amdhsa_system_sgpr_workgroup_info 0
		.amdhsa_system_vgpr_workitem_id 0
		.amdhsa_next_free_vgpr 51
		.amdhsa_next_free_sgpr 34
		.amdhsa_named_barrier_count 0
		.amdhsa_reserve_vcc 1
		.amdhsa_float_round_mode_32 0
		.amdhsa_float_round_mode_16_64 0
		.amdhsa_float_denorm_mode_32 3
		.amdhsa_float_denorm_mode_16_64 3
		.amdhsa_fp16_overflow 0
		.amdhsa_memory_ordered 1
		.amdhsa_forward_progress 1
		.amdhsa_inst_pref_size 1
		.amdhsa_round_robin_scheduling 0
		.amdhsa_exception_fp_ieee_invalid_op 0
		.amdhsa_exception_fp_denorm_src 0
		.amdhsa_exception_fp_ieee_div_zero 0
		.amdhsa_exception_fp_ieee_overflow 0
		.amdhsa_exception_fp_ieee_underflow 0
		.amdhsa_exception_fp_ieee_inexact 0
		.amdhsa_exception_int_div_zero 0
	.end_amdhsa_kernel
	.section	.text._Z35paged_attention_ll4mi_reduce_kernelI14__hip_bfloat16S0_Li64ELi64ELi256ELi1EEvPT0_PKfS4_PKT_PKiS9_iS4_,"axG",@progbits,_Z35paged_attention_ll4mi_reduce_kernelI14__hip_bfloat16S0_Li64ELi64ELi256ELi1EEvPT0_PKfS4_PKT_PKiS9_iS4_,comdat
.Lfunc_end458:
	.size	_Z35paged_attention_ll4mi_reduce_kernelI14__hip_bfloat16S0_Li64ELi64ELi256ELi1EEvPT0_PKfS4_PKT_PKiS9_iS4_, .Lfunc_end458-_Z35paged_attention_ll4mi_reduce_kernelI14__hip_bfloat16S0_Li64ELi64ELi256ELi1EEvPT0_PKfS4_PKT_PKiS9_iS4_
                                        ; -- End function
	.set _Z35paged_attention_ll4mi_reduce_kernelI14__hip_bfloat16S0_Li64ELi64ELi256ELi1EEvPT0_PKfS4_PKT_PKiS9_iS4_.num_vgpr, max(3, .L__assert_fail.num_vgpr)
	.set _Z35paged_attention_ll4mi_reduce_kernelI14__hip_bfloat16S0_Li64ELi64ELi256ELi1EEvPT0_PKfS4_PKT_PKiS9_iS4_.num_agpr, max(0, .L__assert_fail.num_agpr)
	.set _Z35paged_attention_ll4mi_reduce_kernelI14__hip_bfloat16S0_Li64ELi64ELi256ELi1EEvPT0_PKfS4_PKT_PKiS9_iS4_.numbered_sgpr, max(33, .L__assert_fail.numbered_sgpr)
	.set _Z35paged_attention_ll4mi_reduce_kernelI14__hip_bfloat16S0_Li64ELi64ELi256ELi1EEvPT0_PKfS4_PKT_PKiS9_iS4_.num_named_barrier, max(0, .L__assert_fail.num_named_barrier)
	.set _Z35paged_attention_ll4mi_reduce_kernelI14__hip_bfloat16S0_Li64ELi64ELi256ELi1EEvPT0_PKfS4_PKT_PKiS9_iS4_.private_seg_size, 0+max(.L__assert_fail.private_seg_size)
	.set _Z35paged_attention_ll4mi_reduce_kernelI14__hip_bfloat16S0_Li64ELi64ELi256ELi1EEvPT0_PKfS4_PKT_PKiS9_iS4_.uses_vcc, or(1, .L__assert_fail.uses_vcc)
	.set _Z35paged_attention_ll4mi_reduce_kernelI14__hip_bfloat16S0_Li64ELi64ELi256ELi1EEvPT0_PKfS4_PKT_PKiS9_iS4_.uses_flat_scratch, or(0, .L__assert_fail.uses_flat_scratch)
	.set _Z35paged_attention_ll4mi_reduce_kernelI14__hip_bfloat16S0_Li64ELi64ELi256ELi1EEvPT0_PKfS4_PKT_PKiS9_iS4_.has_dyn_sized_stack, or(0, .L__assert_fail.has_dyn_sized_stack)
	.set _Z35paged_attention_ll4mi_reduce_kernelI14__hip_bfloat16S0_Li64ELi64ELi256ELi1EEvPT0_PKfS4_PKT_PKiS9_iS4_.has_recursion, or(0, .L__assert_fail.has_recursion)
	.set _Z35paged_attention_ll4mi_reduce_kernelI14__hip_bfloat16S0_Li64ELi64ELi256ELi1EEvPT0_PKfS4_PKT_PKiS9_iS4_.has_indirect_call, or(0, .L__assert_fail.has_indirect_call)
	.section	.AMDGPU.csdata,"",@progbits
; Kernel info:
; codeLenInByte = 64
; TotalNumSgprs: 36
; NumVgprs: 51
; ScratchSize: 64
; MemoryBound: 0
; FloatMode: 240
; IeeeMode: 1
; LDSByteSize: 0 bytes/workgroup (compile time only)
; SGPRBlocks: 0
; VGPRBlocks: 3
; NumSGPRsForWavesPerEU: 36
; NumVGPRsForWavesPerEU: 51
; NamedBarCnt: 0
; Occupancy: 16
; WaveLimiterHint : 1
; COMPUTE_PGM_RSRC2:SCRATCH_EN: 1
; COMPUTE_PGM_RSRC2:USER_SGPR: 2
; COMPUTE_PGM_RSRC2:TRAP_HANDLER: 0
; COMPUTE_PGM_RSRC2:TGID_X_EN: 1
; COMPUTE_PGM_RSRC2:TGID_Y_EN: 0
; COMPUTE_PGM_RSRC2:TGID_Z_EN: 0
; COMPUTE_PGM_RSRC2:TIDIG_COMP_CNT: 0
	.section	.text._Z35paged_attention_ll4mi_reduce_kernelI14__hip_bfloat16S0_Li64ELi64ELi256ELi2EEvPT0_PKfS4_PKT_PKiS9_iS4_,"axG",@progbits,_Z35paged_attention_ll4mi_reduce_kernelI14__hip_bfloat16S0_Li64ELi64ELi256ELi2EEvPT0_PKfS4_PKT_PKiS9_iS4_,comdat
	.protected	_Z35paged_attention_ll4mi_reduce_kernelI14__hip_bfloat16S0_Li64ELi64ELi256ELi2EEvPT0_PKfS4_PKT_PKiS9_iS4_ ; -- Begin function _Z35paged_attention_ll4mi_reduce_kernelI14__hip_bfloat16S0_Li64ELi64ELi256ELi2EEvPT0_PKfS4_PKT_PKiS9_iS4_
	.globl	_Z35paged_attention_ll4mi_reduce_kernelI14__hip_bfloat16S0_Li64ELi64ELi256ELi2EEvPT0_PKfS4_PKT_PKiS9_iS4_
	.p2align	8
	.type	_Z35paged_attention_ll4mi_reduce_kernelI14__hip_bfloat16S0_Li64ELi64ELi256ELi2EEvPT0_PKfS4_PKT_PKiS9_iS4_,@function
_Z35paged_attention_ll4mi_reduce_kernelI14__hip_bfloat16S0_Li64ELi64ELi256ELi2EEvPT0_PKfS4_PKT_PKiS9_iS4_: ; @_Z35paged_attention_ll4mi_reduce_kernelI14__hip_bfloat16S0_Li64ELi64ELi256ELi2EEvPT0_PKfS4_PKT_PKiS9_iS4_
; %bb.0:
	s_get_pc_i64 s[2:3]
	s_add_nc_u64 s[2:3], s[2:3], __PRETTY_FUNCTION__._Z35paged_attention_ll4mi_reduce_kernelI14__hip_bfloat16S0_Li64ELi64ELi256ELi2EEvPT0_PKfS4_PKT_PKiS9_iS4_@rel64+4
	s_delay_alu instid0(SALU_CYCLE_1)
	v_dual_mov_b32 v0, 0xbdd :: v_dual_mov_b32 v1, s2
	v_mov_b32_e32 v2, s3
	s_add_nc_u64 s[8:9], s[0:1], 64
	s_get_pc_i64 s[0:1]
	s_add_nc_u64 s[0:1], s[0:1], __assert_fail@rel64+4
	s_mov_b32 s32, 0
	s_swap_pc_i64 s[30:31], s[0:1]
	.section	.rodata,"a",@progbits
	.p2align	6, 0x0
	.amdhsa_kernel _Z35paged_attention_ll4mi_reduce_kernelI14__hip_bfloat16S0_Li64ELi64ELi256ELi2EEvPT0_PKfS4_PKT_PKiS9_iS4_
		.amdhsa_group_segment_fixed_size 0
		.amdhsa_private_segment_fixed_size 64
		.amdhsa_kernarg_size 320
		.amdhsa_user_sgpr_count 2
		.amdhsa_user_sgpr_dispatch_ptr 0
		.amdhsa_user_sgpr_queue_ptr 0
		.amdhsa_user_sgpr_kernarg_segment_ptr 1
		.amdhsa_user_sgpr_dispatch_id 0
		.amdhsa_user_sgpr_kernarg_preload_length 0
		.amdhsa_user_sgpr_kernarg_preload_offset 0
		.amdhsa_user_sgpr_private_segment_size 0
		.amdhsa_wavefront_size32 1
		.amdhsa_uses_dynamic_stack 0
		.amdhsa_enable_private_segment 1
		.amdhsa_system_sgpr_workgroup_id_x 1
		.amdhsa_system_sgpr_workgroup_id_y 0
		.amdhsa_system_sgpr_workgroup_id_z 0
		.amdhsa_system_sgpr_workgroup_info 0
		.amdhsa_system_vgpr_workitem_id 0
		.amdhsa_next_free_vgpr 51
		.amdhsa_next_free_sgpr 34
		.amdhsa_named_barrier_count 0
		.amdhsa_reserve_vcc 1
		.amdhsa_float_round_mode_32 0
		.amdhsa_float_round_mode_16_64 0
		.amdhsa_float_denorm_mode_32 3
		.amdhsa_float_denorm_mode_16_64 3
		.amdhsa_fp16_overflow 0
		.amdhsa_memory_ordered 1
		.amdhsa_forward_progress 1
		.amdhsa_inst_pref_size 1
		.amdhsa_round_robin_scheduling 0
		.amdhsa_exception_fp_ieee_invalid_op 0
		.amdhsa_exception_fp_denorm_src 0
		.amdhsa_exception_fp_ieee_div_zero 0
		.amdhsa_exception_fp_ieee_overflow 0
		.amdhsa_exception_fp_ieee_underflow 0
		.amdhsa_exception_fp_ieee_inexact 0
		.amdhsa_exception_int_div_zero 0
	.end_amdhsa_kernel
	.section	.text._Z35paged_attention_ll4mi_reduce_kernelI14__hip_bfloat16S0_Li64ELi64ELi256ELi2EEvPT0_PKfS4_PKT_PKiS9_iS4_,"axG",@progbits,_Z35paged_attention_ll4mi_reduce_kernelI14__hip_bfloat16S0_Li64ELi64ELi256ELi2EEvPT0_PKfS4_PKT_PKiS9_iS4_,comdat
.Lfunc_end459:
	.size	_Z35paged_attention_ll4mi_reduce_kernelI14__hip_bfloat16S0_Li64ELi64ELi256ELi2EEvPT0_PKfS4_PKT_PKiS9_iS4_, .Lfunc_end459-_Z35paged_attention_ll4mi_reduce_kernelI14__hip_bfloat16S0_Li64ELi64ELi256ELi2EEvPT0_PKfS4_PKT_PKiS9_iS4_
                                        ; -- End function
	.set _Z35paged_attention_ll4mi_reduce_kernelI14__hip_bfloat16S0_Li64ELi64ELi256ELi2EEvPT0_PKfS4_PKT_PKiS9_iS4_.num_vgpr, max(3, .L__assert_fail.num_vgpr)
	.set _Z35paged_attention_ll4mi_reduce_kernelI14__hip_bfloat16S0_Li64ELi64ELi256ELi2EEvPT0_PKfS4_PKT_PKiS9_iS4_.num_agpr, max(0, .L__assert_fail.num_agpr)
	.set _Z35paged_attention_ll4mi_reduce_kernelI14__hip_bfloat16S0_Li64ELi64ELi256ELi2EEvPT0_PKfS4_PKT_PKiS9_iS4_.numbered_sgpr, max(33, .L__assert_fail.numbered_sgpr)
	.set _Z35paged_attention_ll4mi_reduce_kernelI14__hip_bfloat16S0_Li64ELi64ELi256ELi2EEvPT0_PKfS4_PKT_PKiS9_iS4_.num_named_barrier, max(0, .L__assert_fail.num_named_barrier)
	.set _Z35paged_attention_ll4mi_reduce_kernelI14__hip_bfloat16S0_Li64ELi64ELi256ELi2EEvPT0_PKfS4_PKT_PKiS9_iS4_.private_seg_size, 0+max(.L__assert_fail.private_seg_size)
	.set _Z35paged_attention_ll4mi_reduce_kernelI14__hip_bfloat16S0_Li64ELi64ELi256ELi2EEvPT0_PKfS4_PKT_PKiS9_iS4_.uses_vcc, or(1, .L__assert_fail.uses_vcc)
	.set _Z35paged_attention_ll4mi_reduce_kernelI14__hip_bfloat16S0_Li64ELi64ELi256ELi2EEvPT0_PKfS4_PKT_PKiS9_iS4_.uses_flat_scratch, or(0, .L__assert_fail.uses_flat_scratch)
	.set _Z35paged_attention_ll4mi_reduce_kernelI14__hip_bfloat16S0_Li64ELi64ELi256ELi2EEvPT0_PKfS4_PKT_PKiS9_iS4_.has_dyn_sized_stack, or(0, .L__assert_fail.has_dyn_sized_stack)
	.set _Z35paged_attention_ll4mi_reduce_kernelI14__hip_bfloat16S0_Li64ELi64ELi256ELi2EEvPT0_PKfS4_PKT_PKiS9_iS4_.has_recursion, or(0, .L__assert_fail.has_recursion)
	.set _Z35paged_attention_ll4mi_reduce_kernelI14__hip_bfloat16S0_Li64ELi64ELi256ELi2EEvPT0_PKfS4_PKT_PKiS9_iS4_.has_indirect_call, or(0, .L__assert_fail.has_indirect_call)
	.section	.AMDGPU.csdata,"",@progbits
; Kernel info:
; codeLenInByte = 64
; TotalNumSgprs: 36
; NumVgprs: 51
; ScratchSize: 64
; MemoryBound: 0
; FloatMode: 240
; IeeeMode: 1
; LDSByteSize: 0 bytes/workgroup (compile time only)
; SGPRBlocks: 0
; VGPRBlocks: 3
; NumSGPRsForWavesPerEU: 36
; NumVGPRsForWavesPerEU: 51
; NamedBarCnt: 0
; Occupancy: 16
; WaveLimiterHint : 1
; COMPUTE_PGM_RSRC2:SCRATCH_EN: 1
; COMPUTE_PGM_RSRC2:USER_SGPR: 2
; COMPUTE_PGM_RSRC2:TRAP_HANDLER: 0
; COMPUTE_PGM_RSRC2:TGID_X_EN: 1
; COMPUTE_PGM_RSRC2:TGID_Y_EN: 0
; COMPUTE_PGM_RSRC2:TGID_Z_EN: 0
; COMPUTE_PGM_RSRC2:TIDIG_COMP_CNT: 0
	.section	.text._Z35paged_attention_ll4mi_reduce_kernelI14__hip_bfloat16S0_Li64ELi64ELi256ELi3EEvPT0_PKfS4_PKT_PKiS9_iS4_,"axG",@progbits,_Z35paged_attention_ll4mi_reduce_kernelI14__hip_bfloat16S0_Li64ELi64ELi256ELi3EEvPT0_PKfS4_PKT_PKiS9_iS4_,comdat
	.protected	_Z35paged_attention_ll4mi_reduce_kernelI14__hip_bfloat16S0_Li64ELi64ELi256ELi3EEvPT0_PKfS4_PKT_PKiS9_iS4_ ; -- Begin function _Z35paged_attention_ll4mi_reduce_kernelI14__hip_bfloat16S0_Li64ELi64ELi256ELi3EEvPT0_PKfS4_PKT_PKiS9_iS4_
	.globl	_Z35paged_attention_ll4mi_reduce_kernelI14__hip_bfloat16S0_Li64ELi64ELi256ELi3EEvPT0_PKfS4_PKT_PKiS9_iS4_
	.p2align	8
	.type	_Z35paged_attention_ll4mi_reduce_kernelI14__hip_bfloat16S0_Li64ELi64ELi256ELi3EEvPT0_PKfS4_PKT_PKiS9_iS4_,@function
_Z35paged_attention_ll4mi_reduce_kernelI14__hip_bfloat16S0_Li64ELi64ELi256ELi3EEvPT0_PKfS4_PKT_PKiS9_iS4_: ; @_Z35paged_attention_ll4mi_reduce_kernelI14__hip_bfloat16S0_Li64ELi64ELi256ELi3EEvPT0_PKfS4_PKT_PKiS9_iS4_
; %bb.0:
	s_get_pc_i64 s[2:3]
	s_add_nc_u64 s[2:3], s[2:3], __PRETTY_FUNCTION__._Z35paged_attention_ll4mi_reduce_kernelI14__hip_bfloat16S0_Li64ELi64ELi256ELi3EEvPT0_PKfS4_PKT_PKiS9_iS4_@rel64+4
	s_delay_alu instid0(SALU_CYCLE_1)
	v_dual_mov_b32 v0, 0xbdd :: v_dual_mov_b32 v1, s2
	v_mov_b32_e32 v2, s3
	s_add_nc_u64 s[8:9], s[0:1], 64
	s_get_pc_i64 s[0:1]
	s_add_nc_u64 s[0:1], s[0:1], __assert_fail@rel64+4
	s_mov_b32 s32, 0
	s_swap_pc_i64 s[30:31], s[0:1]
	.section	.rodata,"a",@progbits
	.p2align	6, 0x0
	.amdhsa_kernel _Z35paged_attention_ll4mi_reduce_kernelI14__hip_bfloat16S0_Li64ELi64ELi256ELi3EEvPT0_PKfS4_PKT_PKiS9_iS4_
		.amdhsa_group_segment_fixed_size 0
		.amdhsa_private_segment_fixed_size 64
		.amdhsa_kernarg_size 320
		.amdhsa_user_sgpr_count 2
		.amdhsa_user_sgpr_dispatch_ptr 0
		.amdhsa_user_sgpr_queue_ptr 0
		.amdhsa_user_sgpr_kernarg_segment_ptr 1
		.amdhsa_user_sgpr_dispatch_id 0
		.amdhsa_user_sgpr_kernarg_preload_length 0
		.amdhsa_user_sgpr_kernarg_preload_offset 0
		.amdhsa_user_sgpr_private_segment_size 0
		.amdhsa_wavefront_size32 1
		.amdhsa_uses_dynamic_stack 0
		.amdhsa_enable_private_segment 1
		.amdhsa_system_sgpr_workgroup_id_x 1
		.amdhsa_system_sgpr_workgroup_id_y 0
		.amdhsa_system_sgpr_workgroup_id_z 0
		.amdhsa_system_sgpr_workgroup_info 0
		.amdhsa_system_vgpr_workitem_id 0
		.amdhsa_next_free_vgpr 51
		.amdhsa_next_free_sgpr 34
		.amdhsa_named_barrier_count 0
		.amdhsa_reserve_vcc 1
		.amdhsa_float_round_mode_32 0
		.amdhsa_float_round_mode_16_64 0
		.amdhsa_float_denorm_mode_32 3
		.amdhsa_float_denorm_mode_16_64 3
		.amdhsa_fp16_overflow 0
		.amdhsa_memory_ordered 1
		.amdhsa_forward_progress 1
		.amdhsa_inst_pref_size 1
		.amdhsa_round_robin_scheduling 0
		.amdhsa_exception_fp_ieee_invalid_op 0
		.amdhsa_exception_fp_denorm_src 0
		.amdhsa_exception_fp_ieee_div_zero 0
		.amdhsa_exception_fp_ieee_overflow 0
		.amdhsa_exception_fp_ieee_underflow 0
		.amdhsa_exception_fp_ieee_inexact 0
		.amdhsa_exception_int_div_zero 0
	.end_amdhsa_kernel
	.section	.text._Z35paged_attention_ll4mi_reduce_kernelI14__hip_bfloat16S0_Li64ELi64ELi256ELi3EEvPT0_PKfS4_PKT_PKiS9_iS4_,"axG",@progbits,_Z35paged_attention_ll4mi_reduce_kernelI14__hip_bfloat16S0_Li64ELi64ELi256ELi3EEvPT0_PKfS4_PKT_PKiS9_iS4_,comdat
.Lfunc_end460:
	.size	_Z35paged_attention_ll4mi_reduce_kernelI14__hip_bfloat16S0_Li64ELi64ELi256ELi3EEvPT0_PKfS4_PKT_PKiS9_iS4_, .Lfunc_end460-_Z35paged_attention_ll4mi_reduce_kernelI14__hip_bfloat16S0_Li64ELi64ELi256ELi3EEvPT0_PKfS4_PKT_PKiS9_iS4_
                                        ; -- End function
	.set _Z35paged_attention_ll4mi_reduce_kernelI14__hip_bfloat16S0_Li64ELi64ELi256ELi3EEvPT0_PKfS4_PKT_PKiS9_iS4_.num_vgpr, max(3, .L__assert_fail.num_vgpr)
	.set _Z35paged_attention_ll4mi_reduce_kernelI14__hip_bfloat16S0_Li64ELi64ELi256ELi3EEvPT0_PKfS4_PKT_PKiS9_iS4_.num_agpr, max(0, .L__assert_fail.num_agpr)
	.set _Z35paged_attention_ll4mi_reduce_kernelI14__hip_bfloat16S0_Li64ELi64ELi256ELi3EEvPT0_PKfS4_PKT_PKiS9_iS4_.numbered_sgpr, max(33, .L__assert_fail.numbered_sgpr)
	.set _Z35paged_attention_ll4mi_reduce_kernelI14__hip_bfloat16S0_Li64ELi64ELi256ELi3EEvPT0_PKfS4_PKT_PKiS9_iS4_.num_named_barrier, max(0, .L__assert_fail.num_named_barrier)
	.set _Z35paged_attention_ll4mi_reduce_kernelI14__hip_bfloat16S0_Li64ELi64ELi256ELi3EEvPT0_PKfS4_PKT_PKiS9_iS4_.private_seg_size, 0+max(.L__assert_fail.private_seg_size)
	.set _Z35paged_attention_ll4mi_reduce_kernelI14__hip_bfloat16S0_Li64ELi64ELi256ELi3EEvPT0_PKfS4_PKT_PKiS9_iS4_.uses_vcc, or(1, .L__assert_fail.uses_vcc)
	.set _Z35paged_attention_ll4mi_reduce_kernelI14__hip_bfloat16S0_Li64ELi64ELi256ELi3EEvPT0_PKfS4_PKT_PKiS9_iS4_.uses_flat_scratch, or(0, .L__assert_fail.uses_flat_scratch)
	.set _Z35paged_attention_ll4mi_reduce_kernelI14__hip_bfloat16S0_Li64ELi64ELi256ELi3EEvPT0_PKfS4_PKT_PKiS9_iS4_.has_dyn_sized_stack, or(0, .L__assert_fail.has_dyn_sized_stack)
	.set _Z35paged_attention_ll4mi_reduce_kernelI14__hip_bfloat16S0_Li64ELi64ELi256ELi3EEvPT0_PKfS4_PKT_PKiS9_iS4_.has_recursion, or(0, .L__assert_fail.has_recursion)
	.set _Z35paged_attention_ll4mi_reduce_kernelI14__hip_bfloat16S0_Li64ELi64ELi256ELi3EEvPT0_PKfS4_PKT_PKiS9_iS4_.has_indirect_call, or(0, .L__assert_fail.has_indirect_call)
	.section	.AMDGPU.csdata,"",@progbits
; Kernel info:
; codeLenInByte = 64
; TotalNumSgprs: 36
; NumVgprs: 51
; ScratchSize: 64
; MemoryBound: 0
; FloatMode: 240
; IeeeMode: 1
; LDSByteSize: 0 bytes/workgroup (compile time only)
; SGPRBlocks: 0
; VGPRBlocks: 3
; NumSGPRsForWavesPerEU: 36
; NumVGPRsForWavesPerEU: 51
; NamedBarCnt: 0
; Occupancy: 16
; WaveLimiterHint : 1
; COMPUTE_PGM_RSRC2:SCRATCH_EN: 1
; COMPUTE_PGM_RSRC2:USER_SGPR: 2
; COMPUTE_PGM_RSRC2:TRAP_HANDLER: 0
; COMPUTE_PGM_RSRC2:TGID_X_EN: 1
; COMPUTE_PGM_RSRC2:TGID_Y_EN: 0
; COMPUTE_PGM_RSRC2:TGID_Z_EN: 0
; COMPUTE_PGM_RSRC2:TIDIG_COMP_CNT: 0
	.section	.text._Z35paged_attention_ll4mi_reduce_kernelI14__hip_bfloat16S0_Li64ELi64ELi256ELi4EEvPT0_PKfS4_PKT_PKiS9_iS4_,"axG",@progbits,_Z35paged_attention_ll4mi_reduce_kernelI14__hip_bfloat16S0_Li64ELi64ELi256ELi4EEvPT0_PKfS4_PKT_PKiS9_iS4_,comdat
	.protected	_Z35paged_attention_ll4mi_reduce_kernelI14__hip_bfloat16S0_Li64ELi64ELi256ELi4EEvPT0_PKfS4_PKT_PKiS9_iS4_ ; -- Begin function _Z35paged_attention_ll4mi_reduce_kernelI14__hip_bfloat16S0_Li64ELi64ELi256ELi4EEvPT0_PKfS4_PKT_PKiS9_iS4_
	.globl	_Z35paged_attention_ll4mi_reduce_kernelI14__hip_bfloat16S0_Li64ELi64ELi256ELi4EEvPT0_PKfS4_PKT_PKiS9_iS4_
	.p2align	8
	.type	_Z35paged_attention_ll4mi_reduce_kernelI14__hip_bfloat16S0_Li64ELi64ELi256ELi4EEvPT0_PKfS4_PKT_PKiS9_iS4_,@function
_Z35paged_attention_ll4mi_reduce_kernelI14__hip_bfloat16S0_Li64ELi64ELi256ELi4EEvPT0_PKfS4_PKT_PKiS9_iS4_: ; @_Z35paged_attention_ll4mi_reduce_kernelI14__hip_bfloat16S0_Li64ELi64ELi256ELi4EEvPT0_PKfS4_PKT_PKiS9_iS4_
; %bb.0:
	s_get_pc_i64 s[2:3]
	s_add_nc_u64 s[2:3], s[2:3], __PRETTY_FUNCTION__._Z35paged_attention_ll4mi_reduce_kernelI14__hip_bfloat16S0_Li64ELi64ELi256ELi4EEvPT0_PKfS4_PKT_PKiS9_iS4_@rel64+4
	s_delay_alu instid0(SALU_CYCLE_1)
	v_dual_mov_b32 v0, 0xbdd :: v_dual_mov_b32 v1, s2
	v_mov_b32_e32 v2, s3
	s_add_nc_u64 s[8:9], s[0:1], 64
	s_get_pc_i64 s[0:1]
	s_add_nc_u64 s[0:1], s[0:1], __assert_fail@rel64+4
	s_mov_b32 s32, 0
	s_swap_pc_i64 s[30:31], s[0:1]
	.section	.rodata,"a",@progbits
	.p2align	6, 0x0
	.amdhsa_kernel _Z35paged_attention_ll4mi_reduce_kernelI14__hip_bfloat16S0_Li64ELi64ELi256ELi4EEvPT0_PKfS4_PKT_PKiS9_iS4_
		.amdhsa_group_segment_fixed_size 0
		.amdhsa_private_segment_fixed_size 64
		.amdhsa_kernarg_size 320
		.amdhsa_user_sgpr_count 2
		.amdhsa_user_sgpr_dispatch_ptr 0
		.amdhsa_user_sgpr_queue_ptr 0
		.amdhsa_user_sgpr_kernarg_segment_ptr 1
		.amdhsa_user_sgpr_dispatch_id 0
		.amdhsa_user_sgpr_kernarg_preload_length 0
		.amdhsa_user_sgpr_kernarg_preload_offset 0
		.amdhsa_user_sgpr_private_segment_size 0
		.amdhsa_wavefront_size32 1
		.amdhsa_uses_dynamic_stack 0
		.amdhsa_enable_private_segment 1
		.amdhsa_system_sgpr_workgroup_id_x 1
		.amdhsa_system_sgpr_workgroup_id_y 0
		.amdhsa_system_sgpr_workgroup_id_z 0
		.amdhsa_system_sgpr_workgroup_info 0
		.amdhsa_system_vgpr_workitem_id 0
		.amdhsa_next_free_vgpr 51
		.amdhsa_next_free_sgpr 34
		.amdhsa_named_barrier_count 0
		.amdhsa_reserve_vcc 1
		.amdhsa_float_round_mode_32 0
		.amdhsa_float_round_mode_16_64 0
		.amdhsa_float_denorm_mode_32 3
		.amdhsa_float_denorm_mode_16_64 3
		.amdhsa_fp16_overflow 0
		.amdhsa_memory_ordered 1
		.amdhsa_forward_progress 1
		.amdhsa_inst_pref_size 1
		.amdhsa_round_robin_scheduling 0
		.amdhsa_exception_fp_ieee_invalid_op 0
		.amdhsa_exception_fp_denorm_src 0
		.amdhsa_exception_fp_ieee_div_zero 0
		.amdhsa_exception_fp_ieee_overflow 0
		.amdhsa_exception_fp_ieee_underflow 0
		.amdhsa_exception_fp_ieee_inexact 0
		.amdhsa_exception_int_div_zero 0
	.end_amdhsa_kernel
	.section	.text._Z35paged_attention_ll4mi_reduce_kernelI14__hip_bfloat16S0_Li64ELi64ELi256ELi4EEvPT0_PKfS4_PKT_PKiS9_iS4_,"axG",@progbits,_Z35paged_attention_ll4mi_reduce_kernelI14__hip_bfloat16S0_Li64ELi64ELi256ELi4EEvPT0_PKfS4_PKT_PKiS9_iS4_,comdat
.Lfunc_end461:
	.size	_Z35paged_attention_ll4mi_reduce_kernelI14__hip_bfloat16S0_Li64ELi64ELi256ELi4EEvPT0_PKfS4_PKT_PKiS9_iS4_, .Lfunc_end461-_Z35paged_attention_ll4mi_reduce_kernelI14__hip_bfloat16S0_Li64ELi64ELi256ELi4EEvPT0_PKfS4_PKT_PKiS9_iS4_
                                        ; -- End function
	.set _Z35paged_attention_ll4mi_reduce_kernelI14__hip_bfloat16S0_Li64ELi64ELi256ELi4EEvPT0_PKfS4_PKT_PKiS9_iS4_.num_vgpr, max(3, .L__assert_fail.num_vgpr)
	.set _Z35paged_attention_ll4mi_reduce_kernelI14__hip_bfloat16S0_Li64ELi64ELi256ELi4EEvPT0_PKfS4_PKT_PKiS9_iS4_.num_agpr, max(0, .L__assert_fail.num_agpr)
	.set _Z35paged_attention_ll4mi_reduce_kernelI14__hip_bfloat16S0_Li64ELi64ELi256ELi4EEvPT0_PKfS4_PKT_PKiS9_iS4_.numbered_sgpr, max(33, .L__assert_fail.numbered_sgpr)
	.set _Z35paged_attention_ll4mi_reduce_kernelI14__hip_bfloat16S0_Li64ELi64ELi256ELi4EEvPT0_PKfS4_PKT_PKiS9_iS4_.num_named_barrier, max(0, .L__assert_fail.num_named_barrier)
	.set _Z35paged_attention_ll4mi_reduce_kernelI14__hip_bfloat16S0_Li64ELi64ELi256ELi4EEvPT0_PKfS4_PKT_PKiS9_iS4_.private_seg_size, 0+max(.L__assert_fail.private_seg_size)
	.set _Z35paged_attention_ll4mi_reduce_kernelI14__hip_bfloat16S0_Li64ELi64ELi256ELi4EEvPT0_PKfS4_PKT_PKiS9_iS4_.uses_vcc, or(1, .L__assert_fail.uses_vcc)
	.set _Z35paged_attention_ll4mi_reduce_kernelI14__hip_bfloat16S0_Li64ELi64ELi256ELi4EEvPT0_PKfS4_PKT_PKiS9_iS4_.uses_flat_scratch, or(0, .L__assert_fail.uses_flat_scratch)
	.set _Z35paged_attention_ll4mi_reduce_kernelI14__hip_bfloat16S0_Li64ELi64ELi256ELi4EEvPT0_PKfS4_PKT_PKiS9_iS4_.has_dyn_sized_stack, or(0, .L__assert_fail.has_dyn_sized_stack)
	.set _Z35paged_attention_ll4mi_reduce_kernelI14__hip_bfloat16S0_Li64ELi64ELi256ELi4EEvPT0_PKfS4_PKT_PKiS9_iS4_.has_recursion, or(0, .L__assert_fail.has_recursion)
	.set _Z35paged_attention_ll4mi_reduce_kernelI14__hip_bfloat16S0_Li64ELi64ELi256ELi4EEvPT0_PKfS4_PKT_PKiS9_iS4_.has_indirect_call, or(0, .L__assert_fail.has_indirect_call)
	.section	.AMDGPU.csdata,"",@progbits
; Kernel info:
; codeLenInByte = 64
; TotalNumSgprs: 36
; NumVgprs: 51
; ScratchSize: 64
; MemoryBound: 0
; FloatMode: 240
; IeeeMode: 1
; LDSByteSize: 0 bytes/workgroup (compile time only)
; SGPRBlocks: 0
; VGPRBlocks: 3
; NumSGPRsForWavesPerEU: 36
; NumVGPRsForWavesPerEU: 51
; NamedBarCnt: 0
; Occupancy: 16
; WaveLimiterHint : 1
; COMPUTE_PGM_RSRC2:SCRATCH_EN: 1
; COMPUTE_PGM_RSRC2:USER_SGPR: 2
; COMPUTE_PGM_RSRC2:TRAP_HANDLER: 0
; COMPUTE_PGM_RSRC2:TGID_X_EN: 1
; COMPUTE_PGM_RSRC2:TGID_Y_EN: 0
; COMPUTE_PGM_RSRC2:TGID_Z_EN: 0
; COMPUTE_PGM_RSRC2:TIDIG_COMP_CNT: 0
	.section	.text._Z35paged_attention_ll4mi_reduce_kernelI14__hip_bfloat16S0_Li64ELi64ELi256ELi5EEvPT0_PKfS4_PKT_PKiS9_iS4_,"axG",@progbits,_Z35paged_attention_ll4mi_reduce_kernelI14__hip_bfloat16S0_Li64ELi64ELi256ELi5EEvPT0_PKfS4_PKT_PKiS9_iS4_,comdat
	.protected	_Z35paged_attention_ll4mi_reduce_kernelI14__hip_bfloat16S0_Li64ELi64ELi256ELi5EEvPT0_PKfS4_PKT_PKiS9_iS4_ ; -- Begin function _Z35paged_attention_ll4mi_reduce_kernelI14__hip_bfloat16S0_Li64ELi64ELi256ELi5EEvPT0_PKfS4_PKT_PKiS9_iS4_
	.globl	_Z35paged_attention_ll4mi_reduce_kernelI14__hip_bfloat16S0_Li64ELi64ELi256ELi5EEvPT0_PKfS4_PKT_PKiS9_iS4_
	.p2align	8
	.type	_Z35paged_attention_ll4mi_reduce_kernelI14__hip_bfloat16S0_Li64ELi64ELi256ELi5EEvPT0_PKfS4_PKT_PKiS9_iS4_,@function
_Z35paged_attention_ll4mi_reduce_kernelI14__hip_bfloat16S0_Li64ELi64ELi256ELi5EEvPT0_PKfS4_PKT_PKiS9_iS4_: ; @_Z35paged_attention_ll4mi_reduce_kernelI14__hip_bfloat16S0_Li64ELi64ELi256ELi5EEvPT0_PKfS4_PKT_PKiS9_iS4_
; %bb.0:
	s_get_pc_i64 s[2:3]
	s_add_nc_u64 s[2:3], s[2:3], __PRETTY_FUNCTION__._Z35paged_attention_ll4mi_reduce_kernelI14__hip_bfloat16S0_Li64ELi64ELi256ELi5EEvPT0_PKfS4_PKT_PKiS9_iS4_@rel64+4
	s_delay_alu instid0(SALU_CYCLE_1)
	v_dual_mov_b32 v0, 0xbdd :: v_dual_mov_b32 v1, s2
	v_mov_b32_e32 v2, s3
	s_add_nc_u64 s[8:9], s[0:1], 64
	s_get_pc_i64 s[0:1]
	s_add_nc_u64 s[0:1], s[0:1], __assert_fail@rel64+4
	s_mov_b32 s32, 0
	s_swap_pc_i64 s[30:31], s[0:1]
	.section	.rodata,"a",@progbits
	.p2align	6, 0x0
	.amdhsa_kernel _Z35paged_attention_ll4mi_reduce_kernelI14__hip_bfloat16S0_Li64ELi64ELi256ELi5EEvPT0_PKfS4_PKT_PKiS9_iS4_
		.amdhsa_group_segment_fixed_size 0
		.amdhsa_private_segment_fixed_size 64
		.amdhsa_kernarg_size 320
		.amdhsa_user_sgpr_count 2
		.amdhsa_user_sgpr_dispatch_ptr 0
		.amdhsa_user_sgpr_queue_ptr 0
		.amdhsa_user_sgpr_kernarg_segment_ptr 1
		.amdhsa_user_sgpr_dispatch_id 0
		.amdhsa_user_sgpr_kernarg_preload_length 0
		.amdhsa_user_sgpr_kernarg_preload_offset 0
		.amdhsa_user_sgpr_private_segment_size 0
		.amdhsa_wavefront_size32 1
		.amdhsa_uses_dynamic_stack 0
		.amdhsa_enable_private_segment 1
		.amdhsa_system_sgpr_workgroup_id_x 1
		.amdhsa_system_sgpr_workgroup_id_y 0
		.amdhsa_system_sgpr_workgroup_id_z 0
		.amdhsa_system_sgpr_workgroup_info 0
		.amdhsa_system_vgpr_workitem_id 0
		.amdhsa_next_free_vgpr 51
		.amdhsa_next_free_sgpr 34
		.amdhsa_named_barrier_count 0
		.amdhsa_reserve_vcc 1
		.amdhsa_float_round_mode_32 0
		.amdhsa_float_round_mode_16_64 0
		.amdhsa_float_denorm_mode_32 3
		.amdhsa_float_denorm_mode_16_64 3
		.amdhsa_fp16_overflow 0
		.amdhsa_memory_ordered 1
		.amdhsa_forward_progress 1
		.amdhsa_inst_pref_size 1
		.amdhsa_round_robin_scheduling 0
		.amdhsa_exception_fp_ieee_invalid_op 0
		.amdhsa_exception_fp_denorm_src 0
		.amdhsa_exception_fp_ieee_div_zero 0
		.amdhsa_exception_fp_ieee_overflow 0
		.amdhsa_exception_fp_ieee_underflow 0
		.amdhsa_exception_fp_ieee_inexact 0
		.amdhsa_exception_int_div_zero 0
	.end_amdhsa_kernel
	.section	.text._Z35paged_attention_ll4mi_reduce_kernelI14__hip_bfloat16S0_Li64ELi64ELi256ELi5EEvPT0_PKfS4_PKT_PKiS9_iS4_,"axG",@progbits,_Z35paged_attention_ll4mi_reduce_kernelI14__hip_bfloat16S0_Li64ELi64ELi256ELi5EEvPT0_PKfS4_PKT_PKiS9_iS4_,comdat
.Lfunc_end462:
	.size	_Z35paged_attention_ll4mi_reduce_kernelI14__hip_bfloat16S0_Li64ELi64ELi256ELi5EEvPT0_PKfS4_PKT_PKiS9_iS4_, .Lfunc_end462-_Z35paged_attention_ll4mi_reduce_kernelI14__hip_bfloat16S0_Li64ELi64ELi256ELi5EEvPT0_PKfS4_PKT_PKiS9_iS4_
                                        ; -- End function
	.set _Z35paged_attention_ll4mi_reduce_kernelI14__hip_bfloat16S0_Li64ELi64ELi256ELi5EEvPT0_PKfS4_PKT_PKiS9_iS4_.num_vgpr, max(3, .L__assert_fail.num_vgpr)
	.set _Z35paged_attention_ll4mi_reduce_kernelI14__hip_bfloat16S0_Li64ELi64ELi256ELi5EEvPT0_PKfS4_PKT_PKiS9_iS4_.num_agpr, max(0, .L__assert_fail.num_agpr)
	.set _Z35paged_attention_ll4mi_reduce_kernelI14__hip_bfloat16S0_Li64ELi64ELi256ELi5EEvPT0_PKfS4_PKT_PKiS9_iS4_.numbered_sgpr, max(33, .L__assert_fail.numbered_sgpr)
	.set _Z35paged_attention_ll4mi_reduce_kernelI14__hip_bfloat16S0_Li64ELi64ELi256ELi5EEvPT0_PKfS4_PKT_PKiS9_iS4_.num_named_barrier, max(0, .L__assert_fail.num_named_barrier)
	.set _Z35paged_attention_ll4mi_reduce_kernelI14__hip_bfloat16S0_Li64ELi64ELi256ELi5EEvPT0_PKfS4_PKT_PKiS9_iS4_.private_seg_size, 0+max(.L__assert_fail.private_seg_size)
	.set _Z35paged_attention_ll4mi_reduce_kernelI14__hip_bfloat16S0_Li64ELi64ELi256ELi5EEvPT0_PKfS4_PKT_PKiS9_iS4_.uses_vcc, or(1, .L__assert_fail.uses_vcc)
	.set _Z35paged_attention_ll4mi_reduce_kernelI14__hip_bfloat16S0_Li64ELi64ELi256ELi5EEvPT0_PKfS4_PKT_PKiS9_iS4_.uses_flat_scratch, or(0, .L__assert_fail.uses_flat_scratch)
	.set _Z35paged_attention_ll4mi_reduce_kernelI14__hip_bfloat16S0_Li64ELi64ELi256ELi5EEvPT0_PKfS4_PKT_PKiS9_iS4_.has_dyn_sized_stack, or(0, .L__assert_fail.has_dyn_sized_stack)
	.set _Z35paged_attention_ll4mi_reduce_kernelI14__hip_bfloat16S0_Li64ELi64ELi256ELi5EEvPT0_PKfS4_PKT_PKiS9_iS4_.has_recursion, or(0, .L__assert_fail.has_recursion)
	.set _Z35paged_attention_ll4mi_reduce_kernelI14__hip_bfloat16S0_Li64ELi64ELi256ELi5EEvPT0_PKfS4_PKT_PKiS9_iS4_.has_indirect_call, or(0, .L__assert_fail.has_indirect_call)
	.section	.AMDGPU.csdata,"",@progbits
; Kernel info:
; codeLenInByte = 64
; TotalNumSgprs: 36
; NumVgprs: 51
; ScratchSize: 64
; MemoryBound: 0
; FloatMode: 240
; IeeeMode: 1
; LDSByteSize: 0 bytes/workgroup (compile time only)
; SGPRBlocks: 0
; VGPRBlocks: 3
; NumSGPRsForWavesPerEU: 36
; NumVGPRsForWavesPerEU: 51
; NamedBarCnt: 0
; Occupancy: 16
; WaveLimiterHint : 1
; COMPUTE_PGM_RSRC2:SCRATCH_EN: 1
; COMPUTE_PGM_RSRC2:USER_SGPR: 2
; COMPUTE_PGM_RSRC2:TRAP_HANDLER: 0
; COMPUTE_PGM_RSRC2:TGID_X_EN: 1
; COMPUTE_PGM_RSRC2:TGID_Y_EN: 0
; COMPUTE_PGM_RSRC2:TGID_Z_EN: 0
; COMPUTE_PGM_RSRC2:TIDIG_COMP_CNT: 0
	.section	.text._Z35paged_attention_ll4mi_reduce_kernelI14__hip_bfloat16S0_Li64ELi64ELi256ELi6EEvPT0_PKfS4_PKT_PKiS9_iS4_,"axG",@progbits,_Z35paged_attention_ll4mi_reduce_kernelI14__hip_bfloat16S0_Li64ELi64ELi256ELi6EEvPT0_PKfS4_PKT_PKiS9_iS4_,comdat
	.protected	_Z35paged_attention_ll4mi_reduce_kernelI14__hip_bfloat16S0_Li64ELi64ELi256ELi6EEvPT0_PKfS4_PKT_PKiS9_iS4_ ; -- Begin function _Z35paged_attention_ll4mi_reduce_kernelI14__hip_bfloat16S0_Li64ELi64ELi256ELi6EEvPT0_PKfS4_PKT_PKiS9_iS4_
	.globl	_Z35paged_attention_ll4mi_reduce_kernelI14__hip_bfloat16S0_Li64ELi64ELi256ELi6EEvPT0_PKfS4_PKT_PKiS9_iS4_
	.p2align	8
	.type	_Z35paged_attention_ll4mi_reduce_kernelI14__hip_bfloat16S0_Li64ELi64ELi256ELi6EEvPT0_PKfS4_PKT_PKiS9_iS4_,@function
_Z35paged_attention_ll4mi_reduce_kernelI14__hip_bfloat16S0_Li64ELi64ELi256ELi6EEvPT0_PKfS4_PKT_PKiS9_iS4_: ; @_Z35paged_attention_ll4mi_reduce_kernelI14__hip_bfloat16S0_Li64ELi64ELi256ELi6EEvPT0_PKfS4_PKT_PKiS9_iS4_
; %bb.0:
	s_get_pc_i64 s[2:3]
	s_add_nc_u64 s[2:3], s[2:3], __PRETTY_FUNCTION__._Z35paged_attention_ll4mi_reduce_kernelI14__hip_bfloat16S0_Li64ELi64ELi256ELi6EEvPT0_PKfS4_PKT_PKiS9_iS4_@rel64+4
	s_delay_alu instid0(SALU_CYCLE_1)
	v_dual_mov_b32 v0, 0xbdd :: v_dual_mov_b32 v1, s2
	v_mov_b32_e32 v2, s3
	s_add_nc_u64 s[8:9], s[0:1], 64
	s_get_pc_i64 s[0:1]
	s_add_nc_u64 s[0:1], s[0:1], __assert_fail@rel64+4
	s_mov_b32 s32, 0
	s_swap_pc_i64 s[30:31], s[0:1]
	.section	.rodata,"a",@progbits
	.p2align	6, 0x0
	.amdhsa_kernel _Z35paged_attention_ll4mi_reduce_kernelI14__hip_bfloat16S0_Li64ELi64ELi256ELi6EEvPT0_PKfS4_PKT_PKiS9_iS4_
		.amdhsa_group_segment_fixed_size 0
		.amdhsa_private_segment_fixed_size 64
		.amdhsa_kernarg_size 320
		.amdhsa_user_sgpr_count 2
		.amdhsa_user_sgpr_dispatch_ptr 0
		.amdhsa_user_sgpr_queue_ptr 0
		.amdhsa_user_sgpr_kernarg_segment_ptr 1
		.amdhsa_user_sgpr_dispatch_id 0
		.amdhsa_user_sgpr_kernarg_preload_length 0
		.amdhsa_user_sgpr_kernarg_preload_offset 0
		.amdhsa_user_sgpr_private_segment_size 0
		.amdhsa_wavefront_size32 1
		.amdhsa_uses_dynamic_stack 0
		.amdhsa_enable_private_segment 1
		.amdhsa_system_sgpr_workgroup_id_x 1
		.amdhsa_system_sgpr_workgroup_id_y 0
		.amdhsa_system_sgpr_workgroup_id_z 0
		.amdhsa_system_sgpr_workgroup_info 0
		.amdhsa_system_vgpr_workitem_id 0
		.amdhsa_next_free_vgpr 51
		.amdhsa_next_free_sgpr 34
		.amdhsa_named_barrier_count 0
		.amdhsa_reserve_vcc 1
		.amdhsa_float_round_mode_32 0
		.amdhsa_float_round_mode_16_64 0
		.amdhsa_float_denorm_mode_32 3
		.amdhsa_float_denorm_mode_16_64 3
		.amdhsa_fp16_overflow 0
		.amdhsa_memory_ordered 1
		.amdhsa_forward_progress 1
		.amdhsa_inst_pref_size 1
		.amdhsa_round_robin_scheduling 0
		.amdhsa_exception_fp_ieee_invalid_op 0
		.amdhsa_exception_fp_denorm_src 0
		.amdhsa_exception_fp_ieee_div_zero 0
		.amdhsa_exception_fp_ieee_overflow 0
		.amdhsa_exception_fp_ieee_underflow 0
		.amdhsa_exception_fp_ieee_inexact 0
		.amdhsa_exception_int_div_zero 0
	.end_amdhsa_kernel
	.section	.text._Z35paged_attention_ll4mi_reduce_kernelI14__hip_bfloat16S0_Li64ELi64ELi256ELi6EEvPT0_PKfS4_PKT_PKiS9_iS4_,"axG",@progbits,_Z35paged_attention_ll4mi_reduce_kernelI14__hip_bfloat16S0_Li64ELi64ELi256ELi6EEvPT0_PKfS4_PKT_PKiS9_iS4_,comdat
.Lfunc_end463:
	.size	_Z35paged_attention_ll4mi_reduce_kernelI14__hip_bfloat16S0_Li64ELi64ELi256ELi6EEvPT0_PKfS4_PKT_PKiS9_iS4_, .Lfunc_end463-_Z35paged_attention_ll4mi_reduce_kernelI14__hip_bfloat16S0_Li64ELi64ELi256ELi6EEvPT0_PKfS4_PKT_PKiS9_iS4_
                                        ; -- End function
	.set _Z35paged_attention_ll4mi_reduce_kernelI14__hip_bfloat16S0_Li64ELi64ELi256ELi6EEvPT0_PKfS4_PKT_PKiS9_iS4_.num_vgpr, max(3, .L__assert_fail.num_vgpr)
	.set _Z35paged_attention_ll4mi_reduce_kernelI14__hip_bfloat16S0_Li64ELi64ELi256ELi6EEvPT0_PKfS4_PKT_PKiS9_iS4_.num_agpr, max(0, .L__assert_fail.num_agpr)
	.set _Z35paged_attention_ll4mi_reduce_kernelI14__hip_bfloat16S0_Li64ELi64ELi256ELi6EEvPT0_PKfS4_PKT_PKiS9_iS4_.numbered_sgpr, max(33, .L__assert_fail.numbered_sgpr)
	.set _Z35paged_attention_ll4mi_reduce_kernelI14__hip_bfloat16S0_Li64ELi64ELi256ELi6EEvPT0_PKfS4_PKT_PKiS9_iS4_.num_named_barrier, max(0, .L__assert_fail.num_named_barrier)
	.set _Z35paged_attention_ll4mi_reduce_kernelI14__hip_bfloat16S0_Li64ELi64ELi256ELi6EEvPT0_PKfS4_PKT_PKiS9_iS4_.private_seg_size, 0+max(.L__assert_fail.private_seg_size)
	.set _Z35paged_attention_ll4mi_reduce_kernelI14__hip_bfloat16S0_Li64ELi64ELi256ELi6EEvPT0_PKfS4_PKT_PKiS9_iS4_.uses_vcc, or(1, .L__assert_fail.uses_vcc)
	.set _Z35paged_attention_ll4mi_reduce_kernelI14__hip_bfloat16S0_Li64ELi64ELi256ELi6EEvPT0_PKfS4_PKT_PKiS9_iS4_.uses_flat_scratch, or(0, .L__assert_fail.uses_flat_scratch)
	.set _Z35paged_attention_ll4mi_reduce_kernelI14__hip_bfloat16S0_Li64ELi64ELi256ELi6EEvPT0_PKfS4_PKT_PKiS9_iS4_.has_dyn_sized_stack, or(0, .L__assert_fail.has_dyn_sized_stack)
	.set _Z35paged_attention_ll4mi_reduce_kernelI14__hip_bfloat16S0_Li64ELi64ELi256ELi6EEvPT0_PKfS4_PKT_PKiS9_iS4_.has_recursion, or(0, .L__assert_fail.has_recursion)
	.set _Z35paged_attention_ll4mi_reduce_kernelI14__hip_bfloat16S0_Li64ELi64ELi256ELi6EEvPT0_PKfS4_PKT_PKiS9_iS4_.has_indirect_call, or(0, .L__assert_fail.has_indirect_call)
	.section	.AMDGPU.csdata,"",@progbits
; Kernel info:
; codeLenInByte = 64
; TotalNumSgprs: 36
; NumVgprs: 51
; ScratchSize: 64
; MemoryBound: 0
; FloatMode: 240
; IeeeMode: 1
; LDSByteSize: 0 bytes/workgroup (compile time only)
; SGPRBlocks: 0
; VGPRBlocks: 3
; NumSGPRsForWavesPerEU: 36
; NumVGPRsForWavesPerEU: 51
; NamedBarCnt: 0
; Occupancy: 16
; WaveLimiterHint : 1
; COMPUTE_PGM_RSRC2:SCRATCH_EN: 1
; COMPUTE_PGM_RSRC2:USER_SGPR: 2
; COMPUTE_PGM_RSRC2:TRAP_HANDLER: 0
; COMPUTE_PGM_RSRC2:TGID_X_EN: 1
; COMPUTE_PGM_RSRC2:TGID_Y_EN: 0
; COMPUTE_PGM_RSRC2:TGID_Z_EN: 0
; COMPUTE_PGM_RSRC2:TIDIG_COMP_CNT: 0
	.section	.text._Z35paged_attention_ll4mi_reduce_kernelI14__hip_bfloat16S0_Li64ELi64ELi256ELi7EEvPT0_PKfS4_PKT_PKiS9_iS4_,"axG",@progbits,_Z35paged_attention_ll4mi_reduce_kernelI14__hip_bfloat16S0_Li64ELi64ELi256ELi7EEvPT0_PKfS4_PKT_PKiS9_iS4_,comdat
	.protected	_Z35paged_attention_ll4mi_reduce_kernelI14__hip_bfloat16S0_Li64ELi64ELi256ELi7EEvPT0_PKfS4_PKT_PKiS9_iS4_ ; -- Begin function _Z35paged_attention_ll4mi_reduce_kernelI14__hip_bfloat16S0_Li64ELi64ELi256ELi7EEvPT0_PKfS4_PKT_PKiS9_iS4_
	.globl	_Z35paged_attention_ll4mi_reduce_kernelI14__hip_bfloat16S0_Li64ELi64ELi256ELi7EEvPT0_PKfS4_PKT_PKiS9_iS4_
	.p2align	8
	.type	_Z35paged_attention_ll4mi_reduce_kernelI14__hip_bfloat16S0_Li64ELi64ELi256ELi7EEvPT0_PKfS4_PKT_PKiS9_iS4_,@function
_Z35paged_attention_ll4mi_reduce_kernelI14__hip_bfloat16S0_Li64ELi64ELi256ELi7EEvPT0_PKfS4_PKT_PKiS9_iS4_: ; @_Z35paged_attention_ll4mi_reduce_kernelI14__hip_bfloat16S0_Li64ELi64ELi256ELi7EEvPT0_PKfS4_PKT_PKiS9_iS4_
; %bb.0:
	s_get_pc_i64 s[2:3]
	s_add_nc_u64 s[2:3], s[2:3], __PRETTY_FUNCTION__._Z35paged_attention_ll4mi_reduce_kernelI14__hip_bfloat16S0_Li64ELi64ELi256ELi7EEvPT0_PKfS4_PKT_PKiS9_iS4_@rel64+4
	s_delay_alu instid0(SALU_CYCLE_1)
	v_dual_mov_b32 v0, 0xbdd :: v_dual_mov_b32 v1, s2
	v_mov_b32_e32 v2, s3
	s_add_nc_u64 s[8:9], s[0:1], 64
	s_get_pc_i64 s[0:1]
	s_add_nc_u64 s[0:1], s[0:1], __assert_fail@rel64+4
	s_mov_b32 s32, 0
	s_swap_pc_i64 s[30:31], s[0:1]
	.section	.rodata,"a",@progbits
	.p2align	6, 0x0
	.amdhsa_kernel _Z35paged_attention_ll4mi_reduce_kernelI14__hip_bfloat16S0_Li64ELi64ELi256ELi7EEvPT0_PKfS4_PKT_PKiS9_iS4_
		.amdhsa_group_segment_fixed_size 0
		.amdhsa_private_segment_fixed_size 64
		.amdhsa_kernarg_size 320
		.amdhsa_user_sgpr_count 2
		.amdhsa_user_sgpr_dispatch_ptr 0
		.amdhsa_user_sgpr_queue_ptr 0
		.amdhsa_user_sgpr_kernarg_segment_ptr 1
		.amdhsa_user_sgpr_dispatch_id 0
		.amdhsa_user_sgpr_kernarg_preload_length 0
		.amdhsa_user_sgpr_kernarg_preload_offset 0
		.amdhsa_user_sgpr_private_segment_size 0
		.amdhsa_wavefront_size32 1
		.amdhsa_uses_dynamic_stack 0
		.amdhsa_enable_private_segment 1
		.amdhsa_system_sgpr_workgroup_id_x 1
		.amdhsa_system_sgpr_workgroup_id_y 0
		.amdhsa_system_sgpr_workgroup_id_z 0
		.amdhsa_system_sgpr_workgroup_info 0
		.amdhsa_system_vgpr_workitem_id 0
		.amdhsa_next_free_vgpr 51
		.amdhsa_next_free_sgpr 34
		.amdhsa_named_barrier_count 0
		.amdhsa_reserve_vcc 1
		.amdhsa_float_round_mode_32 0
		.amdhsa_float_round_mode_16_64 0
		.amdhsa_float_denorm_mode_32 3
		.amdhsa_float_denorm_mode_16_64 3
		.amdhsa_fp16_overflow 0
		.amdhsa_memory_ordered 1
		.amdhsa_forward_progress 1
		.amdhsa_inst_pref_size 1
		.amdhsa_round_robin_scheduling 0
		.amdhsa_exception_fp_ieee_invalid_op 0
		.amdhsa_exception_fp_denorm_src 0
		.amdhsa_exception_fp_ieee_div_zero 0
		.amdhsa_exception_fp_ieee_overflow 0
		.amdhsa_exception_fp_ieee_underflow 0
		.amdhsa_exception_fp_ieee_inexact 0
		.amdhsa_exception_int_div_zero 0
	.end_amdhsa_kernel
	.section	.text._Z35paged_attention_ll4mi_reduce_kernelI14__hip_bfloat16S0_Li64ELi64ELi256ELi7EEvPT0_PKfS4_PKT_PKiS9_iS4_,"axG",@progbits,_Z35paged_attention_ll4mi_reduce_kernelI14__hip_bfloat16S0_Li64ELi64ELi256ELi7EEvPT0_PKfS4_PKT_PKiS9_iS4_,comdat
.Lfunc_end464:
	.size	_Z35paged_attention_ll4mi_reduce_kernelI14__hip_bfloat16S0_Li64ELi64ELi256ELi7EEvPT0_PKfS4_PKT_PKiS9_iS4_, .Lfunc_end464-_Z35paged_attention_ll4mi_reduce_kernelI14__hip_bfloat16S0_Li64ELi64ELi256ELi7EEvPT0_PKfS4_PKT_PKiS9_iS4_
                                        ; -- End function
	.set _Z35paged_attention_ll4mi_reduce_kernelI14__hip_bfloat16S0_Li64ELi64ELi256ELi7EEvPT0_PKfS4_PKT_PKiS9_iS4_.num_vgpr, max(3, .L__assert_fail.num_vgpr)
	.set _Z35paged_attention_ll4mi_reduce_kernelI14__hip_bfloat16S0_Li64ELi64ELi256ELi7EEvPT0_PKfS4_PKT_PKiS9_iS4_.num_agpr, max(0, .L__assert_fail.num_agpr)
	.set _Z35paged_attention_ll4mi_reduce_kernelI14__hip_bfloat16S0_Li64ELi64ELi256ELi7EEvPT0_PKfS4_PKT_PKiS9_iS4_.numbered_sgpr, max(33, .L__assert_fail.numbered_sgpr)
	.set _Z35paged_attention_ll4mi_reduce_kernelI14__hip_bfloat16S0_Li64ELi64ELi256ELi7EEvPT0_PKfS4_PKT_PKiS9_iS4_.num_named_barrier, max(0, .L__assert_fail.num_named_barrier)
	.set _Z35paged_attention_ll4mi_reduce_kernelI14__hip_bfloat16S0_Li64ELi64ELi256ELi7EEvPT0_PKfS4_PKT_PKiS9_iS4_.private_seg_size, 0+max(.L__assert_fail.private_seg_size)
	.set _Z35paged_attention_ll4mi_reduce_kernelI14__hip_bfloat16S0_Li64ELi64ELi256ELi7EEvPT0_PKfS4_PKT_PKiS9_iS4_.uses_vcc, or(1, .L__assert_fail.uses_vcc)
	.set _Z35paged_attention_ll4mi_reduce_kernelI14__hip_bfloat16S0_Li64ELi64ELi256ELi7EEvPT0_PKfS4_PKT_PKiS9_iS4_.uses_flat_scratch, or(0, .L__assert_fail.uses_flat_scratch)
	.set _Z35paged_attention_ll4mi_reduce_kernelI14__hip_bfloat16S0_Li64ELi64ELi256ELi7EEvPT0_PKfS4_PKT_PKiS9_iS4_.has_dyn_sized_stack, or(0, .L__assert_fail.has_dyn_sized_stack)
	.set _Z35paged_attention_ll4mi_reduce_kernelI14__hip_bfloat16S0_Li64ELi64ELi256ELi7EEvPT0_PKfS4_PKT_PKiS9_iS4_.has_recursion, or(0, .L__assert_fail.has_recursion)
	.set _Z35paged_attention_ll4mi_reduce_kernelI14__hip_bfloat16S0_Li64ELi64ELi256ELi7EEvPT0_PKfS4_PKT_PKiS9_iS4_.has_indirect_call, or(0, .L__assert_fail.has_indirect_call)
	.section	.AMDGPU.csdata,"",@progbits
; Kernel info:
; codeLenInByte = 64
; TotalNumSgprs: 36
; NumVgprs: 51
; ScratchSize: 64
; MemoryBound: 0
; FloatMode: 240
; IeeeMode: 1
; LDSByteSize: 0 bytes/workgroup (compile time only)
; SGPRBlocks: 0
; VGPRBlocks: 3
; NumSGPRsForWavesPerEU: 36
; NumVGPRsForWavesPerEU: 51
; NamedBarCnt: 0
; Occupancy: 16
; WaveLimiterHint : 1
; COMPUTE_PGM_RSRC2:SCRATCH_EN: 1
; COMPUTE_PGM_RSRC2:USER_SGPR: 2
; COMPUTE_PGM_RSRC2:TRAP_HANDLER: 0
; COMPUTE_PGM_RSRC2:TGID_X_EN: 1
; COMPUTE_PGM_RSRC2:TGID_Y_EN: 0
; COMPUTE_PGM_RSRC2:TGID_Z_EN: 0
; COMPUTE_PGM_RSRC2:TIDIG_COMP_CNT: 0
	.section	.text._Z35paged_attention_ll4mi_reduce_kernelI14__hip_bfloat16S0_Li64ELi64ELi256ELi8EEvPT0_PKfS4_PKT_PKiS9_iS4_,"axG",@progbits,_Z35paged_attention_ll4mi_reduce_kernelI14__hip_bfloat16S0_Li64ELi64ELi256ELi8EEvPT0_PKfS4_PKT_PKiS9_iS4_,comdat
	.protected	_Z35paged_attention_ll4mi_reduce_kernelI14__hip_bfloat16S0_Li64ELi64ELi256ELi8EEvPT0_PKfS4_PKT_PKiS9_iS4_ ; -- Begin function _Z35paged_attention_ll4mi_reduce_kernelI14__hip_bfloat16S0_Li64ELi64ELi256ELi8EEvPT0_PKfS4_PKT_PKiS9_iS4_
	.globl	_Z35paged_attention_ll4mi_reduce_kernelI14__hip_bfloat16S0_Li64ELi64ELi256ELi8EEvPT0_PKfS4_PKT_PKiS9_iS4_
	.p2align	8
	.type	_Z35paged_attention_ll4mi_reduce_kernelI14__hip_bfloat16S0_Li64ELi64ELi256ELi8EEvPT0_PKfS4_PKT_PKiS9_iS4_,@function
_Z35paged_attention_ll4mi_reduce_kernelI14__hip_bfloat16S0_Li64ELi64ELi256ELi8EEvPT0_PKfS4_PKT_PKiS9_iS4_: ; @_Z35paged_attention_ll4mi_reduce_kernelI14__hip_bfloat16S0_Li64ELi64ELi256ELi8EEvPT0_PKfS4_PKT_PKiS9_iS4_
; %bb.0:
	s_get_pc_i64 s[2:3]
	s_add_nc_u64 s[2:3], s[2:3], __PRETTY_FUNCTION__._Z35paged_attention_ll4mi_reduce_kernelI14__hip_bfloat16S0_Li64ELi64ELi256ELi8EEvPT0_PKfS4_PKT_PKiS9_iS4_@rel64+4
	s_delay_alu instid0(SALU_CYCLE_1)
	v_dual_mov_b32 v0, 0xbdd :: v_dual_mov_b32 v1, s2
	v_mov_b32_e32 v2, s3
	s_add_nc_u64 s[8:9], s[0:1], 64
	s_get_pc_i64 s[0:1]
	s_add_nc_u64 s[0:1], s[0:1], __assert_fail@rel64+4
	s_mov_b32 s32, 0
	s_swap_pc_i64 s[30:31], s[0:1]
	.section	.rodata,"a",@progbits
	.p2align	6, 0x0
	.amdhsa_kernel _Z35paged_attention_ll4mi_reduce_kernelI14__hip_bfloat16S0_Li64ELi64ELi256ELi8EEvPT0_PKfS4_PKT_PKiS9_iS4_
		.amdhsa_group_segment_fixed_size 0
		.amdhsa_private_segment_fixed_size 64
		.amdhsa_kernarg_size 320
		.amdhsa_user_sgpr_count 2
		.amdhsa_user_sgpr_dispatch_ptr 0
		.amdhsa_user_sgpr_queue_ptr 0
		.amdhsa_user_sgpr_kernarg_segment_ptr 1
		.amdhsa_user_sgpr_dispatch_id 0
		.amdhsa_user_sgpr_kernarg_preload_length 0
		.amdhsa_user_sgpr_kernarg_preload_offset 0
		.amdhsa_user_sgpr_private_segment_size 0
		.amdhsa_wavefront_size32 1
		.amdhsa_uses_dynamic_stack 0
		.amdhsa_enable_private_segment 1
		.amdhsa_system_sgpr_workgroup_id_x 1
		.amdhsa_system_sgpr_workgroup_id_y 0
		.amdhsa_system_sgpr_workgroup_id_z 0
		.amdhsa_system_sgpr_workgroup_info 0
		.amdhsa_system_vgpr_workitem_id 0
		.amdhsa_next_free_vgpr 51
		.amdhsa_next_free_sgpr 34
		.amdhsa_named_barrier_count 0
		.amdhsa_reserve_vcc 1
		.amdhsa_float_round_mode_32 0
		.amdhsa_float_round_mode_16_64 0
		.amdhsa_float_denorm_mode_32 3
		.amdhsa_float_denorm_mode_16_64 3
		.amdhsa_fp16_overflow 0
		.amdhsa_memory_ordered 1
		.amdhsa_forward_progress 1
		.amdhsa_inst_pref_size 1
		.amdhsa_round_robin_scheduling 0
		.amdhsa_exception_fp_ieee_invalid_op 0
		.amdhsa_exception_fp_denorm_src 0
		.amdhsa_exception_fp_ieee_div_zero 0
		.amdhsa_exception_fp_ieee_overflow 0
		.amdhsa_exception_fp_ieee_underflow 0
		.amdhsa_exception_fp_ieee_inexact 0
		.amdhsa_exception_int_div_zero 0
	.end_amdhsa_kernel
	.section	.text._Z35paged_attention_ll4mi_reduce_kernelI14__hip_bfloat16S0_Li64ELi64ELi256ELi8EEvPT0_PKfS4_PKT_PKiS9_iS4_,"axG",@progbits,_Z35paged_attention_ll4mi_reduce_kernelI14__hip_bfloat16S0_Li64ELi64ELi256ELi8EEvPT0_PKfS4_PKT_PKiS9_iS4_,comdat
.Lfunc_end465:
	.size	_Z35paged_attention_ll4mi_reduce_kernelI14__hip_bfloat16S0_Li64ELi64ELi256ELi8EEvPT0_PKfS4_PKT_PKiS9_iS4_, .Lfunc_end465-_Z35paged_attention_ll4mi_reduce_kernelI14__hip_bfloat16S0_Li64ELi64ELi256ELi8EEvPT0_PKfS4_PKT_PKiS9_iS4_
                                        ; -- End function
	.set _Z35paged_attention_ll4mi_reduce_kernelI14__hip_bfloat16S0_Li64ELi64ELi256ELi8EEvPT0_PKfS4_PKT_PKiS9_iS4_.num_vgpr, max(3, .L__assert_fail.num_vgpr)
	.set _Z35paged_attention_ll4mi_reduce_kernelI14__hip_bfloat16S0_Li64ELi64ELi256ELi8EEvPT0_PKfS4_PKT_PKiS9_iS4_.num_agpr, max(0, .L__assert_fail.num_agpr)
	.set _Z35paged_attention_ll4mi_reduce_kernelI14__hip_bfloat16S0_Li64ELi64ELi256ELi8EEvPT0_PKfS4_PKT_PKiS9_iS4_.numbered_sgpr, max(33, .L__assert_fail.numbered_sgpr)
	.set _Z35paged_attention_ll4mi_reduce_kernelI14__hip_bfloat16S0_Li64ELi64ELi256ELi8EEvPT0_PKfS4_PKT_PKiS9_iS4_.num_named_barrier, max(0, .L__assert_fail.num_named_barrier)
	.set _Z35paged_attention_ll4mi_reduce_kernelI14__hip_bfloat16S0_Li64ELi64ELi256ELi8EEvPT0_PKfS4_PKT_PKiS9_iS4_.private_seg_size, 0+max(.L__assert_fail.private_seg_size)
	.set _Z35paged_attention_ll4mi_reduce_kernelI14__hip_bfloat16S0_Li64ELi64ELi256ELi8EEvPT0_PKfS4_PKT_PKiS9_iS4_.uses_vcc, or(1, .L__assert_fail.uses_vcc)
	.set _Z35paged_attention_ll4mi_reduce_kernelI14__hip_bfloat16S0_Li64ELi64ELi256ELi8EEvPT0_PKfS4_PKT_PKiS9_iS4_.uses_flat_scratch, or(0, .L__assert_fail.uses_flat_scratch)
	.set _Z35paged_attention_ll4mi_reduce_kernelI14__hip_bfloat16S0_Li64ELi64ELi256ELi8EEvPT0_PKfS4_PKT_PKiS9_iS4_.has_dyn_sized_stack, or(0, .L__assert_fail.has_dyn_sized_stack)
	.set _Z35paged_attention_ll4mi_reduce_kernelI14__hip_bfloat16S0_Li64ELi64ELi256ELi8EEvPT0_PKfS4_PKT_PKiS9_iS4_.has_recursion, or(0, .L__assert_fail.has_recursion)
	.set _Z35paged_attention_ll4mi_reduce_kernelI14__hip_bfloat16S0_Li64ELi64ELi256ELi8EEvPT0_PKfS4_PKT_PKiS9_iS4_.has_indirect_call, or(0, .L__assert_fail.has_indirect_call)
	.section	.AMDGPU.csdata,"",@progbits
; Kernel info:
; codeLenInByte = 64
; TotalNumSgprs: 36
; NumVgprs: 51
; ScratchSize: 64
; MemoryBound: 0
; FloatMode: 240
; IeeeMode: 1
; LDSByteSize: 0 bytes/workgroup (compile time only)
; SGPRBlocks: 0
; VGPRBlocks: 3
; NumSGPRsForWavesPerEU: 36
; NumVGPRsForWavesPerEU: 51
; NamedBarCnt: 0
; Occupancy: 16
; WaveLimiterHint : 1
; COMPUTE_PGM_RSRC2:SCRATCH_EN: 1
; COMPUTE_PGM_RSRC2:USER_SGPR: 2
; COMPUTE_PGM_RSRC2:TRAP_HANDLER: 0
; COMPUTE_PGM_RSRC2:TGID_X_EN: 1
; COMPUTE_PGM_RSRC2:TGID_Y_EN: 0
; COMPUTE_PGM_RSRC2:TGID_Z_EN: 0
; COMPUTE_PGM_RSRC2:TIDIG_COMP_CNT: 0
	.section	.text._Z39paged_attention_ll4mi_QKV_mfma16_kernelI14__hip_bfloat16S0_LN4vllm18Fp8KVCacheDataTypeE0ES0_Li16ELi64ELi256ELb1ELi1EEvPKT_PKT0_S8_ifPKiSA_SA_iPKfiiiPfSD_PS3_PT2_iSC_SC_,"axG",@progbits,_Z39paged_attention_ll4mi_QKV_mfma16_kernelI14__hip_bfloat16S0_LN4vllm18Fp8KVCacheDataTypeE0ES0_Li16ELi64ELi256ELb1ELi1EEvPKT_PKT0_S8_ifPKiSA_SA_iPKfiiiPfSD_PS3_PT2_iSC_SC_,comdat
	.protected	_Z39paged_attention_ll4mi_QKV_mfma16_kernelI14__hip_bfloat16S0_LN4vllm18Fp8KVCacheDataTypeE0ES0_Li16ELi64ELi256ELb1ELi1EEvPKT_PKT0_S8_ifPKiSA_SA_iPKfiiiPfSD_PS3_PT2_iSC_SC_ ; -- Begin function _Z39paged_attention_ll4mi_QKV_mfma16_kernelI14__hip_bfloat16S0_LN4vllm18Fp8KVCacheDataTypeE0ES0_Li16ELi64ELi256ELb1ELi1EEvPKT_PKT0_S8_ifPKiSA_SA_iPKfiiiPfSD_PS3_PT2_iSC_SC_
	.globl	_Z39paged_attention_ll4mi_QKV_mfma16_kernelI14__hip_bfloat16S0_LN4vllm18Fp8KVCacheDataTypeE0ES0_Li16ELi64ELi256ELb1ELi1EEvPKT_PKT0_S8_ifPKiSA_SA_iPKfiiiPfSD_PS3_PT2_iSC_SC_
	.p2align	8
	.type	_Z39paged_attention_ll4mi_QKV_mfma16_kernelI14__hip_bfloat16S0_LN4vllm18Fp8KVCacheDataTypeE0ES0_Li16ELi64ELi256ELb1ELi1EEvPKT_PKT0_S8_ifPKiSA_SA_iPKfiiiPfSD_PS3_PT2_iSC_SC_,@function
_Z39paged_attention_ll4mi_QKV_mfma16_kernelI14__hip_bfloat16S0_LN4vllm18Fp8KVCacheDataTypeE0ES0_Li16ELi64ELi256ELb1ELi1EEvPKT_PKT0_S8_ifPKiSA_SA_iPKfiiiPfSD_PS3_PT2_iSC_SC_: ; @_Z39paged_attention_ll4mi_QKV_mfma16_kernelI14__hip_bfloat16S0_LN4vllm18Fp8KVCacheDataTypeE0ES0_Li16ELi64ELi256ELb1ELi1EEvPKT_PKT0_S8_ifPKiSA_SA_iPKfiiiPfSD_PS3_PT2_iSC_SC_
; %bb.0:
	s_get_pc_i64 s[2:3]
	s_add_nc_u64 s[2:3], s[2:3], __PRETTY_FUNCTION__._Z39paged_attention_ll4mi_QKV_mfma16_kernelI14__hip_bfloat16S0_LN4vllm18Fp8KVCacheDataTypeE0ES0_Li16ELi64ELi256ELb1ELi1EEvPKT_PKT0_S8_ifPKiSA_SA_iPKfiiiPfSD_PS3_PT2_iSC_SC_@rel64+4
	s_delay_alu instid0(SALU_CYCLE_1)
	v_dual_mov_b32 v0, 0xbb3 :: v_dual_mov_b32 v1, s2
	v_mov_b32_e32 v2, s3
	s_add_nc_u64 s[8:9], s[0:1], 0x90
	s_get_pc_i64 s[0:1]
	s_add_nc_u64 s[0:1], s[0:1], __assert_fail@rel64+4
	s_mov_b32 s32, 0
	s_swap_pc_i64 s[30:31], s[0:1]
	.section	.rodata,"a",@progbits
	.p2align	6, 0x0
	.amdhsa_kernel _Z39paged_attention_ll4mi_QKV_mfma16_kernelI14__hip_bfloat16S0_LN4vllm18Fp8KVCacheDataTypeE0ES0_Li16ELi64ELi256ELb1ELi1EEvPKT_PKT0_S8_ifPKiSA_SA_iPKfiiiPfSD_PS3_PT2_iSC_SC_
		.amdhsa_group_segment_fixed_size 0
		.amdhsa_private_segment_fixed_size 64
		.amdhsa_kernarg_size 400
		.amdhsa_user_sgpr_count 2
		.amdhsa_user_sgpr_dispatch_ptr 0
		.amdhsa_user_sgpr_queue_ptr 0
		.amdhsa_user_sgpr_kernarg_segment_ptr 1
		.amdhsa_user_sgpr_dispatch_id 0
		.amdhsa_user_sgpr_kernarg_preload_length 0
		.amdhsa_user_sgpr_kernarg_preload_offset 0
		.amdhsa_user_sgpr_private_segment_size 0
		.amdhsa_wavefront_size32 1
		.amdhsa_uses_dynamic_stack 0
		.amdhsa_enable_private_segment 1
		.amdhsa_system_sgpr_workgroup_id_x 1
		.amdhsa_system_sgpr_workgroup_id_y 0
		.amdhsa_system_sgpr_workgroup_id_z 0
		.amdhsa_system_sgpr_workgroup_info 0
		.amdhsa_system_vgpr_workitem_id 0
		.amdhsa_next_free_vgpr 51
		.amdhsa_next_free_sgpr 34
		.amdhsa_named_barrier_count 0
		.amdhsa_reserve_vcc 1
		.amdhsa_float_round_mode_32 0
		.amdhsa_float_round_mode_16_64 0
		.amdhsa_float_denorm_mode_32 3
		.amdhsa_float_denorm_mode_16_64 3
		.amdhsa_fp16_overflow 0
		.amdhsa_memory_ordered 1
		.amdhsa_forward_progress 1
		.amdhsa_inst_pref_size 1
		.amdhsa_round_robin_scheduling 0
		.amdhsa_exception_fp_ieee_invalid_op 0
		.amdhsa_exception_fp_denorm_src 0
		.amdhsa_exception_fp_ieee_div_zero 0
		.amdhsa_exception_fp_ieee_overflow 0
		.amdhsa_exception_fp_ieee_underflow 0
		.amdhsa_exception_fp_ieee_inexact 0
		.amdhsa_exception_int_div_zero 0
	.end_amdhsa_kernel
	.section	.text._Z39paged_attention_ll4mi_QKV_mfma16_kernelI14__hip_bfloat16S0_LN4vllm18Fp8KVCacheDataTypeE0ES0_Li16ELi64ELi256ELb1ELi1EEvPKT_PKT0_S8_ifPKiSA_SA_iPKfiiiPfSD_PS3_PT2_iSC_SC_,"axG",@progbits,_Z39paged_attention_ll4mi_QKV_mfma16_kernelI14__hip_bfloat16S0_LN4vllm18Fp8KVCacheDataTypeE0ES0_Li16ELi64ELi256ELb1ELi1EEvPKT_PKT0_S8_ifPKiSA_SA_iPKfiiiPfSD_PS3_PT2_iSC_SC_,comdat
.Lfunc_end466:
	.size	_Z39paged_attention_ll4mi_QKV_mfma16_kernelI14__hip_bfloat16S0_LN4vllm18Fp8KVCacheDataTypeE0ES0_Li16ELi64ELi256ELb1ELi1EEvPKT_PKT0_S8_ifPKiSA_SA_iPKfiiiPfSD_PS3_PT2_iSC_SC_, .Lfunc_end466-_Z39paged_attention_ll4mi_QKV_mfma16_kernelI14__hip_bfloat16S0_LN4vllm18Fp8KVCacheDataTypeE0ES0_Li16ELi64ELi256ELb1ELi1EEvPKT_PKT0_S8_ifPKiSA_SA_iPKfiiiPfSD_PS3_PT2_iSC_SC_
                                        ; -- End function
	.set _Z39paged_attention_ll4mi_QKV_mfma16_kernelI14__hip_bfloat16S0_LN4vllm18Fp8KVCacheDataTypeE0ES0_Li16ELi64ELi256ELb1ELi1EEvPKT_PKT0_S8_ifPKiSA_SA_iPKfiiiPfSD_PS3_PT2_iSC_SC_.num_vgpr, max(3, .L__assert_fail.num_vgpr)
	.set _Z39paged_attention_ll4mi_QKV_mfma16_kernelI14__hip_bfloat16S0_LN4vllm18Fp8KVCacheDataTypeE0ES0_Li16ELi64ELi256ELb1ELi1EEvPKT_PKT0_S8_ifPKiSA_SA_iPKfiiiPfSD_PS3_PT2_iSC_SC_.num_agpr, max(0, .L__assert_fail.num_agpr)
	.set _Z39paged_attention_ll4mi_QKV_mfma16_kernelI14__hip_bfloat16S0_LN4vllm18Fp8KVCacheDataTypeE0ES0_Li16ELi64ELi256ELb1ELi1EEvPKT_PKT0_S8_ifPKiSA_SA_iPKfiiiPfSD_PS3_PT2_iSC_SC_.numbered_sgpr, max(33, .L__assert_fail.numbered_sgpr)
	.set _Z39paged_attention_ll4mi_QKV_mfma16_kernelI14__hip_bfloat16S0_LN4vllm18Fp8KVCacheDataTypeE0ES0_Li16ELi64ELi256ELb1ELi1EEvPKT_PKT0_S8_ifPKiSA_SA_iPKfiiiPfSD_PS3_PT2_iSC_SC_.num_named_barrier, max(0, .L__assert_fail.num_named_barrier)
	.set _Z39paged_attention_ll4mi_QKV_mfma16_kernelI14__hip_bfloat16S0_LN4vllm18Fp8KVCacheDataTypeE0ES0_Li16ELi64ELi256ELb1ELi1EEvPKT_PKT0_S8_ifPKiSA_SA_iPKfiiiPfSD_PS3_PT2_iSC_SC_.private_seg_size, 0+max(.L__assert_fail.private_seg_size)
	.set _Z39paged_attention_ll4mi_QKV_mfma16_kernelI14__hip_bfloat16S0_LN4vllm18Fp8KVCacheDataTypeE0ES0_Li16ELi64ELi256ELb1ELi1EEvPKT_PKT0_S8_ifPKiSA_SA_iPKfiiiPfSD_PS3_PT2_iSC_SC_.uses_vcc, or(1, .L__assert_fail.uses_vcc)
	.set _Z39paged_attention_ll4mi_QKV_mfma16_kernelI14__hip_bfloat16S0_LN4vllm18Fp8KVCacheDataTypeE0ES0_Li16ELi64ELi256ELb1ELi1EEvPKT_PKT0_S8_ifPKiSA_SA_iPKfiiiPfSD_PS3_PT2_iSC_SC_.uses_flat_scratch, or(0, .L__assert_fail.uses_flat_scratch)
	.set _Z39paged_attention_ll4mi_QKV_mfma16_kernelI14__hip_bfloat16S0_LN4vllm18Fp8KVCacheDataTypeE0ES0_Li16ELi64ELi256ELb1ELi1EEvPKT_PKT0_S8_ifPKiSA_SA_iPKfiiiPfSD_PS3_PT2_iSC_SC_.has_dyn_sized_stack, or(0, .L__assert_fail.has_dyn_sized_stack)
	.set _Z39paged_attention_ll4mi_QKV_mfma16_kernelI14__hip_bfloat16S0_LN4vllm18Fp8KVCacheDataTypeE0ES0_Li16ELi64ELi256ELb1ELi1EEvPKT_PKT0_S8_ifPKiSA_SA_iPKfiiiPfSD_PS3_PT2_iSC_SC_.has_recursion, or(0, .L__assert_fail.has_recursion)
	.set _Z39paged_attention_ll4mi_QKV_mfma16_kernelI14__hip_bfloat16S0_LN4vllm18Fp8KVCacheDataTypeE0ES0_Li16ELi64ELi256ELb1ELi1EEvPKT_PKT0_S8_ifPKiSA_SA_iPKfiiiPfSD_PS3_PT2_iSC_SC_.has_indirect_call, or(0, .L__assert_fail.has_indirect_call)
	.section	.AMDGPU.csdata,"",@progbits
; Kernel info:
; codeLenInByte = 68
; TotalNumSgprs: 36
; NumVgprs: 51
; ScratchSize: 64
; MemoryBound: 0
; FloatMode: 240
; IeeeMode: 1
; LDSByteSize: 0 bytes/workgroup (compile time only)
; SGPRBlocks: 0
; VGPRBlocks: 3
; NumSGPRsForWavesPerEU: 36
; NumVGPRsForWavesPerEU: 51
; NamedBarCnt: 0
; Occupancy: 16
; WaveLimiterHint : 1
; COMPUTE_PGM_RSRC2:SCRATCH_EN: 1
; COMPUTE_PGM_RSRC2:USER_SGPR: 2
; COMPUTE_PGM_RSRC2:TRAP_HANDLER: 0
; COMPUTE_PGM_RSRC2:TGID_X_EN: 1
; COMPUTE_PGM_RSRC2:TGID_Y_EN: 0
; COMPUTE_PGM_RSRC2:TGID_Z_EN: 0
; COMPUTE_PGM_RSRC2:TIDIG_COMP_CNT: 0
	.section	.text._Z39paged_attention_ll4mi_QKV_mfma16_kernelI14__hip_bfloat16S0_LN4vllm18Fp8KVCacheDataTypeE0ES0_Li16ELi64ELi256ELb1ELi2EEvPKT_PKT0_S8_ifPKiSA_SA_iPKfiiiPfSD_PS3_PT2_iSC_SC_,"axG",@progbits,_Z39paged_attention_ll4mi_QKV_mfma16_kernelI14__hip_bfloat16S0_LN4vllm18Fp8KVCacheDataTypeE0ES0_Li16ELi64ELi256ELb1ELi2EEvPKT_PKT0_S8_ifPKiSA_SA_iPKfiiiPfSD_PS3_PT2_iSC_SC_,comdat
	.protected	_Z39paged_attention_ll4mi_QKV_mfma16_kernelI14__hip_bfloat16S0_LN4vllm18Fp8KVCacheDataTypeE0ES0_Li16ELi64ELi256ELb1ELi2EEvPKT_PKT0_S8_ifPKiSA_SA_iPKfiiiPfSD_PS3_PT2_iSC_SC_ ; -- Begin function _Z39paged_attention_ll4mi_QKV_mfma16_kernelI14__hip_bfloat16S0_LN4vllm18Fp8KVCacheDataTypeE0ES0_Li16ELi64ELi256ELb1ELi2EEvPKT_PKT0_S8_ifPKiSA_SA_iPKfiiiPfSD_PS3_PT2_iSC_SC_
	.globl	_Z39paged_attention_ll4mi_QKV_mfma16_kernelI14__hip_bfloat16S0_LN4vllm18Fp8KVCacheDataTypeE0ES0_Li16ELi64ELi256ELb1ELi2EEvPKT_PKT0_S8_ifPKiSA_SA_iPKfiiiPfSD_PS3_PT2_iSC_SC_
	.p2align	8
	.type	_Z39paged_attention_ll4mi_QKV_mfma16_kernelI14__hip_bfloat16S0_LN4vllm18Fp8KVCacheDataTypeE0ES0_Li16ELi64ELi256ELb1ELi2EEvPKT_PKT0_S8_ifPKiSA_SA_iPKfiiiPfSD_PS3_PT2_iSC_SC_,@function
_Z39paged_attention_ll4mi_QKV_mfma16_kernelI14__hip_bfloat16S0_LN4vllm18Fp8KVCacheDataTypeE0ES0_Li16ELi64ELi256ELb1ELi2EEvPKT_PKT0_S8_ifPKiSA_SA_iPKfiiiPfSD_PS3_PT2_iSC_SC_: ; @_Z39paged_attention_ll4mi_QKV_mfma16_kernelI14__hip_bfloat16S0_LN4vllm18Fp8KVCacheDataTypeE0ES0_Li16ELi64ELi256ELb1ELi2EEvPKT_PKT0_S8_ifPKiSA_SA_iPKfiiiPfSD_PS3_PT2_iSC_SC_
; %bb.0:
	s_get_pc_i64 s[2:3]
	s_add_nc_u64 s[2:3], s[2:3], __PRETTY_FUNCTION__._Z39paged_attention_ll4mi_QKV_mfma16_kernelI14__hip_bfloat16S0_LN4vllm18Fp8KVCacheDataTypeE0ES0_Li16ELi64ELi256ELb1ELi2EEvPKT_PKT0_S8_ifPKiSA_SA_iPKfiiiPfSD_PS3_PT2_iSC_SC_@rel64+4
	s_delay_alu instid0(SALU_CYCLE_1)
	v_dual_mov_b32 v0, 0xbb3 :: v_dual_mov_b32 v1, s2
	v_mov_b32_e32 v2, s3
	s_add_nc_u64 s[8:9], s[0:1], 0x90
	s_get_pc_i64 s[0:1]
	s_add_nc_u64 s[0:1], s[0:1], __assert_fail@rel64+4
	s_mov_b32 s32, 0
	s_swap_pc_i64 s[30:31], s[0:1]
	.section	.rodata,"a",@progbits
	.p2align	6, 0x0
	.amdhsa_kernel _Z39paged_attention_ll4mi_QKV_mfma16_kernelI14__hip_bfloat16S0_LN4vllm18Fp8KVCacheDataTypeE0ES0_Li16ELi64ELi256ELb1ELi2EEvPKT_PKT0_S8_ifPKiSA_SA_iPKfiiiPfSD_PS3_PT2_iSC_SC_
		.amdhsa_group_segment_fixed_size 0
		.amdhsa_private_segment_fixed_size 64
		.amdhsa_kernarg_size 400
		.amdhsa_user_sgpr_count 2
		.amdhsa_user_sgpr_dispatch_ptr 0
		.amdhsa_user_sgpr_queue_ptr 0
		.amdhsa_user_sgpr_kernarg_segment_ptr 1
		.amdhsa_user_sgpr_dispatch_id 0
		.amdhsa_user_sgpr_kernarg_preload_length 0
		.amdhsa_user_sgpr_kernarg_preload_offset 0
		.amdhsa_user_sgpr_private_segment_size 0
		.amdhsa_wavefront_size32 1
		.amdhsa_uses_dynamic_stack 0
		.amdhsa_enable_private_segment 1
		.amdhsa_system_sgpr_workgroup_id_x 1
		.amdhsa_system_sgpr_workgroup_id_y 0
		.amdhsa_system_sgpr_workgroup_id_z 0
		.amdhsa_system_sgpr_workgroup_info 0
		.amdhsa_system_vgpr_workitem_id 0
		.amdhsa_next_free_vgpr 51
		.amdhsa_next_free_sgpr 34
		.amdhsa_named_barrier_count 0
		.amdhsa_reserve_vcc 1
		.amdhsa_float_round_mode_32 0
		.amdhsa_float_round_mode_16_64 0
		.amdhsa_float_denorm_mode_32 3
		.amdhsa_float_denorm_mode_16_64 3
		.amdhsa_fp16_overflow 0
		.amdhsa_memory_ordered 1
		.amdhsa_forward_progress 1
		.amdhsa_inst_pref_size 1
		.amdhsa_round_robin_scheduling 0
		.amdhsa_exception_fp_ieee_invalid_op 0
		.amdhsa_exception_fp_denorm_src 0
		.amdhsa_exception_fp_ieee_div_zero 0
		.amdhsa_exception_fp_ieee_overflow 0
		.amdhsa_exception_fp_ieee_underflow 0
		.amdhsa_exception_fp_ieee_inexact 0
		.amdhsa_exception_int_div_zero 0
	.end_amdhsa_kernel
	.section	.text._Z39paged_attention_ll4mi_QKV_mfma16_kernelI14__hip_bfloat16S0_LN4vllm18Fp8KVCacheDataTypeE0ES0_Li16ELi64ELi256ELb1ELi2EEvPKT_PKT0_S8_ifPKiSA_SA_iPKfiiiPfSD_PS3_PT2_iSC_SC_,"axG",@progbits,_Z39paged_attention_ll4mi_QKV_mfma16_kernelI14__hip_bfloat16S0_LN4vllm18Fp8KVCacheDataTypeE0ES0_Li16ELi64ELi256ELb1ELi2EEvPKT_PKT0_S8_ifPKiSA_SA_iPKfiiiPfSD_PS3_PT2_iSC_SC_,comdat
.Lfunc_end467:
	.size	_Z39paged_attention_ll4mi_QKV_mfma16_kernelI14__hip_bfloat16S0_LN4vllm18Fp8KVCacheDataTypeE0ES0_Li16ELi64ELi256ELb1ELi2EEvPKT_PKT0_S8_ifPKiSA_SA_iPKfiiiPfSD_PS3_PT2_iSC_SC_, .Lfunc_end467-_Z39paged_attention_ll4mi_QKV_mfma16_kernelI14__hip_bfloat16S0_LN4vllm18Fp8KVCacheDataTypeE0ES0_Li16ELi64ELi256ELb1ELi2EEvPKT_PKT0_S8_ifPKiSA_SA_iPKfiiiPfSD_PS3_PT2_iSC_SC_
                                        ; -- End function
	.set _Z39paged_attention_ll4mi_QKV_mfma16_kernelI14__hip_bfloat16S0_LN4vllm18Fp8KVCacheDataTypeE0ES0_Li16ELi64ELi256ELb1ELi2EEvPKT_PKT0_S8_ifPKiSA_SA_iPKfiiiPfSD_PS3_PT2_iSC_SC_.num_vgpr, max(3, .L__assert_fail.num_vgpr)
	.set _Z39paged_attention_ll4mi_QKV_mfma16_kernelI14__hip_bfloat16S0_LN4vllm18Fp8KVCacheDataTypeE0ES0_Li16ELi64ELi256ELb1ELi2EEvPKT_PKT0_S8_ifPKiSA_SA_iPKfiiiPfSD_PS3_PT2_iSC_SC_.num_agpr, max(0, .L__assert_fail.num_agpr)
	.set _Z39paged_attention_ll4mi_QKV_mfma16_kernelI14__hip_bfloat16S0_LN4vllm18Fp8KVCacheDataTypeE0ES0_Li16ELi64ELi256ELb1ELi2EEvPKT_PKT0_S8_ifPKiSA_SA_iPKfiiiPfSD_PS3_PT2_iSC_SC_.numbered_sgpr, max(33, .L__assert_fail.numbered_sgpr)
	.set _Z39paged_attention_ll4mi_QKV_mfma16_kernelI14__hip_bfloat16S0_LN4vllm18Fp8KVCacheDataTypeE0ES0_Li16ELi64ELi256ELb1ELi2EEvPKT_PKT0_S8_ifPKiSA_SA_iPKfiiiPfSD_PS3_PT2_iSC_SC_.num_named_barrier, max(0, .L__assert_fail.num_named_barrier)
	.set _Z39paged_attention_ll4mi_QKV_mfma16_kernelI14__hip_bfloat16S0_LN4vllm18Fp8KVCacheDataTypeE0ES0_Li16ELi64ELi256ELb1ELi2EEvPKT_PKT0_S8_ifPKiSA_SA_iPKfiiiPfSD_PS3_PT2_iSC_SC_.private_seg_size, 0+max(.L__assert_fail.private_seg_size)
	.set _Z39paged_attention_ll4mi_QKV_mfma16_kernelI14__hip_bfloat16S0_LN4vllm18Fp8KVCacheDataTypeE0ES0_Li16ELi64ELi256ELb1ELi2EEvPKT_PKT0_S8_ifPKiSA_SA_iPKfiiiPfSD_PS3_PT2_iSC_SC_.uses_vcc, or(1, .L__assert_fail.uses_vcc)
	.set _Z39paged_attention_ll4mi_QKV_mfma16_kernelI14__hip_bfloat16S0_LN4vllm18Fp8KVCacheDataTypeE0ES0_Li16ELi64ELi256ELb1ELi2EEvPKT_PKT0_S8_ifPKiSA_SA_iPKfiiiPfSD_PS3_PT2_iSC_SC_.uses_flat_scratch, or(0, .L__assert_fail.uses_flat_scratch)
	.set _Z39paged_attention_ll4mi_QKV_mfma16_kernelI14__hip_bfloat16S0_LN4vllm18Fp8KVCacheDataTypeE0ES0_Li16ELi64ELi256ELb1ELi2EEvPKT_PKT0_S8_ifPKiSA_SA_iPKfiiiPfSD_PS3_PT2_iSC_SC_.has_dyn_sized_stack, or(0, .L__assert_fail.has_dyn_sized_stack)
	.set _Z39paged_attention_ll4mi_QKV_mfma16_kernelI14__hip_bfloat16S0_LN4vllm18Fp8KVCacheDataTypeE0ES0_Li16ELi64ELi256ELb1ELi2EEvPKT_PKT0_S8_ifPKiSA_SA_iPKfiiiPfSD_PS3_PT2_iSC_SC_.has_recursion, or(0, .L__assert_fail.has_recursion)
	.set _Z39paged_attention_ll4mi_QKV_mfma16_kernelI14__hip_bfloat16S0_LN4vllm18Fp8KVCacheDataTypeE0ES0_Li16ELi64ELi256ELb1ELi2EEvPKT_PKT0_S8_ifPKiSA_SA_iPKfiiiPfSD_PS3_PT2_iSC_SC_.has_indirect_call, or(0, .L__assert_fail.has_indirect_call)
	.section	.AMDGPU.csdata,"",@progbits
; Kernel info:
; codeLenInByte = 68
; TotalNumSgprs: 36
; NumVgprs: 51
; ScratchSize: 64
; MemoryBound: 0
; FloatMode: 240
; IeeeMode: 1
; LDSByteSize: 0 bytes/workgroup (compile time only)
; SGPRBlocks: 0
; VGPRBlocks: 3
; NumSGPRsForWavesPerEU: 36
; NumVGPRsForWavesPerEU: 51
; NamedBarCnt: 0
; Occupancy: 16
; WaveLimiterHint : 1
; COMPUTE_PGM_RSRC2:SCRATCH_EN: 1
; COMPUTE_PGM_RSRC2:USER_SGPR: 2
; COMPUTE_PGM_RSRC2:TRAP_HANDLER: 0
; COMPUTE_PGM_RSRC2:TGID_X_EN: 1
; COMPUTE_PGM_RSRC2:TGID_Y_EN: 0
; COMPUTE_PGM_RSRC2:TGID_Z_EN: 0
; COMPUTE_PGM_RSRC2:TIDIG_COMP_CNT: 0
	.section	.text._Z39paged_attention_ll4mi_QKV_mfma16_kernelI14__hip_bfloat16S0_LN4vllm18Fp8KVCacheDataTypeE0ES0_Li16ELi64ELi256ELb1ELi3EEvPKT_PKT0_S8_ifPKiSA_SA_iPKfiiiPfSD_PS3_PT2_iSC_SC_,"axG",@progbits,_Z39paged_attention_ll4mi_QKV_mfma16_kernelI14__hip_bfloat16S0_LN4vllm18Fp8KVCacheDataTypeE0ES0_Li16ELi64ELi256ELb1ELi3EEvPKT_PKT0_S8_ifPKiSA_SA_iPKfiiiPfSD_PS3_PT2_iSC_SC_,comdat
	.protected	_Z39paged_attention_ll4mi_QKV_mfma16_kernelI14__hip_bfloat16S0_LN4vllm18Fp8KVCacheDataTypeE0ES0_Li16ELi64ELi256ELb1ELi3EEvPKT_PKT0_S8_ifPKiSA_SA_iPKfiiiPfSD_PS3_PT2_iSC_SC_ ; -- Begin function _Z39paged_attention_ll4mi_QKV_mfma16_kernelI14__hip_bfloat16S0_LN4vllm18Fp8KVCacheDataTypeE0ES0_Li16ELi64ELi256ELb1ELi3EEvPKT_PKT0_S8_ifPKiSA_SA_iPKfiiiPfSD_PS3_PT2_iSC_SC_
	.globl	_Z39paged_attention_ll4mi_QKV_mfma16_kernelI14__hip_bfloat16S0_LN4vllm18Fp8KVCacheDataTypeE0ES0_Li16ELi64ELi256ELb1ELi3EEvPKT_PKT0_S8_ifPKiSA_SA_iPKfiiiPfSD_PS3_PT2_iSC_SC_
	.p2align	8
	.type	_Z39paged_attention_ll4mi_QKV_mfma16_kernelI14__hip_bfloat16S0_LN4vllm18Fp8KVCacheDataTypeE0ES0_Li16ELi64ELi256ELb1ELi3EEvPKT_PKT0_S8_ifPKiSA_SA_iPKfiiiPfSD_PS3_PT2_iSC_SC_,@function
_Z39paged_attention_ll4mi_QKV_mfma16_kernelI14__hip_bfloat16S0_LN4vllm18Fp8KVCacheDataTypeE0ES0_Li16ELi64ELi256ELb1ELi3EEvPKT_PKT0_S8_ifPKiSA_SA_iPKfiiiPfSD_PS3_PT2_iSC_SC_: ; @_Z39paged_attention_ll4mi_QKV_mfma16_kernelI14__hip_bfloat16S0_LN4vllm18Fp8KVCacheDataTypeE0ES0_Li16ELi64ELi256ELb1ELi3EEvPKT_PKT0_S8_ifPKiSA_SA_iPKfiiiPfSD_PS3_PT2_iSC_SC_
; %bb.0:
	s_get_pc_i64 s[2:3]
	s_add_nc_u64 s[2:3], s[2:3], __PRETTY_FUNCTION__._Z39paged_attention_ll4mi_QKV_mfma16_kernelI14__hip_bfloat16S0_LN4vllm18Fp8KVCacheDataTypeE0ES0_Li16ELi64ELi256ELb1ELi3EEvPKT_PKT0_S8_ifPKiSA_SA_iPKfiiiPfSD_PS3_PT2_iSC_SC_@rel64+4
	s_delay_alu instid0(SALU_CYCLE_1)
	v_dual_mov_b32 v0, 0xbb3 :: v_dual_mov_b32 v1, s2
	v_mov_b32_e32 v2, s3
	s_add_nc_u64 s[8:9], s[0:1], 0x90
	s_get_pc_i64 s[0:1]
	s_add_nc_u64 s[0:1], s[0:1], __assert_fail@rel64+4
	s_mov_b32 s32, 0
	s_swap_pc_i64 s[30:31], s[0:1]
	.section	.rodata,"a",@progbits
	.p2align	6, 0x0
	.amdhsa_kernel _Z39paged_attention_ll4mi_QKV_mfma16_kernelI14__hip_bfloat16S0_LN4vllm18Fp8KVCacheDataTypeE0ES0_Li16ELi64ELi256ELb1ELi3EEvPKT_PKT0_S8_ifPKiSA_SA_iPKfiiiPfSD_PS3_PT2_iSC_SC_
		.amdhsa_group_segment_fixed_size 0
		.amdhsa_private_segment_fixed_size 64
		.amdhsa_kernarg_size 400
		.amdhsa_user_sgpr_count 2
		.amdhsa_user_sgpr_dispatch_ptr 0
		.amdhsa_user_sgpr_queue_ptr 0
		.amdhsa_user_sgpr_kernarg_segment_ptr 1
		.amdhsa_user_sgpr_dispatch_id 0
		.amdhsa_user_sgpr_kernarg_preload_length 0
		.amdhsa_user_sgpr_kernarg_preload_offset 0
		.amdhsa_user_sgpr_private_segment_size 0
		.amdhsa_wavefront_size32 1
		.amdhsa_uses_dynamic_stack 0
		.amdhsa_enable_private_segment 1
		.amdhsa_system_sgpr_workgroup_id_x 1
		.amdhsa_system_sgpr_workgroup_id_y 0
		.amdhsa_system_sgpr_workgroup_id_z 0
		.amdhsa_system_sgpr_workgroup_info 0
		.amdhsa_system_vgpr_workitem_id 0
		.amdhsa_next_free_vgpr 51
		.amdhsa_next_free_sgpr 34
		.amdhsa_named_barrier_count 0
		.amdhsa_reserve_vcc 1
		.amdhsa_float_round_mode_32 0
		.amdhsa_float_round_mode_16_64 0
		.amdhsa_float_denorm_mode_32 3
		.amdhsa_float_denorm_mode_16_64 3
		.amdhsa_fp16_overflow 0
		.amdhsa_memory_ordered 1
		.amdhsa_forward_progress 1
		.amdhsa_inst_pref_size 1
		.amdhsa_round_robin_scheduling 0
		.amdhsa_exception_fp_ieee_invalid_op 0
		.amdhsa_exception_fp_denorm_src 0
		.amdhsa_exception_fp_ieee_div_zero 0
		.amdhsa_exception_fp_ieee_overflow 0
		.amdhsa_exception_fp_ieee_underflow 0
		.amdhsa_exception_fp_ieee_inexact 0
		.amdhsa_exception_int_div_zero 0
	.end_amdhsa_kernel
	.section	.text._Z39paged_attention_ll4mi_QKV_mfma16_kernelI14__hip_bfloat16S0_LN4vllm18Fp8KVCacheDataTypeE0ES0_Li16ELi64ELi256ELb1ELi3EEvPKT_PKT0_S8_ifPKiSA_SA_iPKfiiiPfSD_PS3_PT2_iSC_SC_,"axG",@progbits,_Z39paged_attention_ll4mi_QKV_mfma16_kernelI14__hip_bfloat16S0_LN4vllm18Fp8KVCacheDataTypeE0ES0_Li16ELi64ELi256ELb1ELi3EEvPKT_PKT0_S8_ifPKiSA_SA_iPKfiiiPfSD_PS3_PT2_iSC_SC_,comdat
.Lfunc_end468:
	.size	_Z39paged_attention_ll4mi_QKV_mfma16_kernelI14__hip_bfloat16S0_LN4vllm18Fp8KVCacheDataTypeE0ES0_Li16ELi64ELi256ELb1ELi3EEvPKT_PKT0_S8_ifPKiSA_SA_iPKfiiiPfSD_PS3_PT2_iSC_SC_, .Lfunc_end468-_Z39paged_attention_ll4mi_QKV_mfma16_kernelI14__hip_bfloat16S0_LN4vllm18Fp8KVCacheDataTypeE0ES0_Li16ELi64ELi256ELb1ELi3EEvPKT_PKT0_S8_ifPKiSA_SA_iPKfiiiPfSD_PS3_PT2_iSC_SC_
                                        ; -- End function
	.set _Z39paged_attention_ll4mi_QKV_mfma16_kernelI14__hip_bfloat16S0_LN4vllm18Fp8KVCacheDataTypeE0ES0_Li16ELi64ELi256ELb1ELi3EEvPKT_PKT0_S8_ifPKiSA_SA_iPKfiiiPfSD_PS3_PT2_iSC_SC_.num_vgpr, max(3, .L__assert_fail.num_vgpr)
	.set _Z39paged_attention_ll4mi_QKV_mfma16_kernelI14__hip_bfloat16S0_LN4vllm18Fp8KVCacheDataTypeE0ES0_Li16ELi64ELi256ELb1ELi3EEvPKT_PKT0_S8_ifPKiSA_SA_iPKfiiiPfSD_PS3_PT2_iSC_SC_.num_agpr, max(0, .L__assert_fail.num_agpr)
	.set _Z39paged_attention_ll4mi_QKV_mfma16_kernelI14__hip_bfloat16S0_LN4vllm18Fp8KVCacheDataTypeE0ES0_Li16ELi64ELi256ELb1ELi3EEvPKT_PKT0_S8_ifPKiSA_SA_iPKfiiiPfSD_PS3_PT2_iSC_SC_.numbered_sgpr, max(33, .L__assert_fail.numbered_sgpr)
	.set _Z39paged_attention_ll4mi_QKV_mfma16_kernelI14__hip_bfloat16S0_LN4vllm18Fp8KVCacheDataTypeE0ES0_Li16ELi64ELi256ELb1ELi3EEvPKT_PKT0_S8_ifPKiSA_SA_iPKfiiiPfSD_PS3_PT2_iSC_SC_.num_named_barrier, max(0, .L__assert_fail.num_named_barrier)
	.set _Z39paged_attention_ll4mi_QKV_mfma16_kernelI14__hip_bfloat16S0_LN4vllm18Fp8KVCacheDataTypeE0ES0_Li16ELi64ELi256ELb1ELi3EEvPKT_PKT0_S8_ifPKiSA_SA_iPKfiiiPfSD_PS3_PT2_iSC_SC_.private_seg_size, 0+max(.L__assert_fail.private_seg_size)
	.set _Z39paged_attention_ll4mi_QKV_mfma16_kernelI14__hip_bfloat16S0_LN4vllm18Fp8KVCacheDataTypeE0ES0_Li16ELi64ELi256ELb1ELi3EEvPKT_PKT0_S8_ifPKiSA_SA_iPKfiiiPfSD_PS3_PT2_iSC_SC_.uses_vcc, or(1, .L__assert_fail.uses_vcc)
	.set _Z39paged_attention_ll4mi_QKV_mfma16_kernelI14__hip_bfloat16S0_LN4vllm18Fp8KVCacheDataTypeE0ES0_Li16ELi64ELi256ELb1ELi3EEvPKT_PKT0_S8_ifPKiSA_SA_iPKfiiiPfSD_PS3_PT2_iSC_SC_.uses_flat_scratch, or(0, .L__assert_fail.uses_flat_scratch)
	.set _Z39paged_attention_ll4mi_QKV_mfma16_kernelI14__hip_bfloat16S0_LN4vllm18Fp8KVCacheDataTypeE0ES0_Li16ELi64ELi256ELb1ELi3EEvPKT_PKT0_S8_ifPKiSA_SA_iPKfiiiPfSD_PS3_PT2_iSC_SC_.has_dyn_sized_stack, or(0, .L__assert_fail.has_dyn_sized_stack)
	.set _Z39paged_attention_ll4mi_QKV_mfma16_kernelI14__hip_bfloat16S0_LN4vllm18Fp8KVCacheDataTypeE0ES0_Li16ELi64ELi256ELb1ELi3EEvPKT_PKT0_S8_ifPKiSA_SA_iPKfiiiPfSD_PS3_PT2_iSC_SC_.has_recursion, or(0, .L__assert_fail.has_recursion)
	.set _Z39paged_attention_ll4mi_QKV_mfma16_kernelI14__hip_bfloat16S0_LN4vllm18Fp8KVCacheDataTypeE0ES0_Li16ELi64ELi256ELb1ELi3EEvPKT_PKT0_S8_ifPKiSA_SA_iPKfiiiPfSD_PS3_PT2_iSC_SC_.has_indirect_call, or(0, .L__assert_fail.has_indirect_call)
	.section	.AMDGPU.csdata,"",@progbits
; Kernel info:
; codeLenInByte = 68
; TotalNumSgprs: 36
; NumVgprs: 51
; ScratchSize: 64
; MemoryBound: 0
; FloatMode: 240
; IeeeMode: 1
; LDSByteSize: 0 bytes/workgroup (compile time only)
; SGPRBlocks: 0
; VGPRBlocks: 3
; NumSGPRsForWavesPerEU: 36
; NumVGPRsForWavesPerEU: 51
; NamedBarCnt: 0
; Occupancy: 16
; WaveLimiterHint : 1
; COMPUTE_PGM_RSRC2:SCRATCH_EN: 1
; COMPUTE_PGM_RSRC2:USER_SGPR: 2
; COMPUTE_PGM_RSRC2:TRAP_HANDLER: 0
; COMPUTE_PGM_RSRC2:TGID_X_EN: 1
; COMPUTE_PGM_RSRC2:TGID_Y_EN: 0
; COMPUTE_PGM_RSRC2:TGID_Z_EN: 0
; COMPUTE_PGM_RSRC2:TIDIG_COMP_CNT: 0
	.section	.text._Z39paged_attention_ll4mi_QKV_mfma16_kernelI14__hip_bfloat16S0_LN4vllm18Fp8KVCacheDataTypeE0ES0_Li16ELi64ELi256ELb1ELi4EEvPKT_PKT0_S8_ifPKiSA_SA_iPKfiiiPfSD_PS3_PT2_iSC_SC_,"axG",@progbits,_Z39paged_attention_ll4mi_QKV_mfma16_kernelI14__hip_bfloat16S0_LN4vllm18Fp8KVCacheDataTypeE0ES0_Li16ELi64ELi256ELb1ELi4EEvPKT_PKT0_S8_ifPKiSA_SA_iPKfiiiPfSD_PS3_PT2_iSC_SC_,comdat
	.protected	_Z39paged_attention_ll4mi_QKV_mfma16_kernelI14__hip_bfloat16S0_LN4vllm18Fp8KVCacheDataTypeE0ES0_Li16ELi64ELi256ELb1ELi4EEvPKT_PKT0_S8_ifPKiSA_SA_iPKfiiiPfSD_PS3_PT2_iSC_SC_ ; -- Begin function _Z39paged_attention_ll4mi_QKV_mfma16_kernelI14__hip_bfloat16S0_LN4vllm18Fp8KVCacheDataTypeE0ES0_Li16ELi64ELi256ELb1ELi4EEvPKT_PKT0_S8_ifPKiSA_SA_iPKfiiiPfSD_PS3_PT2_iSC_SC_
	.globl	_Z39paged_attention_ll4mi_QKV_mfma16_kernelI14__hip_bfloat16S0_LN4vllm18Fp8KVCacheDataTypeE0ES0_Li16ELi64ELi256ELb1ELi4EEvPKT_PKT0_S8_ifPKiSA_SA_iPKfiiiPfSD_PS3_PT2_iSC_SC_
	.p2align	8
	.type	_Z39paged_attention_ll4mi_QKV_mfma16_kernelI14__hip_bfloat16S0_LN4vllm18Fp8KVCacheDataTypeE0ES0_Li16ELi64ELi256ELb1ELi4EEvPKT_PKT0_S8_ifPKiSA_SA_iPKfiiiPfSD_PS3_PT2_iSC_SC_,@function
_Z39paged_attention_ll4mi_QKV_mfma16_kernelI14__hip_bfloat16S0_LN4vllm18Fp8KVCacheDataTypeE0ES0_Li16ELi64ELi256ELb1ELi4EEvPKT_PKT0_S8_ifPKiSA_SA_iPKfiiiPfSD_PS3_PT2_iSC_SC_: ; @_Z39paged_attention_ll4mi_QKV_mfma16_kernelI14__hip_bfloat16S0_LN4vllm18Fp8KVCacheDataTypeE0ES0_Li16ELi64ELi256ELb1ELi4EEvPKT_PKT0_S8_ifPKiSA_SA_iPKfiiiPfSD_PS3_PT2_iSC_SC_
; %bb.0:
	s_get_pc_i64 s[2:3]
	s_add_nc_u64 s[2:3], s[2:3], __PRETTY_FUNCTION__._Z39paged_attention_ll4mi_QKV_mfma16_kernelI14__hip_bfloat16S0_LN4vllm18Fp8KVCacheDataTypeE0ES0_Li16ELi64ELi256ELb1ELi4EEvPKT_PKT0_S8_ifPKiSA_SA_iPKfiiiPfSD_PS3_PT2_iSC_SC_@rel64+4
	s_delay_alu instid0(SALU_CYCLE_1)
	v_dual_mov_b32 v0, 0xbb3 :: v_dual_mov_b32 v1, s2
	v_mov_b32_e32 v2, s3
	s_add_nc_u64 s[8:9], s[0:1], 0x90
	s_get_pc_i64 s[0:1]
	s_add_nc_u64 s[0:1], s[0:1], __assert_fail@rel64+4
	s_mov_b32 s32, 0
	s_swap_pc_i64 s[30:31], s[0:1]
	.section	.rodata,"a",@progbits
	.p2align	6, 0x0
	.amdhsa_kernel _Z39paged_attention_ll4mi_QKV_mfma16_kernelI14__hip_bfloat16S0_LN4vllm18Fp8KVCacheDataTypeE0ES0_Li16ELi64ELi256ELb1ELi4EEvPKT_PKT0_S8_ifPKiSA_SA_iPKfiiiPfSD_PS3_PT2_iSC_SC_
		.amdhsa_group_segment_fixed_size 0
		.amdhsa_private_segment_fixed_size 64
		.amdhsa_kernarg_size 400
		.amdhsa_user_sgpr_count 2
		.amdhsa_user_sgpr_dispatch_ptr 0
		.amdhsa_user_sgpr_queue_ptr 0
		.amdhsa_user_sgpr_kernarg_segment_ptr 1
		.amdhsa_user_sgpr_dispatch_id 0
		.amdhsa_user_sgpr_kernarg_preload_length 0
		.amdhsa_user_sgpr_kernarg_preload_offset 0
		.amdhsa_user_sgpr_private_segment_size 0
		.amdhsa_wavefront_size32 1
		.amdhsa_uses_dynamic_stack 0
		.amdhsa_enable_private_segment 1
		.amdhsa_system_sgpr_workgroup_id_x 1
		.amdhsa_system_sgpr_workgroup_id_y 0
		.amdhsa_system_sgpr_workgroup_id_z 0
		.amdhsa_system_sgpr_workgroup_info 0
		.amdhsa_system_vgpr_workitem_id 0
		.amdhsa_next_free_vgpr 51
		.amdhsa_next_free_sgpr 34
		.amdhsa_named_barrier_count 0
		.amdhsa_reserve_vcc 1
		.amdhsa_float_round_mode_32 0
		.amdhsa_float_round_mode_16_64 0
		.amdhsa_float_denorm_mode_32 3
		.amdhsa_float_denorm_mode_16_64 3
		.amdhsa_fp16_overflow 0
		.amdhsa_memory_ordered 1
		.amdhsa_forward_progress 1
		.amdhsa_inst_pref_size 1
		.amdhsa_round_robin_scheduling 0
		.amdhsa_exception_fp_ieee_invalid_op 0
		.amdhsa_exception_fp_denorm_src 0
		.amdhsa_exception_fp_ieee_div_zero 0
		.amdhsa_exception_fp_ieee_overflow 0
		.amdhsa_exception_fp_ieee_underflow 0
		.amdhsa_exception_fp_ieee_inexact 0
		.amdhsa_exception_int_div_zero 0
	.end_amdhsa_kernel
	.section	.text._Z39paged_attention_ll4mi_QKV_mfma16_kernelI14__hip_bfloat16S0_LN4vllm18Fp8KVCacheDataTypeE0ES0_Li16ELi64ELi256ELb1ELi4EEvPKT_PKT0_S8_ifPKiSA_SA_iPKfiiiPfSD_PS3_PT2_iSC_SC_,"axG",@progbits,_Z39paged_attention_ll4mi_QKV_mfma16_kernelI14__hip_bfloat16S0_LN4vllm18Fp8KVCacheDataTypeE0ES0_Li16ELi64ELi256ELb1ELi4EEvPKT_PKT0_S8_ifPKiSA_SA_iPKfiiiPfSD_PS3_PT2_iSC_SC_,comdat
.Lfunc_end469:
	.size	_Z39paged_attention_ll4mi_QKV_mfma16_kernelI14__hip_bfloat16S0_LN4vllm18Fp8KVCacheDataTypeE0ES0_Li16ELi64ELi256ELb1ELi4EEvPKT_PKT0_S8_ifPKiSA_SA_iPKfiiiPfSD_PS3_PT2_iSC_SC_, .Lfunc_end469-_Z39paged_attention_ll4mi_QKV_mfma16_kernelI14__hip_bfloat16S0_LN4vllm18Fp8KVCacheDataTypeE0ES0_Li16ELi64ELi256ELb1ELi4EEvPKT_PKT0_S8_ifPKiSA_SA_iPKfiiiPfSD_PS3_PT2_iSC_SC_
                                        ; -- End function
	.set _Z39paged_attention_ll4mi_QKV_mfma16_kernelI14__hip_bfloat16S0_LN4vllm18Fp8KVCacheDataTypeE0ES0_Li16ELi64ELi256ELb1ELi4EEvPKT_PKT0_S8_ifPKiSA_SA_iPKfiiiPfSD_PS3_PT2_iSC_SC_.num_vgpr, max(3, .L__assert_fail.num_vgpr)
	.set _Z39paged_attention_ll4mi_QKV_mfma16_kernelI14__hip_bfloat16S0_LN4vllm18Fp8KVCacheDataTypeE0ES0_Li16ELi64ELi256ELb1ELi4EEvPKT_PKT0_S8_ifPKiSA_SA_iPKfiiiPfSD_PS3_PT2_iSC_SC_.num_agpr, max(0, .L__assert_fail.num_agpr)
	.set _Z39paged_attention_ll4mi_QKV_mfma16_kernelI14__hip_bfloat16S0_LN4vllm18Fp8KVCacheDataTypeE0ES0_Li16ELi64ELi256ELb1ELi4EEvPKT_PKT0_S8_ifPKiSA_SA_iPKfiiiPfSD_PS3_PT2_iSC_SC_.numbered_sgpr, max(33, .L__assert_fail.numbered_sgpr)
	.set _Z39paged_attention_ll4mi_QKV_mfma16_kernelI14__hip_bfloat16S0_LN4vllm18Fp8KVCacheDataTypeE0ES0_Li16ELi64ELi256ELb1ELi4EEvPKT_PKT0_S8_ifPKiSA_SA_iPKfiiiPfSD_PS3_PT2_iSC_SC_.num_named_barrier, max(0, .L__assert_fail.num_named_barrier)
	.set _Z39paged_attention_ll4mi_QKV_mfma16_kernelI14__hip_bfloat16S0_LN4vllm18Fp8KVCacheDataTypeE0ES0_Li16ELi64ELi256ELb1ELi4EEvPKT_PKT0_S8_ifPKiSA_SA_iPKfiiiPfSD_PS3_PT2_iSC_SC_.private_seg_size, 0+max(.L__assert_fail.private_seg_size)
	.set _Z39paged_attention_ll4mi_QKV_mfma16_kernelI14__hip_bfloat16S0_LN4vllm18Fp8KVCacheDataTypeE0ES0_Li16ELi64ELi256ELb1ELi4EEvPKT_PKT0_S8_ifPKiSA_SA_iPKfiiiPfSD_PS3_PT2_iSC_SC_.uses_vcc, or(1, .L__assert_fail.uses_vcc)
	.set _Z39paged_attention_ll4mi_QKV_mfma16_kernelI14__hip_bfloat16S0_LN4vllm18Fp8KVCacheDataTypeE0ES0_Li16ELi64ELi256ELb1ELi4EEvPKT_PKT0_S8_ifPKiSA_SA_iPKfiiiPfSD_PS3_PT2_iSC_SC_.uses_flat_scratch, or(0, .L__assert_fail.uses_flat_scratch)
	.set _Z39paged_attention_ll4mi_QKV_mfma16_kernelI14__hip_bfloat16S0_LN4vllm18Fp8KVCacheDataTypeE0ES0_Li16ELi64ELi256ELb1ELi4EEvPKT_PKT0_S8_ifPKiSA_SA_iPKfiiiPfSD_PS3_PT2_iSC_SC_.has_dyn_sized_stack, or(0, .L__assert_fail.has_dyn_sized_stack)
	.set _Z39paged_attention_ll4mi_QKV_mfma16_kernelI14__hip_bfloat16S0_LN4vllm18Fp8KVCacheDataTypeE0ES0_Li16ELi64ELi256ELb1ELi4EEvPKT_PKT0_S8_ifPKiSA_SA_iPKfiiiPfSD_PS3_PT2_iSC_SC_.has_recursion, or(0, .L__assert_fail.has_recursion)
	.set _Z39paged_attention_ll4mi_QKV_mfma16_kernelI14__hip_bfloat16S0_LN4vllm18Fp8KVCacheDataTypeE0ES0_Li16ELi64ELi256ELb1ELi4EEvPKT_PKT0_S8_ifPKiSA_SA_iPKfiiiPfSD_PS3_PT2_iSC_SC_.has_indirect_call, or(0, .L__assert_fail.has_indirect_call)
	.section	.AMDGPU.csdata,"",@progbits
; Kernel info:
; codeLenInByte = 68
; TotalNumSgprs: 36
; NumVgprs: 51
; ScratchSize: 64
; MemoryBound: 0
; FloatMode: 240
; IeeeMode: 1
; LDSByteSize: 0 bytes/workgroup (compile time only)
; SGPRBlocks: 0
; VGPRBlocks: 3
; NumSGPRsForWavesPerEU: 36
; NumVGPRsForWavesPerEU: 51
; NamedBarCnt: 0
; Occupancy: 16
; WaveLimiterHint : 1
; COMPUTE_PGM_RSRC2:SCRATCH_EN: 1
; COMPUTE_PGM_RSRC2:USER_SGPR: 2
; COMPUTE_PGM_RSRC2:TRAP_HANDLER: 0
; COMPUTE_PGM_RSRC2:TGID_X_EN: 1
; COMPUTE_PGM_RSRC2:TGID_Y_EN: 0
; COMPUTE_PGM_RSRC2:TGID_Z_EN: 0
; COMPUTE_PGM_RSRC2:TIDIG_COMP_CNT: 0
	.section	.text._Z35paged_attention_ll4mi_reduce_kernelI14__hip_bfloat16S0_Li64ELi64ELi256ELi9EEvPT0_PKfS4_PKT_PKiS9_iS4_,"axG",@progbits,_Z35paged_attention_ll4mi_reduce_kernelI14__hip_bfloat16S0_Li64ELi64ELi256ELi9EEvPT0_PKfS4_PKT_PKiS9_iS4_,comdat
	.protected	_Z35paged_attention_ll4mi_reduce_kernelI14__hip_bfloat16S0_Li64ELi64ELi256ELi9EEvPT0_PKfS4_PKT_PKiS9_iS4_ ; -- Begin function _Z35paged_attention_ll4mi_reduce_kernelI14__hip_bfloat16S0_Li64ELi64ELi256ELi9EEvPT0_PKfS4_PKT_PKiS9_iS4_
	.globl	_Z35paged_attention_ll4mi_reduce_kernelI14__hip_bfloat16S0_Li64ELi64ELi256ELi9EEvPT0_PKfS4_PKT_PKiS9_iS4_
	.p2align	8
	.type	_Z35paged_attention_ll4mi_reduce_kernelI14__hip_bfloat16S0_Li64ELi64ELi256ELi9EEvPT0_PKfS4_PKT_PKiS9_iS4_,@function
_Z35paged_attention_ll4mi_reduce_kernelI14__hip_bfloat16S0_Li64ELi64ELi256ELi9EEvPT0_PKfS4_PKT_PKiS9_iS4_: ; @_Z35paged_attention_ll4mi_reduce_kernelI14__hip_bfloat16S0_Li64ELi64ELi256ELi9EEvPT0_PKfS4_PKT_PKiS9_iS4_
; %bb.0:
	s_get_pc_i64 s[2:3]
	s_add_nc_u64 s[2:3], s[2:3], __PRETTY_FUNCTION__._Z35paged_attention_ll4mi_reduce_kernelI14__hip_bfloat16S0_Li64ELi64ELi256ELi9EEvPT0_PKfS4_PKT_PKiS9_iS4_@rel64+4
	s_delay_alu instid0(SALU_CYCLE_1)
	v_dual_mov_b32 v0, 0xbdd :: v_dual_mov_b32 v1, s2
	v_mov_b32_e32 v2, s3
	s_add_nc_u64 s[8:9], s[0:1], 64
	s_get_pc_i64 s[0:1]
	s_add_nc_u64 s[0:1], s[0:1], __assert_fail@rel64+4
	s_mov_b32 s32, 0
	s_swap_pc_i64 s[30:31], s[0:1]
	.section	.rodata,"a",@progbits
	.p2align	6, 0x0
	.amdhsa_kernel _Z35paged_attention_ll4mi_reduce_kernelI14__hip_bfloat16S0_Li64ELi64ELi256ELi9EEvPT0_PKfS4_PKT_PKiS9_iS4_
		.amdhsa_group_segment_fixed_size 0
		.amdhsa_private_segment_fixed_size 64
		.amdhsa_kernarg_size 320
		.amdhsa_user_sgpr_count 2
		.amdhsa_user_sgpr_dispatch_ptr 0
		.amdhsa_user_sgpr_queue_ptr 0
		.amdhsa_user_sgpr_kernarg_segment_ptr 1
		.amdhsa_user_sgpr_dispatch_id 0
		.amdhsa_user_sgpr_kernarg_preload_length 0
		.amdhsa_user_sgpr_kernarg_preload_offset 0
		.amdhsa_user_sgpr_private_segment_size 0
		.amdhsa_wavefront_size32 1
		.amdhsa_uses_dynamic_stack 0
		.amdhsa_enable_private_segment 1
		.amdhsa_system_sgpr_workgroup_id_x 1
		.amdhsa_system_sgpr_workgroup_id_y 0
		.amdhsa_system_sgpr_workgroup_id_z 0
		.amdhsa_system_sgpr_workgroup_info 0
		.amdhsa_system_vgpr_workitem_id 0
		.amdhsa_next_free_vgpr 51
		.amdhsa_next_free_sgpr 34
		.amdhsa_named_barrier_count 0
		.amdhsa_reserve_vcc 1
		.amdhsa_float_round_mode_32 0
		.amdhsa_float_round_mode_16_64 0
		.amdhsa_float_denorm_mode_32 3
		.amdhsa_float_denorm_mode_16_64 3
		.amdhsa_fp16_overflow 0
		.amdhsa_memory_ordered 1
		.amdhsa_forward_progress 1
		.amdhsa_inst_pref_size 1
		.amdhsa_round_robin_scheduling 0
		.amdhsa_exception_fp_ieee_invalid_op 0
		.amdhsa_exception_fp_denorm_src 0
		.amdhsa_exception_fp_ieee_div_zero 0
		.amdhsa_exception_fp_ieee_overflow 0
		.amdhsa_exception_fp_ieee_underflow 0
		.amdhsa_exception_fp_ieee_inexact 0
		.amdhsa_exception_int_div_zero 0
	.end_amdhsa_kernel
	.section	.text._Z35paged_attention_ll4mi_reduce_kernelI14__hip_bfloat16S0_Li64ELi64ELi256ELi9EEvPT0_PKfS4_PKT_PKiS9_iS4_,"axG",@progbits,_Z35paged_attention_ll4mi_reduce_kernelI14__hip_bfloat16S0_Li64ELi64ELi256ELi9EEvPT0_PKfS4_PKT_PKiS9_iS4_,comdat
.Lfunc_end470:
	.size	_Z35paged_attention_ll4mi_reduce_kernelI14__hip_bfloat16S0_Li64ELi64ELi256ELi9EEvPT0_PKfS4_PKT_PKiS9_iS4_, .Lfunc_end470-_Z35paged_attention_ll4mi_reduce_kernelI14__hip_bfloat16S0_Li64ELi64ELi256ELi9EEvPT0_PKfS4_PKT_PKiS9_iS4_
                                        ; -- End function
	.set _Z35paged_attention_ll4mi_reduce_kernelI14__hip_bfloat16S0_Li64ELi64ELi256ELi9EEvPT0_PKfS4_PKT_PKiS9_iS4_.num_vgpr, max(3, .L__assert_fail.num_vgpr)
	.set _Z35paged_attention_ll4mi_reduce_kernelI14__hip_bfloat16S0_Li64ELi64ELi256ELi9EEvPT0_PKfS4_PKT_PKiS9_iS4_.num_agpr, max(0, .L__assert_fail.num_agpr)
	.set _Z35paged_attention_ll4mi_reduce_kernelI14__hip_bfloat16S0_Li64ELi64ELi256ELi9EEvPT0_PKfS4_PKT_PKiS9_iS4_.numbered_sgpr, max(33, .L__assert_fail.numbered_sgpr)
	.set _Z35paged_attention_ll4mi_reduce_kernelI14__hip_bfloat16S0_Li64ELi64ELi256ELi9EEvPT0_PKfS4_PKT_PKiS9_iS4_.num_named_barrier, max(0, .L__assert_fail.num_named_barrier)
	.set _Z35paged_attention_ll4mi_reduce_kernelI14__hip_bfloat16S0_Li64ELi64ELi256ELi9EEvPT0_PKfS4_PKT_PKiS9_iS4_.private_seg_size, 0+max(.L__assert_fail.private_seg_size)
	.set _Z35paged_attention_ll4mi_reduce_kernelI14__hip_bfloat16S0_Li64ELi64ELi256ELi9EEvPT0_PKfS4_PKT_PKiS9_iS4_.uses_vcc, or(1, .L__assert_fail.uses_vcc)
	.set _Z35paged_attention_ll4mi_reduce_kernelI14__hip_bfloat16S0_Li64ELi64ELi256ELi9EEvPT0_PKfS4_PKT_PKiS9_iS4_.uses_flat_scratch, or(0, .L__assert_fail.uses_flat_scratch)
	.set _Z35paged_attention_ll4mi_reduce_kernelI14__hip_bfloat16S0_Li64ELi64ELi256ELi9EEvPT0_PKfS4_PKT_PKiS9_iS4_.has_dyn_sized_stack, or(0, .L__assert_fail.has_dyn_sized_stack)
	.set _Z35paged_attention_ll4mi_reduce_kernelI14__hip_bfloat16S0_Li64ELi64ELi256ELi9EEvPT0_PKfS4_PKT_PKiS9_iS4_.has_recursion, or(0, .L__assert_fail.has_recursion)
	.set _Z35paged_attention_ll4mi_reduce_kernelI14__hip_bfloat16S0_Li64ELi64ELi256ELi9EEvPT0_PKfS4_PKT_PKiS9_iS4_.has_indirect_call, or(0, .L__assert_fail.has_indirect_call)
	.section	.AMDGPU.csdata,"",@progbits
; Kernel info:
; codeLenInByte = 64
; TotalNumSgprs: 36
; NumVgprs: 51
; ScratchSize: 64
; MemoryBound: 0
; FloatMode: 240
; IeeeMode: 1
; LDSByteSize: 0 bytes/workgroup (compile time only)
; SGPRBlocks: 0
; VGPRBlocks: 3
; NumSGPRsForWavesPerEU: 36
; NumVGPRsForWavesPerEU: 51
; NamedBarCnt: 0
; Occupancy: 16
; WaveLimiterHint : 1
; COMPUTE_PGM_RSRC2:SCRATCH_EN: 1
; COMPUTE_PGM_RSRC2:USER_SGPR: 2
; COMPUTE_PGM_RSRC2:TRAP_HANDLER: 0
; COMPUTE_PGM_RSRC2:TGID_X_EN: 1
; COMPUTE_PGM_RSRC2:TGID_Y_EN: 0
; COMPUTE_PGM_RSRC2:TGID_Z_EN: 0
; COMPUTE_PGM_RSRC2:TIDIG_COMP_CNT: 0
	.section	.text._Z35paged_attention_ll4mi_reduce_kernelI14__hip_bfloat16S0_Li64ELi64ELi256ELi10EEvPT0_PKfS4_PKT_PKiS9_iS4_,"axG",@progbits,_Z35paged_attention_ll4mi_reduce_kernelI14__hip_bfloat16S0_Li64ELi64ELi256ELi10EEvPT0_PKfS4_PKT_PKiS9_iS4_,comdat
	.protected	_Z35paged_attention_ll4mi_reduce_kernelI14__hip_bfloat16S0_Li64ELi64ELi256ELi10EEvPT0_PKfS4_PKT_PKiS9_iS4_ ; -- Begin function _Z35paged_attention_ll4mi_reduce_kernelI14__hip_bfloat16S0_Li64ELi64ELi256ELi10EEvPT0_PKfS4_PKT_PKiS9_iS4_
	.globl	_Z35paged_attention_ll4mi_reduce_kernelI14__hip_bfloat16S0_Li64ELi64ELi256ELi10EEvPT0_PKfS4_PKT_PKiS9_iS4_
	.p2align	8
	.type	_Z35paged_attention_ll4mi_reduce_kernelI14__hip_bfloat16S0_Li64ELi64ELi256ELi10EEvPT0_PKfS4_PKT_PKiS9_iS4_,@function
_Z35paged_attention_ll4mi_reduce_kernelI14__hip_bfloat16S0_Li64ELi64ELi256ELi10EEvPT0_PKfS4_PKT_PKiS9_iS4_: ; @_Z35paged_attention_ll4mi_reduce_kernelI14__hip_bfloat16S0_Li64ELi64ELi256ELi10EEvPT0_PKfS4_PKT_PKiS9_iS4_
; %bb.0:
	s_get_pc_i64 s[2:3]
	s_add_nc_u64 s[2:3], s[2:3], __PRETTY_FUNCTION__._Z35paged_attention_ll4mi_reduce_kernelI14__hip_bfloat16S0_Li64ELi64ELi256ELi10EEvPT0_PKfS4_PKT_PKiS9_iS4_@rel64+4
	s_delay_alu instid0(SALU_CYCLE_1)
	v_dual_mov_b32 v0, 0xbdd :: v_dual_mov_b32 v1, s2
	v_mov_b32_e32 v2, s3
	s_add_nc_u64 s[8:9], s[0:1], 64
	s_get_pc_i64 s[0:1]
	s_add_nc_u64 s[0:1], s[0:1], __assert_fail@rel64+4
	s_mov_b32 s32, 0
	s_swap_pc_i64 s[30:31], s[0:1]
	.section	.rodata,"a",@progbits
	.p2align	6, 0x0
	.amdhsa_kernel _Z35paged_attention_ll4mi_reduce_kernelI14__hip_bfloat16S0_Li64ELi64ELi256ELi10EEvPT0_PKfS4_PKT_PKiS9_iS4_
		.amdhsa_group_segment_fixed_size 0
		.amdhsa_private_segment_fixed_size 64
		.amdhsa_kernarg_size 320
		.amdhsa_user_sgpr_count 2
		.amdhsa_user_sgpr_dispatch_ptr 0
		.amdhsa_user_sgpr_queue_ptr 0
		.amdhsa_user_sgpr_kernarg_segment_ptr 1
		.amdhsa_user_sgpr_dispatch_id 0
		.amdhsa_user_sgpr_kernarg_preload_length 0
		.amdhsa_user_sgpr_kernarg_preload_offset 0
		.amdhsa_user_sgpr_private_segment_size 0
		.amdhsa_wavefront_size32 1
		.amdhsa_uses_dynamic_stack 0
		.amdhsa_enable_private_segment 1
		.amdhsa_system_sgpr_workgroup_id_x 1
		.amdhsa_system_sgpr_workgroup_id_y 0
		.amdhsa_system_sgpr_workgroup_id_z 0
		.amdhsa_system_sgpr_workgroup_info 0
		.amdhsa_system_vgpr_workitem_id 0
		.amdhsa_next_free_vgpr 51
		.amdhsa_next_free_sgpr 34
		.amdhsa_named_barrier_count 0
		.amdhsa_reserve_vcc 1
		.amdhsa_float_round_mode_32 0
		.amdhsa_float_round_mode_16_64 0
		.amdhsa_float_denorm_mode_32 3
		.amdhsa_float_denorm_mode_16_64 3
		.amdhsa_fp16_overflow 0
		.amdhsa_memory_ordered 1
		.amdhsa_forward_progress 1
		.amdhsa_inst_pref_size 1
		.amdhsa_round_robin_scheduling 0
		.amdhsa_exception_fp_ieee_invalid_op 0
		.amdhsa_exception_fp_denorm_src 0
		.amdhsa_exception_fp_ieee_div_zero 0
		.amdhsa_exception_fp_ieee_overflow 0
		.amdhsa_exception_fp_ieee_underflow 0
		.amdhsa_exception_fp_ieee_inexact 0
		.amdhsa_exception_int_div_zero 0
	.end_amdhsa_kernel
	.section	.text._Z35paged_attention_ll4mi_reduce_kernelI14__hip_bfloat16S0_Li64ELi64ELi256ELi10EEvPT0_PKfS4_PKT_PKiS9_iS4_,"axG",@progbits,_Z35paged_attention_ll4mi_reduce_kernelI14__hip_bfloat16S0_Li64ELi64ELi256ELi10EEvPT0_PKfS4_PKT_PKiS9_iS4_,comdat
.Lfunc_end471:
	.size	_Z35paged_attention_ll4mi_reduce_kernelI14__hip_bfloat16S0_Li64ELi64ELi256ELi10EEvPT0_PKfS4_PKT_PKiS9_iS4_, .Lfunc_end471-_Z35paged_attention_ll4mi_reduce_kernelI14__hip_bfloat16S0_Li64ELi64ELi256ELi10EEvPT0_PKfS4_PKT_PKiS9_iS4_
                                        ; -- End function
	.set _Z35paged_attention_ll4mi_reduce_kernelI14__hip_bfloat16S0_Li64ELi64ELi256ELi10EEvPT0_PKfS4_PKT_PKiS9_iS4_.num_vgpr, max(3, .L__assert_fail.num_vgpr)
	.set _Z35paged_attention_ll4mi_reduce_kernelI14__hip_bfloat16S0_Li64ELi64ELi256ELi10EEvPT0_PKfS4_PKT_PKiS9_iS4_.num_agpr, max(0, .L__assert_fail.num_agpr)
	.set _Z35paged_attention_ll4mi_reduce_kernelI14__hip_bfloat16S0_Li64ELi64ELi256ELi10EEvPT0_PKfS4_PKT_PKiS9_iS4_.numbered_sgpr, max(33, .L__assert_fail.numbered_sgpr)
	.set _Z35paged_attention_ll4mi_reduce_kernelI14__hip_bfloat16S0_Li64ELi64ELi256ELi10EEvPT0_PKfS4_PKT_PKiS9_iS4_.num_named_barrier, max(0, .L__assert_fail.num_named_barrier)
	.set _Z35paged_attention_ll4mi_reduce_kernelI14__hip_bfloat16S0_Li64ELi64ELi256ELi10EEvPT0_PKfS4_PKT_PKiS9_iS4_.private_seg_size, 0+max(.L__assert_fail.private_seg_size)
	.set _Z35paged_attention_ll4mi_reduce_kernelI14__hip_bfloat16S0_Li64ELi64ELi256ELi10EEvPT0_PKfS4_PKT_PKiS9_iS4_.uses_vcc, or(1, .L__assert_fail.uses_vcc)
	.set _Z35paged_attention_ll4mi_reduce_kernelI14__hip_bfloat16S0_Li64ELi64ELi256ELi10EEvPT0_PKfS4_PKT_PKiS9_iS4_.uses_flat_scratch, or(0, .L__assert_fail.uses_flat_scratch)
	.set _Z35paged_attention_ll4mi_reduce_kernelI14__hip_bfloat16S0_Li64ELi64ELi256ELi10EEvPT0_PKfS4_PKT_PKiS9_iS4_.has_dyn_sized_stack, or(0, .L__assert_fail.has_dyn_sized_stack)
	.set _Z35paged_attention_ll4mi_reduce_kernelI14__hip_bfloat16S0_Li64ELi64ELi256ELi10EEvPT0_PKfS4_PKT_PKiS9_iS4_.has_recursion, or(0, .L__assert_fail.has_recursion)
	.set _Z35paged_attention_ll4mi_reduce_kernelI14__hip_bfloat16S0_Li64ELi64ELi256ELi10EEvPT0_PKfS4_PKT_PKiS9_iS4_.has_indirect_call, or(0, .L__assert_fail.has_indirect_call)
	.section	.AMDGPU.csdata,"",@progbits
; Kernel info:
; codeLenInByte = 64
; TotalNumSgprs: 36
; NumVgprs: 51
; ScratchSize: 64
; MemoryBound: 0
; FloatMode: 240
; IeeeMode: 1
; LDSByteSize: 0 bytes/workgroup (compile time only)
; SGPRBlocks: 0
; VGPRBlocks: 3
; NumSGPRsForWavesPerEU: 36
; NumVGPRsForWavesPerEU: 51
; NamedBarCnt: 0
; Occupancy: 16
; WaveLimiterHint : 1
; COMPUTE_PGM_RSRC2:SCRATCH_EN: 1
; COMPUTE_PGM_RSRC2:USER_SGPR: 2
; COMPUTE_PGM_RSRC2:TRAP_HANDLER: 0
; COMPUTE_PGM_RSRC2:TGID_X_EN: 1
; COMPUTE_PGM_RSRC2:TGID_Y_EN: 0
; COMPUTE_PGM_RSRC2:TGID_Z_EN: 0
; COMPUTE_PGM_RSRC2:TIDIG_COMP_CNT: 0
	.section	.text._Z35paged_attention_ll4mi_reduce_kernelI14__hip_bfloat16S0_Li64ELi64ELi256ELi11EEvPT0_PKfS4_PKT_PKiS9_iS4_,"axG",@progbits,_Z35paged_attention_ll4mi_reduce_kernelI14__hip_bfloat16S0_Li64ELi64ELi256ELi11EEvPT0_PKfS4_PKT_PKiS9_iS4_,comdat
	.protected	_Z35paged_attention_ll4mi_reduce_kernelI14__hip_bfloat16S0_Li64ELi64ELi256ELi11EEvPT0_PKfS4_PKT_PKiS9_iS4_ ; -- Begin function _Z35paged_attention_ll4mi_reduce_kernelI14__hip_bfloat16S0_Li64ELi64ELi256ELi11EEvPT0_PKfS4_PKT_PKiS9_iS4_
	.globl	_Z35paged_attention_ll4mi_reduce_kernelI14__hip_bfloat16S0_Li64ELi64ELi256ELi11EEvPT0_PKfS4_PKT_PKiS9_iS4_
	.p2align	8
	.type	_Z35paged_attention_ll4mi_reduce_kernelI14__hip_bfloat16S0_Li64ELi64ELi256ELi11EEvPT0_PKfS4_PKT_PKiS9_iS4_,@function
_Z35paged_attention_ll4mi_reduce_kernelI14__hip_bfloat16S0_Li64ELi64ELi256ELi11EEvPT0_PKfS4_PKT_PKiS9_iS4_: ; @_Z35paged_attention_ll4mi_reduce_kernelI14__hip_bfloat16S0_Li64ELi64ELi256ELi11EEvPT0_PKfS4_PKT_PKiS9_iS4_
; %bb.0:
	s_get_pc_i64 s[2:3]
	s_add_nc_u64 s[2:3], s[2:3], __PRETTY_FUNCTION__._Z35paged_attention_ll4mi_reduce_kernelI14__hip_bfloat16S0_Li64ELi64ELi256ELi11EEvPT0_PKfS4_PKT_PKiS9_iS4_@rel64+4
	s_delay_alu instid0(SALU_CYCLE_1)
	v_dual_mov_b32 v0, 0xbdd :: v_dual_mov_b32 v1, s2
	v_mov_b32_e32 v2, s3
	s_add_nc_u64 s[8:9], s[0:1], 64
	s_get_pc_i64 s[0:1]
	s_add_nc_u64 s[0:1], s[0:1], __assert_fail@rel64+4
	s_mov_b32 s32, 0
	s_swap_pc_i64 s[30:31], s[0:1]
	.section	.rodata,"a",@progbits
	.p2align	6, 0x0
	.amdhsa_kernel _Z35paged_attention_ll4mi_reduce_kernelI14__hip_bfloat16S0_Li64ELi64ELi256ELi11EEvPT0_PKfS4_PKT_PKiS9_iS4_
		.amdhsa_group_segment_fixed_size 0
		.amdhsa_private_segment_fixed_size 64
		.amdhsa_kernarg_size 320
		.amdhsa_user_sgpr_count 2
		.amdhsa_user_sgpr_dispatch_ptr 0
		.amdhsa_user_sgpr_queue_ptr 0
		.amdhsa_user_sgpr_kernarg_segment_ptr 1
		.amdhsa_user_sgpr_dispatch_id 0
		.amdhsa_user_sgpr_kernarg_preload_length 0
		.amdhsa_user_sgpr_kernarg_preload_offset 0
		.amdhsa_user_sgpr_private_segment_size 0
		.amdhsa_wavefront_size32 1
		.amdhsa_uses_dynamic_stack 0
		.amdhsa_enable_private_segment 1
		.amdhsa_system_sgpr_workgroup_id_x 1
		.amdhsa_system_sgpr_workgroup_id_y 0
		.amdhsa_system_sgpr_workgroup_id_z 0
		.amdhsa_system_sgpr_workgroup_info 0
		.amdhsa_system_vgpr_workitem_id 0
		.amdhsa_next_free_vgpr 51
		.amdhsa_next_free_sgpr 34
		.amdhsa_named_barrier_count 0
		.amdhsa_reserve_vcc 1
		.amdhsa_float_round_mode_32 0
		.amdhsa_float_round_mode_16_64 0
		.amdhsa_float_denorm_mode_32 3
		.amdhsa_float_denorm_mode_16_64 3
		.amdhsa_fp16_overflow 0
		.amdhsa_memory_ordered 1
		.amdhsa_forward_progress 1
		.amdhsa_inst_pref_size 1
		.amdhsa_round_robin_scheduling 0
		.amdhsa_exception_fp_ieee_invalid_op 0
		.amdhsa_exception_fp_denorm_src 0
		.amdhsa_exception_fp_ieee_div_zero 0
		.amdhsa_exception_fp_ieee_overflow 0
		.amdhsa_exception_fp_ieee_underflow 0
		.amdhsa_exception_fp_ieee_inexact 0
		.amdhsa_exception_int_div_zero 0
	.end_amdhsa_kernel
	.section	.text._Z35paged_attention_ll4mi_reduce_kernelI14__hip_bfloat16S0_Li64ELi64ELi256ELi11EEvPT0_PKfS4_PKT_PKiS9_iS4_,"axG",@progbits,_Z35paged_attention_ll4mi_reduce_kernelI14__hip_bfloat16S0_Li64ELi64ELi256ELi11EEvPT0_PKfS4_PKT_PKiS9_iS4_,comdat
.Lfunc_end472:
	.size	_Z35paged_attention_ll4mi_reduce_kernelI14__hip_bfloat16S0_Li64ELi64ELi256ELi11EEvPT0_PKfS4_PKT_PKiS9_iS4_, .Lfunc_end472-_Z35paged_attention_ll4mi_reduce_kernelI14__hip_bfloat16S0_Li64ELi64ELi256ELi11EEvPT0_PKfS4_PKT_PKiS9_iS4_
                                        ; -- End function
	.set _Z35paged_attention_ll4mi_reduce_kernelI14__hip_bfloat16S0_Li64ELi64ELi256ELi11EEvPT0_PKfS4_PKT_PKiS9_iS4_.num_vgpr, max(3, .L__assert_fail.num_vgpr)
	.set _Z35paged_attention_ll4mi_reduce_kernelI14__hip_bfloat16S0_Li64ELi64ELi256ELi11EEvPT0_PKfS4_PKT_PKiS9_iS4_.num_agpr, max(0, .L__assert_fail.num_agpr)
	.set _Z35paged_attention_ll4mi_reduce_kernelI14__hip_bfloat16S0_Li64ELi64ELi256ELi11EEvPT0_PKfS4_PKT_PKiS9_iS4_.numbered_sgpr, max(33, .L__assert_fail.numbered_sgpr)
	.set _Z35paged_attention_ll4mi_reduce_kernelI14__hip_bfloat16S0_Li64ELi64ELi256ELi11EEvPT0_PKfS4_PKT_PKiS9_iS4_.num_named_barrier, max(0, .L__assert_fail.num_named_barrier)
	.set _Z35paged_attention_ll4mi_reduce_kernelI14__hip_bfloat16S0_Li64ELi64ELi256ELi11EEvPT0_PKfS4_PKT_PKiS9_iS4_.private_seg_size, 0+max(.L__assert_fail.private_seg_size)
	.set _Z35paged_attention_ll4mi_reduce_kernelI14__hip_bfloat16S0_Li64ELi64ELi256ELi11EEvPT0_PKfS4_PKT_PKiS9_iS4_.uses_vcc, or(1, .L__assert_fail.uses_vcc)
	.set _Z35paged_attention_ll4mi_reduce_kernelI14__hip_bfloat16S0_Li64ELi64ELi256ELi11EEvPT0_PKfS4_PKT_PKiS9_iS4_.uses_flat_scratch, or(0, .L__assert_fail.uses_flat_scratch)
	.set _Z35paged_attention_ll4mi_reduce_kernelI14__hip_bfloat16S0_Li64ELi64ELi256ELi11EEvPT0_PKfS4_PKT_PKiS9_iS4_.has_dyn_sized_stack, or(0, .L__assert_fail.has_dyn_sized_stack)
	.set _Z35paged_attention_ll4mi_reduce_kernelI14__hip_bfloat16S0_Li64ELi64ELi256ELi11EEvPT0_PKfS4_PKT_PKiS9_iS4_.has_recursion, or(0, .L__assert_fail.has_recursion)
	.set _Z35paged_attention_ll4mi_reduce_kernelI14__hip_bfloat16S0_Li64ELi64ELi256ELi11EEvPT0_PKfS4_PKT_PKiS9_iS4_.has_indirect_call, or(0, .L__assert_fail.has_indirect_call)
	.section	.AMDGPU.csdata,"",@progbits
; Kernel info:
; codeLenInByte = 64
; TotalNumSgprs: 36
; NumVgprs: 51
; ScratchSize: 64
; MemoryBound: 0
; FloatMode: 240
; IeeeMode: 1
; LDSByteSize: 0 bytes/workgroup (compile time only)
; SGPRBlocks: 0
; VGPRBlocks: 3
; NumSGPRsForWavesPerEU: 36
; NumVGPRsForWavesPerEU: 51
; NamedBarCnt: 0
; Occupancy: 16
; WaveLimiterHint : 1
; COMPUTE_PGM_RSRC2:SCRATCH_EN: 1
; COMPUTE_PGM_RSRC2:USER_SGPR: 2
; COMPUTE_PGM_RSRC2:TRAP_HANDLER: 0
; COMPUTE_PGM_RSRC2:TGID_X_EN: 1
; COMPUTE_PGM_RSRC2:TGID_Y_EN: 0
; COMPUTE_PGM_RSRC2:TGID_Z_EN: 0
; COMPUTE_PGM_RSRC2:TIDIG_COMP_CNT: 0
	.section	.text._Z35paged_attention_ll4mi_reduce_kernelI14__hip_bfloat16S0_Li64ELi64ELi256ELi12EEvPT0_PKfS4_PKT_PKiS9_iS4_,"axG",@progbits,_Z35paged_attention_ll4mi_reduce_kernelI14__hip_bfloat16S0_Li64ELi64ELi256ELi12EEvPT0_PKfS4_PKT_PKiS9_iS4_,comdat
	.protected	_Z35paged_attention_ll4mi_reduce_kernelI14__hip_bfloat16S0_Li64ELi64ELi256ELi12EEvPT0_PKfS4_PKT_PKiS9_iS4_ ; -- Begin function _Z35paged_attention_ll4mi_reduce_kernelI14__hip_bfloat16S0_Li64ELi64ELi256ELi12EEvPT0_PKfS4_PKT_PKiS9_iS4_
	.globl	_Z35paged_attention_ll4mi_reduce_kernelI14__hip_bfloat16S0_Li64ELi64ELi256ELi12EEvPT0_PKfS4_PKT_PKiS9_iS4_
	.p2align	8
	.type	_Z35paged_attention_ll4mi_reduce_kernelI14__hip_bfloat16S0_Li64ELi64ELi256ELi12EEvPT0_PKfS4_PKT_PKiS9_iS4_,@function
_Z35paged_attention_ll4mi_reduce_kernelI14__hip_bfloat16S0_Li64ELi64ELi256ELi12EEvPT0_PKfS4_PKT_PKiS9_iS4_: ; @_Z35paged_attention_ll4mi_reduce_kernelI14__hip_bfloat16S0_Li64ELi64ELi256ELi12EEvPT0_PKfS4_PKT_PKiS9_iS4_
; %bb.0:
	s_get_pc_i64 s[2:3]
	s_add_nc_u64 s[2:3], s[2:3], __PRETTY_FUNCTION__._Z35paged_attention_ll4mi_reduce_kernelI14__hip_bfloat16S0_Li64ELi64ELi256ELi12EEvPT0_PKfS4_PKT_PKiS9_iS4_@rel64+4
	s_delay_alu instid0(SALU_CYCLE_1)
	v_dual_mov_b32 v0, 0xbdd :: v_dual_mov_b32 v1, s2
	v_mov_b32_e32 v2, s3
	s_add_nc_u64 s[8:9], s[0:1], 64
	s_get_pc_i64 s[0:1]
	s_add_nc_u64 s[0:1], s[0:1], __assert_fail@rel64+4
	s_mov_b32 s32, 0
	s_swap_pc_i64 s[30:31], s[0:1]
	.section	.rodata,"a",@progbits
	.p2align	6, 0x0
	.amdhsa_kernel _Z35paged_attention_ll4mi_reduce_kernelI14__hip_bfloat16S0_Li64ELi64ELi256ELi12EEvPT0_PKfS4_PKT_PKiS9_iS4_
		.amdhsa_group_segment_fixed_size 0
		.amdhsa_private_segment_fixed_size 64
		.amdhsa_kernarg_size 320
		.amdhsa_user_sgpr_count 2
		.amdhsa_user_sgpr_dispatch_ptr 0
		.amdhsa_user_sgpr_queue_ptr 0
		.amdhsa_user_sgpr_kernarg_segment_ptr 1
		.amdhsa_user_sgpr_dispatch_id 0
		.amdhsa_user_sgpr_kernarg_preload_length 0
		.amdhsa_user_sgpr_kernarg_preload_offset 0
		.amdhsa_user_sgpr_private_segment_size 0
		.amdhsa_wavefront_size32 1
		.amdhsa_uses_dynamic_stack 0
		.amdhsa_enable_private_segment 1
		.amdhsa_system_sgpr_workgroup_id_x 1
		.amdhsa_system_sgpr_workgroup_id_y 0
		.amdhsa_system_sgpr_workgroup_id_z 0
		.amdhsa_system_sgpr_workgroup_info 0
		.amdhsa_system_vgpr_workitem_id 0
		.amdhsa_next_free_vgpr 51
		.amdhsa_next_free_sgpr 34
		.amdhsa_named_barrier_count 0
		.amdhsa_reserve_vcc 1
		.amdhsa_float_round_mode_32 0
		.amdhsa_float_round_mode_16_64 0
		.amdhsa_float_denorm_mode_32 3
		.amdhsa_float_denorm_mode_16_64 3
		.amdhsa_fp16_overflow 0
		.amdhsa_memory_ordered 1
		.amdhsa_forward_progress 1
		.amdhsa_inst_pref_size 1
		.amdhsa_round_robin_scheduling 0
		.amdhsa_exception_fp_ieee_invalid_op 0
		.amdhsa_exception_fp_denorm_src 0
		.amdhsa_exception_fp_ieee_div_zero 0
		.amdhsa_exception_fp_ieee_overflow 0
		.amdhsa_exception_fp_ieee_underflow 0
		.amdhsa_exception_fp_ieee_inexact 0
		.amdhsa_exception_int_div_zero 0
	.end_amdhsa_kernel
	.section	.text._Z35paged_attention_ll4mi_reduce_kernelI14__hip_bfloat16S0_Li64ELi64ELi256ELi12EEvPT0_PKfS4_PKT_PKiS9_iS4_,"axG",@progbits,_Z35paged_attention_ll4mi_reduce_kernelI14__hip_bfloat16S0_Li64ELi64ELi256ELi12EEvPT0_PKfS4_PKT_PKiS9_iS4_,comdat
.Lfunc_end473:
	.size	_Z35paged_attention_ll4mi_reduce_kernelI14__hip_bfloat16S0_Li64ELi64ELi256ELi12EEvPT0_PKfS4_PKT_PKiS9_iS4_, .Lfunc_end473-_Z35paged_attention_ll4mi_reduce_kernelI14__hip_bfloat16S0_Li64ELi64ELi256ELi12EEvPT0_PKfS4_PKT_PKiS9_iS4_
                                        ; -- End function
	.set _Z35paged_attention_ll4mi_reduce_kernelI14__hip_bfloat16S0_Li64ELi64ELi256ELi12EEvPT0_PKfS4_PKT_PKiS9_iS4_.num_vgpr, max(3, .L__assert_fail.num_vgpr)
	.set _Z35paged_attention_ll4mi_reduce_kernelI14__hip_bfloat16S0_Li64ELi64ELi256ELi12EEvPT0_PKfS4_PKT_PKiS9_iS4_.num_agpr, max(0, .L__assert_fail.num_agpr)
	.set _Z35paged_attention_ll4mi_reduce_kernelI14__hip_bfloat16S0_Li64ELi64ELi256ELi12EEvPT0_PKfS4_PKT_PKiS9_iS4_.numbered_sgpr, max(33, .L__assert_fail.numbered_sgpr)
	.set _Z35paged_attention_ll4mi_reduce_kernelI14__hip_bfloat16S0_Li64ELi64ELi256ELi12EEvPT0_PKfS4_PKT_PKiS9_iS4_.num_named_barrier, max(0, .L__assert_fail.num_named_barrier)
	.set _Z35paged_attention_ll4mi_reduce_kernelI14__hip_bfloat16S0_Li64ELi64ELi256ELi12EEvPT0_PKfS4_PKT_PKiS9_iS4_.private_seg_size, 0+max(.L__assert_fail.private_seg_size)
	.set _Z35paged_attention_ll4mi_reduce_kernelI14__hip_bfloat16S0_Li64ELi64ELi256ELi12EEvPT0_PKfS4_PKT_PKiS9_iS4_.uses_vcc, or(1, .L__assert_fail.uses_vcc)
	.set _Z35paged_attention_ll4mi_reduce_kernelI14__hip_bfloat16S0_Li64ELi64ELi256ELi12EEvPT0_PKfS4_PKT_PKiS9_iS4_.uses_flat_scratch, or(0, .L__assert_fail.uses_flat_scratch)
	.set _Z35paged_attention_ll4mi_reduce_kernelI14__hip_bfloat16S0_Li64ELi64ELi256ELi12EEvPT0_PKfS4_PKT_PKiS9_iS4_.has_dyn_sized_stack, or(0, .L__assert_fail.has_dyn_sized_stack)
	.set _Z35paged_attention_ll4mi_reduce_kernelI14__hip_bfloat16S0_Li64ELi64ELi256ELi12EEvPT0_PKfS4_PKT_PKiS9_iS4_.has_recursion, or(0, .L__assert_fail.has_recursion)
	.set _Z35paged_attention_ll4mi_reduce_kernelI14__hip_bfloat16S0_Li64ELi64ELi256ELi12EEvPT0_PKfS4_PKT_PKiS9_iS4_.has_indirect_call, or(0, .L__assert_fail.has_indirect_call)
	.section	.AMDGPU.csdata,"",@progbits
; Kernel info:
; codeLenInByte = 64
; TotalNumSgprs: 36
; NumVgprs: 51
; ScratchSize: 64
; MemoryBound: 0
; FloatMode: 240
; IeeeMode: 1
; LDSByteSize: 0 bytes/workgroup (compile time only)
; SGPRBlocks: 0
; VGPRBlocks: 3
; NumSGPRsForWavesPerEU: 36
; NumVGPRsForWavesPerEU: 51
; NamedBarCnt: 0
; Occupancy: 16
; WaveLimiterHint : 1
; COMPUTE_PGM_RSRC2:SCRATCH_EN: 1
; COMPUTE_PGM_RSRC2:USER_SGPR: 2
; COMPUTE_PGM_RSRC2:TRAP_HANDLER: 0
; COMPUTE_PGM_RSRC2:TGID_X_EN: 1
; COMPUTE_PGM_RSRC2:TGID_Y_EN: 0
; COMPUTE_PGM_RSRC2:TGID_Z_EN: 0
; COMPUTE_PGM_RSRC2:TIDIG_COMP_CNT: 0
	.section	.text._Z35paged_attention_ll4mi_reduce_kernelI14__hip_bfloat16S0_Li64ELi64ELi256ELi13EEvPT0_PKfS4_PKT_PKiS9_iS4_,"axG",@progbits,_Z35paged_attention_ll4mi_reduce_kernelI14__hip_bfloat16S0_Li64ELi64ELi256ELi13EEvPT0_PKfS4_PKT_PKiS9_iS4_,comdat
	.protected	_Z35paged_attention_ll4mi_reduce_kernelI14__hip_bfloat16S0_Li64ELi64ELi256ELi13EEvPT0_PKfS4_PKT_PKiS9_iS4_ ; -- Begin function _Z35paged_attention_ll4mi_reduce_kernelI14__hip_bfloat16S0_Li64ELi64ELi256ELi13EEvPT0_PKfS4_PKT_PKiS9_iS4_
	.globl	_Z35paged_attention_ll4mi_reduce_kernelI14__hip_bfloat16S0_Li64ELi64ELi256ELi13EEvPT0_PKfS4_PKT_PKiS9_iS4_
	.p2align	8
	.type	_Z35paged_attention_ll4mi_reduce_kernelI14__hip_bfloat16S0_Li64ELi64ELi256ELi13EEvPT0_PKfS4_PKT_PKiS9_iS4_,@function
_Z35paged_attention_ll4mi_reduce_kernelI14__hip_bfloat16S0_Li64ELi64ELi256ELi13EEvPT0_PKfS4_PKT_PKiS9_iS4_: ; @_Z35paged_attention_ll4mi_reduce_kernelI14__hip_bfloat16S0_Li64ELi64ELi256ELi13EEvPT0_PKfS4_PKT_PKiS9_iS4_
; %bb.0:
	s_get_pc_i64 s[2:3]
	s_add_nc_u64 s[2:3], s[2:3], __PRETTY_FUNCTION__._Z35paged_attention_ll4mi_reduce_kernelI14__hip_bfloat16S0_Li64ELi64ELi256ELi13EEvPT0_PKfS4_PKT_PKiS9_iS4_@rel64+4
	s_delay_alu instid0(SALU_CYCLE_1)
	v_dual_mov_b32 v0, 0xbdd :: v_dual_mov_b32 v1, s2
	v_mov_b32_e32 v2, s3
	s_add_nc_u64 s[8:9], s[0:1], 64
	s_get_pc_i64 s[0:1]
	s_add_nc_u64 s[0:1], s[0:1], __assert_fail@rel64+4
	s_mov_b32 s32, 0
	s_swap_pc_i64 s[30:31], s[0:1]
	.section	.rodata,"a",@progbits
	.p2align	6, 0x0
	.amdhsa_kernel _Z35paged_attention_ll4mi_reduce_kernelI14__hip_bfloat16S0_Li64ELi64ELi256ELi13EEvPT0_PKfS4_PKT_PKiS9_iS4_
		.amdhsa_group_segment_fixed_size 0
		.amdhsa_private_segment_fixed_size 64
		.amdhsa_kernarg_size 320
		.amdhsa_user_sgpr_count 2
		.amdhsa_user_sgpr_dispatch_ptr 0
		.amdhsa_user_sgpr_queue_ptr 0
		.amdhsa_user_sgpr_kernarg_segment_ptr 1
		.amdhsa_user_sgpr_dispatch_id 0
		.amdhsa_user_sgpr_kernarg_preload_length 0
		.amdhsa_user_sgpr_kernarg_preload_offset 0
		.amdhsa_user_sgpr_private_segment_size 0
		.amdhsa_wavefront_size32 1
		.amdhsa_uses_dynamic_stack 0
		.amdhsa_enable_private_segment 1
		.amdhsa_system_sgpr_workgroup_id_x 1
		.amdhsa_system_sgpr_workgroup_id_y 0
		.amdhsa_system_sgpr_workgroup_id_z 0
		.amdhsa_system_sgpr_workgroup_info 0
		.amdhsa_system_vgpr_workitem_id 0
		.amdhsa_next_free_vgpr 51
		.amdhsa_next_free_sgpr 34
		.amdhsa_named_barrier_count 0
		.amdhsa_reserve_vcc 1
		.amdhsa_float_round_mode_32 0
		.amdhsa_float_round_mode_16_64 0
		.amdhsa_float_denorm_mode_32 3
		.amdhsa_float_denorm_mode_16_64 3
		.amdhsa_fp16_overflow 0
		.amdhsa_memory_ordered 1
		.amdhsa_forward_progress 1
		.amdhsa_inst_pref_size 1
		.amdhsa_round_robin_scheduling 0
		.amdhsa_exception_fp_ieee_invalid_op 0
		.amdhsa_exception_fp_denorm_src 0
		.amdhsa_exception_fp_ieee_div_zero 0
		.amdhsa_exception_fp_ieee_overflow 0
		.amdhsa_exception_fp_ieee_underflow 0
		.amdhsa_exception_fp_ieee_inexact 0
		.amdhsa_exception_int_div_zero 0
	.end_amdhsa_kernel
	.section	.text._Z35paged_attention_ll4mi_reduce_kernelI14__hip_bfloat16S0_Li64ELi64ELi256ELi13EEvPT0_PKfS4_PKT_PKiS9_iS4_,"axG",@progbits,_Z35paged_attention_ll4mi_reduce_kernelI14__hip_bfloat16S0_Li64ELi64ELi256ELi13EEvPT0_PKfS4_PKT_PKiS9_iS4_,comdat
.Lfunc_end474:
	.size	_Z35paged_attention_ll4mi_reduce_kernelI14__hip_bfloat16S0_Li64ELi64ELi256ELi13EEvPT0_PKfS4_PKT_PKiS9_iS4_, .Lfunc_end474-_Z35paged_attention_ll4mi_reduce_kernelI14__hip_bfloat16S0_Li64ELi64ELi256ELi13EEvPT0_PKfS4_PKT_PKiS9_iS4_
                                        ; -- End function
	.set _Z35paged_attention_ll4mi_reduce_kernelI14__hip_bfloat16S0_Li64ELi64ELi256ELi13EEvPT0_PKfS4_PKT_PKiS9_iS4_.num_vgpr, max(3, .L__assert_fail.num_vgpr)
	.set _Z35paged_attention_ll4mi_reduce_kernelI14__hip_bfloat16S0_Li64ELi64ELi256ELi13EEvPT0_PKfS4_PKT_PKiS9_iS4_.num_agpr, max(0, .L__assert_fail.num_agpr)
	.set _Z35paged_attention_ll4mi_reduce_kernelI14__hip_bfloat16S0_Li64ELi64ELi256ELi13EEvPT0_PKfS4_PKT_PKiS9_iS4_.numbered_sgpr, max(33, .L__assert_fail.numbered_sgpr)
	.set _Z35paged_attention_ll4mi_reduce_kernelI14__hip_bfloat16S0_Li64ELi64ELi256ELi13EEvPT0_PKfS4_PKT_PKiS9_iS4_.num_named_barrier, max(0, .L__assert_fail.num_named_barrier)
	.set _Z35paged_attention_ll4mi_reduce_kernelI14__hip_bfloat16S0_Li64ELi64ELi256ELi13EEvPT0_PKfS4_PKT_PKiS9_iS4_.private_seg_size, 0+max(.L__assert_fail.private_seg_size)
	.set _Z35paged_attention_ll4mi_reduce_kernelI14__hip_bfloat16S0_Li64ELi64ELi256ELi13EEvPT0_PKfS4_PKT_PKiS9_iS4_.uses_vcc, or(1, .L__assert_fail.uses_vcc)
	.set _Z35paged_attention_ll4mi_reduce_kernelI14__hip_bfloat16S0_Li64ELi64ELi256ELi13EEvPT0_PKfS4_PKT_PKiS9_iS4_.uses_flat_scratch, or(0, .L__assert_fail.uses_flat_scratch)
	.set _Z35paged_attention_ll4mi_reduce_kernelI14__hip_bfloat16S0_Li64ELi64ELi256ELi13EEvPT0_PKfS4_PKT_PKiS9_iS4_.has_dyn_sized_stack, or(0, .L__assert_fail.has_dyn_sized_stack)
	.set _Z35paged_attention_ll4mi_reduce_kernelI14__hip_bfloat16S0_Li64ELi64ELi256ELi13EEvPT0_PKfS4_PKT_PKiS9_iS4_.has_recursion, or(0, .L__assert_fail.has_recursion)
	.set _Z35paged_attention_ll4mi_reduce_kernelI14__hip_bfloat16S0_Li64ELi64ELi256ELi13EEvPT0_PKfS4_PKT_PKiS9_iS4_.has_indirect_call, or(0, .L__assert_fail.has_indirect_call)
	.section	.AMDGPU.csdata,"",@progbits
; Kernel info:
; codeLenInByte = 64
; TotalNumSgprs: 36
; NumVgprs: 51
; ScratchSize: 64
; MemoryBound: 0
; FloatMode: 240
; IeeeMode: 1
; LDSByteSize: 0 bytes/workgroup (compile time only)
; SGPRBlocks: 0
; VGPRBlocks: 3
; NumSGPRsForWavesPerEU: 36
; NumVGPRsForWavesPerEU: 51
; NamedBarCnt: 0
; Occupancy: 16
; WaveLimiterHint : 1
; COMPUTE_PGM_RSRC2:SCRATCH_EN: 1
; COMPUTE_PGM_RSRC2:USER_SGPR: 2
; COMPUTE_PGM_RSRC2:TRAP_HANDLER: 0
; COMPUTE_PGM_RSRC2:TGID_X_EN: 1
; COMPUTE_PGM_RSRC2:TGID_Y_EN: 0
; COMPUTE_PGM_RSRC2:TGID_Z_EN: 0
; COMPUTE_PGM_RSRC2:TIDIG_COMP_CNT: 0
	.section	.text._Z35paged_attention_ll4mi_reduce_kernelI14__hip_bfloat16S0_Li64ELi64ELi256ELi14EEvPT0_PKfS4_PKT_PKiS9_iS4_,"axG",@progbits,_Z35paged_attention_ll4mi_reduce_kernelI14__hip_bfloat16S0_Li64ELi64ELi256ELi14EEvPT0_PKfS4_PKT_PKiS9_iS4_,comdat
	.protected	_Z35paged_attention_ll4mi_reduce_kernelI14__hip_bfloat16S0_Li64ELi64ELi256ELi14EEvPT0_PKfS4_PKT_PKiS9_iS4_ ; -- Begin function _Z35paged_attention_ll4mi_reduce_kernelI14__hip_bfloat16S0_Li64ELi64ELi256ELi14EEvPT0_PKfS4_PKT_PKiS9_iS4_
	.globl	_Z35paged_attention_ll4mi_reduce_kernelI14__hip_bfloat16S0_Li64ELi64ELi256ELi14EEvPT0_PKfS4_PKT_PKiS9_iS4_
	.p2align	8
	.type	_Z35paged_attention_ll4mi_reduce_kernelI14__hip_bfloat16S0_Li64ELi64ELi256ELi14EEvPT0_PKfS4_PKT_PKiS9_iS4_,@function
_Z35paged_attention_ll4mi_reduce_kernelI14__hip_bfloat16S0_Li64ELi64ELi256ELi14EEvPT0_PKfS4_PKT_PKiS9_iS4_: ; @_Z35paged_attention_ll4mi_reduce_kernelI14__hip_bfloat16S0_Li64ELi64ELi256ELi14EEvPT0_PKfS4_PKT_PKiS9_iS4_
; %bb.0:
	s_get_pc_i64 s[2:3]
	s_add_nc_u64 s[2:3], s[2:3], __PRETTY_FUNCTION__._Z35paged_attention_ll4mi_reduce_kernelI14__hip_bfloat16S0_Li64ELi64ELi256ELi14EEvPT0_PKfS4_PKT_PKiS9_iS4_@rel64+4
	s_delay_alu instid0(SALU_CYCLE_1)
	v_dual_mov_b32 v0, 0xbdd :: v_dual_mov_b32 v1, s2
	v_mov_b32_e32 v2, s3
	s_add_nc_u64 s[8:9], s[0:1], 64
	s_get_pc_i64 s[0:1]
	s_add_nc_u64 s[0:1], s[0:1], __assert_fail@rel64+4
	s_mov_b32 s32, 0
	s_swap_pc_i64 s[30:31], s[0:1]
	.section	.rodata,"a",@progbits
	.p2align	6, 0x0
	.amdhsa_kernel _Z35paged_attention_ll4mi_reduce_kernelI14__hip_bfloat16S0_Li64ELi64ELi256ELi14EEvPT0_PKfS4_PKT_PKiS9_iS4_
		.amdhsa_group_segment_fixed_size 0
		.amdhsa_private_segment_fixed_size 64
		.amdhsa_kernarg_size 320
		.amdhsa_user_sgpr_count 2
		.amdhsa_user_sgpr_dispatch_ptr 0
		.amdhsa_user_sgpr_queue_ptr 0
		.amdhsa_user_sgpr_kernarg_segment_ptr 1
		.amdhsa_user_sgpr_dispatch_id 0
		.amdhsa_user_sgpr_kernarg_preload_length 0
		.amdhsa_user_sgpr_kernarg_preload_offset 0
		.amdhsa_user_sgpr_private_segment_size 0
		.amdhsa_wavefront_size32 1
		.amdhsa_uses_dynamic_stack 0
		.amdhsa_enable_private_segment 1
		.amdhsa_system_sgpr_workgroup_id_x 1
		.amdhsa_system_sgpr_workgroup_id_y 0
		.amdhsa_system_sgpr_workgroup_id_z 0
		.amdhsa_system_sgpr_workgroup_info 0
		.amdhsa_system_vgpr_workitem_id 0
		.amdhsa_next_free_vgpr 51
		.amdhsa_next_free_sgpr 34
		.amdhsa_named_barrier_count 0
		.amdhsa_reserve_vcc 1
		.amdhsa_float_round_mode_32 0
		.amdhsa_float_round_mode_16_64 0
		.amdhsa_float_denorm_mode_32 3
		.amdhsa_float_denorm_mode_16_64 3
		.amdhsa_fp16_overflow 0
		.amdhsa_memory_ordered 1
		.amdhsa_forward_progress 1
		.amdhsa_inst_pref_size 1
		.amdhsa_round_robin_scheduling 0
		.amdhsa_exception_fp_ieee_invalid_op 0
		.amdhsa_exception_fp_denorm_src 0
		.amdhsa_exception_fp_ieee_div_zero 0
		.amdhsa_exception_fp_ieee_overflow 0
		.amdhsa_exception_fp_ieee_underflow 0
		.amdhsa_exception_fp_ieee_inexact 0
		.amdhsa_exception_int_div_zero 0
	.end_amdhsa_kernel
	.section	.text._Z35paged_attention_ll4mi_reduce_kernelI14__hip_bfloat16S0_Li64ELi64ELi256ELi14EEvPT0_PKfS4_PKT_PKiS9_iS4_,"axG",@progbits,_Z35paged_attention_ll4mi_reduce_kernelI14__hip_bfloat16S0_Li64ELi64ELi256ELi14EEvPT0_PKfS4_PKT_PKiS9_iS4_,comdat
.Lfunc_end475:
	.size	_Z35paged_attention_ll4mi_reduce_kernelI14__hip_bfloat16S0_Li64ELi64ELi256ELi14EEvPT0_PKfS4_PKT_PKiS9_iS4_, .Lfunc_end475-_Z35paged_attention_ll4mi_reduce_kernelI14__hip_bfloat16S0_Li64ELi64ELi256ELi14EEvPT0_PKfS4_PKT_PKiS9_iS4_
                                        ; -- End function
	.set _Z35paged_attention_ll4mi_reduce_kernelI14__hip_bfloat16S0_Li64ELi64ELi256ELi14EEvPT0_PKfS4_PKT_PKiS9_iS4_.num_vgpr, max(3, .L__assert_fail.num_vgpr)
	.set _Z35paged_attention_ll4mi_reduce_kernelI14__hip_bfloat16S0_Li64ELi64ELi256ELi14EEvPT0_PKfS4_PKT_PKiS9_iS4_.num_agpr, max(0, .L__assert_fail.num_agpr)
	.set _Z35paged_attention_ll4mi_reduce_kernelI14__hip_bfloat16S0_Li64ELi64ELi256ELi14EEvPT0_PKfS4_PKT_PKiS9_iS4_.numbered_sgpr, max(33, .L__assert_fail.numbered_sgpr)
	.set _Z35paged_attention_ll4mi_reduce_kernelI14__hip_bfloat16S0_Li64ELi64ELi256ELi14EEvPT0_PKfS4_PKT_PKiS9_iS4_.num_named_barrier, max(0, .L__assert_fail.num_named_barrier)
	.set _Z35paged_attention_ll4mi_reduce_kernelI14__hip_bfloat16S0_Li64ELi64ELi256ELi14EEvPT0_PKfS4_PKT_PKiS9_iS4_.private_seg_size, 0+max(.L__assert_fail.private_seg_size)
	.set _Z35paged_attention_ll4mi_reduce_kernelI14__hip_bfloat16S0_Li64ELi64ELi256ELi14EEvPT0_PKfS4_PKT_PKiS9_iS4_.uses_vcc, or(1, .L__assert_fail.uses_vcc)
	.set _Z35paged_attention_ll4mi_reduce_kernelI14__hip_bfloat16S0_Li64ELi64ELi256ELi14EEvPT0_PKfS4_PKT_PKiS9_iS4_.uses_flat_scratch, or(0, .L__assert_fail.uses_flat_scratch)
	.set _Z35paged_attention_ll4mi_reduce_kernelI14__hip_bfloat16S0_Li64ELi64ELi256ELi14EEvPT0_PKfS4_PKT_PKiS9_iS4_.has_dyn_sized_stack, or(0, .L__assert_fail.has_dyn_sized_stack)
	.set _Z35paged_attention_ll4mi_reduce_kernelI14__hip_bfloat16S0_Li64ELi64ELi256ELi14EEvPT0_PKfS4_PKT_PKiS9_iS4_.has_recursion, or(0, .L__assert_fail.has_recursion)
	.set _Z35paged_attention_ll4mi_reduce_kernelI14__hip_bfloat16S0_Li64ELi64ELi256ELi14EEvPT0_PKfS4_PKT_PKiS9_iS4_.has_indirect_call, or(0, .L__assert_fail.has_indirect_call)
	.section	.AMDGPU.csdata,"",@progbits
; Kernel info:
; codeLenInByte = 64
; TotalNumSgprs: 36
; NumVgprs: 51
; ScratchSize: 64
; MemoryBound: 0
; FloatMode: 240
; IeeeMode: 1
; LDSByteSize: 0 bytes/workgroup (compile time only)
; SGPRBlocks: 0
; VGPRBlocks: 3
; NumSGPRsForWavesPerEU: 36
; NumVGPRsForWavesPerEU: 51
; NamedBarCnt: 0
; Occupancy: 16
; WaveLimiterHint : 1
; COMPUTE_PGM_RSRC2:SCRATCH_EN: 1
; COMPUTE_PGM_RSRC2:USER_SGPR: 2
; COMPUTE_PGM_RSRC2:TRAP_HANDLER: 0
; COMPUTE_PGM_RSRC2:TGID_X_EN: 1
; COMPUTE_PGM_RSRC2:TGID_Y_EN: 0
; COMPUTE_PGM_RSRC2:TGID_Z_EN: 0
; COMPUTE_PGM_RSRC2:TIDIG_COMP_CNT: 0
	.section	.text._Z35paged_attention_ll4mi_reduce_kernelI14__hip_bfloat16S0_Li64ELi64ELi256ELi15EEvPT0_PKfS4_PKT_PKiS9_iS4_,"axG",@progbits,_Z35paged_attention_ll4mi_reduce_kernelI14__hip_bfloat16S0_Li64ELi64ELi256ELi15EEvPT0_PKfS4_PKT_PKiS9_iS4_,comdat
	.protected	_Z35paged_attention_ll4mi_reduce_kernelI14__hip_bfloat16S0_Li64ELi64ELi256ELi15EEvPT0_PKfS4_PKT_PKiS9_iS4_ ; -- Begin function _Z35paged_attention_ll4mi_reduce_kernelI14__hip_bfloat16S0_Li64ELi64ELi256ELi15EEvPT0_PKfS4_PKT_PKiS9_iS4_
	.globl	_Z35paged_attention_ll4mi_reduce_kernelI14__hip_bfloat16S0_Li64ELi64ELi256ELi15EEvPT0_PKfS4_PKT_PKiS9_iS4_
	.p2align	8
	.type	_Z35paged_attention_ll4mi_reduce_kernelI14__hip_bfloat16S0_Li64ELi64ELi256ELi15EEvPT0_PKfS4_PKT_PKiS9_iS4_,@function
_Z35paged_attention_ll4mi_reduce_kernelI14__hip_bfloat16S0_Li64ELi64ELi256ELi15EEvPT0_PKfS4_PKT_PKiS9_iS4_: ; @_Z35paged_attention_ll4mi_reduce_kernelI14__hip_bfloat16S0_Li64ELi64ELi256ELi15EEvPT0_PKfS4_PKT_PKiS9_iS4_
; %bb.0:
	s_get_pc_i64 s[2:3]
	s_add_nc_u64 s[2:3], s[2:3], __PRETTY_FUNCTION__._Z35paged_attention_ll4mi_reduce_kernelI14__hip_bfloat16S0_Li64ELi64ELi256ELi15EEvPT0_PKfS4_PKT_PKiS9_iS4_@rel64+4
	s_delay_alu instid0(SALU_CYCLE_1)
	v_dual_mov_b32 v0, 0xbdd :: v_dual_mov_b32 v1, s2
	v_mov_b32_e32 v2, s3
	s_add_nc_u64 s[8:9], s[0:1], 64
	s_get_pc_i64 s[0:1]
	s_add_nc_u64 s[0:1], s[0:1], __assert_fail@rel64+4
	s_mov_b32 s32, 0
	s_swap_pc_i64 s[30:31], s[0:1]
	.section	.rodata,"a",@progbits
	.p2align	6, 0x0
	.amdhsa_kernel _Z35paged_attention_ll4mi_reduce_kernelI14__hip_bfloat16S0_Li64ELi64ELi256ELi15EEvPT0_PKfS4_PKT_PKiS9_iS4_
		.amdhsa_group_segment_fixed_size 0
		.amdhsa_private_segment_fixed_size 64
		.amdhsa_kernarg_size 320
		.amdhsa_user_sgpr_count 2
		.amdhsa_user_sgpr_dispatch_ptr 0
		.amdhsa_user_sgpr_queue_ptr 0
		.amdhsa_user_sgpr_kernarg_segment_ptr 1
		.amdhsa_user_sgpr_dispatch_id 0
		.amdhsa_user_sgpr_kernarg_preload_length 0
		.amdhsa_user_sgpr_kernarg_preload_offset 0
		.amdhsa_user_sgpr_private_segment_size 0
		.amdhsa_wavefront_size32 1
		.amdhsa_uses_dynamic_stack 0
		.amdhsa_enable_private_segment 1
		.amdhsa_system_sgpr_workgroup_id_x 1
		.amdhsa_system_sgpr_workgroup_id_y 0
		.amdhsa_system_sgpr_workgroup_id_z 0
		.amdhsa_system_sgpr_workgroup_info 0
		.amdhsa_system_vgpr_workitem_id 0
		.amdhsa_next_free_vgpr 51
		.amdhsa_next_free_sgpr 34
		.amdhsa_named_barrier_count 0
		.amdhsa_reserve_vcc 1
		.amdhsa_float_round_mode_32 0
		.amdhsa_float_round_mode_16_64 0
		.amdhsa_float_denorm_mode_32 3
		.amdhsa_float_denorm_mode_16_64 3
		.amdhsa_fp16_overflow 0
		.amdhsa_memory_ordered 1
		.amdhsa_forward_progress 1
		.amdhsa_inst_pref_size 1
		.amdhsa_round_robin_scheduling 0
		.amdhsa_exception_fp_ieee_invalid_op 0
		.amdhsa_exception_fp_denorm_src 0
		.amdhsa_exception_fp_ieee_div_zero 0
		.amdhsa_exception_fp_ieee_overflow 0
		.amdhsa_exception_fp_ieee_underflow 0
		.amdhsa_exception_fp_ieee_inexact 0
		.amdhsa_exception_int_div_zero 0
	.end_amdhsa_kernel
	.section	.text._Z35paged_attention_ll4mi_reduce_kernelI14__hip_bfloat16S0_Li64ELi64ELi256ELi15EEvPT0_PKfS4_PKT_PKiS9_iS4_,"axG",@progbits,_Z35paged_attention_ll4mi_reduce_kernelI14__hip_bfloat16S0_Li64ELi64ELi256ELi15EEvPT0_PKfS4_PKT_PKiS9_iS4_,comdat
.Lfunc_end476:
	.size	_Z35paged_attention_ll4mi_reduce_kernelI14__hip_bfloat16S0_Li64ELi64ELi256ELi15EEvPT0_PKfS4_PKT_PKiS9_iS4_, .Lfunc_end476-_Z35paged_attention_ll4mi_reduce_kernelI14__hip_bfloat16S0_Li64ELi64ELi256ELi15EEvPT0_PKfS4_PKT_PKiS9_iS4_
                                        ; -- End function
	.set _Z35paged_attention_ll4mi_reduce_kernelI14__hip_bfloat16S0_Li64ELi64ELi256ELi15EEvPT0_PKfS4_PKT_PKiS9_iS4_.num_vgpr, max(3, .L__assert_fail.num_vgpr)
	.set _Z35paged_attention_ll4mi_reduce_kernelI14__hip_bfloat16S0_Li64ELi64ELi256ELi15EEvPT0_PKfS4_PKT_PKiS9_iS4_.num_agpr, max(0, .L__assert_fail.num_agpr)
	.set _Z35paged_attention_ll4mi_reduce_kernelI14__hip_bfloat16S0_Li64ELi64ELi256ELi15EEvPT0_PKfS4_PKT_PKiS9_iS4_.numbered_sgpr, max(33, .L__assert_fail.numbered_sgpr)
	.set _Z35paged_attention_ll4mi_reduce_kernelI14__hip_bfloat16S0_Li64ELi64ELi256ELi15EEvPT0_PKfS4_PKT_PKiS9_iS4_.num_named_barrier, max(0, .L__assert_fail.num_named_barrier)
	.set _Z35paged_attention_ll4mi_reduce_kernelI14__hip_bfloat16S0_Li64ELi64ELi256ELi15EEvPT0_PKfS4_PKT_PKiS9_iS4_.private_seg_size, 0+max(.L__assert_fail.private_seg_size)
	.set _Z35paged_attention_ll4mi_reduce_kernelI14__hip_bfloat16S0_Li64ELi64ELi256ELi15EEvPT0_PKfS4_PKT_PKiS9_iS4_.uses_vcc, or(1, .L__assert_fail.uses_vcc)
	.set _Z35paged_attention_ll4mi_reduce_kernelI14__hip_bfloat16S0_Li64ELi64ELi256ELi15EEvPT0_PKfS4_PKT_PKiS9_iS4_.uses_flat_scratch, or(0, .L__assert_fail.uses_flat_scratch)
	.set _Z35paged_attention_ll4mi_reduce_kernelI14__hip_bfloat16S0_Li64ELi64ELi256ELi15EEvPT0_PKfS4_PKT_PKiS9_iS4_.has_dyn_sized_stack, or(0, .L__assert_fail.has_dyn_sized_stack)
	.set _Z35paged_attention_ll4mi_reduce_kernelI14__hip_bfloat16S0_Li64ELi64ELi256ELi15EEvPT0_PKfS4_PKT_PKiS9_iS4_.has_recursion, or(0, .L__assert_fail.has_recursion)
	.set _Z35paged_attention_ll4mi_reduce_kernelI14__hip_bfloat16S0_Li64ELi64ELi256ELi15EEvPT0_PKfS4_PKT_PKiS9_iS4_.has_indirect_call, or(0, .L__assert_fail.has_indirect_call)
	.section	.AMDGPU.csdata,"",@progbits
; Kernel info:
; codeLenInByte = 64
; TotalNumSgprs: 36
; NumVgprs: 51
; ScratchSize: 64
; MemoryBound: 0
; FloatMode: 240
; IeeeMode: 1
; LDSByteSize: 0 bytes/workgroup (compile time only)
; SGPRBlocks: 0
; VGPRBlocks: 3
; NumSGPRsForWavesPerEU: 36
; NumVGPRsForWavesPerEU: 51
; NamedBarCnt: 0
; Occupancy: 16
; WaveLimiterHint : 1
; COMPUTE_PGM_RSRC2:SCRATCH_EN: 1
; COMPUTE_PGM_RSRC2:USER_SGPR: 2
; COMPUTE_PGM_RSRC2:TRAP_HANDLER: 0
; COMPUTE_PGM_RSRC2:TGID_X_EN: 1
; COMPUTE_PGM_RSRC2:TGID_Y_EN: 0
; COMPUTE_PGM_RSRC2:TGID_Z_EN: 0
; COMPUTE_PGM_RSRC2:TIDIG_COMP_CNT: 0
	.section	.text._Z35paged_attention_ll4mi_reduce_kernelI14__hip_bfloat16S0_Li64ELi64ELi256ELi16EEvPT0_PKfS4_PKT_PKiS9_iS4_,"axG",@progbits,_Z35paged_attention_ll4mi_reduce_kernelI14__hip_bfloat16S0_Li64ELi64ELi256ELi16EEvPT0_PKfS4_PKT_PKiS9_iS4_,comdat
	.protected	_Z35paged_attention_ll4mi_reduce_kernelI14__hip_bfloat16S0_Li64ELi64ELi256ELi16EEvPT0_PKfS4_PKT_PKiS9_iS4_ ; -- Begin function _Z35paged_attention_ll4mi_reduce_kernelI14__hip_bfloat16S0_Li64ELi64ELi256ELi16EEvPT0_PKfS4_PKT_PKiS9_iS4_
	.globl	_Z35paged_attention_ll4mi_reduce_kernelI14__hip_bfloat16S0_Li64ELi64ELi256ELi16EEvPT0_PKfS4_PKT_PKiS9_iS4_
	.p2align	8
	.type	_Z35paged_attention_ll4mi_reduce_kernelI14__hip_bfloat16S0_Li64ELi64ELi256ELi16EEvPT0_PKfS4_PKT_PKiS9_iS4_,@function
_Z35paged_attention_ll4mi_reduce_kernelI14__hip_bfloat16S0_Li64ELi64ELi256ELi16EEvPT0_PKfS4_PKT_PKiS9_iS4_: ; @_Z35paged_attention_ll4mi_reduce_kernelI14__hip_bfloat16S0_Li64ELi64ELi256ELi16EEvPT0_PKfS4_PKT_PKiS9_iS4_
; %bb.0:
	s_get_pc_i64 s[2:3]
	s_add_nc_u64 s[2:3], s[2:3], __PRETTY_FUNCTION__._Z35paged_attention_ll4mi_reduce_kernelI14__hip_bfloat16S0_Li64ELi64ELi256ELi16EEvPT0_PKfS4_PKT_PKiS9_iS4_@rel64+4
	s_delay_alu instid0(SALU_CYCLE_1)
	v_dual_mov_b32 v0, 0xbdd :: v_dual_mov_b32 v1, s2
	v_mov_b32_e32 v2, s3
	s_add_nc_u64 s[8:9], s[0:1], 64
	s_get_pc_i64 s[0:1]
	s_add_nc_u64 s[0:1], s[0:1], __assert_fail@rel64+4
	s_mov_b32 s32, 0
	s_swap_pc_i64 s[30:31], s[0:1]
	.section	.rodata,"a",@progbits
	.p2align	6, 0x0
	.amdhsa_kernel _Z35paged_attention_ll4mi_reduce_kernelI14__hip_bfloat16S0_Li64ELi64ELi256ELi16EEvPT0_PKfS4_PKT_PKiS9_iS4_
		.amdhsa_group_segment_fixed_size 0
		.amdhsa_private_segment_fixed_size 64
		.amdhsa_kernarg_size 320
		.amdhsa_user_sgpr_count 2
		.amdhsa_user_sgpr_dispatch_ptr 0
		.amdhsa_user_sgpr_queue_ptr 0
		.amdhsa_user_sgpr_kernarg_segment_ptr 1
		.amdhsa_user_sgpr_dispatch_id 0
		.amdhsa_user_sgpr_kernarg_preload_length 0
		.amdhsa_user_sgpr_kernarg_preload_offset 0
		.amdhsa_user_sgpr_private_segment_size 0
		.amdhsa_wavefront_size32 1
		.amdhsa_uses_dynamic_stack 0
		.amdhsa_enable_private_segment 1
		.amdhsa_system_sgpr_workgroup_id_x 1
		.amdhsa_system_sgpr_workgroup_id_y 0
		.amdhsa_system_sgpr_workgroup_id_z 0
		.amdhsa_system_sgpr_workgroup_info 0
		.amdhsa_system_vgpr_workitem_id 0
		.amdhsa_next_free_vgpr 51
		.amdhsa_next_free_sgpr 34
		.amdhsa_named_barrier_count 0
		.amdhsa_reserve_vcc 1
		.amdhsa_float_round_mode_32 0
		.amdhsa_float_round_mode_16_64 0
		.amdhsa_float_denorm_mode_32 3
		.amdhsa_float_denorm_mode_16_64 3
		.amdhsa_fp16_overflow 0
		.amdhsa_memory_ordered 1
		.amdhsa_forward_progress 1
		.amdhsa_inst_pref_size 1
		.amdhsa_round_robin_scheduling 0
		.amdhsa_exception_fp_ieee_invalid_op 0
		.amdhsa_exception_fp_denorm_src 0
		.amdhsa_exception_fp_ieee_div_zero 0
		.amdhsa_exception_fp_ieee_overflow 0
		.amdhsa_exception_fp_ieee_underflow 0
		.amdhsa_exception_fp_ieee_inexact 0
		.amdhsa_exception_int_div_zero 0
	.end_amdhsa_kernel
	.section	.text._Z35paged_attention_ll4mi_reduce_kernelI14__hip_bfloat16S0_Li64ELi64ELi256ELi16EEvPT0_PKfS4_PKT_PKiS9_iS4_,"axG",@progbits,_Z35paged_attention_ll4mi_reduce_kernelI14__hip_bfloat16S0_Li64ELi64ELi256ELi16EEvPT0_PKfS4_PKT_PKiS9_iS4_,comdat
.Lfunc_end477:
	.size	_Z35paged_attention_ll4mi_reduce_kernelI14__hip_bfloat16S0_Li64ELi64ELi256ELi16EEvPT0_PKfS4_PKT_PKiS9_iS4_, .Lfunc_end477-_Z35paged_attention_ll4mi_reduce_kernelI14__hip_bfloat16S0_Li64ELi64ELi256ELi16EEvPT0_PKfS4_PKT_PKiS9_iS4_
                                        ; -- End function
	.set _Z35paged_attention_ll4mi_reduce_kernelI14__hip_bfloat16S0_Li64ELi64ELi256ELi16EEvPT0_PKfS4_PKT_PKiS9_iS4_.num_vgpr, max(3, .L__assert_fail.num_vgpr)
	.set _Z35paged_attention_ll4mi_reduce_kernelI14__hip_bfloat16S0_Li64ELi64ELi256ELi16EEvPT0_PKfS4_PKT_PKiS9_iS4_.num_agpr, max(0, .L__assert_fail.num_agpr)
	.set _Z35paged_attention_ll4mi_reduce_kernelI14__hip_bfloat16S0_Li64ELi64ELi256ELi16EEvPT0_PKfS4_PKT_PKiS9_iS4_.numbered_sgpr, max(33, .L__assert_fail.numbered_sgpr)
	.set _Z35paged_attention_ll4mi_reduce_kernelI14__hip_bfloat16S0_Li64ELi64ELi256ELi16EEvPT0_PKfS4_PKT_PKiS9_iS4_.num_named_barrier, max(0, .L__assert_fail.num_named_barrier)
	.set _Z35paged_attention_ll4mi_reduce_kernelI14__hip_bfloat16S0_Li64ELi64ELi256ELi16EEvPT0_PKfS4_PKT_PKiS9_iS4_.private_seg_size, 0+max(.L__assert_fail.private_seg_size)
	.set _Z35paged_attention_ll4mi_reduce_kernelI14__hip_bfloat16S0_Li64ELi64ELi256ELi16EEvPT0_PKfS4_PKT_PKiS9_iS4_.uses_vcc, or(1, .L__assert_fail.uses_vcc)
	.set _Z35paged_attention_ll4mi_reduce_kernelI14__hip_bfloat16S0_Li64ELi64ELi256ELi16EEvPT0_PKfS4_PKT_PKiS9_iS4_.uses_flat_scratch, or(0, .L__assert_fail.uses_flat_scratch)
	.set _Z35paged_attention_ll4mi_reduce_kernelI14__hip_bfloat16S0_Li64ELi64ELi256ELi16EEvPT0_PKfS4_PKT_PKiS9_iS4_.has_dyn_sized_stack, or(0, .L__assert_fail.has_dyn_sized_stack)
	.set _Z35paged_attention_ll4mi_reduce_kernelI14__hip_bfloat16S0_Li64ELi64ELi256ELi16EEvPT0_PKfS4_PKT_PKiS9_iS4_.has_recursion, or(0, .L__assert_fail.has_recursion)
	.set _Z35paged_attention_ll4mi_reduce_kernelI14__hip_bfloat16S0_Li64ELi64ELi256ELi16EEvPT0_PKfS4_PKT_PKiS9_iS4_.has_indirect_call, or(0, .L__assert_fail.has_indirect_call)
	.section	.AMDGPU.csdata,"",@progbits
; Kernel info:
; codeLenInByte = 64
; TotalNumSgprs: 36
; NumVgprs: 51
; ScratchSize: 64
; MemoryBound: 0
; FloatMode: 240
; IeeeMode: 1
; LDSByteSize: 0 bytes/workgroup (compile time only)
; SGPRBlocks: 0
; VGPRBlocks: 3
; NumSGPRsForWavesPerEU: 36
; NumVGPRsForWavesPerEU: 51
; NamedBarCnt: 0
; Occupancy: 16
; WaveLimiterHint : 1
; COMPUTE_PGM_RSRC2:SCRATCH_EN: 1
; COMPUTE_PGM_RSRC2:USER_SGPR: 2
; COMPUTE_PGM_RSRC2:TRAP_HANDLER: 0
; COMPUTE_PGM_RSRC2:TGID_X_EN: 1
; COMPUTE_PGM_RSRC2:TGID_Y_EN: 0
; COMPUTE_PGM_RSRC2:TGID_Z_EN: 0
; COMPUTE_PGM_RSRC2:TIDIG_COMP_CNT: 0
	.section	.text._Z38paged_attention_ll4mi_QKV_mfma4_kernelI14__hip_bfloat16S0_LN4vllm18Fp8KVCacheDataTypeE0ES0_Li16ELi64ELi256ELb0ELi1EEvPKT_PKT0_S8_ifPKiSA_SA_iPKfiiiPfSD_PS3_PT2_iSC_SC_,"axG",@progbits,_Z38paged_attention_ll4mi_QKV_mfma4_kernelI14__hip_bfloat16S0_LN4vllm18Fp8KVCacheDataTypeE0ES0_Li16ELi64ELi256ELb0ELi1EEvPKT_PKT0_S8_ifPKiSA_SA_iPKfiiiPfSD_PS3_PT2_iSC_SC_,comdat
	.protected	_Z38paged_attention_ll4mi_QKV_mfma4_kernelI14__hip_bfloat16S0_LN4vllm18Fp8KVCacheDataTypeE0ES0_Li16ELi64ELi256ELb0ELi1EEvPKT_PKT0_S8_ifPKiSA_SA_iPKfiiiPfSD_PS3_PT2_iSC_SC_ ; -- Begin function _Z38paged_attention_ll4mi_QKV_mfma4_kernelI14__hip_bfloat16S0_LN4vllm18Fp8KVCacheDataTypeE0ES0_Li16ELi64ELi256ELb0ELi1EEvPKT_PKT0_S8_ifPKiSA_SA_iPKfiiiPfSD_PS3_PT2_iSC_SC_
	.globl	_Z38paged_attention_ll4mi_QKV_mfma4_kernelI14__hip_bfloat16S0_LN4vllm18Fp8KVCacheDataTypeE0ES0_Li16ELi64ELi256ELb0ELi1EEvPKT_PKT0_S8_ifPKiSA_SA_iPKfiiiPfSD_PS3_PT2_iSC_SC_
	.p2align	8
	.type	_Z38paged_attention_ll4mi_QKV_mfma4_kernelI14__hip_bfloat16S0_LN4vllm18Fp8KVCacheDataTypeE0ES0_Li16ELi64ELi256ELb0ELi1EEvPKT_PKT0_S8_ifPKiSA_SA_iPKfiiiPfSD_PS3_PT2_iSC_SC_,@function
_Z38paged_attention_ll4mi_QKV_mfma4_kernelI14__hip_bfloat16S0_LN4vllm18Fp8KVCacheDataTypeE0ES0_Li16ELi64ELi256ELb0ELi1EEvPKT_PKT0_S8_ifPKiSA_SA_iPKfiiiPfSD_PS3_PT2_iSC_SC_: ; @_Z38paged_attention_ll4mi_QKV_mfma4_kernelI14__hip_bfloat16S0_LN4vllm18Fp8KVCacheDataTypeE0ES0_Li16ELi64ELi256ELb0ELi1EEvPKT_PKT0_S8_ifPKiSA_SA_iPKfiiiPfSD_PS3_PT2_iSC_SC_
; %bb.0:
	s_get_pc_i64 s[2:3]
	s_add_nc_u64 s[2:3], s[2:3], __PRETTY_FUNCTION__._Z38paged_attention_ll4mi_QKV_mfma4_kernelI14__hip_bfloat16S0_LN4vllm18Fp8KVCacheDataTypeE0ES0_Li16ELi64ELi256ELb0ELi1EEvPKT_PKT0_S8_ifPKiSA_SA_iPKfiiiPfSD_PS3_PT2_iSC_SC_@rel64+4
	s_delay_alu instid0(SALU_CYCLE_1)
	v_dual_mov_b32 v0, 0xbce :: v_dual_mov_b32 v1, s2
	v_mov_b32_e32 v2, s3
	s_add_nc_u64 s[8:9], s[0:1], 0x90
	s_get_pc_i64 s[0:1]
	s_add_nc_u64 s[0:1], s[0:1], __assert_fail@rel64+4
	s_mov_b32 s32, 0
	s_swap_pc_i64 s[30:31], s[0:1]
	.section	.rodata,"a",@progbits
	.p2align	6, 0x0
	.amdhsa_kernel _Z38paged_attention_ll4mi_QKV_mfma4_kernelI14__hip_bfloat16S0_LN4vllm18Fp8KVCacheDataTypeE0ES0_Li16ELi64ELi256ELb0ELi1EEvPKT_PKT0_S8_ifPKiSA_SA_iPKfiiiPfSD_PS3_PT2_iSC_SC_
		.amdhsa_group_segment_fixed_size 0
		.amdhsa_private_segment_fixed_size 64
		.amdhsa_kernarg_size 400
		.amdhsa_user_sgpr_count 2
		.amdhsa_user_sgpr_dispatch_ptr 0
		.amdhsa_user_sgpr_queue_ptr 0
		.amdhsa_user_sgpr_kernarg_segment_ptr 1
		.amdhsa_user_sgpr_dispatch_id 0
		.amdhsa_user_sgpr_kernarg_preload_length 0
		.amdhsa_user_sgpr_kernarg_preload_offset 0
		.amdhsa_user_sgpr_private_segment_size 0
		.amdhsa_wavefront_size32 1
		.amdhsa_uses_dynamic_stack 0
		.amdhsa_enable_private_segment 1
		.amdhsa_system_sgpr_workgroup_id_x 1
		.amdhsa_system_sgpr_workgroup_id_y 0
		.amdhsa_system_sgpr_workgroup_id_z 0
		.amdhsa_system_sgpr_workgroup_info 0
		.amdhsa_system_vgpr_workitem_id 0
		.amdhsa_next_free_vgpr 51
		.amdhsa_next_free_sgpr 34
		.amdhsa_named_barrier_count 0
		.amdhsa_reserve_vcc 1
		.amdhsa_float_round_mode_32 0
		.amdhsa_float_round_mode_16_64 0
		.amdhsa_float_denorm_mode_32 3
		.amdhsa_float_denorm_mode_16_64 3
		.amdhsa_fp16_overflow 0
		.amdhsa_memory_ordered 1
		.amdhsa_forward_progress 1
		.amdhsa_inst_pref_size 1
		.amdhsa_round_robin_scheduling 0
		.amdhsa_exception_fp_ieee_invalid_op 0
		.amdhsa_exception_fp_denorm_src 0
		.amdhsa_exception_fp_ieee_div_zero 0
		.amdhsa_exception_fp_ieee_overflow 0
		.amdhsa_exception_fp_ieee_underflow 0
		.amdhsa_exception_fp_ieee_inexact 0
		.amdhsa_exception_int_div_zero 0
	.end_amdhsa_kernel
	.section	.text._Z38paged_attention_ll4mi_QKV_mfma4_kernelI14__hip_bfloat16S0_LN4vllm18Fp8KVCacheDataTypeE0ES0_Li16ELi64ELi256ELb0ELi1EEvPKT_PKT0_S8_ifPKiSA_SA_iPKfiiiPfSD_PS3_PT2_iSC_SC_,"axG",@progbits,_Z38paged_attention_ll4mi_QKV_mfma4_kernelI14__hip_bfloat16S0_LN4vllm18Fp8KVCacheDataTypeE0ES0_Li16ELi64ELi256ELb0ELi1EEvPKT_PKT0_S8_ifPKiSA_SA_iPKfiiiPfSD_PS3_PT2_iSC_SC_,comdat
.Lfunc_end478:
	.size	_Z38paged_attention_ll4mi_QKV_mfma4_kernelI14__hip_bfloat16S0_LN4vllm18Fp8KVCacheDataTypeE0ES0_Li16ELi64ELi256ELb0ELi1EEvPKT_PKT0_S8_ifPKiSA_SA_iPKfiiiPfSD_PS3_PT2_iSC_SC_, .Lfunc_end478-_Z38paged_attention_ll4mi_QKV_mfma4_kernelI14__hip_bfloat16S0_LN4vllm18Fp8KVCacheDataTypeE0ES0_Li16ELi64ELi256ELb0ELi1EEvPKT_PKT0_S8_ifPKiSA_SA_iPKfiiiPfSD_PS3_PT2_iSC_SC_
                                        ; -- End function
	.set _Z38paged_attention_ll4mi_QKV_mfma4_kernelI14__hip_bfloat16S0_LN4vllm18Fp8KVCacheDataTypeE0ES0_Li16ELi64ELi256ELb0ELi1EEvPKT_PKT0_S8_ifPKiSA_SA_iPKfiiiPfSD_PS3_PT2_iSC_SC_.num_vgpr, max(3, .L__assert_fail.num_vgpr)
	.set _Z38paged_attention_ll4mi_QKV_mfma4_kernelI14__hip_bfloat16S0_LN4vllm18Fp8KVCacheDataTypeE0ES0_Li16ELi64ELi256ELb0ELi1EEvPKT_PKT0_S8_ifPKiSA_SA_iPKfiiiPfSD_PS3_PT2_iSC_SC_.num_agpr, max(0, .L__assert_fail.num_agpr)
	.set _Z38paged_attention_ll4mi_QKV_mfma4_kernelI14__hip_bfloat16S0_LN4vllm18Fp8KVCacheDataTypeE0ES0_Li16ELi64ELi256ELb0ELi1EEvPKT_PKT0_S8_ifPKiSA_SA_iPKfiiiPfSD_PS3_PT2_iSC_SC_.numbered_sgpr, max(33, .L__assert_fail.numbered_sgpr)
	.set _Z38paged_attention_ll4mi_QKV_mfma4_kernelI14__hip_bfloat16S0_LN4vllm18Fp8KVCacheDataTypeE0ES0_Li16ELi64ELi256ELb0ELi1EEvPKT_PKT0_S8_ifPKiSA_SA_iPKfiiiPfSD_PS3_PT2_iSC_SC_.num_named_barrier, max(0, .L__assert_fail.num_named_barrier)
	.set _Z38paged_attention_ll4mi_QKV_mfma4_kernelI14__hip_bfloat16S0_LN4vllm18Fp8KVCacheDataTypeE0ES0_Li16ELi64ELi256ELb0ELi1EEvPKT_PKT0_S8_ifPKiSA_SA_iPKfiiiPfSD_PS3_PT2_iSC_SC_.private_seg_size, 0+max(.L__assert_fail.private_seg_size)
	.set _Z38paged_attention_ll4mi_QKV_mfma4_kernelI14__hip_bfloat16S0_LN4vllm18Fp8KVCacheDataTypeE0ES0_Li16ELi64ELi256ELb0ELi1EEvPKT_PKT0_S8_ifPKiSA_SA_iPKfiiiPfSD_PS3_PT2_iSC_SC_.uses_vcc, or(1, .L__assert_fail.uses_vcc)
	.set _Z38paged_attention_ll4mi_QKV_mfma4_kernelI14__hip_bfloat16S0_LN4vllm18Fp8KVCacheDataTypeE0ES0_Li16ELi64ELi256ELb0ELi1EEvPKT_PKT0_S8_ifPKiSA_SA_iPKfiiiPfSD_PS3_PT2_iSC_SC_.uses_flat_scratch, or(0, .L__assert_fail.uses_flat_scratch)
	.set _Z38paged_attention_ll4mi_QKV_mfma4_kernelI14__hip_bfloat16S0_LN4vllm18Fp8KVCacheDataTypeE0ES0_Li16ELi64ELi256ELb0ELi1EEvPKT_PKT0_S8_ifPKiSA_SA_iPKfiiiPfSD_PS3_PT2_iSC_SC_.has_dyn_sized_stack, or(0, .L__assert_fail.has_dyn_sized_stack)
	.set _Z38paged_attention_ll4mi_QKV_mfma4_kernelI14__hip_bfloat16S0_LN4vllm18Fp8KVCacheDataTypeE0ES0_Li16ELi64ELi256ELb0ELi1EEvPKT_PKT0_S8_ifPKiSA_SA_iPKfiiiPfSD_PS3_PT2_iSC_SC_.has_recursion, or(0, .L__assert_fail.has_recursion)
	.set _Z38paged_attention_ll4mi_QKV_mfma4_kernelI14__hip_bfloat16S0_LN4vllm18Fp8KVCacheDataTypeE0ES0_Li16ELi64ELi256ELb0ELi1EEvPKT_PKT0_S8_ifPKiSA_SA_iPKfiiiPfSD_PS3_PT2_iSC_SC_.has_indirect_call, or(0, .L__assert_fail.has_indirect_call)
	.section	.AMDGPU.csdata,"",@progbits
; Kernel info:
; codeLenInByte = 68
; TotalNumSgprs: 36
; NumVgprs: 51
; ScratchSize: 64
; MemoryBound: 0
; FloatMode: 240
; IeeeMode: 1
; LDSByteSize: 0 bytes/workgroup (compile time only)
; SGPRBlocks: 0
; VGPRBlocks: 3
; NumSGPRsForWavesPerEU: 36
; NumVGPRsForWavesPerEU: 51
; NamedBarCnt: 0
; Occupancy: 16
; WaveLimiterHint : 1
; COMPUTE_PGM_RSRC2:SCRATCH_EN: 1
; COMPUTE_PGM_RSRC2:USER_SGPR: 2
; COMPUTE_PGM_RSRC2:TRAP_HANDLER: 0
; COMPUTE_PGM_RSRC2:TGID_X_EN: 1
; COMPUTE_PGM_RSRC2:TGID_Y_EN: 0
; COMPUTE_PGM_RSRC2:TGID_Z_EN: 0
; COMPUTE_PGM_RSRC2:TIDIG_COMP_CNT: 0
	.section	.text._Z38paged_attention_ll4mi_QKV_mfma4_kernelI14__hip_bfloat16S0_LN4vllm18Fp8KVCacheDataTypeE0ES0_Li16ELi64ELi256ELb0ELi2EEvPKT_PKT0_S8_ifPKiSA_SA_iPKfiiiPfSD_PS3_PT2_iSC_SC_,"axG",@progbits,_Z38paged_attention_ll4mi_QKV_mfma4_kernelI14__hip_bfloat16S0_LN4vllm18Fp8KVCacheDataTypeE0ES0_Li16ELi64ELi256ELb0ELi2EEvPKT_PKT0_S8_ifPKiSA_SA_iPKfiiiPfSD_PS3_PT2_iSC_SC_,comdat
	.protected	_Z38paged_attention_ll4mi_QKV_mfma4_kernelI14__hip_bfloat16S0_LN4vllm18Fp8KVCacheDataTypeE0ES0_Li16ELi64ELi256ELb0ELi2EEvPKT_PKT0_S8_ifPKiSA_SA_iPKfiiiPfSD_PS3_PT2_iSC_SC_ ; -- Begin function _Z38paged_attention_ll4mi_QKV_mfma4_kernelI14__hip_bfloat16S0_LN4vllm18Fp8KVCacheDataTypeE0ES0_Li16ELi64ELi256ELb0ELi2EEvPKT_PKT0_S8_ifPKiSA_SA_iPKfiiiPfSD_PS3_PT2_iSC_SC_
	.globl	_Z38paged_attention_ll4mi_QKV_mfma4_kernelI14__hip_bfloat16S0_LN4vllm18Fp8KVCacheDataTypeE0ES0_Li16ELi64ELi256ELb0ELi2EEvPKT_PKT0_S8_ifPKiSA_SA_iPKfiiiPfSD_PS3_PT2_iSC_SC_
	.p2align	8
	.type	_Z38paged_attention_ll4mi_QKV_mfma4_kernelI14__hip_bfloat16S0_LN4vllm18Fp8KVCacheDataTypeE0ES0_Li16ELi64ELi256ELb0ELi2EEvPKT_PKT0_S8_ifPKiSA_SA_iPKfiiiPfSD_PS3_PT2_iSC_SC_,@function
_Z38paged_attention_ll4mi_QKV_mfma4_kernelI14__hip_bfloat16S0_LN4vllm18Fp8KVCacheDataTypeE0ES0_Li16ELi64ELi256ELb0ELi2EEvPKT_PKT0_S8_ifPKiSA_SA_iPKfiiiPfSD_PS3_PT2_iSC_SC_: ; @_Z38paged_attention_ll4mi_QKV_mfma4_kernelI14__hip_bfloat16S0_LN4vllm18Fp8KVCacheDataTypeE0ES0_Li16ELi64ELi256ELb0ELi2EEvPKT_PKT0_S8_ifPKiSA_SA_iPKfiiiPfSD_PS3_PT2_iSC_SC_
; %bb.0:
	s_get_pc_i64 s[2:3]
	s_add_nc_u64 s[2:3], s[2:3], __PRETTY_FUNCTION__._Z38paged_attention_ll4mi_QKV_mfma4_kernelI14__hip_bfloat16S0_LN4vllm18Fp8KVCacheDataTypeE0ES0_Li16ELi64ELi256ELb0ELi2EEvPKT_PKT0_S8_ifPKiSA_SA_iPKfiiiPfSD_PS3_PT2_iSC_SC_@rel64+4
	s_delay_alu instid0(SALU_CYCLE_1)
	v_dual_mov_b32 v0, 0xbce :: v_dual_mov_b32 v1, s2
	v_mov_b32_e32 v2, s3
	s_add_nc_u64 s[8:9], s[0:1], 0x90
	s_get_pc_i64 s[0:1]
	s_add_nc_u64 s[0:1], s[0:1], __assert_fail@rel64+4
	s_mov_b32 s32, 0
	s_swap_pc_i64 s[30:31], s[0:1]
	.section	.rodata,"a",@progbits
	.p2align	6, 0x0
	.amdhsa_kernel _Z38paged_attention_ll4mi_QKV_mfma4_kernelI14__hip_bfloat16S0_LN4vllm18Fp8KVCacheDataTypeE0ES0_Li16ELi64ELi256ELb0ELi2EEvPKT_PKT0_S8_ifPKiSA_SA_iPKfiiiPfSD_PS3_PT2_iSC_SC_
		.amdhsa_group_segment_fixed_size 0
		.amdhsa_private_segment_fixed_size 64
		.amdhsa_kernarg_size 400
		.amdhsa_user_sgpr_count 2
		.amdhsa_user_sgpr_dispatch_ptr 0
		.amdhsa_user_sgpr_queue_ptr 0
		.amdhsa_user_sgpr_kernarg_segment_ptr 1
		.amdhsa_user_sgpr_dispatch_id 0
		.amdhsa_user_sgpr_kernarg_preload_length 0
		.amdhsa_user_sgpr_kernarg_preload_offset 0
		.amdhsa_user_sgpr_private_segment_size 0
		.amdhsa_wavefront_size32 1
		.amdhsa_uses_dynamic_stack 0
		.amdhsa_enable_private_segment 1
		.amdhsa_system_sgpr_workgroup_id_x 1
		.amdhsa_system_sgpr_workgroup_id_y 0
		.amdhsa_system_sgpr_workgroup_id_z 0
		.amdhsa_system_sgpr_workgroup_info 0
		.amdhsa_system_vgpr_workitem_id 0
		.amdhsa_next_free_vgpr 51
		.amdhsa_next_free_sgpr 34
		.amdhsa_named_barrier_count 0
		.amdhsa_reserve_vcc 1
		.amdhsa_float_round_mode_32 0
		.amdhsa_float_round_mode_16_64 0
		.amdhsa_float_denorm_mode_32 3
		.amdhsa_float_denorm_mode_16_64 3
		.amdhsa_fp16_overflow 0
		.amdhsa_memory_ordered 1
		.amdhsa_forward_progress 1
		.amdhsa_inst_pref_size 1
		.amdhsa_round_robin_scheduling 0
		.amdhsa_exception_fp_ieee_invalid_op 0
		.amdhsa_exception_fp_denorm_src 0
		.amdhsa_exception_fp_ieee_div_zero 0
		.amdhsa_exception_fp_ieee_overflow 0
		.amdhsa_exception_fp_ieee_underflow 0
		.amdhsa_exception_fp_ieee_inexact 0
		.amdhsa_exception_int_div_zero 0
	.end_amdhsa_kernel
	.section	.text._Z38paged_attention_ll4mi_QKV_mfma4_kernelI14__hip_bfloat16S0_LN4vllm18Fp8KVCacheDataTypeE0ES0_Li16ELi64ELi256ELb0ELi2EEvPKT_PKT0_S8_ifPKiSA_SA_iPKfiiiPfSD_PS3_PT2_iSC_SC_,"axG",@progbits,_Z38paged_attention_ll4mi_QKV_mfma4_kernelI14__hip_bfloat16S0_LN4vllm18Fp8KVCacheDataTypeE0ES0_Li16ELi64ELi256ELb0ELi2EEvPKT_PKT0_S8_ifPKiSA_SA_iPKfiiiPfSD_PS3_PT2_iSC_SC_,comdat
.Lfunc_end479:
	.size	_Z38paged_attention_ll4mi_QKV_mfma4_kernelI14__hip_bfloat16S0_LN4vllm18Fp8KVCacheDataTypeE0ES0_Li16ELi64ELi256ELb0ELi2EEvPKT_PKT0_S8_ifPKiSA_SA_iPKfiiiPfSD_PS3_PT2_iSC_SC_, .Lfunc_end479-_Z38paged_attention_ll4mi_QKV_mfma4_kernelI14__hip_bfloat16S0_LN4vllm18Fp8KVCacheDataTypeE0ES0_Li16ELi64ELi256ELb0ELi2EEvPKT_PKT0_S8_ifPKiSA_SA_iPKfiiiPfSD_PS3_PT2_iSC_SC_
                                        ; -- End function
	.set _Z38paged_attention_ll4mi_QKV_mfma4_kernelI14__hip_bfloat16S0_LN4vllm18Fp8KVCacheDataTypeE0ES0_Li16ELi64ELi256ELb0ELi2EEvPKT_PKT0_S8_ifPKiSA_SA_iPKfiiiPfSD_PS3_PT2_iSC_SC_.num_vgpr, max(3, .L__assert_fail.num_vgpr)
	.set _Z38paged_attention_ll4mi_QKV_mfma4_kernelI14__hip_bfloat16S0_LN4vllm18Fp8KVCacheDataTypeE0ES0_Li16ELi64ELi256ELb0ELi2EEvPKT_PKT0_S8_ifPKiSA_SA_iPKfiiiPfSD_PS3_PT2_iSC_SC_.num_agpr, max(0, .L__assert_fail.num_agpr)
	.set _Z38paged_attention_ll4mi_QKV_mfma4_kernelI14__hip_bfloat16S0_LN4vllm18Fp8KVCacheDataTypeE0ES0_Li16ELi64ELi256ELb0ELi2EEvPKT_PKT0_S8_ifPKiSA_SA_iPKfiiiPfSD_PS3_PT2_iSC_SC_.numbered_sgpr, max(33, .L__assert_fail.numbered_sgpr)
	.set _Z38paged_attention_ll4mi_QKV_mfma4_kernelI14__hip_bfloat16S0_LN4vllm18Fp8KVCacheDataTypeE0ES0_Li16ELi64ELi256ELb0ELi2EEvPKT_PKT0_S8_ifPKiSA_SA_iPKfiiiPfSD_PS3_PT2_iSC_SC_.num_named_barrier, max(0, .L__assert_fail.num_named_barrier)
	.set _Z38paged_attention_ll4mi_QKV_mfma4_kernelI14__hip_bfloat16S0_LN4vllm18Fp8KVCacheDataTypeE0ES0_Li16ELi64ELi256ELb0ELi2EEvPKT_PKT0_S8_ifPKiSA_SA_iPKfiiiPfSD_PS3_PT2_iSC_SC_.private_seg_size, 0+max(.L__assert_fail.private_seg_size)
	.set _Z38paged_attention_ll4mi_QKV_mfma4_kernelI14__hip_bfloat16S0_LN4vllm18Fp8KVCacheDataTypeE0ES0_Li16ELi64ELi256ELb0ELi2EEvPKT_PKT0_S8_ifPKiSA_SA_iPKfiiiPfSD_PS3_PT2_iSC_SC_.uses_vcc, or(1, .L__assert_fail.uses_vcc)
	.set _Z38paged_attention_ll4mi_QKV_mfma4_kernelI14__hip_bfloat16S0_LN4vllm18Fp8KVCacheDataTypeE0ES0_Li16ELi64ELi256ELb0ELi2EEvPKT_PKT0_S8_ifPKiSA_SA_iPKfiiiPfSD_PS3_PT2_iSC_SC_.uses_flat_scratch, or(0, .L__assert_fail.uses_flat_scratch)
	.set _Z38paged_attention_ll4mi_QKV_mfma4_kernelI14__hip_bfloat16S0_LN4vllm18Fp8KVCacheDataTypeE0ES0_Li16ELi64ELi256ELb0ELi2EEvPKT_PKT0_S8_ifPKiSA_SA_iPKfiiiPfSD_PS3_PT2_iSC_SC_.has_dyn_sized_stack, or(0, .L__assert_fail.has_dyn_sized_stack)
	.set _Z38paged_attention_ll4mi_QKV_mfma4_kernelI14__hip_bfloat16S0_LN4vllm18Fp8KVCacheDataTypeE0ES0_Li16ELi64ELi256ELb0ELi2EEvPKT_PKT0_S8_ifPKiSA_SA_iPKfiiiPfSD_PS3_PT2_iSC_SC_.has_recursion, or(0, .L__assert_fail.has_recursion)
	.set _Z38paged_attention_ll4mi_QKV_mfma4_kernelI14__hip_bfloat16S0_LN4vllm18Fp8KVCacheDataTypeE0ES0_Li16ELi64ELi256ELb0ELi2EEvPKT_PKT0_S8_ifPKiSA_SA_iPKfiiiPfSD_PS3_PT2_iSC_SC_.has_indirect_call, or(0, .L__assert_fail.has_indirect_call)
	.section	.AMDGPU.csdata,"",@progbits
; Kernel info:
; codeLenInByte = 68
; TotalNumSgprs: 36
; NumVgprs: 51
; ScratchSize: 64
; MemoryBound: 0
; FloatMode: 240
; IeeeMode: 1
; LDSByteSize: 0 bytes/workgroup (compile time only)
; SGPRBlocks: 0
; VGPRBlocks: 3
; NumSGPRsForWavesPerEU: 36
; NumVGPRsForWavesPerEU: 51
; NamedBarCnt: 0
; Occupancy: 16
; WaveLimiterHint : 1
; COMPUTE_PGM_RSRC2:SCRATCH_EN: 1
; COMPUTE_PGM_RSRC2:USER_SGPR: 2
; COMPUTE_PGM_RSRC2:TRAP_HANDLER: 0
; COMPUTE_PGM_RSRC2:TGID_X_EN: 1
; COMPUTE_PGM_RSRC2:TGID_Y_EN: 0
; COMPUTE_PGM_RSRC2:TGID_Z_EN: 0
; COMPUTE_PGM_RSRC2:TIDIG_COMP_CNT: 0
	.section	.text._Z38paged_attention_ll4mi_QKV_mfma4_kernelI14__hip_bfloat16S0_LN4vllm18Fp8KVCacheDataTypeE0ES0_Li16ELi64ELi256ELb0ELi3EEvPKT_PKT0_S8_ifPKiSA_SA_iPKfiiiPfSD_PS3_PT2_iSC_SC_,"axG",@progbits,_Z38paged_attention_ll4mi_QKV_mfma4_kernelI14__hip_bfloat16S0_LN4vllm18Fp8KVCacheDataTypeE0ES0_Li16ELi64ELi256ELb0ELi3EEvPKT_PKT0_S8_ifPKiSA_SA_iPKfiiiPfSD_PS3_PT2_iSC_SC_,comdat
	.protected	_Z38paged_attention_ll4mi_QKV_mfma4_kernelI14__hip_bfloat16S0_LN4vllm18Fp8KVCacheDataTypeE0ES0_Li16ELi64ELi256ELb0ELi3EEvPKT_PKT0_S8_ifPKiSA_SA_iPKfiiiPfSD_PS3_PT2_iSC_SC_ ; -- Begin function _Z38paged_attention_ll4mi_QKV_mfma4_kernelI14__hip_bfloat16S0_LN4vllm18Fp8KVCacheDataTypeE0ES0_Li16ELi64ELi256ELb0ELi3EEvPKT_PKT0_S8_ifPKiSA_SA_iPKfiiiPfSD_PS3_PT2_iSC_SC_
	.globl	_Z38paged_attention_ll4mi_QKV_mfma4_kernelI14__hip_bfloat16S0_LN4vllm18Fp8KVCacheDataTypeE0ES0_Li16ELi64ELi256ELb0ELi3EEvPKT_PKT0_S8_ifPKiSA_SA_iPKfiiiPfSD_PS3_PT2_iSC_SC_
	.p2align	8
	.type	_Z38paged_attention_ll4mi_QKV_mfma4_kernelI14__hip_bfloat16S0_LN4vllm18Fp8KVCacheDataTypeE0ES0_Li16ELi64ELi256ELb0ELi3EEvPKT_PKT0_S8_ifPKiSA_SA_iPKfiiiPfSD_PS3_PT2_iSC_SC_,@function
_Z38paged_attention_ll4mi_QKV_mfma4_kernelI14__hip_bfloat16S0_LN4vllm18Fp8KVCacheDataTypeE0ES0_Li16ELi64ELi256ELb0ELi3EEvPKT_PKT0_S8_ifPKiSA_SA_iPKfiiiPfSD_PS3_PT2_iSC_SC_: ; @_Z38paged_attention_ll4mi_QKV_mfma4_kernelI14__hip_bfloat16S0_LN4vllm18Fp8KVCacheDataTypeE0ES0_Li16ELi64ELi256ELb0ELi3EEvPKT_PKT0_S8_ifPKiSA_SA_iPKfiiiPfSD_PS3_PT2_iSC_SC_
; %bb.0:
	s_get_pc_i64 s[2:3]
	s_add_nc_u64 s[2:3], s[2:3], __PRETTY_FUNCTION__._Z38paged_attention_ll4mi_QKV_mfma4_kernelI14__hip_bfloat16S0_LN4vllm18Fp8KVCacheDataTypeE0ES0_Li16ELi64ELi256ELb0ELi3EEvPKT_PKT0_S8_ifPKiSA_SA_iPKfiiiPfSD_PS3_PT2_iSC_SC_@rel64+4
	s_delay_alu instid0(SALU_CYCLE_1)
	v_dual_mov_b32 v0, 0xbce :: v_dual_mov_b32 v1, s2
	v_mov_b32_e32 v2, s3
	s_add_nc_u64 s[8:9], s[0:1], 0x90
	s_get_pc_i64 s[0:1]
	s_add_nc_u64 s[0:1], s[0:1], __assert_fail@rel64+4
	s_mov_b32 s32, 0
	s_swap_pc_i64 s[30:31], s[0:1]
	.section	.rodata,"a",@progbits
	.p2align	6, 0x0
	.amdhsa_kernel _Z38paged_attention_ll4mi_QKV_mfma4_kernelI14__hip_bfloat16S0_LN4vllm18Fp8KVCacheDataTypeE0ES0_Li16ELi64ELi256ELb0ELi3EEvPKT_PKT0_S8_ifPKiSA_SA_iPKfiiiPfSD_PS3_PT2_iSC_SC_
		.amdhsa_group_segment_fixed_size 0
		.amdhsa_private_segment_fixed_size 64
		.amdhsa_kernarg_size 400
		.amdhsa_user_sgpr_count 2
		.amdhsa_user_sgpr_dispatch_ptr 0
		.amdhsa_user_sgpr_queue_ptr 0
		.amdhsa_user_sgpr_kernarg_segment_ptr 1
		.amdhsa_user_sgpr_dispatch_id 0
		.amdhsa_user_sgpr_kernarg_preload_length 0
		.amdhsa_user_sgpr_kernarg_preload_offset 0
		.amdhsa_user_sgpr_private_segment_size 0
		.amdhsa_wavefront_size32 1
		.amdhsa_uses_dynamic_stack 0
		.amdhsa_enable_private_segment 1
		.amdhsa_system_sgpr_workgroup_id_x 1
		.amdhsa_system_sgpr_workgroup_id_y 0
		.amdhsa_system_sgpr_workgroup_id_z 0
		.amdhsa_system_sgpr_workgroup_info 0
		.amdhsa_system_vgpr_workitem_id 0
		.amdhsa_next_free_vgpr 51
		.amdhsa_next_free_sgpr 34
		.amdhsa_named_barrier_count 0
		.amdhsa_reserve_vcc 1
		.amdhsa_float_round_mode_32 0
		.amdhsa_float_round_mode_16_64 0
		.amdhsa_float_denorm_mode_32 3
		.amdhsa_float_denorm_mode_16_64 3
		.amdhsa_fp16_overflow 0
		.amdhsa_memory_ordered 1
		.amdhsa_forward_progress 1
		.amdhsa_inst_pref_size 1
		.amdhsa_round_robin_scheduling 0
		.amdhsa_exception_fp_ieee_invalid_op 0
		.amdhsa_exception_fp_denorm_src 0
		.amdhsa_exception_fp_ieee_div_zero 0
		.amdhsa_exception_fp_ieee_overflow 0
		.amdhsa_exception_fp_ieee_underflow 0
		.amdhsa_exception_fp_ieee_inexact 0
		.amdhsa_exception_int_div_zero 0
	.end_amdhsa_kernel
	.section	.text._Z38paged_attention_ll4mi_QKV_mfma4_kernelI14__hip_bfloat16S0_LN4vllm18Fp8KVCacheDataTypeE0ES0_Li16ELi64ELi256ELb0ELi3EEvPKT_PKT0_S8_ifPKiSA_SA_iPKfiiiPfSD_PS3_PT2_iSC_SC_,"axG",@progbits,_Z38paged_attention_ll4mi_QKV_mfma4_kernelI14__hip_bfloat16S0_LN4vllm18Fp8KVCacheDataTypeE0ES0_Li16ELi64ELi256ELb0ELi3EEvPKT_PKT0_S8_ifPKiSA_SA_iPKfiiiPfSD_PS3_PT2_iSC_SC_,comdat
.Lfunc_end480:
	.size	_Z38paged_attention_ll4mi_QKV_mfma4_kernelI14__hip_bfloat16S0_LN4vllm18Fp8KVCacheDataTypeE0ES0_Li16ELi64ELi256ELb0ELi3EEvPKT_PKT0_S8_ifPKiSA_SA_iPKfiiiPfSD_PS3_PT2_iSC_SC_, .Lfunc_end480-_Z38paged_attention_ll4mi_QKV_mfma4_kernelI14__hip_bfloat16S0_LN4vllm18Fp8KVCacheDataTypeE0ES0_Li16ELi64ELi256ELb0ELi3EEvPKT_PKT0_S8_ifPKiSA_SA_iPKfiiiPfSD_PS3_PT2_iSC_SC_
                                        ; -- End function
	.set _Z38paged_attention_ll4mi_QKV_mfma4_kernelI14__hip_bfloat16S0_LN4vllm18Fp8KVCacheDataTypeE0ES0_Li16ELi64ELi256ELb0ELi3EEvPKT_PKT0_S8_ifPKiSA_SA_iPKfiiiPfSD_PS3_PT2_iSC_SC_.num_vgpr, max(3, .L__assert_fail.num_vgpr)
	.set _Z38paged_attention_ll4mi_QKV_mfma4_kernelI14__hip_bfloat16S0_LN4vllm18Fp8KVCacheDataTypeE0ES0_Li16ELi64ELi256ELb0ELi3EEvPKT_PKT0_S8_ifPKiSA_SA_iPKfiiiPfSD_PS3_PT2_iSC_SC_.num_agpr, max(0, .L__assert_fail.num_agpr)
	.set _Z38paged_attention_ll4mi_QKV_mfma4_kernelI14__hip_bfloat16S0_LN4vllm18Fp8KVCacheDataTypeE0ES0_Li16ELi64ELi256ELb0ELi3EEvPKT_PKT0_S8_ifPKiSA_SA_iPKfiiiPfSD_PS3_PT2_iSC_SC_.numbered_sgpr, max(33, .L__assert_fail.numbered_sgpr)
	.set _Z38paged_attention_ll4mi_QKV_mfma4_kernelI14__hip_bfloat16S0_LN4vllm18Fp8KVCacheDataTypeE0ES0_Li16ELi64ELi256ELb0ELi3EEvPKT_PKT0_S8_ifPKiSA_SA_iPKfiiiPfSD_PS3_PT2_iSC_SC_.num_named_barrier, max(0, .L__assert_fail.num_named_barrier)
	.set _Z38paged_attention_ll4mi_QKV_mfma4_kernelI14__hip_bfloat16S0_LN4vllm18Fp8KVCacheDataTypeE0ES0_Li16ELi64ELi256ELb0ELi3EEvPKT_PKT0_S8_ifPKiSA_SA_iPKfiiiPfSD_PS3_PT2_iSC_SC_.private_seg_size, 0+max(.L__assert_fail.private_seg_size)
	.set _Z38paged_attention_ll4mi_QKV_mfma4_kernelI14__hip_bfloat16S0_LN4vllm18Fp8KVCacheDataTypeE0ES0_Li16ELi64ELi256ELb0ELi3EEvPKT_PKT0_S8_ifPKiSA_SA_iPKfiiiPfSD_PS3_PT2_iSC_SC_.uses_vcc, or(1, .L__assert_fail.uses_vcc)
	.set _Z38paged_attention_ll4mi_QKV_mfma4_kernelI14__hip_bfloat16S0_LN4vllm18Fp8KVCacheDataTypeE0ES0_Li16ELi64ELi256ELb0ELi3EEvPKT_PKT0_S8_ifPKiSA_SA_iPKfiiiPfSD_PS3_PT2_iSC_SC_.uses_flat_scratch, or(0, .L__assert_fail.uses_flat_scratch)
	.set _Z38paged_attention_ll4mi_QKV_mfma4_kernelI14__hip_bfloat16S0_LN4vllm18Fp8KVCacheDataTypeE0ES0_Li16ELi64ELi256ELb0ELi3EEvPKT_PKT0_S8_ifPKiSA_SA_iPKfiiiPfSD_PS3_PT2_iSC_SC_.has_dyn_sized_stack, or(0, .L__assert_fail.has_dyn_sized_stack)
	.set _Z38paged_attention_ll4mi_QKV_mfma4_kernelI14__hip_bfloat16S0_LN4vllm18Fp8KVCacheDataTypeE0ES0_Li16ELi64ELi256ELb0ELi3EEvPKT_PKT0_S8_ifPKiSA_SA_iPKfiiiPfSD_PS3_PT2_iSC_SC_.has_recursion, or(0, .L__assert_fail.has_recursion)
	.set _Z38paged_attention_ll4mi_QKV_mfma4_kernelI14__hip_bfloat16S0_LN4vllm18Fp8KVCacheDataTypeE0ES0_Li16ELi64ELi256ELb0ELi3EEvPKT_PKT0_S8_ifPKiSA_SA_iPKfiiiPfSD_PS3_PT2_iSC_SC_.has_indirect_call, or(0, .L__assert_fail.has_indirect_call)
	.section	.AMDGPU.csdata,"",@progbits
; Kernel info:
; codeLenInByte = 68
; TotalNumSgprs: 36
; NumVgprs: 51
; ScratchSize: 64
; MemoryBound: 0
; FloatMode: 240
; IeeeMode: 1
; LDSByteSize: 0 bytes/workgroup (compile time only)
; SGPRBlocks: 0
; VGPRBlocks: 3
; NumSGPRsForWavesPerEU: 36
; NumVGPRsForWavesPerEU: 51
; NamedBarCnt: 0
; Occupancy: 16
; WaveLimiterHint : 1
; COMPUTE_PGM_RSRC2:SCRATCH_EN: 1
; COMPUTE_PGM_RSRC2:USER_SGPR: 2
; COMPUTE_PGM_RSRC2:TRAP_HANDLER: 0
; COMPUTE_PGM_RSRC2:TGID_X_EN: 1
; COMPUTE_PGM_RSRC2:TGID_Y_EN: 0
; COMPUTE_PGM_RSRC2:TGID_Z_EN: 0
; COMPUTE_PGM_RSRC2:TIDIG_COMP_CNT: 0
	.section	.text._Z38paged_attention_ll4mi_QKV_mfma4_kernelI14__hip_bfloat16S0_LN4vllm18Fp8KVCacheDataTypeE0ES0_Li16ELi64ELi256ELb0ELi4EEvPKT_PKT0_S8_ifPKiSA_SA_iPKfiiiPfSD_PS3_PT2_iSC_SC_,"axG",@progbits,_Z38paged_attention_ll4mi_QKV_mfma4_kernelI14__hip_bfloat16S0_LN4vllm18Fp8KVCacheDataTypeE0ES0_Li16ELi64ELi256ELb0ELi4EEvPKT_PKT0_S8_ifPKiSA_SA_iPKfiiiPfSD_PS3_PT2_iSC_SC_,comdat
	.protected	_Z38paged_attention_ll4mi_QKV_mfma4_kernelI14__hip_bfloat16S0_LN4vllm18Fp8KVCacheDataTypeE0ES0_Li16ELi64ELi256ELb0ELi4EEvPKT_PKT0_S8_ifPKiSA_SA_iPKfiiiPfSD_PS3_PT2_iSC_SC_ ; -- Begin function _Z38paged_attention_ll4mi_QKV_mfma4_kernelI14__hip_bfloat16S0_LN4vllm18Fp8KVCacheDataTypeE0ES0_Li16ELi64ELi256ELb0ELi4EEvPKT_PKT0_S8_ifPKiSA_SA_iPKfiiiPfSD_PS3_PT2_iSC_SC_
	.globl	_Z38paged_attention_ll4mi_QKV_mfma4_kernelI14__hip_bfloat16S0_LN4vllm18Fp8KVCacheDataTypeE0ES0_Li16ELi64ELi256ELb0ELi4EEvPKT_PKT0_S8_ifPKiSA_SA_iPKfiiiPfSD_PS3_PT2_iSC_SC_
	.p2align	8
	.type	_Z38paged_attention_ll4mi_QKV_mfma4_kernelI14__hip_bfloat16S0_LN4vllm18Fp8KVCacheDataTypeE0ES0_Li16ELi64ELi256ELb0ELi4EEvPKT_PKT0_S8_ifPKiSA_SA_iPKfiiiPfSD_PS3_PT2_iSC_SC_,@function
_Z38paged_attention_ll4mi_QKV_mfma4_kernelI14__hip_bfloat16S0_LN4vllm18Fp8KVCacheDataTypeE0ES0_Li16ELi64ELi256ELb0ELi4EEvPKT_PKT0_S8_ifPKiSA_SA_iPKfiiiPfSD_PS3_PT2_iSC_SC_: ; @_Z38paged_attention_ll4mi_QKV_mfma4_kernelI14__hip_bfloat16S0_LN4vllm18Fp8KVCacheDataTypeE0ES0_Li16ELi64ELi256ELb0ELi4EEvPKT_PKT0_S8_ifPKiSA_SA_iPKfiiiPfSD_PS3_PT2_iSC_SC_
; %bb.0:
	s_get_pc_i64 s[2:3]
	s_add_nc_u64 s[2:3], s[2:3], __PRETTY_FUNCTION__._Z38paged_attention_ll4mi_QKV_mfma4_kernelI14__hip_bfloat16S0_LN4vllm18Fp8KVCacheDataTypeE0ES0_Li16ELi64ELi256ELb0ELi4EEvPKT_PKT0_S8_ifPKiSA_SA_iPKfiiiPfSD_PS3_PT2_iSC_SC_@rel64+4
	s_delay_alu instid0(SALU_CYCLE_1)
	v_dual_mov_b32 v0, 0xbce :: v_dual_mov_b32 v1, s2
	v_mov_b32_e32 v2, s3
	s_add_nc_u64 s[8:9], s[0:1], 0x90
	s_get_pc_i64 s[0:1]
	s_add_nc_u64 s[0:1], s[0:1], __assert_fail@rel64+4
	s_mov_b32 s32, 0
	s_swap_pc_i64 s[30:31], s[0:1]
	.section	.rodata,"a",@progbits
	.p2align	6, 0x0
	.amdhsa_kernel _Z38paged_attention_ll4mi_QKV_mfma4_kernelI14__hip_bfloat16S0_LN4vllm18Fp8KVCacheDataTypeE0ES0_Li16ELi64ELi256ELb0ELi4EEvPKT_PKT0_S8_ifPKiSA_SA_iPKfiiiPfSD_PS3_PT2_iSC_SC_
		.amdhsa_group_segment_fixed_size 0
		.amdhsa_private_segment_fixed_size 64
		.amdhsa_kernarg_size 400
		.amdhsa_user_sgpr_count 2
		.amdhsa_user_sgpr_dispatch_ptr 0
		.amdhsa_user_sgpr_queue_ptr 0
		.amdhsa_user_sgpr_kernarg_segment_ptr 1
		.amdhsa_user_sgpr_dispatch_id 0
		.amdhsa_user_sgpr_kernarg_preload_length 0
		.amdhsa_user_sgpr_kernarg_preload_offset 0
		.amdhsa_user_sgpr_private_segment_size 0
		.amdhsa_wavefront_size32 1
		.amdhsa_uses_dynamic_stack 0
		.amdhsa_enable_private_segment 1
		.amdhsa_system_sgpr_workgroup_id_x 1
		.amdhsa_system_sgpr_workgroup_id_y 0
		.amdhsa_system_sgpr_workgroup_id_z 0
		.amdhsa_system_sgpr_workgroup_info 0
		.amdhsa_system_vgpr_workitem_id 0
		.amdhsa_next_free_vgpr 51
		.amdhsa_next_free_sgpr 34
		.amdhsa_named_barrier_count 0
		.amdhsa_reserve_vcc 1
		.amdhsa_float_round_mode_32 0
		.amdhsa_float_round_mode_16_64 0
		.amdhsa_float_denorm_mode_32 3
		.amdhsa_float_denorm_mode_16_64 3
		.amdhsa_fp16_overflow 0
		.amdhsa_memory_ordered 1
		.amdhsa_forward_progress 1
		.amdhsa_inst_pref_size 1
		.amdhsa_round_robin_scheduling 0
		.amdhsa_exception_fp_ieee_invalid_op 0
		.amdhsa_exception_fp_denorm_src 0
		.amdhsa_exception_fp_ieee_div_zero 0
		.amdhsa_exception_fp_ieee_overflow 0
		.amdhsa_exception_fp_ieee_underflow 0
		.amdhsa_exception_fp_ieee_inexact 0
		.amdhsa_exception_int_div_zero 0
	.end_amdhsa_kernel
	.section	.text._Z38paged_attention_ll4mi_QKV_mfma4_kernelI14__hip_bfloat16S0_LN4vllm18Fp8KVCacheDataTypeE0ES0_Li16ELi64ELi256ELb0ELi4EEvPKT_PKT0_S8_ifPKiSA_SA_iPKfiiiPfSD_PS3_PT2_iSC_SC_,"axG",@progbits,_Z38paged_attention_ll4mi_QKV_mfma4_kernelI14__hip_bfloat16S0_LN4vllm18Fp8KVCacheDataTypeE0ES0_Li16ELi64ELi256ELb0ELi4EEvPKT_PKT0_S8_ifPKiSA_SA_iPKfiiiPfSD_PS3_PT2_iSC_SC_,comdat
.Lfunc_end481:
	.size	_Z38paged_attention_ll4mi_QKV_mfma4_kernelI14__hip_bfloat16S0_LN4vllm18Fp8KVCacheDataTypeE0ES0_Li16ELi64ELi256ELb0ELi4EEvPKT_PKT0_S8_ifPKiSA_SA_iPKfiiiPfSD_PS3_PT2_iSC_SC_, .Lfunc_end481-_Z38paged_attention_ll4mi_QKV_mfma4_kernelI14__hip_bfloat16S0_LN4vllm18Fp8KVCacheDataTypeE0ES0_Li16ELi64ELi256ELb0ELi4EEvPKT_PKT0_S8_ifPKiSA_SA_iPKfiiiPfSD_PS3_PT2_iSC_SC_
                                        ; -- End function
	.set _Z38paged_attention_ll4mi_QKV_mfma4_kernelI14__hip_bfloat16S0_LN4vllm18Fp8KVCacheDataTypeE0ES0_Li16ELi64ELi256ELb0ELi4EEvPKT_PKT0_S8_ifPKiSA_SA_iPKfiiiPfSD_PS3_PT2_iSC_SC_.num_vgpr, max(3, .L__assert_fail.num_vgpr)
	.set _Z38paged_attention_ll4mi_QKV_mfma4_kernelI14__hip_bfloat16S0_LN4vllm18Fp8KVCacheDataTypeE0ES0_Li16ELi64ELi256ELb0ELi4EEvPKT_PKT0_S8_ifPKiSA_SA_iPKfiiiPfSD_PS3_PT2_iSC_SC_.num_agpr, max(0, .L__assert_fail.num_agpr)
	.set _Z38paged_attention_ll4mi_QKV_mfma4_kernelI14__hip_bfloat16S0_LN4vllm18Fp8KVCacheDataTypeE0ES0_Li16ELi64ELi256ELb0ELi4EEvPKT_PKT0_S8_ifPKiSA_SA_iPKfiiiPfSD_PS3_PT2_iSC_SC_.numbered_sgpr, max(33, .L__assert_fail.numbered_sgpr)
	.set _Z38paged_attention_ll4mi_QKV_mfma4_kernelI14__hip_bfloat16S0_LN4vllm18Fp8KVCacheDataTypeE0ES0_Li16ELi64ELi256ELb0ELi4EEvPKT_PKT0_S8_ifPKiSA_SA_iPKfiiiPfSD_PS3_PT2_iSC_SC_.num_named_barrier, max(0, .L__assert_fail.num_named_barrier)
	.set _Z38paged_attention_ll4mi_QKV_mfma4_kernelI14__hip_bfloat16S0_LN4vllm18Fp8KVCacheDataTypeE0ES0_Li16ELi64ELi256ELb0ELi4EEvPKT_PKT0_S8_ifPKiSA_SA_iPKfiiiPfSD_PS3_PT2_iSC_SC_.private_seg_size, 0+max(.L__assert_fail.private_seg_size)
	.set _Z38paged_attention_ll4mi_QKV_mfma4_kernelI14__hip_bfloat16S0_LN4vllm18Fp8KVCacheDataTypeE0ES0_Li16ELi64ELi256ELb0ELi4EEvPKT_PKT0_S8_ifPKiSA_SA_iPKfiiiPfSD_PS3_PT2_iSC_SC_.uses_vcc, or(1, .L__assert_fail.uses_vcc)
	.set _Z38paged_attention_ll4mi_QKV_mfma4_kernelI14__hip_bfloat16S0_LN4vllm18Fp8KVCacheDataTypeE0ES0_Li16ELi64ELi256ELb0ELi4EEvPKT_PKT0_S8_ifPKiSA_SA_iPKfiiiPfSD_PS3_PT2_iSC_SC_.uses_flat_scratch, or(0, .L__assert_fail.uses_flat_scratch)
	.set _Z38paged_attention_ll4mi_QKV_mfma4_kernelI14__hip_bfloat16S0_LN4vllm18Fp8KVCacheDataTypeE0ES0_Li16ELi64ELi256ELb0ELi4EEvPKT_PKT0_S8_ifPKiSA_SA_iPKfiiiPfSD_PS3_PT2_iSC_SC_.has_dyn_sized_stack, or(0, .L__assert_fail.has_dyn_sized_stack)
	.set _Z38paged_attention_ll4mi_QKV_mfma4_kernelI14__hip_bfloat16S0_LN4vllm18Fp8KVCacheDataTypeE0ES0_Li16ELi64ELi256ELb0ELi4EEvPKT_PKT0_S8_ifPKiSA_SA_iPKfiiiPfSD_PS3_PT2_iSC_SC_.has_recursion, or(0, .L__assert_fail.has_recursion)
	.set _Z38paged_attention_ll4mi_QKV_mfma4_kernelI14__hip_bfloat16S0_LN4vllm18Fp8KVCacheDataTypeE0ES0_Li16ELi64ELi256ELb0ELi4EEvPKT_PKT0_S8_ifPKiSA_SA_iPKfiiiPfSD_PS3_PT2_iSC_SC_.has_indirect_call, or(0, .L__assert_fail.has_indirect_call)
	.section	.AMDGPU.csdata,"",@progbits
; Kernel info:
; codeLenInByte = 68
; TotalNumSgprs: 36
; NumVgprs: 51
; ScratchSize: 64
; MemoryBound: 0
; FloatMode: 240
; IeeeMode: 1
; LDSByteSize: 0 bytes/workgroup (compile time only)
; SGPRBlocks: 0
; VGPRBlocks: 3
; NumSGPRsForWavesPerEU: 36
; NumVGPRsForWavesPerEU: 51
; NamedBarCnt: 0
; Occupancy: 16
; WaveLimiterHint : 1
; COMPUTE_PGM_RSRC2:SCRATCH_EN: 1
; COMPUTE_PGM_RSRC2:USER_SGPR: 2
; COMPUTE_PGM_RSRC2:TRAP_HANDLER: 0
; COMPUTE_PGM_RSRC2:TGID_X_EN: 1
; COMPUTE_PGM_RSRC2:TGID_Y_EN: 0
; COMPUTE_PGM_RSRC2:TGID_Z_EN: 0
; COMPUTE_PGM_RSRC2:TIDIG_COMP_CNT: 0
	.section	.text._Z39paged_attention_ll4mi_QKV_mfma16_kernelI14__hip_bfloat16S0_LN4vllm18Fp8KVCacheDataTypeE0ES0_Li16ELi64ELi256ELb0ELi5EEvPKT_PKT0_S8_ifPKiSA_SA_iPKfiiiPfSD_PS3_PT2_iSC_SC_,"axG",@progbits,_Z39paged_attention_ll4mi_QKV_mfma16_kernelI14__hip_bfloat16S0_LN4vllm18Fp8KVCacheDataTypeE0ES0_Li16ELi64ELi256ELb0ELi5EEvPKT_PKT0_S8_ifPKiSA_SA_iPKfiiiPfSD_PS3_PT2_iSC_SC_,comdat
	.protected	_Z39paged_attention_ll4mi_QKV_mfma16_kernelI14__hip_bfloat16S0_LN4vllm18Fp8KVCacheDataTypeE0ES0_Li16ELi64ELi256ELb0ELi5EEvPKT_PKT0_S8_ifPKiSA_SA_iPKfiiiPfSD_PS3_PT2_iSC_SC_ ; -- Begin function _Z39paged_attention_ll4mi_QKV_mfma16_kernelI14__hip_bfloat16S0_LN4vllm18Fp8KVCacheDataTypeE0ES0_Li16ELi64ELi256ELb0ELi5EEvPKT_PKT0_S8_ifPKiSA_SA_iPKfiiiPfSD_PS3_PT2_iSC_SC_
	.globl	_Z39paged_attention_ll4mi_QKV_mfma16_kernelI14__hip_bfloat16S0_LN4vllm18Fp8KVCacheDataTypeE0ES0_Li16ELi64ELi256ELb0ELi5EEvPKT_PKT0_S8_ifPKiSA_SA_iPKfiiiPfSD_PS3_PT2_iSC_SC_
	.p2align	8
	.type	_Z39paged_attention_ll4mi_QKV_mfma16_kernelI14__hip_bfloat16S0_LN4vllm18Fp8KVCacheDataTypeE0ES0_Li16ELi64ELi256ELb0ELi5EEvPKT_PKT0_S8_ifPKiSA_SA_iPKfiiiPfSD_PS3_PT2_iSC_SC_,@function
_Z39paged_attention_ll4mi_QKV_mfma16_kernelI14__hip_bfloat16S0_LN4vllm18Fp8KVCacheDataTypeE0ES0_Li16ELi64ELi256ELb0ELi5EEvPKT_PKT0_S8_ifPKiSA_SA_iPKfiiiPfSD_PS3_PT2_iSC_SC_: ; @_Z39paged_attention_ll4mi_QKV_mfma16_kernelI14__hip_bfloat16S0_LN4vllm18Fp8KVCacheDataTypeE0ES0_Li16ELi64ELi256ELb0ELi5EEvPKT_PKT0_S8_ifPKiSA_SA_iPKfiiiPfSD_PS3_PT2_iSC_SC_
; %bb.0:
	s_get_pc_i64 s[2:3]
	s_add_nc_u64 s[2:3], s[2:3], __PRETTY_FUNCTION__._Z39paged_attention_ll4mi_QKV_mfma16_kernelI14__hip_bfloat16S0_LN4vllm18Fp8KVCacheDataTypeE0ES0_Li16ELi64ELi256ELb0ELi5EEvPKT_PKT0_S8_ifPKiSA_SA_iPKfiiiPfSD_PS3_PT2_iSC_SC_@rel64+4
	s_delay_alu instid0(SALU_CYCLE_1)
	v_dual_mov_b32 v0, 0xbb3 :: v_dual_mov_b32 v1, s2
	v_mov_b32_e32 v2, s3
	s_add_nc_u64 s[8:9], s[0:1], 0x90
	s_get_pc_i64 s[0:1]
	s_add_nc_u64 s[0:1], s[0:1], __assert_fail@rel64+4
	s_mov_b32 s32, 0
	s_swap_pc_i64 s[30:31], s[0:1]
	.section	.rodata,"a",@progbits
	.p2align	6, 0x0
	.amdhsa_kernel _Z39paged_attention_ll4mi_QKV_mfma16_kernelI14__hip_bfloat16S0_LN4vllm18Fp8KVCacheDataTypeE0ES0_Li16ELi64ELi256ELb0ELi5EEvPKT_PKT0_S8_ifPKiSA_SA_iPKfiiiPfSD_PS3_PT2_iSC_SC_
		.amdhsa_group_segment_fixed_size 0
		.amdhsa_private_segment_fixed_size 64
		.amdhsa_kernarg_size 400
		.amdhsa_user_sgpr_count 2
		.amdhsa_user_sgpr_dispatch_ptr 0
		.amdhsa_user_sgpr_queue_ptr 0
		.amdhsa_user_sgpr_kernarg_segment_ptr 1
		.amdhsa_user_sgpr_dispatch_id 0
		.amdhsa_user_sgpr_kernarg_preload_length 0
		.amdhsa_user_sgpr_kernarg_preload_offset 0
		.amdhsa_user_sgpr_private_segment_size 0
		.amdhsa_wavefront_size32 1
		.amdhsa_uses_dynamic_stack 0
		.amdhsa_enable_private_segment 1
		.amdhsa_system_sgpr_workgroup_id_x 1
		.amdhsa_system_sgpr_workgroup_id_y 0
		.amdhsa_system_sgpr_workgroup_id_z 0
		.amdhsa_system_sgpr_workgroup_info 0
		.amdhsa_system_vgpr_workitem_id 0
		.amdhsa_next_free_vgpr 51
		.amdhsa_next_free_sgpr 34
		.amdhsa_named_barrier_count 0
		.amdhsa_reserve_vcc 1
		.amdhsa_float_round_mode_32 0
		.amdhsa_float_round_mode_16_64 0
		.amdhsa_float_denorm_mode_32 3
		.amdhsa_float_denorm_mode_16_64 3
		.amdhsa_fp16_overflow 0
		.amdhsa_memory_ordered 1
		.amdhsa_forward_progress 1
		.amdhsa_inst_pref_size 1
		.amdhsa_round_robin_scheduling 0
		.amdhsa_exception_fp_ieee_invalid_op 0
		.amdhsa_exception_fp_denorm_src 0
		.amdhsa_exception_fp_ieee_div_zero 0
		.amdhsa_exception_fp_ieee_overflow 0
		.amdhsa_exception_fp_ieee_underflow 0
		.amdhsa_exception_fp_ieee_inexact 0
		.amdhsa_exception_int_div_zero 0
	.end_amdhsa_kernel
	.section	.text._Z39paged_attention_ll4mi_QKV_mfma16_kernelI14__hip_bfloat16S0_LN4vllm18Fp8KVCacheDataTypeE0ES0_Li16ELi64ELi256ELb0ELi5EEvPKT_PKT0_S8_ifPKiSA_SA_iPKfiiiPfSD_PS3_PT2_iSC_SC_,"axG",@progbits,_Z39paged_attention_ll4mi_QKV_mfma16_kernelI14__hip_bfloat16S0_LN4vllm18Fp8KVCacheDataTypeE0ES0_Li16ELi64ELi256ELb0ELi5EEvPKT_PKT0_S8_ifPKiSA_SA_iPKfiiiPfSD_PS3_PT2_iSC_SC_,comdat
.Lfunc_end482:
	.size	_Z39paged_attention_ll4mi_QKV_mfma16_kernelI14__hip_bfloat16S0_LN4vllm18Fp8KVCacheDataTypeE0ES0_Li16ELi64ELi256ELb0ELi5EEvPKT_PKT0_S8_ifPKiSA_SA_iPKfiiiPfSD_PS3_PT2_iSC_SC_, .Lfunc_end482-_Z39paged_attention_ll4mi_QKV_mfma16_kernelI14__hip_bfloat16S0_LN4vllm18Fp8KVCacheDataTypeE0ES0_Li16ELi64ELi256ELb0ELi5EEvPKT_PKT0_S8_ifPKiSA_SA_iPKfiiiPfSD_PS3_PT2_iSC_SC_
                                        ; -- End function
	.set _Z39paged_attention_ll4mi_QKV_mfma16_kernelI14__hip_bfloat16S0_LN4vllm18Fp8KVCacheDataTypeE0ES0_Li16ELi64ELi256ELb0ELi5EEvPKT_PKT0_S8_ifPKiSA_SA_iPKfiiiPfSD_PS3_PT2_iSC_SC_.num_vgpr, max(3, .L__assert_fail.num_vgpr)
	.set _Z39paged_attention_ll4mi_QKV_mfma16_kernelI14__hip_bfloat16S0_LN4vllm18Fp8KVCacheDataTypeE0ES0_Li16ELi64ELi256ELb0ELi5EEvPKT_PKT0_S8_ifPKiSA_SA_iPKfiiiPfSD_PS3_PT2_iSC_SC_.num_agpr, max(0, .L__assert_fail.num_agpr)
	.set _Z39paged_attention_ll4mi_QKV_mfma16_kernelI14__hip_bfloat16S0_LN4vllm18Fp8KVCacheDataTypeE0ES0_Li16ELi64ELi256ELb0ELi5EEvPKT_PKT0_S8_ifPKiSA_SA_iPKfiiiPfSD_PS3_PT2_iSC_SC_.numbered_sgpr, max(33, .L__assert_fail.numbered_sgpr)
	.set _Z39paged_attention_ll4mi_QKV_mfma16_kernelI14__hip_bfloat16S0_LN4vllm18Fp8KVCacheDataTypeE0ES0_Li16ELi64ELi256ELb0ELi5EEvPKT_PKT0_S8_ifPKiSA_SA_iPKfiiiPfSD_PS3_PT2_iSC_SC_.num_named_barrier, max(0, .L__assert_fail.num_named_barrier)
	.set _Z39paged_attention_ll4mi_QKV_mfma16_kernelI14__hip_bfloat16S0_LN4vllm18Fp8KVCacheDataTypeE0ES0_Li16ELi64ELi256ELb0ELi5EEvPKT_PKT0_S8_ifPKiSA_SA_iPKfiiiPfSD_PS3_PT2_iSC_SC_.private_seg_size, 0+max(.L__assert_fail.private_seg_size)
	.set _Z39paged_attention_ll4mi_QKV_mfma16_kernelI14__hip_bfloat16S0_LN4vllm18Fp8KVCacheDataTypeE0ES0_Li16ELi64ELi256ELb0ELi5EEvPKT_PKT0_S8_ifPKiSA_SA_iPKfiiiPfSD_PS3_PT2_iSC_SC_.uses_vcc, or(1, .L__assert_fail.uses_vcc)
	.set _Z39paged_attention_ll4mi_QKV_mfma16_kernelI14__hip_bfloat16S0_LN4vllm18Fp8KVCacheDataTypeE0ES0_Li16ELi64ELi256ELb0ELi5EEvPKT_PKT0_S8_ifPKiSA_SA_iPKfiiiPfSD_PS3_PT2_iSC_SC_.uses_flat_scratch, or(0, .L__assert_fail.uses_flat_scratch)
	.set _Z39paged_attention_ll4mi_QKV_mfma16_kernelI14__hip_bfloat16S0_LN4vllm18Fp8KVCacheDataTypeE0ES0_Li16ELi64ELi256ELb0ELi5EEvPKT_PKT0_S8_ifPKiSA_SA_iPKfiiiPfSD_PS3_PT2_iSC_SC_.has_dyn_sized_stack, or(0, .L__assert_fail.has_dyn_sized_stack)
	.set _Z39paged_attention_ll4mi_QKV_mfma16_kernelI14__hip_bfloat16S0_LN4vllm18Fp8KVCacheDataTypeE0ES0_Li16ELi64ELi256ELb0ELi5EEvPKT_PKT0_S8_ifPKiSA_SA_iPKfiiiPfSD_PS3_PT2_iSC_SC_.has_recursion, or(0, .L__assert_fail.has_recursion)
	.set _Z39paged_attention_ll4mi_QKV_mfma16_kernelI14__hip_bfloat16S0_LN4vllm18Fp8KVCacheDataTypeE0ES0_Li16ELi64ELi256ELb0ELi5EEvPKT_PKT0_S8_ifPKiSA_SA_iPKfiiiPfSD_PS3_PT2_iSC_SC_.has_indirect_call, or(0, .L__assert_fail.has_indirect_call)
	.section	.AMDGPU.csdata,"",@progbits
; Kernel info:
; codeLenInByte = 68
; TotalNumSgprs: 36
; NumVgprs: 51
; ScratchSize: 64
; MemoryBound: 0
; FloatMode: 240
; IeeeMode: 1
; LDSByteSize: 0 bytes/workgroup (compile time only)
; SGPRBlocks: 0
; VGPRBlocks: 3
; NumSGPRsForWavesPerEU: 36
; NumVGPRsForWavesPerEU: 51
; NamedBarCnt: 0
; Occupancy: 16
; WaveLimiterHint : 1
; COMPUTE_PGM_RSRC2:SCRATCH_EN: 1
; COMPUTE_PGM_RSRC2:USER_SGPR: 2
; COMPUTE_PGM_RSRC2:TRAP_HANDLER: 0
; COMPUTE_PGM_RSRC2:TGID_X_EN: 1
; COMPUTE_PGM_RSRC2:TGID_Y_EN: 0
; COMPUTE_PGM_RSRC2:TGID_Z_EN: 0
; COMPUTE_PGM_RSRC2:TIDIG_COMP_CNT: 0
	.section	.text._Z39paged_attention_ll4mi_QKV_mfma16_kernelI14__hip_bfloat16S0_LN4vllm18Fp8KVCacheDataTypeE0ES0_Li16ELi64ELi256ELb0ELi6EEvPKT_PKT0_S8_ifPKiSA_SA_iPKfiiiPfSD_PS3_PT2_iSC_SC_,"axG",@progbits,_Z39paged_attention_ll4mi_QKV_mfma16_kernelI14__hip_bfloat16S0_LN4vllm18Fp8KVCacheDataTypeE0ES0_Li16ELi64ELi256ELb0ELi6EEvPKT_PKT0_S8_ifPKiSA_SA_iPKfiiiPfSD_PS3_PT2_iSC_SC_,comdat
	.protected	_Z39paged_attention_ll4mi_QKV_mfma16_kernelI14__hip_bfloat16S0_LN4vllm18Fp8KVCacheDataTypeE0ES0_Li16ELi64ELi256ELb0ELi6EEvPKT_PKT0_S8_ifPKiSA_SA_iPKfiiiPfSD_PS3_PT2_iSC_SC_ ; -- Begin function _Z39paged_attention_ll4mi_QKV_mfma16_kernelI14__hip_bfloat16S0_LN4vllm18Fp8KVCacheDataTypeE0ES0_Li16ELi64ELi256ELb0ELi6EEvPKT_PKT0_S8_ifPKiSA_SA_iPKfiiiPfSD_PS3_PT2_iSC_SC_
	.globl	_Z39paged_attention_ll4mi_QKV_mfma16_kernelI14__hip_bfloat16S0_LN4vllm18Fp8KVCacheDataTypeE0ES0_Li16ELi64ELi256ELb0ELi6EEvPKT_PKT0_S8_ifPKiSA_SA_iPKfiiiPfSD_PS3_PT2_iSC_SC_
	.p2align	8
	.type	_Z39paged_attention_ll4mi_QKV_mfma16_kernelI14__hip_bfloat16S0_LN4vllm18Fp8KVCacheDataTypeE0ES0_Li16ELi64ELi256ELb0ELi6EEvPKT_PKT0_S8_ifPKiSA_SA_iPKfiiiPfSD_PS3_PT2_iSC_SC_,@function
_Z39paged_attention_ll4mi_QKV_mfma16_kernelI14__hip_bfloat16S0_LN4vllm18Fp8KVCacheDataTypeE0ES0_Li16ELi64ELi256ELb0ELi6EEvPKT_PKT0_S8_ifPKiSA_SA_iPKfiiiPfSD_PS3_PT2_iSC_SC_: ; @_Z39paged_attention_ll4mi_QKV_mfma16_kernelI14__hip_bfloat16S0_LN4vllm18Fp8KVCacheDataTypeE0ES0_Li16ELi64ELi256ELb0ELi6EEvPKT_PKT0_S8_ifPKiSA_SA_iPKfiiiPfSD_PS3_PT2_iSC_SC_
; %bb.0:
	s_get_pc_i64 s[2:3]
	s_add_nc_u64 s[2:3], s[2:3], __PRETTY_FUNCTION__._Z39paged_attention_ll4mi_QKV_mfma16_kernelI14__hip_bfloat16S0_LN4vllm18Fp8KVCacheDataTypeE0ES0_Li16ELi64ELi256ELb0ELi6EEvPKT_PKT0_S8_ifPKiSA_SA_iPKfiiiPfSD_PS3_PT2_iSC_SC_@rel64+4
	s_delay_alu instid0(SALU_CYCLE_1)
	v_dual_mov_b32 v0, 0xbb3 :: v_dual_mov_b32 v1, s2
	v_mov_b32_e32 v2, s3
	s_add_nc_u64 s[8:9], s[0:1], 0x90
	s_get_pc_i64 s[0:1]
	s_add_nc_u64 s[0:1], s[0:1], __assert_fail@rel64+4
	s_mov_b32 s32, 0
	s_swap_pc_i64 s[30:31], s[0:1]
	.section	.rodata,"a",@progbits
	.p2align	6, 0x0
	.amdhsa_kernel _Z39paged_attention_ll4mi_QKV_mfma16_kernelI14__hip_bfloat16S0_LN4vllm18Fp8KVCacheDataTypeE0ES0_Li16ELi64ELi256ELb0ELi6EEvPKT_PKT0_S8_ifPKiSA_SA_iPKfiiiPfSD_PS3_PT2_iSC_SC_
		.amdhsa_group_segment_fixed_size 0
		.amdhsa_private_segment_fixed_size 64
		.amdhsa_kernarg_size 400
		.amdhsa_user_sgpr_count 2
		.amdhsa_user_sgpr_dispatch_ptr 0
		.amdhsa_user_sgpr_queue_ptr 0
		.amdhsa_user_sgpr_kernarg_segment_ptr 1
		.amdhsa_user_sgpr_dispatch_id 0
		.amdhsa_user_sgpr_kernarg_preload_length 0
		.amdhsa_user_sgpr_kernarg_preload_offset 0
		.amdhsa_user_sgpr_private_segment_size 0
		.amdhsa_wavefront_size32 1
		.amdhsa_uses_dynamic_stack 0
		.amdhsa_enable_private_segment 1
		.amdhsa_system_sgpr_workgroup_id_x 1
		.amdhsa_system_sgpr_workgroup_id_y 0
		.amdhsa_system_sgpr_workgroup_id_z 0
		.amdhsa_system_sgpr_workgroup_info 0
		.amdhsa_system_vgpr_workitem_id 0
		.amdhsa_next_free_vgpr 51
		.amdhsa_next_free_sgpr 34
		.amdhsa_named_barrier_count 0
		.amdhsa_reserve_vcc 1
		.amdhsa_float_round_mode_32 0
		.amdhsa_float_round_mode_16_64 0
		.amdhsa_float_denorm_mode_32 3
		.amdhsa_float_denorm_mode_16_64 3
		.amdhsa_fp16_overflow 0
		.amdhsa_memory_ordered 1
		.amdhsa_forward_progress 1
		.amdhsa_inst_pref_size 1
		.amdhsa_round_robin_scheduling 0
		.amdhsa_exception_fp_ieee_invalid_op 0
		.amdhsa_exception_fp_denorm_src 0
		.amdhsa_exception_fp_ieee_div_zero 0
		.amdhsa_exception_fp_ieee_overflow 0
		.amdhsa_exception_fp_ieee_underflow 0
		.amdhsa_exception_fp_ieee_inexact 0
		.amdhsa_exception_int_div_zero 0
	.end_amdhsa_kernel
	.section	.text._Z39paged_attention_ll4mi_QKV_mfma16_kernelI14__hip_bfloat16S0_LN4vllm18Fp8KVCacheDataTypeE0ES0_Li16ELi64ELi256ELb0ELi6EEvPKT_PKT0_S8_ifPKiSA_SA_iPKfiiiPfSD_PS3_PT2_iSC_SC_,"axG",@progbits,_Z39paged_attention_ll4mi_QKV_mfma16_kernelI14__hip_bfloat16S0_LN4vllm18Fp8KVCacheDataTypeE0ES0_Li16ELi64ELi256ELb0ELi6EEvPKT_PKT0_S8_ifPKiSA_SA_iPKfiiiPfSD_PS3_PT2_iSC_SC_,comdat
.Lfunc_end483:
	.size	_Z39paged_attention_ll4mi_QKV_mfma16_kernelI14__hip_bfloat16S0_LN4vllm18Fp8KVCacheDataTypeE0ES0_Li16ELi64ELi256ELb0ELi6EEvPKT_PKT0_S8_ifPKiSA_SA_iPKfiiiPfSD_PS3_PT2_iSC_SC_, .Lfunc_end483-_Z39paged_attention_ll4mi_QKV_mfma16_kernelI14__hip_bfloat16S0_LN4vllm18Fp8KVCacheDataTypeE0ES0_Li16ELi64ELi256ELb0ELi6EEvPKT_PKT0_S8_ifPKiSA_SA_iPKfiiiPfSD_PS3_PT2_iSC_SC_
                                        ; -- End function
	.set _Z39paged_attention_ll4mi_QKV_mfma16_kernelI14__hip_bfloat16S0_LN4vllm18Fp8KVCacheDataTypeE0ES0_Li16ELi64ELi256ELb0ELi6EEvPKT_PKT0_S8_ifPKiSA_SA_iPKfiiiPfSD_PS3_PT2_iSC_SC_.num_vgpr, max(3, .L__assert_fail.num_vgpr)
	.set _Z39paged_attention_ll4mi_QKV_mfma16_kernelI14__hip_bfloat16S0_LN4vllm18Fp8KVCacheDataTypeE0ES0_Li16ELi64ELi256ELb0ELi6EEvPKT_PKT0_S8_ifPKiSA_SA_iPKfiiiPfSD_PS3_PT2_iSC_SC_.num_agpr, max(0, .L__assert_fail.num_agpr)
	.set _Z39paged_attention_ll4mi_QKV_mfma16_kernelI14__hip_bfloat16S0_LN4vllm18Fp8KVCacheDataTypeE0ES0_Li16ELi64ELi256ELb0ELi6EEvPKT_PKT0_S8_ifPKiSA_SA_iPKfiiiPfSD_PS3_PT2_iSC_SC_.numbered_sgpr, max(33, .L__assert_fail.numbered_sgpr)
	.set _Z39paged_attention_ll4mi_QKV_mfma16_kernelI14__hip_bfloat16S0_LN4vllm18Fp8KVCacheDataTypeE0ES0_Li16ELi64ELi256ELb0ELi6EEvPKT_PKT0_S8_ifPKiSA_SA_iPKfiiiPfSD_PS3_PT2_iSC_SC_.num_named_barrier, max(0, .L__assert_fail.num_named_barrier)
	.set _Z39paged_attention_ll4mi_QKV_mfma16_kernelI14__hip_bfloat16S0_LN4vllm18Fp8KVCacheDataTypeE0ES0_Li16ELi64ELi256ELb0ELi6EEvPKT_PKT0_S8_ifPKiSA_SA_iPKfiiiPfSD_PS3_PT2_iSC_SC_.private_seg_size, 0+max(.L__assert_fail.private_seg_size)
	.set _Z39paged_attention_ll4mi_QKV_mfma16_kernelI14__hip_bfloat16S0_LN4vllm18Fp8KVCacheDataTypeE0ES0_Li16ELi64ELi256ELb0ELi6EEvPKT_PKT0_S8_ifPKiSA_SA_iPKfiiiPfSD_PS3_PT2_iSC_SC_.uses_vcc, or(1, .L__assert_fail.uses_vcc)
	.set _Z39paged_attention_ll4mi_QKV_mfma16_kernelI14__hip_bfloat16S0_LN4vllm18Fp8KVCacheDataTypeE0ES0_Li16ELi64ELi256ELb0ELi6EEvPKT_PKT0_S8_ifPKiSA_SA_iPKfiiiPfSD_PS3_PT2_iSC_SC_.uses_flat_scratch, or(0, .L__assert_fail.uses_flat_scratch)
	.set _Z39paged_attention_ll4mi_QKV_mfma16_kernelI14__hip_bfloat16S0_LN4vllm18Fp8KVCacheDataTypeE0ES0_Li16ELi64ELi256ELb0ELi6EEvPKT_PKT0_S8_ifPKiSA_SA_iPKfiiiPfSD_PS3_PT2_iSC_SC_.has_dyn_sized_stack, or(0, .L__assert_fail.has_dyn_sized_stack)
	.set _Z39paged_attention_ll4mi_QKV_mfma16_kernelI14__hip_bfloat16S0_LN4vllm18Fp8KVCacheDataTypeE0ES0_Li16ELi64ELi256ELb0ELi6EEvPKT_PKT0_S8_ifPKiSA_SA_iPKfiiiPfSD_PS3_PT2_iSC_SC_.has_recursion, or(0, .L__assert_fail.has_recursion)
	.set _Z39paged_attention_ll4mi_QKV_mfma16_kernelI14__hip_bfloat16S0_LN4vllm18Fp8KVCacheDataTypeE0ES0_Li16ELi64ELi256ELb0ELi6EEvPKT_PKT0_S8_ifPKiSA_SA_iPKfiiiPfSD_PS3_PT2_iSC_SC_.has_indirect_call, or(0, .L__assert_fail.has_indirect_call)
	.section	.AMDGPU.csdata,"",@progbits
; Kernel info:
; codeLenInByte = 68
; TotalNumSgprs: 36
; NumVgprs: 51
; ScratchSize: 64
; MemoryBound: 0
; FloatMode: 240
; IeeeMode: 1
; LDSByteSize: 0 bytes/workgroup (compile time only)
; SGPRBlocks: 0
; VGPRBlocks: 3
; NumSGPRsForWavesPerEU: 36
; NumVGPRsForWavesPerEU: 51
; NamedBarCnt: 0
; Occupancy: 16
; WaveLimiterHint : 1
; COMPUTE_PGM_RSRC2:SCRATCH_EN: 1
; COMPUTE_PGM_RSRC2:USER_SGPR: 2
; COMPUTE_PGM_RSRC2:TRAP_HANDLER: 0
; COMPUTE_PGM_RSRC2:TGID_X_EN: 1
; COMPUTE_PGM_RSRC2:TGID_Y_EN: 0
; COMPUTE_PGM_RSRC2:TGID_Z_EN: 0
; COMPUTE_PGM_RSRC2:TIDIG_COMP_CNT: 0
	.section	.text._Z39paged_attention_ll4mi_QKV_mfma16_kernelI14__hip_bfloat16S0_LN4vllm18Fp8KVCacheDataTypeE0ES0_Li16ELi64ELi256ELb0ELi7EEvPKT_PKT0_S8_ifPKiSA_SA_iPKfiiiPfSD_PS3_PT2_iSC_SC_,"axG",@progbits,_Z39paged_attention_ll4mi_QKV_mfma16_kernelI14__hip_bfloat16S0_LN4vllm18Fp8KVCacheDataTypeE0ES0_Li16ELi64ELi256ELb0ELi7EEvPKT_PKT0_S8_ifPKiSA_SA_iPKfiiiPfSD_PS3_PT2_iSC_SC_,comdat
	.protected	_Z39paged_attention_ll4mi_QKV_mfma16_kernelI14__hip_bfloat16S0_LN4vllm18Fp8KVCacheDataTypeE0ES0_Li16ELi64ELi256ELb0ELi7EEvPKT_PKT0_S8_ifPKiSA_SA_iPKfiiiPfSD_PS3_PT2_iSC_SC_ ; -- Begin function _Z39paged_attention_ll4mi_QKV_mfma16_kernelI14__hip_bfloat16S0_LN4vllm18Fp8KVCacheDataTypeE0ES0_Li16ELi64ELi256ELb0ELi7EEvPKT_PKT0_S8_ifPKiSA_SA_iPKfiiiPfSD_PS3_PT2_iSC_SC_
	.globl	_Z39paged_attention_ll4mi_QKV_mfma16_kernelI14__hip_bfloat16S0_LN4vllm18Fp8KVCacheDataTypeE0ES0_Li16ELi64ELi256ELb0ELi7EEvPKT_PKT0_S8_ifPKiSA_SA_iPKfiiiPfSD_PS3_PT2_iSC_SC_
	.p2align	8
	.type	_Z39paged_attention_ll4mi_QKV_mfma16_kernelI14__hip_bfloat16S0_LN4vllm18Fp8KVCacheDataTypeE0ES0_Li16ELi64ELi256ELb0ELi7EEvPKT_PKT0_S8_ifPKiSA_SA_iPKfiiiPfSD_PS3_PT2_iSC_SC_,@function
_Z39paged_attention_ll4mi_QKV_mfma16_kernelI14__hip_bfloat16S0_LN4vllm18Fp8KVCacheDataTypeE0ES0_Li16ELi64ELi256ELb0ELi7EEvPKT_PKT0_S8_ifPKiSA_SA_iPKfiiiPfSD_PS3_PT2_iSC_SC_: ; @_Z39paged_attention_ll4mi_QKV_mfma16_kernelI14__hip_bfloat16S0_LN4vllm18Fp8KVCacheDataTypeE0ES0_Li16ELi64ELi256ELb0ELi7EEvPKT_PKT0_S8_ifPKiSA_SA_iPKfiiiPfSD_PS3_PT2_iSC_SC_
; %bb.0:
	s_get_pc_i64 s[2:3]
	s_add_nc_u64 s[2:3], s[2:3], __PRETTY_FUNCTION__._Z39paged_attention_ll4mi_QKV_mfma16_kernelI14__hip_bfloat16S0_LN4vllm18Fp8KVCacheDataTypeE0ES0_Li16ELi64ELi256ELb0ELi7EEvPKT_PKT0_S8_ifPKiSA_SA_iPKfiiiPfSD_PS3_PT2_iSC_SC_@rel64+4
	s_delay_alu instid0(SALU_CYCLE_1)
	v_dual_mov_b32 v0, 0xbb3 :: v_dual_mov_b32 v1, s2
	v_mov_b32_e32 v2, s3
	s_add_nc_u64 s[8:9], s[0:1], 0x90
	s_get_pc_i64 s[0:1]
	s_add_nc_u64 s[0:1], s[0:1], __assert_fail@rel64+4
	s_mov_b32 s32, 0
	s_swap_pc_i64 s[30:31], s[0:1]
	.section	.rodata,"a",@progbits
	.p2align	6, 0x0
	.amdhsa_kernel _Z39paged_attention_ll4mi_QKV_mfma16_kernelI14__hip_bfloat16S0_LN4vllm18Fp8KVCacheDataTypeE0ES0_Li16ELi64ELi256ELb0ELi7EEvPKT_PKT0_S8_ifPKiSA_SA_iPKfiiiPfSD_PS3_PT2_iSC_SC_
		.amdhsa_group_segment_fixed_size 0
		.amdhsa_private_segment_fixed_size 64
		.amdhsa_kernarg_size 400
		.amdhsa_user_sgpr_count 2
		.amdhsa_user_sgpr_dispatch_ptr 0
		.amdhsa_user_sgpr_queue_ptr 0
		.amdhsa_user_sgpr_kernarg_segment_ptr 1
		.amdhsa_user_sgpr_dispatch_id 0
		.amdhsa_user_sgpr_kernarg_preload_length 0
		.amdhsa_user_sgpr_kernarg_preload_offset 0
		.amdhsa_user_sgpr_private_segment_size 0
		.amdhsa_wavefront_size32 1
		.amdhsa_uses_dynamic_stack 0
		.amdhsa_enable_private_segment 1
		.amdhsa_system_sgpr_workgroup_id_x 1
		.amdhsa_system_sgpr_workgroup_id_y 0
		.amdhsa_system_sgpr_workgroup_id_z 0
		.amdhsa_system_sgpr_workgroup_info 0
		.amdhsa_system_vgpr_workitem_id 0
		.amdhsa_next_free_vgpr 51
		.amdhsa_next_free_sgpr 34
		.amdhsa_named_barrier_count 0
		.amdhsa_reserve_vcc 1
		.amdhsa_float_round_mode_32 0
		.amdhsa_float_round_mode_16_64 0
		.amdhsa_float_denorm_mode_32 3
		.amdhsa_float_denorm_mode_16_64 3
		.amdhsa_fp16_overflow 0
		.amdhsa_memory_ordered 1
		.amdhsa_forward_progress 1
		.amdhsa_inst_pref_size 1
		.amdhsa_round_robin_scheduling 0
		.amdhsa_exception_fp_ieee_invalid_op 0
		.amdhsa_exception_fp_denorm_src 0
		.amdhsa_exception_fp_ieee_div_zero 0
		.amdhsa_exception_fp_ieee_overflow 0
		.amdhsa_exception_fp_ieee_underflow 0
		.amdhsa_exception_fp_ieee_inexact 0
		.amdhsa_exception_int_div_zero 0
	.end_amdhsa_kernel
	.section	.text._Z39paged_attention_ll4mi_QKV_mfma16_kernelI14__hip_bfloat16S0_LN4vllm18Fp8KVCacheDataTypeE0ES0_Li16ELi64ELi256ELb0ELi7EEvPKT_PKT0_S8_ifPKiSA_SA_iPKfiiiPfSD_PS3_PT2_iSC_SC_,"axG",@progbits,_Z39paged_attention_ll4mi_QKV_mfma16_kernelI14__hip_bfloat16S0_LN4vllm18Fp8KVCacheDataTypeE0ES0_Li16ELi64ELi256ELb0ELi7EEvPKT_PKT0_S8_ifPKiSA_SA_iPKfiiiPfSD_PS3_PT2_iSC_SC_,comdat
.Lfunc_end484:
	.size	_Z39paged_attention_ll4mi_QKV_mfma16_kernelI14__hip_bfloat16S0_LN4vllm18Fp8KVCacheDataTypeE0ES0_Li16ELi64ELi256ELb0ELi7EEvPKT_PKT0_S8_ifPKiSA_SA_iPKfiiiPfSD_PS3_PT2_iSC_SC_, .Lfunc_end484-_Z39paged_attention_ll4mi_QKV_mfma16_kernelI14__hip_bfloat16S0_LN4vllm18Fp8KVCacheDataTypeE0ES0_Li16ELi64ELi256ELb0ELi7EEvPKT_PKT0_S8_ifPKiSA_SA_iPKfiiiPfSD_PS3_PT2_iSC_SC_
                                        ; -- End function
	.set _Z39paged_attention_ll4mi_QKV_mfma16_kernelI14__hip_bfloat16S0_LN4vllm18Fp8KVCacheDataTypeE0ES0_Li16ELi64ELi256ELb0ELi7EEvPKT_PKT0_S8_ifPKiSA_SA_iPKfiiiPfSD_PS3_PT2_iSC_SC_.num_vgpr, max(3, .L__assert_fail.num_vgpr)
	.set _Z39paged_attention_ll4mi_QKV_mfma16_kernelI14__hip_bfloat16S0_LN4vllm18Fp8KVCacheDataTypeE0ES0_Li16ELi64ELi256ELb0ELi7EEvPKT_PKT0_S8_ifPKiSA_SA_iPKfiiiPfSD_PS3_PT2_iSC_SC_.num_agpr, max(0, .L__assert_fail.num_agpr)
	.set _Z39paged_attention_ll4mi_QKV_mfma16_kernelI14__hip_bfloat16S0_LN4vllm18Fp8KVCacheDataTypeE0ES0_Li16ELi64ELi256ELb0ELi7EEvPKT_PKT0_S8_ifPKiSA_SA_iPKfiiiPfSD_PS3_PT2_iSC_SC_.numbered_sgpr, max(33, .L__assert_fail.numbered_sgpr)
	.set _Z39paged_attention_ll4mi_QKV_mfma16_kernelI14__hip_bfloat16S0_LN4vllm18Fp8KVCacheDataTypeE0ES0_Li16ELi64ELi256ELb0ELi7EEvPKT_PKT0_S8_ifPKiSA_SA_iPKfiiiPfSD_PS3_PT2_iSC_SC_.num_named_barrier, max(0, .L__assert_fail.num_named_barrier)
	.set _Z39paged_attention_ll4mi_QKV_mfma16_kernelI14__hip_bfloat16S0_LN4vllm18Fp8KVCacheDataTypeE0ES0_Li16ELi64ELi256ELb0ELi7EEvPKT_PKT0_S8_ifPKiSA_SA_iPKfiiiPfSD_PS3_PT2_iSC_SC_.private_seg_size, 0+max(.L__assert_fail.private_seg_size)
	.set _Z39paged_attention_ll4mi_QKV_mfma16_kernelI14__hip_bfloat16S0_LN4vllm18Fp8KVCacheDataTypeE0ES0_Li16ELi64ELi256ELb0ELi7EEvPKT_PKT0_S8_ifPKiSA_SA_iPKfiiiPfSD_PS3_PT2_iSC_SC_.uses_vcc, or(1, .L__assert_fail.uses_vcc)
	.set _Z39paged_attention_ll4mi_QKV_mfma16_kernelI14__hip_bfloat16S0_LN4vllm18Fp8KVCacheDataTypeE0ES0_Li16ELi64ELi256ELb0ELi7EEvPKT_PKT0_S8_ifPKiSA_SA_iPKfiiiPfSD_PS3_PT2_iSC_SC_.uses_flat_scratch, or(0, .L__assert_fail.uses_flat_scratch)
	.set _Z39paged_attention_ll4mi_QKV_mfma16_kernelI14__hip_bfloat16S0_LN4vllm18Fp8KVCacheDataTypeE0ES0_Li16ELi64ELi256ELb0ELi7EEvPKT_PKT0_S8_ifPKiSA_SA_iPKfiiiPfSD_PS3_PT2_iSC_SC_.has_dyn_sized_stack, or(0, .L__assert_fail.has_dyn_sized_stack)
	.set _Z39paged_attention_ll4mi_QKV_mfma16_kernelI14__hip_bfloat16S0_LN4vllm18Fp8KVCacheDataTypeE0ES0_Li16ELi64ELi256ELb0ELi7EEvPKT_PKT0_S8_ifPKiSA_SA_iPKfiiiPfSD_PS3_PT2_iSC_SC_.has_recursion, or(0, .L__assert_fail.has_recursion)
	.set _Z39paged_attention_ll4mi_QKV_mfma16_kernelI14__hip_bfloat16S0_LN4vllm18Fp8KVCacheDataTypeE0ES0_Li16ELi64ELi256ELb0ELi7EEvPKT_PKT0_S8_ifPKiSA_SA_iPKfiiiPfSD_PS3_PT2_iSC_SC_.has_indirect_call, or(0, .L__assert_fail.has_indirect_call)
	.section	.AMDGPU.csdata,"",@progbits
; Kernel info:
; codeLenInByte = 68
; TotalNumSgprs: 36
; NumVgprs: 51
; ScratchSize: 64
; MemoryBound: 0
; FloatMode: 240
; IeeeMode: 1
; LDSByteSize: 0 bytes/workgroup (compile time only)
; SGPRBlocks: 0
; VGPRBlocks: 3
; NumSGPRsForWavesPerEU: 36
; NumVGPRsForWavesPerEU: 51
; NamedBarCnt: 0
; Occupancy: 16
; WaveLimiterHint : 1
; COMPUTE_PGM_RSRC2:SCRATCH_EN: 1
; COMPUTE_PGM_RSRC2:USER_SGPR: 2
; COMPUTE_PGM_RSRC2:TRAP_HANDLER: 0
; COMPUTE_PGM_RSRC2:TGID_X_EN: 1
; COMPUTE_PGM_RSRC2:TGID_Y_EN: 0
; COMPUTE_PGM_RSRC2:TGID_Z_EN: 0
; COMPUTE_PGM_RSRC2:TIDIG_COMP_CNT: 0
	.section	.text._Z39paged_attention_ll4mi_QKV_mfma16_kernelI14__hip_bfloat16S0_LN4vllm18Fp8KVCacheDataTypeE0ES0_Li16ELi64ELi256ELb0ELi8EEvPKT_PKT0_S8_ifPKiSA_SA_iPKfiiiPfSD_PS3_PT2_iSC_SC_,"axG",@progbits,_Z39paged_attention_ll4mi_QKV_mfma16_kernelI14__hip_bfloat16S0_LN4vllm18Fp8KVCacheDataTypeE0ES0_Li16ELi64ELi256ELb0ELi8EEvPKT_PKT0_S8_ifPKiSA_SA_iPKfiiiPfSD_PS3_PT2_iSC_SC_,comdat
	.protected	_Z39paged_attention_ll4mi_QKV_mfma16_kernelI14__hip_bfloat16S0_LN4vllm18Fp8KVCacheDataTypeE0ES0_Li16ELi64ELi256ELb0ELi8EEvPKT_PKT0_S8_ifPKiSA_SA_iPKfiiiPfSD_PS3_PT2_iSC_SC_ ; -- Begin function _Z39paged_attention_ll4mi_QKV_mfma16_kernelI14__hip_bfloat16S0_LN4vllm18Fp8KVCacheDataTypeE0ES0_Li16ELi64ELi256ELb0ELi8EEvPKT_PKT0_S8_ifPKiSA_SA_iPKfiiiPfSD_PS3_PT2_iSC_SC_
	.globl	_Z39paged_attention_ll4mi_QKV_mfma16_kernelI14__hip_bfloat16S0_LN4vllm18Fp8KVCacheDataTypeE0ES0_Li16ELi64ELi256ELb0ELi8EEvPKT_PKT0_S8_ifPKiSA_SA_iPKfiiiPfSD_PS3_PT2_iSC_SC_
	.p2align	8
	.type	_Z39paged_attention_ll4mi_QKV_mfma16_kernelI14__hip_bfloat16S0_LN4vllm18Fp8KVCacheDataTypeE0ES0_Li16ELi64ELi256ELb0ELi8EEvPKT_PKT0_S8_ifPKiSA_SA_iPKfiiiPfSD_PS3_PT2_iSC_SC_,@function
_Z39paged_attention_ll4mi_QKV_mfma16_kernelI14__hip_bfloat16S0_LN4vllm18Fp8KVCacheDataTypeE0ES0_Li16ELi64ELi256ELb0ELi8EEvPKT_PKT0_S8_ifPKiSA_SA_iPKfiiiPfSD_PS3_PT2_iSC_SC_: ; @_Z39paged_attention_ll4mi_QKV_mfma16_kernelI14__hip_bfloat16S0_LN4vllm18Fp8KVCacheDataTypeE0ES0_Li16ELi64ELi256ELb0ELi8EEvPKT_PKT0_S8_ifPKiSA_SA_iPKfiiiPfSD_PS3_PT2_iSC_SC_
; %bb.0:
	s_get_pc_i64 s[2:3]
	s_add_nc_u64 s[2:3], s[2:3], __PRETTY_FUNCTION__._Z39paged_attention_ll4mi_QKV_mfma16_kernelI14__hip_bfloat16S0_LN4vllm18Fp8KVCacheDataTypeE0ES0_Li16ELi64ELi256ELb0ELi8EEvPKT_PKT0_S8_ifPKiSA_SA_iPKfiiiPfSD_PS3_PT2_iSC_SC_@rel64+4
	s_delay_alu instid0(SALU_CYCLE_1)
	v_dual_mov_b32 v0, 0xbb3 :: v_dual_mov_b32 v1, s2
	v_mov_b32_e32 v2, s3
	s_add_nc_u64 s[8:9], s[0:1], 0x90
	s_get_pc_i64 s[0:1]
	s_add_nc_u64 s[0:1], s[0:1], __assert_fail@rel64+4
	s_mov_b32 s32, 0
	s_swap_pc_i64 s[30:31], s[0:1]
	.section	.rodata,"a",@progbits
	.p2align	6, 0x0
	.amdhsa_kernel _Z39paged_attention_ll4mi_QKV_mfma16_kernelI14__hip_bfloat16S0_LN4vllm18Fp8KVCacheDataTypeE0ES0_Li16ELi64ELi256ELb0ELi8EEvPKT_PKT0_S8_ifPKiSA_SA_iPKfiiiPfSD_PS3_PT2_iSC_SC_
		.amdhsa_group_segment_fixed_size 0
		.amdhsa_private_segment_fixed_size 64
		.amdhsa_kernarg_size 400
		.amdhsa_user_sgpr_count 2
		.amdhsa_user_sgpr_dispatch_ptr 0
		.amdhsa_user_sgpr_queue_ptr 0
		.amdhsa_user_sgpr_kernarg_segment_ptr 1
		.amdhsa_user_sgpr_dispatch_id 0
		.amdhsa_user_sgpr_kernarg_preload_length 0
		.amdhsa_user_sgpr_kernarg_preload_offset 0
		.amdhsa_user_sgpr_private_segment_size 0
		.amdhsa_wavefront_size32 1
		.amdhsa_uses_dynamic_stack 0
		.amdhsa_enable_private_segment 1
		.amdhsa_system_sgpr_workgroup_id_x 1
		.amdhsa_system_sgpr_workgroup_id_y 0
		.amdhsa_system_sgpr_workgroup_id_z 0
		.amdhsa_system_sgpr_workgroup_info 0
		.amdhsa_system_vgpr_workitem_id 0
		.amdhsa_next_free_vgpr 51
		.amdhsa_next_free_sgpr 34
		.amdhsa_named_barrier_count 0
		.amdhsa_reserve_vcc 1
		.amdhsa_float_round_mode_32 0
		.amdhsa_float_round_mode_16_64 0
		.amdhsa_float_denorm_mode_32 3
		.amdhsa_float_denorm_mode_16_64 3
		.amdhsa_fp16_overflow 0
		.amdhsa_memory_ordered 1
		.amdhsa_forward_progress 1
		.amdhsa_inst_pref_size 1
		.amdhsa_round_robin_scheduling 0
		.amdhsa_exception_fp_ieee_invalid_op 0
		.amdhsa_exception_fp_denorm_src 0
		.amdhsa_exception_fp_ieee_div_zero 0
		.amdhsa_exception_fp_ieee_overflow 0
		.amdhsa_exception_fp_ieee_underflow 0
		.amdhsa_exception_fp_ieee_inexact 0
		.amdhsa_exception_int_div_zero 0
	.end_amdhsa_kernel
	.section	.text._Z39paged_attention_ll4mi_QKV_mfma16_kernelI14__hip_bfloat16S0_LN4vllm18Fp8KVCacheDataTypeE0ES0_Li16ELi64ELi256ELb0ELi8EEvPKT_PKT0_S8_ifPKiSA_SA_iPKfiiiPfSD_PS3_PT2_iSC_SC_,"axG",@progbits,_Z39paged_attention_ll4mi_QKV_mfma16_kernelI14__hip_bfloat16S0_LN4vllm18Fp8KVCacheDataTypeE0ES0_Li16ELi64ELi256ELb0ELi8EEvPKT_PKT0_S8_ifPKiSA_SA_iPKfiiiPfSD_PS3_PT2_iSC_SC_,comdat
.Lfunc_end485:
	.size	_Z39paged_attention_ll4mi_QKV_mfma16_kernelI14__hip_bfloat16S0_LN4vllm18Fp8KVCacheDataTypeE0ES0_Li16ELi64ELi256ELb0ELi8EEvPKT_PKT0_S8_ifPKiSA_SA_iPKfiiiPfSD_PS3_PT2_iSC_SC_, .Lfunc_end485-_Z39paged_attention_ll4mi_QKV_mfma16_kernelI14__hip_bfloat16S0_LN4vllm18Fp8KVCacheDataTypeE0ES0_Li16ELi64ELi256ELb0ELi8EEvPKT_PKT0_S8_ifPKiSA_SA_iPKfiiiPfSD_PS3_PT2_iSC_SC_
                                        ; -- End function
	.set _Z39paged_attention_ll4mi_QKV_mfma16_kernelI14__hip_bfloat16S0_LN4vllm18Fp8KVCacheDataTypeE0ES0_Li16ELi64ELi256ELb0ELi8EEvPKT_PKT0_S8_ifPKiSA_SA_iPKfiiiPfSD_PS3_PT2_iSC_SC_.num_vgpr, max(3, .L__assert_fail.num_vgpr)
	.set _Z39paged_attention_ll4mi_QKV_mfma16_kernelI14__hip_bfloat16S0_LN4vllm18Fp8KVCacheDataTypeE0ES0_Li16ELi64ELi256ELb0ELi8EEvPKT_PKT0_S8_ifPKiSA_SA_iPKfiiiPfSD_PS3_PT2_iSC_SC_.num_agpr, max(0, .L__assert_fail.num_agpr)
	.set _Z39paged_attention_ll4mi_QKV_mfma16_kernelI14__hip_bfloat16S0_LN4vllm18Fp8KVCacheDataTypeE0ES0_Li16ELi64ELi256ELb0ELi8EEvPKT_PKT0_S8_ifPKiSA_SA_iPKfiiiPfSD_PS3_PT2_iSC_SC_.numbered_sgpr, max(33, .L__assert_fail.numbered_sgpr)
	.set _Z39paged_attention_ll4mi_QKV_mfma16_kernelI14__hip_bfloat16S0_LN4vllm18Fp8KVCacheDataTypeE0ES0_Li16ELi64ELi256ELb0ELi8EEvPKT_PKT0_S8_ifPKiSA_SA_iPKfiiiPfSD_PS3_PT2_iSC_SC_.num_named_barrier, max(0, .L__assert_fail.num_named_barrier)
	.set _Z39paged_attention_ll4mi_QKV_mfma16_kernelI14__hip_bfloat16S0_LN4vllm18Fp8KVCacheDataTypeE0ES0_Li16ELi64ELi256ELb0ELi8EEvPKT_PKT0_S8_ifPKiSA_SA_iPKfiiiPfSD_PS3_PT2_iSC_SC_.private_seg_size, 0+max(.L__assert_fail.private_seg_size)
	.set _Z39paged_attention_ll4mi_QKV_mfma16_kernelI14__hip_bfloat16S0_LN4vllm18Fp8KVCacheDataTypeE0ES0_Li16ELi64ELi256ELb0ELi8EEvPKT_PKT0_S8_ifPKiSA_SA_iPKfiiiPfSD_PS3_PT2_iSC_SC_.uses_vcc, or(1, .L__assert_fail.uses_vcc)
	.set _Z39paged_attention_ll4mi_QKV_mfma16_kernelI14__hip_bfloat16S0_LN4vllm18Fp8KVCacheDataTypeE0ES0_Li16ELi64ELi256ELb0ELi8EEvPKT_PKT0_S8_ifPKiSA_SA_iPKfiiiPfSD_PS3_PT2_iSC_SC_.uses_flat_scratch, or(0, .L__assert_fail.uses_flat_scratch)
	.set _Z39paged_attention_ll4mi_QKV_mfma16_kernelI14__hip_bfloat16S0_LN4vllm18Fp8KVCacheDataTypeE0ES0_Li16ELi64ELi256ELb0ELi8EEvPKT_PKT0_S8_ifPKiSA_SA_iPKfiiiPfSD_PS3_PT2_iSC_SC_.has_dyn_sized_stack, or(0, .L__assert_fail.has_dyn_sized_stack)
	.set _Z39paged_attention_ll4mi_QKV_mfma16_kernelI14__hip_bfloat16S0_LN4vllm18Fp8KVCacheDataTypeE0ES0_Li16ELi64ELi256ELb0ELi8EEvPKT_PKT0_S8_ifPKiSA_SA_iPKfiiiPfSD_PS3_PT2_iSC_SC_.has_recursion, or(0, .L__assert_fail.has_recursion)
	.set _Z39paged_attention_ll4mi_QKV_mfma16_kernelI14__hip_bfloat16S0_LN4vllm18Fp8KVCacheDataTypeE0ES0_Li16ELi64ELi256ELb0ELi8EEvPKT_PKT0_S8_ifPKiSA_SA_iPKfiiiPfSD_PS3_PT2_iSC_SC_.has_indirect_call, or(0, .L__assert_fail.has_indirect_call)
	.section	.AMDGPU.csdata,"",@progbits
; Kernel info:
; codeLenInByte = 68
; TotalNumSgprs: 36
; NumVgprs: 51
; ScratchSize: 64
; MemoryBound: 0
; FloatMode: 240
; IeeeMode: 1
; LDSByteSize: 0 bytes/workgroup (compile time only)
; SGPRBlocks: 0
; VGPRBlocks: 3
; NumSGPRsForWavesPerEU: 36
; NumVGPRsForWavesPerEU: 51
; NamedBarCnt: 0
; Occupancy: 16
; WaveLimiterHint : 1
; COMPUTE_PGM_RSRC2:SCRATCH_EN: 1
; COMPUTE_PGM_RSRC2:USER_SGPR: 2
; COMPUTE_PGM_RSRC2:TRAP_HANDLER: 0
; COMPUTE_PGM_RSRC2:TGID_X_EN: 1
; COMPUTE_PGM_RSRC2:TGID_Y_EN: 0
; COMPUTE_PGM_RSRC2:TGID_Z_EN: 0
; COMPUTE_PGM_RSRC2:TIDIG_COMP_CNT: 0
	.section	.text._Z39paged_attention_ll4mi_QKV_mfma16_kernelI14__hip_bfloat16S0_LN4vllm18Fp8KVCacheDataTypeE0ES0_Li16ELi64ELi256ELb0ELi9EEvPKT_PKT0_S8_ifPKiSA_SA_iPKfiiiPfSD_PS3_PT2_iSC_SC_,"axG",@progbits,_Z39paged_attention_ll4mi_QKV_mfma16_kernelI14__hip_bfloat16S0_LN4vllm18Fp8KVCacheDataTypeE0ES0_Li16ELi64ELi256ELb0ELi9EEvPKT_PKT0_S8_ifPKiSA_SA_iPKfiiiPfSD_PS3_PT2_iSC_SC_,comdat
	.protected	_Z39paged_attention_ll4mi_QKV_mfma16_kernelI14__hip_bfloat16S0_LN4vllm18Fp8KVCacheDataTypeE0ES0_Li16ELi64ELi256ELb0ELi9EEvPKT_PKT0_S8_ifPKiSA_SA_iPKfiiiPfSD_PS3_PT2_iSC_SC_ ; -- Begin function _Z39paged_attention_ll4mi_QKV_mfma16_kernelI14__hip_bfloat16S0_LN4vllm18Fp8KVCacheDataTypeE0ES0_Li16ELi64ELi256ELb0ELi9EEvPKT_PKT0_S8_ifPKiSA_SA_iPKfiiiPfSD_PS3_PT2_iSC_SC_
	.globl	_Z39paged_attention_ll4mi_QKV_mfma16_kernelI14__hip_bfloat16S0_LN4vllm18Fp8KVCacheDataTypeE0ES0_Li16ELi64ELi256ELb0ELi9EEvPKT_PKT0_S8_ifPKiSA_SA_iPKfiiiPfSD_PS3_PT2_iSC_SC_
	.p2align	8
	.type	_Z39paged_attention_ll4mi_QKV_mfma16_kernelI14__hip_bfloat16S0_LN4vllm18Fp8KVCacheDataTypeE0ES0_Li16ELi64ELi256ELb0ELi9EEvPKT_PKT0_S8_ifPKiSA_SA_iPKfiiiPfSD_PS3_PT2_iSC_SC_,@function
_Z39paged_attention_ll4mi_QKV_mfma16_kernelI14__hip_bfloat16S0_LN4vllm18Fp8KVCacheDataTypeE0ES0_Li16ELi64ELi256ELb0ELi9EEvPKT_PKT0_S8_ifPKiSA_SA_iPKfiiiPfSD_PS3_PT2_iSC_SC_: ; @_Z39paged_attention_ll4mi_QKV_mfma16_kernelI14__hip_bfloat16S0_LN4vllm18Fp8KVCacheDataTypeE0ES0_Li16ELi64ELi256ELb0ELi9EEvPKT_PKT0_S8_ifPKiSA_SA_iPKfiiiPfSD_PS3_PT2_iSC_SC_
; %bb.0:
	s_get_pc_i64 s[2:3]
	s_add_nc_u64 s[2:3], s[2:3], __PRETTY_FUNCTION__._Z39paged_attention_ll4mi_QKV_mfma16_kernelI14__hip_bfloat16S0_LN4vllm18Fp8KVCacheDataTypeE0ES0_Li16ELi64ELi256ELb0ELi9EEvPKT_PKT0_S8_ifPKiSA_SA_iPKfiiiPfSD_PS3_PT2_iSC_SC_@rel64+4
	s_delay_alu instid0(SALU_CYCLE_1)
	v_dual_mov_b32 v0, 0xbb3 :: v_dual_mov_b32 v1, s2
	v_mov_b32_e32 v2, s3
	s_add_nc_u64 s[8:9], s[0:1], 0x90
	s_get_pc_i64 s[0:1]
	s_add_nc_u64 s[0:1], s[0:1], __assert_fail@rel64+4
	s_mov_b32 s32, 0
	s_swap_pc_i64 s[30:31], s[0:1]
	.section	.rodata,"a",@progbits
	.p2align	6, 0x0
	.amdhsa_kernel _Z39paged_attention_ll4mi_QKV_mfma16_kernelI14__hip_bfloat16S0_LN4vllm18Fp8KVCacheDataTypeE0ES0_Li16ELi64ELi256ELb0ELi9EEvPKT_PKT0_S8_ifPKiSA_SA_iPKfiiiPfSD_PS3_PT2_iSC_SC_
		.amdhsa_group_segment_fixed_size 0
		.amdhsa_private_segment_fixed_size 64
		.amdhsa_kernarg_size 400
		.amdhsa_user_sgpr_count 2
		.amdhsa_user_sgpr_dispatch_ptr 0
		.amdhsa_user_sgpr_queue_ptr 0
		.amdhsa_user_sgpr_kernarg_segment_ptr 1
		.amdhsa_user_sgpr_dispatch_id 0
		.amdhsa_user_sgpr_kernarg_preload_length 0
		.amdhsa_user_sgpr_kernarg_preload_offset 0
		.amdhsa_user_sgpr_private_segment_size 0
		.amdhsa_wavefront_size32 1
		.amdhsa_uses_dynamic_stack 0
		.amdhsa_enable_private_segment 1
		.amdhsa_system_sgpr_workgroup_id_x 1
		.amdhsa_system_sgpr_workgroup_id_y 0
		.amdhsa_system_sgpr_workgroup_id_z 0
		.amdhsa_system_sgpr_workgroup_info 0
		.amdhsa_system_vgpr_workitem_id 0
		.amdhsa_next_free_vgpr 51
		.amdhsa_next_free_sgpr 34
		.amdhsa_named_barrier_count 0
		.amdhsa_reserve_vcc 1
		.amdhsa_float_round_mode_32 0
		.amdhsa_float_round_mode_16_64 0
		.amdhsa_float_denorm_mode_32 3
		.amdhsa_float_denorm_mode_16_64 3
		.amdhsa_fp16_overflow 0
		.amdhsa_memory_ordered 1
		.amdhsa_forward_progress 1
		.amdhsa_inst_pref_size 1
		.amdhsa_round_robin_scheduling 0
		.amdhsa_exception_fp_ieee_invalid_op 0
		.amdhsa_exception_fp_denorm_src 0
		.amdhsa_exception_fp_ieee_div_zero 0
		.amdhsa_exception_fp_ieee_overflow 0
		.amdhsa_exception_fp_ieee_underflow 0
		.amdhsa_exception_fp_ieee_inexact 0
		.amdhsa_exception_int_div_zero 0
	.end_amdhsa_kernel
	.section	.text._Z39paged_attention_ll4mi_QKV_mfma16_kernelI14__hip_bfloat16S0_LN4vllm18Fp8KVCacheDataTypeE0ES0_Li16ELi64ELi256ELb0ELi9EEvPKT_PKT0_S8_ifPKiSA_SA_iPKfiiiPfSD_PS3_PT2_iSC_SC_,"axG",@progbits,_Z39paged_attention_ll4mi_QKV_mfma16_kernelI14__hip_bfloat16S0_LN4vllm18Fp8KVCacheDataTypeE0ES0_Li16ELi64ELi256ELb0ELi9EEvPKT_PKT0_S8_ifPKiSA_SA_iPKfiiiPfSD_PS3_PT2_iSC_SC_,comdat
.Lfunc_end486:
	.size	_Z39paged_attention_ll4mi_QKV_mfma16_kernelI14__hip_bfloat16S0_LN4vllm18Fp8KVCacheDataTypeE0ES0_Li16ELi64ELi256ELb0ELi9EEvPKT_PKT0_S8_ifPKiSA_SA_iPKfiiiPfSD_PS3_PT2_iSC_SC_, .Lfunc_end486-_Z39paged_attention_ll4mi_QKV_mfma16_kernelI14__hip_bfloat16S0_LN4vllm18Fp8KVCacheDataTypeE0ES0_Li16ELi64ELi256ELb0ELi9EEvPKT_PKT0_S8_ifPKiSA_SA_iPKfiiiPfSD_PS3_PT2_iSC_SC_
                                        ; -- End function
	.set _Z39paged_attention_ll4mi_QKV_mfma16_kernelI14__hip_bfloat16S0_LN4vllm18Fp8KVCacheDataTypeE0ES0_Li16ELi64ELi256ELb0ELi9EEvPKT_PKT0_S8_ifPKiSA_SA_iPKfiiiPfSD_PS3_PT2_iSC_SC_.num_vgpr, max(3, .L__assert_fail.num_vgpr)
	.set _Z39paged_attention_ll4mi_QKV_mfma16_kernelI14__hip_bfloat16S0_LN4vllm18Fp8KVCacheDataTypeE0ES0_Li16ELi64ELi256ELb0ELi9EEvPKT_PKT0_S8_ifPKiSA_SA_iPKfiiiPfSD_PS3_PT2_iSC_SC_.num_agpr, max(0, .L__assert_fail.num_agpr)
	.set _Z39paged_attention_ll4mi_QKV_mfma16_kernelI14__hip_bfloat16S0_LN4vllm18Fp8KVCacheDataTypeE0ES0_Li16ELi64ELi256ELb0ELi9EEvPKT_PKT0_S8_ifPKiSA_SA_iPKfiiiPfSD_PS3_PT2_iSC_SC_.numbered_sgpr, max(33, .L__assert_fail.numbered_sgpr)
	.set _Z39paged_attention_ll4mi_QKV_mfma16_kernelI14__hip_bfloat16S0_LN4vllm18Fp8KVCacheDataTypeE0ES0_Li16ELi64ELi256ELb0ELi9EEvPKT_PKT0_S8_ifPKiSA_SA_iPKfiiiPfSD_PS3_PT2_iSC_SC_.num_named_barrier, max(0, .L__assert_fail.num_named_barrier)
	.set _Z39paged_attention_ll4mi_QKV_mfma16_kernelI14__hip_bfloat16S0_LN4vllm18Fp8KVCacheDataTypeE0ES0_Li16ELi64ELi256ELb0ELi9EEvPKT_PKT0_S8_ifPKiSA_SA_iPKfiiiPfSD_PS3_PT2_iSC_SC_.private_seg_size, 0+max(.L__assert_fail.private_seg_size)
	.set _Z39paged_attention_ll4mi_QKV_mfma16_kernelI14__hip_bfloat16S0_LN4vllm18Fp8KVCacheDataTypeE0ES0_Li16ELi64ELi256ELb0ELi9EEvPKT_PKT0_S8_ifPKiSA_SA_iPKfiiiPfSD_PS3_PT2_iSC_SC_.uses_vcc, or(1, .L__assert_fail.uses_vcc)
	.set _Z39paged_attention_ll4mi_QKV_mfma16_kernelI14__hip_bfloat16S0_LN4vllm18Fp8KVCacheDataTypeE0ES0_Li16ELi64ELi256ELb0ELi9EEvPKT_PKT0_S8_ifPKiSA_SA_iPKfiiiPfSD_PS3_PT2_iSC_SC_.uses_flat_scratch, or(0, .L__assert_fail.uses_flat_scratch)
	.set _Z39paged_attention_ll4mi_QKV_mfma16_kernelI14__hip_bfloat16S0_LN4vllm18Fp8KVCacheDataTypeE0ES0_Li16ELi64ELi256ELb0ELi9EEvPKT_PKT0_S8_ifPKiSA_SA_iPKfiiiPfSD_PS3_PT2_iSC_SC_.has_dyn_sized_stack, or(0, .L__assert_fail.has_dyn_sized_stack)
	.set _Z39paged_attention_ll4mi_QKV_mfma16_kernelI14__hip_bfloat16S0_LN4vllm18Fp8KVCacheDataTypeE0ES0_Li16ELi64ELi256ELb0ELi9EEvPKT_PKT0_S8_ifPKiSA_SA_iPKfiiiPfSD_PS3_PT2_iSC_SC_.has_recursion, or(0, .L__assert_fail.has_recursion)
	.set _Z39paged_attention_ll4mi_QKV_mfma16_kernelI14__hip_bfloat16S0_LN4vllm18Fp8KVCacheDataTypeE0ES0_Li16ELi64ELi256ELb0ELi9EEvPKT_PKT0_S8_ifPKiSA_SA_iPKfiiiPfSD_PS3_PT2_iSC_SC_.has_indirect_call, or(0, .L__assert_fail.has_indirect_call)
	.section	.AMDGPU.csdata,"",@progbits
; Kernel info:
; codeLenInByte = 68
; TotalNumSgprs: 36
; NumVgprs: 51
; ScratchSize: 64
; MemoryBound: 0
; FloatMode: 240
; IeeeMode: 1
; LDSByteSize: 0 bytes/workgroup (compile time only)
; SGPRBlocks: 0
; VGPRBlocks: 3
; NumSGPRsForWavesPerEU: 36
; NumVGPRsForWavesPerEU: 51
; NamedBarCnt: 0
; Occupancy: 16
; WaveLimiterHint : 1
; COMPUTE_PGM_RSRC2:SCRATCH_EN: 1
; COMPUTE_PGM_RSRC2:USER_SGPR: 2
; COMPUTE_PGM_RSRC2:TRAP_HANDLER: 0
; COMPUTE_PGM_RSRC2:TGID_X_EN: 1
; COMPUTE_PGM_RSRC2:TGID_Y_EN: 0
; COMPUTE_PGM_RSRC2:TGID_Z_EN: 0
; COMPUTE_PGM_RSRC2:TIDIG_COMP_CNT: 0
	.section	.text._Z39paged_attention_ll4mi_QKV_mfma16_kernelI14__hip_bfloat16S0_LN4vllm18Fp8KVCacheDataTypeE0ES0_Li16ELi64ELi256ELb0ELi10EEvPKT_PKT0_S8_ifPKiSA_SA_iPKfiiiPfSD_PS3_PT2_iSC_SC_,"axG",@progbits,_Z39paged_attention_ll4mi_QKV_mfma16_kernelI14__hip_bfloat16S0_LN4vllm18Fp8KVCacheDataTypeE0ES0_Li16ELi64ELi256ELb0ELi10EEvPKT_PKT0_S8_ifPKiSA_SA_iPKfiiiPfSD_PS3_PT2_iSC_SC_,comdat
	.protected	_Z39paged_attention_ll4mi_QKV_mfma16_kernelI14__hip_bfloat16S0_LN4vllm18Fp8KVCacheDataTypeE0ES0_Li16ELi64ELi256ELb0ELi10EEvPKT_PKT0_S8_ifPKiSA_SA_iPKfiiiPfSD_PS3_PT2_iSC_SC_ ; -- Begin function _Z39paged_attention_ll4mi_QKV_mfma16_kernelI14__hip_bfloat16S0_LN4vllm18Fp8KVCacheDataTypeE0ES0_Li16ELi64ELi256ELb0ELi10EEvPKT_PKT0_S8_ifPKiSA_SA_iPKfiiiPfSD_PS3_PT2_iSC_SC_
	.globl	_Z39paged_attention_ll4mi_QKV_mfma16_kernelI14__hip_bfloat16S0_LN4vllm18Fp8KVCacheDataTypeE0ES0_Li16ELi64ELi256ELb0ELi10EEvPKT_PKT0_S8_ifPKiSA_SA_iPKfiiiPfSD_PS3_PT2_iSC_SC_
	.p2align	8
	.type	_Z39paged_attention_ll4mi_QKV_mfma16_kernelI14__hip_bfloat16S0_LN4vllm18Fp8KVCacheDataTypeE0ES0_Li16ELi64ELi256ELb0ELi10EEvPKT_PKT0_S8_ifPKiSA_SA_iPKfiiiPfSD_PS3_PT2_iSC_SC_,@function
_Z39paged_attention_ll4mi_QKV_mfma16_kernelI14__hip_bfloat16S0_LN4vllm18Fp8KVCacheDataTypeE0ES0_Li16ELi64ELi256ELb0ELi10EEvPKT_PKT0_S8_ifPKiSA_SA_iPKfiiiPfSD_PS3_PT2_iSC_SC_: ; @_Z39paged_attention_ll4mi_QKV_mfma16_kernelI14__hip_bfloat16S0_LN4vllm18Fp8KVCacheDataTypeE0ES0_Li16ELi64ELi256ELb0ELi10EEvPKT_PKT0_S8_ifPKiSA_SA_iPKfiiiPfSD_PS3_PT2_iSC_SC_
; %bb.0:
	s_get_pc_i64 s[2:3]
	s_add_nc_u64 s[2:3], s[2:3], __PRETTY_FUNCTION__._Z39paged_attention_ll4mi_QKV_mfma16_kernelI14__hip_bfloat16S0_LN4vllm18Fp8KVCacheDataTypeE0ES0_Li16ELi64ELi256ELb0ELi10EEvPKT_PKT0_S8_ifPKiSA_SA_iPKfiiiPfSD_PS3_PT2_iSC_SC_@rel64+4
	s_delay_alu instid0(SALU_CYCLE_1)
	v_dual_mov_b32 v0, 0xbb3 :: v_dual_mov_b32 v1, s2
	v_mov_b32_e32 v2, s3
	s_add_nc_u64 s[8:9], s[0:1], 0x90
	s_get_pc_i64 s[0:1]
	s_add_nc_u64 s[0:1], s[0:1], __assert_fail@rel64+4
	s_mov_b32 s32, 0
	s_swap_pc_i64 s[30:31], s[0:1]
	.section	.rodata,"a",@progbits
	.p2align	6, 0x0
	.amdhsa_kernel _Z39paged_attention_ll4mi_QKV_mfma16_kernelI14__hip_bfloat16S0_LN4vllm18Fp8KVCacheDataTypeE0ES0_Li16ELi64ELi256ELb0ELi10EEvPKT_PKT0_S8_ifPKiSA_SA_iPKfiiiPfSD_PS3_PT2_iSC_SC_
		.amdhsa_group_segment_fixed_size 0
		.amdhsa_private_segment_fixed_size 64
		.amdhsa_kernarg_size 400
		.amdhsa_user_sgpr_count 2
		.amdhsa_user_sgpr_dispatch_ptr 0
		.amdhsa_user_sgpr_queue_ptr 0
		.amdhsa_user_sgpr_kernarg_segment_ptr 1
		.amdhsa_user_sgpr_dispatch_id 0
		.amdhsa_user_sgpr_kernarg_preload_length 0
		.amdhsa_user_sgpr_kernarg_preload_offset 0
		.amdhsa_user_sgpr_private_segment_size 0
		.amdhsa_wavefront_size32 1
		.amdhsa_uses_dynamic_stack 0
		.amdhsa_enable_private_segment 1
		.amdhsa_system_sgpr_workgroup_id_x 1
		.amdhsa_system_sgpr_workgroup_id_y 0
		.amdhsa_system_sgpr_workgroup_id_z 0
		.amdhsa_system_sgpr_workgroup_info 0
		.amdhsa_system_vgpr_workitem_id 0
		.amdhsa_next_free_vgpr 51
		.amdhsa_next_free_sgpr 34
		.amdhsa_named_barrier_count 0
		.amdhsa_reserve_vcc 1
		.amdhsa_float_round_mode_32 0
		.amdhsa_float_round_mode_16_64 0
		.amdhsa_float_denorm_mode_32 3
		.amdhsa_float_denorm_mode_16_64 3
		.amdhsa_fp16_overflow 0
		.amdhsa_memory_ordered 1
		.amdhsa_forward_progress 1
		.amdhsa_inst_pref_size 1
		.amdhsa_round_robin_scheduling 0
		.amdhsa_exception_fp_ieee_invalid_op 0
		.amdhsa_exception_fp_denorm_src 0
		.amdhsa_exception_fp_ieee_div_zero 0
		.amdhsa_exception_fp_ieee_overflow 0
		.amdhsa_exception_fp_ieee_underflow 0
		.amdhsa_exception_fp_ieee_inexact 0
		.amdhsa_exception_int_div_zero 0
	.end_amdhsa_kernel
	.section	.text._Z39paged_attention_ll4mi_QKV_mfma16_kernelI14__hip_bfloat16S0_LN4vllm18Fp8KVCacheDataTypeE0ES0_Li16ELi64ELi256ELb0ELi10EEvPKT_PKT0_S8_ifPKiSA_SA_iPKfiiiPfSD_PS3_PT2_iSC_SC_,"axG",@progbits,_Z39paged_attention_ll4mi_QKV_mfma16_kernelI14__hip_bfloat16S0_LN4vllm18Fp8KVCacheDataTypeE0ES0_Li16ELi64ELi256ELb0ELi10EEvPKT_PKT0_S8_ifPKiSA_SA_iPKfiiiPfSD_PS3_PT2_iSC_SC_,comdat
.Lfunc_end487:
	.size	_Z39paged_attention_ll4mi_QKV_mfma16_kernelI14__hip_bfloat16S0_LN4vllm18Fp8KVCacheDataTypeE0ES0_Li16ELi64ELi256ELb0ELi10EEvPKT_PKT0_S8_ifPKiSA_SA_iPKfiiiPfSD_PS3_PT2_iSC_SC_, .Lfunc_end487-_Z39paged_attention_ll4mi_QKV_mfma16_kernelI14__hip_bfloat16S0_LN4vllm18Fp8KVCacheDataTypeE0ES0_Li16ELi64ELi256ELb0ELi10EEvPKT_PKT0_S8_ifPKiSA_SA_iPKfiiiPfSD_PS3_PT2_iSC_SC_
                                        ; -- End function
	.set _Z39paged_attention_ll4mi_QKV_mfma16_kernelI14__hip_bfloat16S0_LN4vllm18Fp8KVCacheDataTypeE0ES0_Li16ELi64ELi256ELb0ELi10EEvPKT_PKT0_S8_ifPKiSA_SA_iPKfiiiPfSD_PS3_PT2_iSC_SC_.num_vgpr, max(3, .L__assert_fail.num_vgpr)
	.set _Z39paged_attention_ll4mi_QKV_mfma16_kernelI14__hip_bfloat16S0_LN4vllm18Fp8KVCacheDataTypeE0ES0_Li16ELi64ELi256ELb0ELi10EEvPKT_PKT0_S8_ifPKiSA_SA_iPKfiiiPfSD_PS3_PT2_iSC_SC_.num_agpr, max(0, .L__assert_fail.num_agpr)
	.set _Z39paged_attention_ll4mi_QKV_mfma16_kernelI14__hip_bfloat16S0_LN4vllm18Fp8KVCacheDataTypeE0ES0_Li16ELi64ELi256ELb0ELi10EEvPKT_PKT0_S8_ifPKiSA_SA_iPKfiiiPfSD_PS3_PT2_iSC_SC_.numbered_sgpr, max(33, .L__assert_fail.numbered_sgpr)
	.set _Z39paged_attention_ll4mi_QKV_mfma16_kernelI14__hip_bfloat16S0_LN4vllm18Fp8KVCacheDataTypeE0ES0_Li16ELi64ELi256ELb0ELi10EEvPKT_PKT0_S8_ifPKiSA_SA_iPKfiiiPfSD_PS3_PT2_iSC_SC_.num_named_barrier, max(0, .L__assert_fail.num_named_barrier)
	.set _Z39paged_attention_ll4mi_QKV_mfma16_kernelI14__hip_bfloat16S0_LN4vllm18Fp8KVCacheDataTypeE0ES0_Li16ELi64ELi256ELb0ELi10EEvPKT_PKT0_S8_ifPKiSA_SA_iPKfiiiPfSD_PS3_PT2_iSC_SC_.private_seg_size, 0+max(.L__assert_fail.private_seg_size)
	.set _Z39paged_attention_ll4mi_QKV_mfma16_kernelI14__hip_bfloat16S0_LN4vllm18Fp8KVCacheDataTypeE0ES0_Li16ELi64ELi256ELb0ELi10EEvPKT_PKT0_S8_ifPKiSA_SA_iPKfiiiPfSD_PS3_PT2_iSC_SC_.uses_vcc, or(1, .L__assert_fail.uses_vcc)
	.set _Z39paged_attention_ll4mi_QKV_mfma16_kernelI14__hip_bfloat16S0_LN4vllm18Fp8KVCacheDataTypeE0ES0_Li16ELi64ELi256ELb0ELi10EEvPKT_PKT0_S8_ifPKiSA_SA_iPKfiiiPfSD_PS3_PT2_iSC_SC_.uses_flat_scratch, or(0, .L__assert_fail.uses_flat_scratch)
	.set _Z39paged_attention_ll4mi_QKV_mfma16_kernelI14__hip_bfloat16S0_LN4vllm18Fp8KVCacheDataTypeE0ES0_Li16ELi64ELi256ELb0ELi10EEvPKT_PKT0_S8_ifPKiSA_SA_iPKfiiiPfSD_PS3_PT2_iSC_SC_.has_dyn_sized_stack, or(0, .L__assert_fail.has_dyn_sized_stack)
	.set _Z39paged_attention_ll4mi_QKV_mfma16_kernelI14__hip_bfloat16S0_LN4vllm18Fp8KVCacheDataTypeE0ES0_Li16ELi64ELi256ELb0ELi10EEvPKT_PKT0_S8_ifPKiSA_SA_iPKfiiiPfSD_PS3_PT2_iSC_SC_.has_recursion, or(0, .L__assert_fail.has_recursion)
	.set _Z39paged_attention_ll4mi_QKV_mfma16_kernelI14__hip_bfloat16S0_LN4vllm18Fp8KVCacheDataTypeE0ES0_Li16ELi64ELi256ELb0ELi10EEvPKT_PKT0_S8_ifPKiSA_SA_iPKfiiiPfSD_PS3_PT2_iSC_SC_.has_indirect_call, or(0, .L__assert_fail.has_indirect_call)
	.section	.AMDGPU.csdata,"",@progbits
; Kernel info:
; codeLenInByte = 68
; TotalNumSgprs: 36
; NumVgprs: 51
; ScratchSize: 64
; MemoryBound: 0
; FloatMode: 240
; IeeeMode: 1
; LDSByteSize: 0 bytes/workgroup (compile time only)
; SGPRBlocks: 0
; VGPRBlocks: 3
; NumSGPRsForWavesPerEU: 36
; NumVGPRsForWavesPerEU: 51
; NamedBarCnt: 0
; Occupancy: 16
; WaveLimiterHint : 1
; COMPUTE_PGM_RSRC2:SCRATCH_EN: 1
; COMPUTE_PGM_RSRC2:USER_SGPR: 2
; COMPUTE_PGM_RSRC2:TRAP_HANDLER: 0
; COMPUTE_PGM_RSRC2:TGID_X_EN: 1
; COMPUTE_PGM_RSRC2:TGID_Y_EN: 0
; COMPUTE_PGM_RSRC2:TGID_Z_EN: 0
; COMPUTE_PGM_RSRC2:TIDIG_COMP_CNT: 0
	.section	.text._Z39paged_attention_ll4mi_QKV_mfma16_kernelI14__hip_bfloat16S0_LN4vllm18Fp8KVCacheDataTypeE0ES0_Li16ELi64ELi256ELb0ELi11EEvPKT_PKT0_S8_ifPKiSA_SA_iPKfiiiPfSD_PS3_PT2_iSC_SC_,"axG",@progbits,_Z39paged_attention_ll4mi_QKV_mfma16_kernelI14__hip_bfloat16S0_LN4vllm18Fp8KVCacheDataTypeE0ES0_Li16ELi64ELi256ELb0ELi11EEvPKT_PKT0_S8_ifPKiSA_SA_iPKfiiiPfSD_PS3_PT2_iSC_SC_,comdat
	.protected	_Z39paged_attention_ll4mi_QKV_mfma16_kernelI14__hip_bfloat16S0_LN4vllm18Fp8KVCacheDataTypeE0ES0_Li16ELi64ELi256ELb0ELi11EEvPKT_PKT0_S8_ifPKiSA_SA_iPKfiiiPfSD_PS3_PT2_iSC_SC_ ; -- Begin function _Z39paged_attention_ll4mi_QKV_mfma16_kernelI14__hip_bfloat16S0_LN4vllm18Fp8KVCacheDataTypeE0ES0_Li16ELi64ELi256ELb0ELi11EEvPKT_PKT0_S8_ifPKiSA_SA_iPKfiiiPfSD_PS3_PT2_iSC_SC_
	.globl	_Z39paged_attention_ll4mi_QKV_mfma16_kernelI14__hip_bfloat16S0_LN4vllm18Fp8KVCacheDataTypeE0ES0_Li16ELi64ELi256ELb0ELi11EEvPKT_PKT0_S8_ifPKiSA_SA_iPKfiiiPfSD_PS3_PT2_iSC_SC_
	.p2align	8
	.type	_Z39paged_attention_ll4mi_QKV_mfma16_kernelI14__hip_bfloat16S0_LN4vllm18Fp8KVCacheDataTypeE0ES0_Li16ELi64ELi256ELb0ELi11EEvPKT_PKT0_S8_ifPKiSA_SA_iPKfiiiPfSD_PS3_PT2_iSC_SC_,@function
_Z39paged_attention_ll4mi_QKV_mfma16_kernelI14__hip_bfloat16S0_LN4vllm18Fp8KVCacheDataTypeE0ES0_Li16ELi64ELi256ELb0ELi11EEvPKT_PKT0_S8_ifPKiSA_SA_iPKfiiiPfSD_PS3_PT2_iSC_SC_: ; @_Z39paged_attention_ll4mi_QKV_mfma16_kernelI14__hip_bfloat16S0_LN4vllm18Fp8KVCacheDataTypeE0ES0_Li16ELi64ELi256ELb0ELi11EEvPKT_PKT0_S8_ifPKiSA_SA_iPKfiiiPfSD_PS3_PT2_iSC_SC_
; %bb.0:
	s_get_pc_i64 s[2:3]
	s_add_nc_u64 s[2:3], s[2:3], __PRETTY_FUNCTION__._Z39paged_attention_ll4mi_QKV_mfma16_kernelI14__hip_bfloat16S0_LN4vllm18Fp8KVCacheDataTypeE0ES0_Li16ELi64ELi256ELb0ELi11EEvPKT_PKT0_S8_ifPKiSA_SA_iPKfiiiPfSD_PS3_PT2_iSC_SC_@rel64+4
	s_delay_alu instid0(SALU_CYCLE_1)
	v_dual_mov_b32 v0, 0xbb3 :: v_dual_mov_b32 v1, s2
	v_mov_b32_e32 v2, s3
	s_add_nc_u64 s[8:9], s[0:1], 0x90
	s_get_pc_i64 s[0:1]
	s_add_nc_u64 s[0:1], s[0:1], __assert_fail@rel64+4
	s_mov_b32 s32, 0
	s_swap_pc_i64 s[30:31], s[0:1]
	.section	.rodata,"a",@progbits
	.p2align	6, 0x0
	.amdhsa_kernel _Z39paged_attention_ll4mi_QKV_mfma16_kernelI14__hip_bfloat16S0_LN4vllm18Fp8KVCacheDataTypeE0ES0_Li16ELi64ELi256ELb0ELi11EEvPKT_PKT0_S8_ifPKiSA_SA_iPKfiiiPfSD_PS3_PT2_iSC_SC_
		.amdhsa_group_segment_fixed_size 0
		.amdhsa_private_segment_fixed_size 64
		.amdhsa_kernarg_size 400
		.amdhsa_user_sgpr_count 2
		.amdhsa_user_sgpr_dispatch_ptr 0
		.amdhsa_user_sgpr_queue_ptr 0
		.amdhsa_user_sgpr_kernarg_segment_ptr 1
		.amdhsa_user_sgpr_dispatch_id 0
		.amdhsa_user_sgpr_kernarg_preload_length 0
		.amdhsa_user_sgpr_kernarg_preload_offset 0
		.amdhsa_user_sgpr_private_segment_size 0
		.amdhsa_wavefront_size32 1
		.amdhsa_uses_dynamic_stack 0
		.amdhsa_enable_private_segment 1
		.amdhsa_system_sgpr_workgroup_id_x 1
		.amdhsa_system_sgpr_workgroup_id_y 0
		.amdhsa_system_sgpr_workgroup_id_z 0
		.amdhsa_system_sgpr_workgroup_info 0
		.amdhsa_system_vgpr_workitem_id 0
		.amdhsa_next_free_vgpr 51
		.amdhsa_next_free_sgpr 34
		.amdhsa_named_barrier_count 0
		.amdhsa_reserve_vcc 1
		.amdhsa_float_round_mode_32 0
		.amdhsa_float_round_mode_16_64 0
		.amdhsa_float_denorm_mode_32 3
		.amdhsa_float_denorm_mode_16_64 3
		.amdhsa_fp16_overflow 0
		.amdhsa_memory_ordered 1
		.amdhsa_forward_progress 1
		.amdhsa_inst_pref_size 1
		.amdhsa_round_robin_scheduling 0
		.amdhsa_exception_fp_ieee_invalid_op 0
		.amdhsa_exception_fp_denorm_src 0
		.amdhsa_exception_fp_ieee_div_zero 0
		.amdhsa_exception_fp_ieee_overflow 0
		.amdhsa_exception_fp_ieee_underflow 0
		.amdhsa_exception_fp_ieee_inexact 0
		.amdhsa_exception_int_div_zero 0
	.end_amdhsa_kernel
	.section	.text._Z39paged_attention_ll4mi_QKV_mfma16_kernelI14__hip_bfloat16S0_LN4vllm18Fp8KVCacheDataTypeE0ES0_Li16ELi64ELi256ELb0ELi11EEvPKT_PKT0_S8_ifPKiSA_SA_iPKfiiiPfSD_PS3_PT2_iSC_SC_,"axG",@progbits,_Z39paged_attention_ll4mi_QKV_mfma16_kernelI14__hip_bfloat16S0_LN4vllm18Fp8KVCacheDataTypeE0ES0_Li16ELi64ELi256ELb0ELi11EEvPKT_PKT0_S8_ifPKiSA_SA_iPKfiiiPfSD_PS3_PT2_iSC_SC_,comdat
.Lfunc_end488:
	.size	_Z39paged_attention_ll4mi_QKV_mfma16_kernelI14__hip_bfloat16S0_LN4vllm18Fp8KVCacheDataTypeE0ES0_Li16ELi64ELi256ELb0ELi11EEvPKT_PKT0_S8_ifPKiSA_SA_iPKfiiiPfSD_PS3_PT2_iSC_SC_, .Lfunc_end488-_Z39paged_attention_ll4mi_QKV_mfma16_kernelI14__hip_bfloat16S0_LN4vllm18Fp8KVCacheDataTypeE0ES0_Li16ELi64ELi256ELb0ELi11EEvPKT_PKT0_S8_ifPKiSA_SA_iPKfiiiPfSD_PS3_PT2_iSC_SC_
                                        ; -- End function
	.set _Z39paged_attention_ll4mi_QKV_mfma16_kernelI14__hip_bfloat16S0_LN4vllm18Fp8KVCacheDataTypeE0ES0_Li16ELi64ELi256ELb0ELi11EEvPKT_PKT0_S8_ifPKiSA_SA_iPKfiiiPfSD_PS3_PT2_iSC_SC_.num_vgpr, max(3, .L__assert_fail.num_vgpr)
	.set _Z39paged_attention_ll4mi_QKV_mfma16_kernelI14__hip_bfloat16S0_LN4vllm18Fp8KVCacheDataTypeE0ES0_Li16ELi64ELi256ELb0ELi11EEvPKT_PKT0_S8_ifPKiSA_SA_iPKfiiiPfSD_PS3_PT2_iSC_SC_.num_agpr, max(0, .L__assert_fail.num_agpr)
	.set _Z39paged_attention_ll4mi_QKV_mfma16_kernelI14__hip_bfloat16S0_LN4vllm18Fp8KVCacheDataTypeE0ES0_Li16ELi64ELi256ELb0ELi11EEvPKT_PKT0_S8_ifPKiSA_SA_iPKfiiiPfSD_PS3_PT2_iSC_SC_.numbered_sgpr, max(33, .L__assert_fail.numbered_sgpr)
	.set _Z39paged_attention_ll4mi_QKV_mfma16_kernelI14__hip_bfloat16S0_LN4vllm18Fp8KVCacheDataTypeE0ES0_Li16ELi64ELi256ELb0ELi11EEvPKT_PKT0_S8_ifPKiSA_SA_iPKfiiiPfSD_PS3_PT2_iSC_SC_.num_named_barrier, max(0, .L__assert_fail.num_named_barrier)
	.set _Z39paged_attention_ll4mi_QKV_mfma16_kernelI14__hip_bfloat16S0_LN4vllm18Fp8KVCacheDataTypeE0ES0_Li16ELi64ELi256ELb0ELi11EEvPKT_PKT0_S8_ifPKiSA_SA_iPKfiiiPfSD_PS3_PT2_iSC_SC_.private_seg_size, 0+max(.L__assert_fail.private_seg_size)
	.set _Z39paged_attention_ll4mi_QKV_mfma16_kernelI14__hip_bfloat16S0_LN4vllm18Fp8KVCacheDataTypeE0ES0_Li16ELi64ELi256ELb0ELi11EEvPKT_PKT0_S8_ifPKiSA_SA_iPKfiiiPfSD_PS3_PT2_iSC_SC_.uses_vcc, or(1, .L__assert_fail.uses_vcc)
	.set _Z39paged_attention_ll4mi_QKV_mfma16_kernelI14__hip_bfloat16S0_LN4vllm18Fp8KVCacheDataTypeE0ES0_Li16ELi64ELi256ELb0ELi11EEvPKT_PKT0_S8_ifPKiSA_SA_iPKfiiiPfSD_PS3_PT2_iSC_SC_.uses_flat_scratch, or(0, .L__assert_fail.uses_flat_scratch)
	.set _Z39paged_attention_ll4mi_QKV_mfma16_kernelI14__hip_bfloat16S0_LN4vllm18Fp8KVCacheDataTypeE0ES0_Li16ELi64ELi256ELb0ELi11EEvPKT_PKT0_S8_ifPKiSA_SA_iPKfiiiPfSD_PS3_PT2_iSC_SC_.has_dyn_sized_stack, or(0, .L__assert_fail.has_dyn_sized_stack)
	.set _Z39paged_attention_ll4mi_QKV_mfma16_kernelI14__hip_bfloat16S0_LN4vllm18Fp8KVCacheDataTypeE0ES0_Li16ELi64ELi256ELb0ELi11EEvPKT_PKT0_S8_ifPKiSA_SA_iPKfiiiPfSD_PS3_PT2_iSC_SC_.has_recursion, or(0, .L__assert_fail.has_recursion)
	.set _Z39paged_attention_ll4mi_QKV_mfma16_kernelI14__hip_bfloat16S0_LN4vllm18Fp8KVCacheDataTypeE0ES0_Li16ELi64ELi256ELb0ELi11EEvPKT_PKT0_S8_ifPKiSA_SA_iPKfiiiPfSD_PS3_PT2_iSC_SC_.has_indirect_call, or(0, .L__assert_fail.has_indirect_call)
	.section	.AMDGPU.csdata,"",@progbits
; Kernel info:
; codeLenInByte = 68
; TotalNumSgprs: 36
; NumVgprs: 51
; ScratchSize: 64
; MemoryBound: 0
; FloatMode: 240
; IeeeMode: 1
; LDSByteSize: 0 bytes/workgroup (compile time only)
; SGPRBlocks: 0
; VGPRBlocks: 3
; NumSGPRsForWavesPerEU: 36
; NumVGPRsForWavesPerEU: 51
; NamedBarCnt: 0
; Occupancy: 16
; WaveLimiterHint : 1
; COMPUTE_PGM_RSRC2:SCRATCH_EN: 1
; COMPUTE_PGM_RSRC2:USER_SGPR: 2
; COMPUTE_PGM_RSRC2:TRAP_HANDLER: 0
; COMPUTE_PGM_RSRC2:TGID_X_EN: 1
; COMPUTE_PGM_RSRC2:TGID_Y_EN: 0
; COMPUTE_PGM_RSRC2:TGID_Z_EN: 0
; COMPUTE_PGM_RSRC2:TIDIG_COMP_CNT: 0
	.section	.text._Z39paged_attention_ll4mi_QKV_mfma16_kernelI14__hip_bfloat16S0_LN4vllm18Fp8KVCacheDataTypeE0ES0_Li16ELi64ELi256ELb0ELi12EEvPKT_PKT0_S8_ifPKiSA_SA_iPKfiiiPfSD_PS3_PT2_iSC_SC_,"axG",@progbits,_Z39paged_attention_ll4mi_QKV_mfma16_kernelI14__hip_bfloat16S0_LN4vllm18Fp8KVCacheDataTypeE0ES0_Li16ELi64ELi256ELb0ELi12EEvPKT_PKT0_S8_ifPKiSA_SA_iPKfiiiPfSD_PS3_PT2_iSC_SC_,comdat
	.protected	_Z39paged_attention_ll4mi_QKV_mfma16_kernelI14__hip_bfloat16S0_LN4vllm18Fp8KVCacheDataTypeE0ES0_Li16ELi64ELi256ELb0ELi12EEvPKT_PKT0_S8_ifPKiSA_SA_iPKfiiiPfSD_PS3_PT2_iSC_SC_ ; -- Begin function _Z39paged_attention_ll4mi_QKV_mfma16_kernelI14__hip_bfloat16S0_LN4vllm18Fp8KVCacheDataTypeE0ES0_Li16ELi64ELi256ELb0ELi12EEvPKT_PKT0_S8_ifPKiSA_SA_iPKfiiiPfSD_PS3_PT2_iSC_SC_
	.globl	_Z39paged_attention_ll4mi_QKV_mfma16_kernelI14__hip_bfloat16S0_LN4vllm18Fp8KVCacheDataTypeE0ES0_Li16ELi64ELi256ELb0ELi12EEvPKT_PKT0_S8_ifPKiSA_SA_iPKfiiiPfSD_PS3_PT2_iSC_SC_
	.p2align	8
	.type	_Z39paged_attention_ll4mi_QKV_mfma16_kernelI14__hip_bfloat16S0_LN4vllm18Fp8KVCacheDataTypeE0ES0_Li16ELi64ELi256ELb0ELi12EEvPKT_PKT0_S8_ifPKiSA_SA_iPKfiiiPfSD_PS3_PT2_iSC_SC_,@function
_Z39paged_attention_ll4mi_QKV_mfma16_kernelI14__hip_bfloat16S0_LN4vllm18Fp8KVCacheDataTypeE0ES0_Li16ELi64ELi256ELb0ELi12EEvPKT_PKT0_S8_ifPKiSA_SA_iPKfiiiPfSD_PS3_PT2_iSC_SC_: ; @_Z39paged_attention_ll4mi_QKV_mfma16_kernelI14__hip_bfloat16S0_LN4vllm18Fp8KVCacheDataTypeE0ES0_Li16ELi64ELi256ELb0ELi12EEvPKT_PKT0_S8_ifPKiSA_SA_iPKfiiiPfSD_PS3_PT2_iSC_SC_
; %bb.0:
	s_get_pc_i64 s[2:3]
	s_add_nc_u64 s[2:3], s[2:3], __PRETTY_FUNCTION__._Z39paged_attention_ll4mi_QKV_mfma16_kernelI14__hip_bfloat16S0_LN4vllm18Fp8KVCacheDataTypeE0ES0_Li16ELi64ELi256ELb0ELi12EEvPKT_PKT0_S8_ifPKiSA_SA_iPKfiiiPfSD_PS3_PT2_iSC_SC_@rel64+4
	s_delay_alu instid0(SALU_CYCLE_1)
	v_dual_mov_b32 v0, 0xbb3 :: v_dual_mov_b32 v1, s2
	v_mov_b32_e32 v2, s3
	s_add_nc_u64 s[8:9], s[0:1], 0x90
	s_get_pc_i64 s[0:1]
	s_add_nc_u64 s[0:1], s[0:1], __assert_fail@rel64+4
	s_mov_b32 s32, 0
	s_swap_pc_i64 s[30:31], s[0:1]
	.section	.rodata,"a",@progbits
	.p2align	6, 0x0
	.amdhsa_kernel _Z39paged_attention_ll4mi_QKV_mfma16_kernelI14__hip_bfloat16S0_LN4vllm18Fp8KVCacheDataTypeE0ES0_Li16ELi64ELi256ELb0ELi12EEvPKT_PKT0_S8_ifPKiSA_SA_iPKfiiiPfSD_PS3_PT2_iSC_SC_
		.amdhsa_group_segment_fixed_size 0
		.amdhsa_private_segment_fixed_size 64
		.amdhsa_kernarg_size 400
		.amdhsa_user_sgpr_count 2
		.amdhsa_user_sgpr_dispatch_ptr 0
		.amdhsa_user_sgpr_queue_ptr 0
		.amdhsa_user_sgpr_kernarg_segment_ptr 1
		.amdhsa_user_sgpr_dispatch_id 0
		.amdhsa_user_sgpr_kernarg_preload_length 0
		.amdhsa_user_sgpr_kernarg_preload_offset 0
		.amdhsa_user_sgpr_private_segment_size 0
		.amdhsa_wavefront_size32 1
		.amdhsa_uses_dynamic_stack 0
		.amdhsa_enable_private_segment 1
		.amdhsa_system_sgpr_workgroup_id_x 1
		.amdhsa_system_sgpr_workgroup_id_y 0
		.amdhsa_system_sgpr_workgroup_id_z 0
		.amdhsa_system_sgpr_workgroup_info 0
		.amdhsa_system_vgpr_workitem_id 0
		.amdhsa_next_free_vgpr 51
		.amdhsa_next_free_sgpr 34
		.amdhsa_named_barrier_count 0
		.amdhsa_reserve_vcc 1
		.amdhsa_float_round_mode_32 0
		.amdhsa_float_round_mode_16_64 0
		.amdhsa_float_denorm_mode_32 3
		.amdhsa_float_denorm_mode_16_64 3
		.amdhsa_fp16_overflow 0
		.amdhsa_memory_ordered 1
		.amdhsa_forward_progress 1
		.amdhsa_inst_pref_size 1
		.amdhsa_round_robin_scheduling 0
		.amdhsa_exception_fp_ieee_invalid_op 0
		.amdhsa_exception_fp_denorm_src 0
		.amdhsa_exception_fp_ieee_div_zero 0
		.amdhsa_exception_fp_ieee_overflow 0
		.amdhsa_exception_fp_ieee_underflow 0
		.amdhsa_exception_fp_ieee_inexact 0
		.amdhsa_exception_int_div_zero 0
	.end_amdhsa_kernel
	.section	.text._Z39paged_attention_ll4mi_QKV_mfma16_kernelI14__hip_bfloat16S0_LN4vllm18Fp8KVCacheDataTypeE0ES0_Li16ELi64ELi256ELb0ELi12EEvPKT_PKT0_S8_ifPKiSA_SA_iPKfiiiPfSD_PS3_PT2_iSC_SC_,"axG",@progbits,_Z39paged_attention_ll4mi_QKV_mfma16_kernelI14__hip_bfloat16S0_LN4vllm18Fp8KVCacheDataTypeE0ES0_Li16ELi64ELi256ELb0ELi12EEvPKT_PKT0_S8_ifPKiSA_SA_iPKfiiiPfSD_PS3_PT2_iSC_SC_,comdat
.Lfunc_end489:
	.size	_Z39paged_attention_ll4mi_QKV_mfma16_kernelI14__hip_bfloat16S0_LN4vllm18Fp8KVCacheDataTypeE0ES0_Li16ELi64ELi256ELb0ELi12EEvPKT_PKT0_S8_ifPKiSA_SA_iPKfiiiPfSD_PS3_PT2_iSC_SC_, .Lfunc_end489-_Z39paged_attention_ll4mi_QKV_mfma16_kernelI14__hip_bfloat16S0_LN4vllm18Fp8KVCacheDataTypeE0ES0_Li16ELi64ELi256ELb0ELi12EEvPKT_PKT0_S8_ifPKiSA_SA_iPKfiiiPfSD_PS3_PT2_iSC_SC_
                                        ; -- End function
	.set _Z39paged_attention_ll4mi_QKV_mfma16_kernelI14__hip_bfloat16S0_LN4vllm18Fp8KVCacheDataTypeE0ES0_Li16ELi64ELi256ELb0ELi12EEvPKT_PKT0_S8_ifPKiSA_SA_iPKfiiiPfSD_PS3_PT2_iSC_SC_.num_vgpr, max(3, .L__assert_fail.num_vgpr)
	.set _Z39paged_attention_ll4mi_QKV_mfma16_kernelI14__hip_bfloat16S0_LN4vllm18Fp8KVCacheDataTypeE0ES0_Li16ELi64ELi256ELb0ELi12EEvPKT_PKT0_S8_ifPKiSA_SA_iPKfiiiPfSD_PS3_PT2_iSC_SC_.num_agpr, max(0, .L__assert_fail.num_agpr)
	.set _Z39paged_attention_ll4mi_QKV_mfma16_kernelI14__hip_bfloat16S0_LN4vllm18Fp8KVCacheDataTypeE0ES0_Li16ELi64ELi256ELb0ELi12EEvPKT_PKT0_S8_ifPKiSA_SA_iPKfiiiPfSD_PS3_PT2_iSC_SC_.numbered_sgpr, max(33, .L__assert_fail.numbered_sgpr)
	.set _Z39paged_attention_ll4mi_QKV_mfma16_kernelI14__hip_bfloat16S0_LN4vllm18Fp8KVCacheDataTypeE0ES0_Li16ELi64ELi256ELb0ELi12EEvPKT_PKT0_S8_ifPKiSA_SA_iPKfiiiPfSD_PS3_PT2_iSC_SC_.num_named_barrier, max(0, .L__assert_fail.num_named_barrier)
	.set _Z39paged_attention_ll4mi_QKV_mfma16_kernelI14__hip_bfloat16S0_LN4vllm18Fp8KVCacheDataTypeE0ES0_Li16ELi64ELi256ELb0ELi12EEvPKT_PKT0_S8_ifPKiSA_SA_iPKfiiiPfSD_PS3_PT2_iSC_SC_.private_seg_size, 0+max(.L__assert_fail.private_seg_size)
	.set _Z39paged_attention_ll4mi_QKV_mfma16_kernelI14__hip_bfloat16S0_LN4vllm18Fp8KVCacheDataTypeE0ES0_Li16ELi64ELi256ELb0ELi12EEvPKT_PKT0_S8_ifPKiSA_SA_iPKfiiiPfSD_PS3_PT2_iSC_SC_.uses_vcc, or(1, .L__assert_fail.uses_vcc)
	.set _Z39paged_attention_ll4mi_QKV_mfma16_kernelI14__hip_bfloat16S0_LN4vllm18Fp8KVCacheDataTypeE0ES0_Li16ELi64ELi256ELb0ELi12EEvPKT_PKT0_S8_ifPKiSA_SA_iPKfiiiPfSD_PS3_PT2_iSC_SC_.uses_flat_scratch, or(0, .L__assert_fail.uses_flat_scratch)
	.set _Z39paged_attention_ll4mi_QKV_mfma16_kernelI14__hip_bfloat16S0_LN4vllm18Fp8KVCacheDataTypeE0ES0_Li16ELi64ELi256ELb0ELi12EEvPKT_PKT0_S8_ifPKiSA_SA_iPKfiiiPfSD_PS3_PT2_iSC_SC_.has_dyn_sized_stack, or(0, .L__assert_fail.has_dyn_sized_stack)
	.set _Z39paged_attention_ll4mi_QKV_mfma16_kernelI14__hip_bfloat16S0_LN4vllm18Fp8KVCacheDataTypeE0ES0_Li16ELi64ELi256ELb0ELi12EEvPKT_PKT0_S8_ifPKiSA_SA_iPKfiiiPfSD_PS3_PT2_iSC_SC_.has_recursion, or(0, .L__assert_fail.has_recursion)
	.set _Z39paged_attention_ll4mi_QKV_mfma16_kernelI14__hip_bfloat16S0_LN4vllm18Fp8KVCacheDataTypeE0ES0_Li16ELi64ELi256ELb0ELi12EEvPKT_PKT0_S8_ifPKiSA_SA_iPKfiiiPfSD_PS3_PT2_iSC_SC_.has_indirect_call, or(0, .L__assert_fail.has_indirect_call)
	.section	.AMDGPU.csdata,"",@progbits
; Kernel info:
; codeLenInByte = 68
; TotalNumSgprs: 36
; NumVgprs: 51
; ScratchSize: 64
; MemoryBound: 0
; FloatMode: 240
; IeeeMode: 1
; LDSByteSize: 0 bytes/workgroup (compile time only)
; SGPRBlocks: 0
; VGPRBlocks: 3
; NumSGPRsForWavesPerEU: 36
; NumVGPRsForWavesPerEU: 51
; NamedBarCnt: 0
; Occupancy: 16
; WaveLimiterHint : 1
; COMPUTE_PGM_RSRC2:SCRATCH_EN: 1
; COMPUTE_PGM_RSRC2:USER_SGPR: 2
; COMPUTE_PGM_RSRC2:TRAP_HANDLER: 0
; COMPUTE_PGM_RSRC2:TGID_X_EN: 1
; COMPUTE_PGM_RSRC2:TGID_Y_EN: 0
; COMPUTE_PGM_RSRC2:TGID_Z_EN: 0
; COMPUTE_PGM_RSRC2:TIDIG_COMP_CNT: 0
	.section	.text._Z39paged_attention_ll4mi_QKV_mfma16_kernelI14__hip_bfloat16S0_LN4vllm18Fp8KVCacheDataTypeE0ES0_Li16ELi64ELi256ELb0ELi13EEvPKT_PKT0_S8_ifPKiSA_SA_iPKfiiiPfSD_PS3_PT2_iSC_SC_,"axG",@progbits,_Z39paged_attention_ll4mi_QKV_mfma16_kernelI14__hip_bfloat16S0_LN4vllm18Fp8KVCacheDataTypeE0ES0_Li16ELi64ELi256ELb0ELi13EEvPKT_PKT0_S8_ifPKiSA_SA_iPKfiiiPfSD_PS3_PT2_iSC_SC_,comdat
	.protected	_Z39paged_attention_ll4mi_QKV_mfma16_kernelI14__hip_bfloat16S0_LN4vllm18Fp8KVCacheDataTypeE0ES0_Li16ELi64ELi256ELb0ELi13EEvPKT_PKT0_S8_ifPKiSA_SA_iPKfiiiPfSD_PS3_PT2_iSC_SC_ ; -- Begin function _Z39paged_attention_ll4mi_QKV_mfma16_kernelI14__hip_bfloat16S0_LN4vllm18Fp8KVCacheDataTypeE0ES0_Li16ELi64ELi256ELb0ELi13EEvPKT_PKT0_S8_ifPKiSA_SA_iPKfiiiPfSD_PS3_PT2_iSC_SC_
	.globl	_Z39paged_attention_ll4mi_QKV_mfma16_kernelI14__hip_bfloat16S0_LN4vllm18Fp8KVCacheDataTypeE0ES0_Li16ELi64ELi256ELb0ELi13EEvPKT_PKT0_S8_ifPKiSA_SA_iPKfiiiPfSD_PS3_PT2_iSC_SC_
	.p2align	8
	.type	_Z39paged_attention_ll4mi_QKV_mfma16_kernelI14__hip_bfloat16S0_LN4vllm18Fp8KVCacheDataTypeE0ES0_Li16ELi64ELi256ELb0ELi13EEvPKT_PKT0_S8_ifPKiSA_SA_iPKfiiiPfSD_PS3_PT2_iSC_SC_,@function
_Z39paged_attention_ll4mi_QKV_mfma16_kernelI14__hip_bfloat16S0_LN4vllm18Fp8KVCacheDataTypeE0ES0_Li16ELi64ELi256ELb0ELi13EEvPKT_PKT0_S8_ifPKiSA_SA_iPKfiiiPfSD_PS3_PT2_iSC_SC_: ; @_Z39paged_attention_ll4mi_QKV_mfma16_kernelI14__hip_bfloat16S0_LN4vllm18Fp8KVCacheDataTypeE0ES0_Li16ELi64ELi256ELb0ELi13EEvPKT_PKT0_S8_ifPKiSA_SA_iPKfiiiPfSD_PS3_PT2_iSC_SC_
; %bb.0:
	s_get_pc_i64 s[2:3]
	s_add_nc_u64 s[2:3], s[2:3], __PRETTY_FUNCTION__._Z39paged_attention_ll4mi_QKV_mfma16_kernelI14__hip_bfloat16S0_LN4vllm18Fp8KVCacheDataTypeE0ES0_Li16ELi64ELi256ELb0ELi13EEvPKT_PKT0_S8_ifPKiSA_SA_iPKfiiiPfSD_PS3_PT2_iSC_SC_@rel64+4
	s_delay_alu instid0(SALU_CYCLE_1)
	v_dual_mov_b32 v0, 0xbb3 :: v_dual_mov_b32 v1, s2
	v_mov_b32_e32 v2, s3
	s_add_nc_u64 s[8:9], s[0:1], 0x90
	s_get_pc_i64 s[0:1]
	s_add_nc_u64 s[0:1], s[0:1], __assert_fail@rel64+4
	s_mov_b32 s32, 0
	s_swap_pc_i64 s[30:31], s[0:1]
	.section	.rodata,"a",@progbits
	.p2align	6, 0x0
	.amdhsa_kernel _Z39paged_attention_ll4mi_QKV_mfma16_kernelI14__hip_bfloat16S0_LN4vllm18Fp8KVCacheDataTypeE0ES0_Li16ELi64ELi256ELb0ELi13EEvPKT_PKT0_S8_ifPKiSA_SA_iPKfiiiPfSD_PS3_PT2_iSC_SC_
		.amdhsa_group_segment_fixed_size 0
		.amdhsa_private_segment_fixed_size 64
		.amdhsa_kernarg_size 400
		.amdhsa_user_sgpr_count 2
		.amdhsa_user_sgpr_dispatch_ptr 0
		.amdhsa_user_sgpr_queue_ptr 0
		.amdhsa_user_sgpr_kernarg_segment_ptr 1
		.amdhsa_user_sgpr_dispatch_id 0
		.amdhsa_user_sgpr_kernarg_preload_length 0
		.amdhsa_user_sgpr_kernarg_preload_offset 0
		.amdhsa_user_sgpr_private_segment_size 0
		.amdhsa_wavefront_size32 1
		.amdhsa_uses_dynamic_stack 0
		.amdhsa_enable_private_segment 1
		.amdhsa_system_sgpr_workgroup_id_x 1
		.amdhsa_system_sgpr_workgroup_id_y 0
		.amdhsa_system_sgpr_workgroup_id_z 0
		.amdhsa_system_sgpr_workgroup_info 0
		.amdhsa_system_vgpr_workitem_id 0
		.amdhsa_next_free_vgpr 51
		.amdhsa_next_free_sgpr 34
		.amdhsa_named_barrier_count 0
		.amdhsa_reserve_vcc 1
		.amdhsa_float_round_mode_32 0
		.amdhsa_float_round_mode_16_64 0
		.amdhsa_float_denorm_mode_32 3
		.amdhsa_float_denorm_mode_16_64 3
		.amdhsa_fp16_overflow 0
		.amdhsa_memory_ordered 1
		.amdhsa_forward_progress 1
		.amdhsa_inst_pref_size 1
		.amdhsa_round_robin_scheduling 0
		.amdhsa_exception_fp_ieee_invalid_op 0
		.amdhsa_exception_fp_denorm_src 0
		.amdhsa_exception_fp_ieee_div_zero 0
		.amdhsa_exception_fp_ieee_overflow 0
		.amdhsa_exception_fp_ieee_underflow 0
		.amdhsa_exception_fp_ieee_inexact 0
		.amdhsa_exception_int_div_zero 0
	.end_amdhsa_kernel
	.section	.text._Z39paged_attention_ll4mi_QKV_mfma16_kernelI14__hip_bfloat16S0_LN4vllm18Fp8KVCacheDataTypeE0ES0_Li16ELi64ELi256ELb0ELi13EEvPKT_PKT0_S8_ifPKiSA_SA_iPKfiiiPfSD_PS3_PT2_iSC_SC_,"axG",@progbits,_Z39paged_attention_ll4mi_QKV_mfma16_kernelI14__hip_bfloat16S0_LN4vllm18Fp8KVCacheDataTypeE0ES0_Li16ELi64ELi256ELb0ELi13EEvPKT_PKT0_S8_ifPKiSA_SA_iPKfiiiPfSD_PS3_PT2_iSC_SC_,comdat
.Lfunc_end490:
	.size	_Z39paged_attention_ll4mi_QKV_mfma16_kernelI14__hip_bfloat16S0_LN4vllm18Fp8KVCacheDataTypeE0ES0_Li16ELi64ELi256ELb0ELi13EEvPKT_PKT0_S8_ifPKiSA_SA_iPKfiiiPfSD_PS3_PT2_iSC_SC_, .Lfunc_end490-_Z39paged_attention_ll4mi_QKV_mfma16_kernelI14__hip_bfloat16S0_LN4vllm18Fp8KVCacheDataTypeE0ES0_Li16ELi64ELi256ELb0ELi13EEvPKT_PKT0_S8_ifPKiSA_SA_iPKfiiiPfSD_PS3_PT2_iSC_SC_
                                        ; -- End function
	.set _Z39paged_attention_ll4mi_QKV_mfma16_kernelI14__hip_bfloat16S0_LN4vllm18Fp8KVCacheDataTypeE0ES0_Li16ELi64ELi256ELb0ELi13EEvPKT_PKT0_S8_ifPKiSA_SA_iPKfiiiPfSD_PS3_PT2_iSC_SC_.num_vgpr, max(3, .L__assert_fail.num_vgpr)
	.set _Z39paged_attention_ll4mi_QKV_mfma16_kernelI14__hip_bfloat16S0_LN4vllm18Fp8KVCacheDataTypeE0ES0_Li16ELi64ELi256ELb0ELi13EEvPKT_PKT0_S8_ifPKiSA_SA_iPKfiiiPfSD_PS3_PT2_iSC_SC_.num_agpr, max(0, .L__assert_fail.num_agpr)
	.set _Z39paged_attention_ll4mi_QKV_mfma16_kernelI14__hip_bfloat16S0_LN4vllm18Fp8KVCacheDataTypeE0ES0_Li16ELi64ELi256ELb0ELi13EEvPKT_PKT0_S8_ifPKiSA_SA_iPKfiiiPfSD_PS3_PT2_iSC_SC_.numbered_sgpr, max(33, .L__assert_fail.numbered_sgpr)
	.set _Z39paged_attention_ll4mi_QKV_mfma16_kernelI14__hip_bfloat16S0_LN4vllm18Fp8KVCacheDataTypeE0ES0_Li16ELi64ELi256ELb0ELi13EEvPKT_PKT0_S8_ifPKiSA_SA_iPKfiiiPfSD_PS3_PT2_iSC_SC_.num_named_barrier, max(0, .L__assert_fail.num_named_barrier)
	.set _Z39paged_attention_ll4mi_QKV_mfma16_kernelI14__hip_bfloat16S0_LN4vllm18Fp8KVCacheDataTypeE0ES0_Li16ELi64ELi256ELb0ELi13EEvPKT_PKT0_S8_ifPKiSA_SA_iPKfiiiPfSD_PS3_PT2_iSC_SC_.private_seg_size, 0+max(.L__assert_fail.private_seg_size)
	.set _Z39paged_attention_ll4mi_QKV_mfma16_kernelI14__hip_bfloat16S0_LN4vllm18Fp8KVCacheDataTypeE0ES0_Li16ELi64ELi256ELb0ELi13EEvPKT_PKT0_S8_ifPKiSA_SA_iPKfiiiPfSD_PS3_PT2_iSC_SC_.uses_vcc, or(1, .L__assert_fail.uses_vcc)
	.set _Z39paged_attention_ll4mi_QKV_mfma16_kernelI14__hip_bfloat16S0_LN4vllm18Fp8KVCacheDataTypeE0ES0_Li16ELi64ELi256ELb0ELi13EEvPKT_PKT0_S8_ifPKiSA_SA_iPKfiiiPfSD_PS3_PT2_iSC_SC_.uses_flat_scratch, or(0, .L__assert_fail.uses_flat_scratch)
	.set _Z39paged_attention_ll4mi_QKV_mfma16_kernelI14__hip_bfloat16S0_LN4vllm18Fp8KVCacheDataTypeE0ES0_Li16ELi64ELi256ELb0ELi13EEvPKT_PKT0_S8_ifPKiSA_SA_iPKfiiiPfSD_PS3_PT2_iSC_SC_.has_dyn_sized_stack, or(0, .L__assert_fail.has_dyn_sized_stack)
	.set _Z39paged_attention_ll4mi_QKV_mfma16_kernelI14__hip_bfloat16S0_LN4vllm18Fp8KVCacheDataTypeE0ES0_Li16ELi64ELi256ELb0ELi13EEvPKT_PKT0_S8_ifPKiSA_SA_iPKfiiiPfSD_PS3_PT2_iSC_SC_.has_recursion, or(0, .L__assert_fail.has_recursion)
	.set _Z39paged_attention_ll4mi_QKV_mfma16_kernelI14__hip_bfloat16S0_LN4vllm18Fp8KVCacheDataTypeE0ES0_Li16ELi64ELi256ELb0ELi13EEvPKT_PKT0_S8_ifPKiSA_SA_iPKfiiiPfSD_PS3_PT2_iSC_SC_.has_indirect_call, or(0, .L__assert_fail.has_indirect_call)
	.section	.AMDGPU.csdata,"",@progbits
; Kernel info:
; codeLenInByte = 68
; TotalNumSgprs: 36
; NumVgprs: 51
; ScratchSize: 64
; MemoryBound: 0
; FloatMode: 240
; IeeeMode: 1
; LDSByteSize: 0 bytes/workgroup (compile time only)
; SGPRBlocks: 0
; VGPRBlocks: 3
; NumSGPRsForWavesPerEU: 36
; NumVGPRsForWavesPerEU: 51
; NamedBarCnt: 0
; Occupancy: 16
; WaveLimiterHint : 1
; COMPUTE_PGM_RSRC2:SCRATCH_EN: 1
; COMPUTE_PGM_RSRC2:USER_SGPR: 2
; COMPUTE_PGM_RSRC2:TRAP_HANDLER: 0
; COMPUTE_PGM_RSRC2:TGID_X_EN: 1
; COMPUTE_PGM_RSRC2:TGID_Y_EN: 0
; COMPUTE_PGM_RSRC2:TGID_Z_EN: 0
; COMPUTE_PGM_RSRC2:TIDIG_COMP_CNT: 0
	.section	.text._Z39paged_attention_ll4mi_QKV_mfma16_kernelI14__hip_bfloat16S0_LN4vllm18Fp8KVCacheDataTypeE0ES0_Li16ELi64ELi256ELb0ELi14EEvPKT_PKT0_S8_ifPKiSA_SA_iPKfiiiPfSD_PS3_PT2_iSC_SC_,"axG",@progbits,_Z39paged_attention_ll4mi_QKV_mfma16_kernelI14__hip_bfloat16S0_LN4vllm18Fp8KVCacheDataTypeE0ES0_Li16ELi64ELi256ELb0ELi14EEvPKT_PKT0_S8_ifPKiSA_SA_iPKfiiiPfSD_PS3_PT2_iSC_SC_,comdat
	.protected	_Z39paged_attention_ll4mi_QKV_mfma16_kernelI14__hip_bfloat16S0_LN4vllm18Fp8KVCacheDataTypeE0ES0_Li16ELi64ELi256ELb0ELi14EEvPKT_PKT0_S8_ifPKiSA_SA_iPKfiiiPfSD_PS3_PT2_iSC_SC_ ; -- Begin function _Z39paged_attention_ll4mi_QKV_mfma16_kernelI14__hip_bfloat16S0_LN4vllm18Fp8KVCacheDataTypeE0ES0_Li16ELi64ELi256ELb0ELi14EEvPKT_PKT0_S8_ifPKiSA_SA_iPKfiiiPfSD_PS3_PT2_iSC_SC_
	.globl	_Z39paged_attention_ll4mi_QKV_mfma16_kernelI14__hip_bfloat16S0_LN4vllm18Fp8KVCacheDataTypeE0ES0_Li16ELi64ELi256ELb0ELi14EEvPKT_PKT0_S8_ifPKiSA_SA_iPKfiiiPfSD_PS3_PT2_iSC_SC_
	.p2align	8
	.type	_Z39paged_attention_ll4mi_QKV_mfma16_kernelI14__hip_bfloat16S0_LN4vllm18Fp8KVCacheDataTypeE0ES0_Li16ELi64ELi256ELb0ELi14EEvPKT_PKT0_S8_ifPKiSA_SA_iPKfiiiPfSD_PS3_PT2_iSC_SC_,@function
_Z39paged_attention_ll4mi_QKV_mfma16_kernelI14__hip_bfloat16S0_LN4vllm18Fp8KVCacheDataTypeE0ES0_Li16ELi64ELi256ELb0ELi14EEvPKT_PKT0_S8_ifPKiSA_SA_iPKfiiiPfSD_PS3_PT2_iSC_SC_: ; @_Z39paged_attention_ll4mi_QKV_mfma16_kernelI14__hip_bfloat16S0_LN4vllm18Fp8KVCacheDataTypeE0ES0_Li16ELi64ELi256ELb0ELi14EEvPKT_PKT0_S8_ifPKiSA_SA_iPKfiiiPfSD_PS3_PT2_iSC_SC_
; %bb.0:
	s_get_pc_i64 s[2:3]
	s_add_nc_u64 s[2:3], s[2:3], __PRETTY_FUNCTION__._Z39paged_attention_ll4mi_QKV_mfma16_kernelI14__hip_bfloat16S0_LN4vllm18Fp8KVCacheDataTypeE0ES0_Li16ELi64ELi256ELb0ELi14EEvPKT_PKT0_S8_ifPKiSA_SA_iPKfiiiPfSD_PS3_PT2_iSC_SC_@rel64+4
	s_delay_alu instid0(SALU_CYCLE_1)
	v_dual_mov_b32 v0, 0xbb3 :: v_dual_mov_b32 v1, s2
	v_mov_b32_e32 v2, s3
	s_add_nc_u64 s[8:9], s[0:1], 0x90
	s_get_pc_i64 s[0:1]
	s_add_nc_u64 s[0:1], s[0:1], __assert_fail@rel64+4
	s_mov_b32 s32, 0
	s_swap_pc_i64 s[30:31], s[0:1]
	.section	.rodata,"a",@progbits
	.p2align	6, 0x0
	.amdhsa_kernel _Z39paged_attention_ll4mi_QKV_mfma16_kernelI14__hip_bfloat16S0_LN4vllm18Fp8KVCacheDataTypeE0ES0_Li16ELi64ELi256ELb0ELi14EEvPKT_PKT0_S8_ifPKiSA_SA_iPKfiiiPfSD_PS3_PT2_iSC_SC_
		.amdhsa_group_segment_fixed_size 0
		.amdhsa_private_segment_fixed_size 64
		.amdhsa_kernarg_size 400
		.amdhsa_user_sgpr_count 2
		.amdhsa_user_sgpr_dispatch_ptr 0
		.amdhsa_user_sgpr_queue_ptr 0
		.amdhsa_user_sgpr_kernarg_segment_ptr 1
		.amdhsa_user_sgpr_dispatch_id 0
		.amdhsa_user_sgpr_kernarg_preload_length 0
		.amdhsa_user_sgpr_kernarg_preload_offset 0
		.amdhsa_user_sgpr_private_segment_size 0
		.amdhsa_wavefront_size32 1
		.amdhsa_uses_dynamic_stack 0
		.amdhsa_enable_private_segment 1
		.amdhsa_system_sgpr_workgroup_id_x 1
		.amdhsa_system_sgpr_workgroup_id_y 0
		.amdhsa_system_sgpr_workgroup_id_z 0
		.amdhsa_system_sgpr_workgroup_info 0
		.amdhsa_system_vgpr_workitem_id 0
		.amdhsa_next_free_vgpr 51
		.amdhsa_next_free_sgpr 34
		.amdhsa_named_barrier_count 0
		.amdhsa_reserve_vcc 1
		.amdhsa_float_round_mode_32 0
		.amdhsa_float_round_mode_16_64 0
		.amdhsa_float_denorm_mode_32 3
		.amdhsa_float_denorm_mode_16_64 3
		.amdhsa_fp16_overflow 0
		.amdhsa_memory_ordered 1
		.amdhsa_forward_progress 1
		.amdhsa_inst_pref_size 1
		.amdhsa_round_robin_scheduling 0
		.amdhsa_exception_fp_ieee_invalid_op 0
		.amdhsa_exception_fp_denorm_src 0
		.amdhsa_exception_fp_ieee_div_zero 0
		.amdhsa_exception_fp_ieee_overflow 0
		.amdhsa_exception_fp_ieee_underflow 0
		.amdhsa_exception_fp_ieee_inexact 0
		.amdhsa_exception_int_div_zero 0
	.end_amdhsa_kernel
	.section	.text._Z39paged_attention_ll4mi_QKV_mfma16_kernelI14__hip_bfloat16S0_LN4vllm18Fp8KVCacheDataTypeE0ES0_Li16ELi64ELi256ELb0ELi14EEvPKT_PKT0_S8_ifPKiSA_SA_iPKfiiiPfSD_PS3_PT2_iSC_SC_,"axG",@progbits,_Z39paged_attention_ll4mi_QKV_mfma16_kernelI14__hip_bfloat16S0_LN4vllm18Fp8KVCacheDataTypeE0ES0_Li16ELi64ELi256ELb0ELi14EEvPKT_PKT0_S8_ifPKiSA_SA_iPKfiiiPfSD_PS3_PT2_iSC_SC_,comdat
.Lfunc_end491:
	.size	_Z39paged_attention_ll4mi_QKV_mfma16_kernelI14__hip_bfloat16S0_LN4vllm18Fp8KVCacheDataTypeE0ES0_Li16ELi64ELi256ELb0ELi14EEvPKT_PKT0_S8_ifPKiSA_SA_iPKfiiiPfSD_PS3_PT2_iSC_SC_, .Lfunc_end491-_Z39paged_attention_ll4mi_QKV_mfma16_kernelI14__hip_bfloat16S0_LN4vllm18Fp8KVCacheDataTypeE0ES0_Li16ELi64ELi256ELb0ELi14EEvPKT_PKT0_S8_ifPKiSA_SA_iPKfiiiPfSD_PS3_PT2_iSC_SC_
                                        ; -- End function
	.set _Z39paged_attention_ll4mi_QKV_mfma16_kernelI14__hip_bfloat16S0_LN4vllm18Fp8KVCacheDataTypeE0ES0_Li16ELi64ELi256ELb0ELi14EEvPKT_PKT0_S8_ifPKiSA_SA_iPKfiiiPfSD_PS3_PT2_iSC_SC_.num_vgpr, max(3, .L__assert_fail.num_vgpr)
	.set _Z39paged_attention_ll4mi_QKV_mfma16_kernelI14__hip_bfloat16S0_LN4vllm18Fp8KVCacheDataTypeE0ES0_Li16ELi64ELi256ELb0ELi14EEvPKT_PKT0_S8_ifPKiSA_SA_iPKfiiiPfSD_PS3_PT2_iSC_SC_.num_agpr, max(0, .L__assert_fail.num_agpr)
	.set _Z39paged_attention_ll4mi_QKV_mfma16_kernelI14__hip_bfloat16S0_LN4vllm18Fp8KVCacheDataTypeE0ES0_Li16ELi64ELi256ELb0ELi14EEvPKT_PKT0_S8_ifPKiSA_SA_iPKfiiiPfSD_PS3_PT2_iSC_SC_.numbered_sgpr, max(33, .L__assert_fail.numbered_sgpr)
	.set _Z39paged_attention_ll4mi_QKV_mfma16_kernelI14__hip_bfloat16S0_LN4vllm18Fp8KVCacheDataTypeE0ES0_Li16ELi64ELi256ELb0ELi14EEvPKT_PKT0_S8_ifPKiSA_SA_iPKfiiiPfSD_PS3_PT2_iSC_SC_.num_named_barrier, max(0, .L__assert_fail.num_named_barrier)
	.set _Z39paged_attention_ll4mi_QKV_mfma16_kernelI14__hip_bfloat16S0_LN4vllm18Fp8KVCacheDataTypeE0ES0_Li16ELi64ELi256ELb0ELi14EEvPKT_PKT0_S8_ifPKiSA_SA_iPKfiiiPfSD_PS3_PT2_iSC_SC_.private_seg_size, 0+max(.L__assert_fail.private_seg_size)
	.set _Z39paged_attention_ll4mi_QKV_mfma16_kernelI14__hip_bfloat16S0_LN4vllm18Fp8KVCacheDataTypeE0ES0_Li16ELi64ELi256ELb0ELi14EEvPKT_PKT0_S8_ifPKiSA_SA_iPKfiiiPfSD_PS3_PT2_iSC_SC_.uses_vcc, or(1, .L__assert_fail.uses_vcc)
	.set _Z39paged_attention_ll4mi_QKV_mfma16_kernelI14__hip_bfloat16S0_LN4vllm18Fp8KVCacheDataTypeE0ES0_Li16ELi64ELi256ELb0ELi14EEvPKT_PKT0_S8_ifPKiSA_SA_iPKfiiiPfSD_PS3_PT2_iSC_SC_.uses_flat_scratch, or(0, .L__assert_fail.uses_flat_scratch)
	.set _Z39paged_attention_ll4mi_QKV_mfma16_kernelI14__hip_bfloat16S0_LN4vllm18Fp8KVCacheDataTypeE0ES0_Li16ELi64ELi256ELb0ELi14EEvPKT_PKT0_S8_ifPKiSA_SA_iPKfiiiPfSD_PS3_PT2_iSC_SC_.has_dyn_sized_stack, or(0, .L__assert_fail.has_dyn_sized_stack)
	.set _Z39paged_attention_ll4mi_QKV_mfma16_kernelI14__hip_bfloat16S0_LN4vllm18Fp8KVCacheDataTypeE0ES0_Li16ELi64ELi256ELb0ELi14EEvPKT_PKT0_S8_ifPKiSA_SA_iPKfiiiPfSD_PS3_PT2_iSC_SC_.has_recursion, or(0, .L__assert_fail.has_recursion)
	.set _Z39paged_attention_ll4mi_QKV_mfma16_kernelI14__hip_bfloat16S0_LN4vllm18Fp8KVCacheDataTypeE0ES0_Li16ELi64ELi256ELb0ELi14EEvPKT_PKT0_S8_ifPKiSA_SA_iPKfiiiPfSD_PS3_PT2_iSC_SC_.has_indirect_call, or(0, .L__assert_fail.has_indirect_call)
	.section	.AMDGPU.csdata,"",@progbits
; Kernel info:
; codeLenInByte = 68
; TotalNumSgprs: 36
; NumVgprs: 51
; ScratchSize: 64
; MemoryBound: 0
; FloatMode: 240
; IeeeMode: 1
; LDSByteSize: 0 bytes/workgroup (compile time only)
; SGPRBlocks: 0
; VGPRBlocks: 3
; NumSGPRsForWavesPerEU: 36
; NumVGPRsForWavesPerEU: 51
; NamedBarCnt: 0
; Occupancy: 16
; WaveLimiterHint : 1
; COMPUTE_PGM_RSRC2:SCRATCH_EN: 1
; COMPUTE_PGM_RSRC2:USER_SGPR: 2
; COMPUTE_PGM_RSRC2:TRAP_HANDLER: 0
; COMPUTE_PGM_RSRC2:TGID_X_EN: 1
; COMPUTE_PGM_RSRC2:TGID_Y_EN: 0
; COMPUTE_PGM_RSRC2:TGID_Z_EN: 0
; COMPUTE_PGM_RSRC2:TIDIG_COMP_CNT: 0
	.section	.text._Z39paged_attention_ll4mi_QKV_mfma16_kernelI14__hip_bfloat16S0_LN4vllm18Fp8KVCacheDataTypeE0ES0_Li16ELi64ELi256ELb0ELi15EEvPKT_PKT0_S8_ifPKiSA_SA_iPKfiiiPfSD_PS3_PT2_iSC_SC_,"axG",@progbits,_Z39paged_attention_ll4mi_QKV_mfma16_kernelI14__hip_bfloat16S0_LN4vllm18Fp8KVCacheDataTypeE0ES0_Li16ELi64ELi256ELb0ELi15EEvPKT_PKT0_S8_ifPKiSA_SA_iPKfiiiPfSD_PS3_PT2_iSC_SC_,comdat
	.protected	_Z39paged_attention_ll4mi_QKV_mfma16_kernelI14__hip_bfloat16S0_LN4vllm18Fp8KVCacheDataTypeE0ES0_Li16ELi64ELi256ELb0ELi15EEvPKT_PKT0_S8_ifPKiSA_SA_iPKfiiiPfSD_PS3_PT2_iSC_SC_ ; -- Begin function _Z39paged_attention_ll4mi_QKV_mfma16_kernelI14__hip_bfloat16S0_LN4vllm18Fp8KVCacheDataTypeE0ES0_Li16ELi64ELi256ELb0ELi15EEvPKT_PKT0_S8_ifPKiSA_SA_iPKfiiiPfSD_PS3_PT2_iSC_SC_
	.globl	_Z39paged_attention_ll4mi_QKV_mfma16_kernelI14__hip_bfloat16S0_LN4vllm18Fp8KVCacheDataTypeE0ES0_Li16ELi64ELi256ELb0ELi15EEvPKT_PKT0_S8_ifPKiSA_SA_iPKfiiiPfSD_PS3_PT2_iSC_SC_
	.p2align	8
	.type	_Z39paged_attention_ll4mi_QKV_mfma16_kernelI14__hip_bfloat16S0_LN4vllm18Fp8KVCacheDataTypeE0ES0_Li16ELi64ELi256ELb0ELi15EEvPKT_PKT0_S8_ifPKiSA_SA_iPKfiiiPfSD_PS3_PT2_iSC_SC_,@function
_Z39paged_attention_ll4mi_QKV_mfma16_kernelI14__hip_bfloat16S0_LN4vllm18Fp8KVCacheDataTypeE0ES0_Li16ELi64ELi256ELb0ELi15EEvPKT_PKT0_S8_ifPKiSA_SA_iPKfiiiPfSD_PS3_PT2_iSC_SC_: ; @_Z39paged_attention_ll4mi_QKV_mfma16_kernelI14__hip_bfloat16S0_LN4vllm18Fp8KVCacheDataTypeE0ES0_Li16ELi64ELi256ELb0ELi15EEvPKT_PKT0_S8_ifPKiSA_SA_iPKfiiiPfSD_PS3_PT2_iSC_SC_
; %bb.0:
	s_get_pc_i64 s[2:3]
	s_add_nc_u64 s[2:3], s[2:3], __PRETTY_FUNCTION__._Z39paged_attention_ll4mi_QKV_mfma16_kernelI14__hip_bfloat16S0_LN4vllm18Fp8KVCacheDataTypeE0ES0_Li16ELi64ELi256ELb0ELi15EEvPKT_PKT0_S8_ifPKiSA_SA_iPKfiiiPfSD_PS3_PT2_iSC_SC_@rel64+4
	s_delay_alu instid0(SALU_CYCLE_1)
	v_dual_mov_b32 v0, 0xbb3 :: v_dual_mov_b32 v1, s2
	v_mov_b32_e32 v2, s3
	s_add_nc_u64 s[8:9], s[0:1], 0x90
	s_get_pc_i64 s[0:1]
	s_add_nc_u64 s[0:1], s[0:1], __assert_fail@rel64+4
	s_mov_b32 s32, 0
	s_swap_pc_i64 s[30:31], s[0:1]
	.section	.rodata,"a",@progbits
	.p2align	6, 0x0
	.amdhsa_kernel _Z39paged_attention_ll4mi_QKV_mfma16_kernelI14__hip_bfloat16S0_LN4vllm18Fp8KVCacheDataTypeE0ES0_Li16ELi64ELi256ELb0ELi15EEvPKT_PKT0_S8_ifPKiSA_SA_iPKfiiiPfSD_PS3_PT2_iSC_SC_
		.amdhsa_group_segment_fixed_size 0
		.amdhsa_private_segment_fixed_size 64
		.amdhsa_kernarg_size 400
		.amdhsa_user_sgpr_count 2
		.amdhsa_user_sgpr_dispatch_ptr 0
		.amdhsa_user_sgpr_queue_ptr 0
		.amdhsa_user_sgpr_kernarg_segment_ptr 1
		.amdhsa_user_sgpr_dispatch_id 0
		.amdhsa_user_sgpr_kernarg_preload_length 0
		.amdhsa_user_sgpr_kernarg_preload_offset 0
		.amdhsa_user_sgpr_private_segment_size 0
		.amdhsa_wavefront_size32 1
		.amdhsa_uses_dynamic_stack 0
		.amdhsa_enable_private_segment 1
		.amdhsa_system_sgpr_workgroup_id_x 1
		.amdhsa_system_sgpr_workgroup_id_y 0
		.amdhsa_system_sgpr_workgroup_id_z 0
		.amdhsa_system_sgpr_workgroup_info 0
		.amdhsa_system_vgpr_workitem_id 0
		.amdhsa_next_free_vgpr 51
		.amdhsa_next_free_sgpr 34
		.amdhsa_named_barrier_count 0
		.amdhsa_reserve_vcc 1
		.amdhsa_float_round_mode_32 0
		.amdhsa_float_round_mode_16_64 0
		.amdhsa_float_denorm_mode_32 3
		.amdhsa_float_denorm_mode_16_64 3
		.amdhsa_fp16_overflow 0
		.amdhsa_memory_ordered 1
		.amdhsa_forward_progress 1
		.amdhsa_inst_pref_size 1
		.amdhsa_round_robin_scheduling 0
		.amdhsa_exception_fp_ieee_invalid_op 0
		.amdhsa_exception_fp_denorm_src 0
		.amdhsa_exception_fp_ieee_div_zero 0
		.amdhsa_exception_fp_ieee_overflow 0
		.amdhsa_exception_fp_ieee_underflow 0
		.amdhsa_exception_fp_ieee_inexact 0
		.amdhsa_exception_int_div_zero 0
	.end_amdhsa_kernel
	.section	.text._Z39paged_attention_ll4mi_QKV_mfma16_kernelI14__hip_bfloat16S0_LN4vllm18Fp8KVCacheDataTypeE0ES0_Li16ELi64ELi256ELb0ELi15EEvPKT_PKT0_S8_ifPKiSA_SA_iPKfiiiPfSD_PS3_PT2_iSC_SC_,"axG",@progbits,_Z39paged_attention_ll4mi_QKV_mfma16_kernelI14__hip_bfloat16S0_LN4vllm18Fp8KVCacheDataTypeE0ES0_Li16ELi64ELi256ELb0ELi15EEvPKT_PKT0_S8_ifPKiSA_SA_iPKfiiiPfSD_PS3_PT2_iSC_SC_,comdat
.Lfunc_end492:
	.size	_Z39paged_attention_ll4mi_QKV_mfma16_kernelI14__hip_bfloat16S0_LN4vllm18Fp8KVCacheDataTypeE0ES0_Li16ELi64ELi256ELb0ELi15EEvPKT_PKT0_S8_ifPKiSA_SA_iPKfiiiPfSD_PS3_PT2_iSC_SC_, .Lfunc_end492-_Z39paged_attention_ll4mi_QKV_mfma16_kernelI14__hip_bfloat16S0_LN4vllm18Fp8KVCacheDataTypeE0ES0_Li16ELi64ELi256ELb0ELi15EEvPKT_PKT0_S8_ifPKiSA_SA_iPKfiiiPfSD_PS3_PT2_iSC_SC_
                                        ; -- End function
	.set _Z39paged_attention_ll4mi_QKV_mfma16_kernelI14__hip_bfloat16S0_LN4vllm18Fp8KVCacheDataTypeE0ES0_Li16ELi64ELi256ELb0ELi15EEvPKT_PKT0_S8_ifPKiSA_SA_iPKfiiiPfSD_PS3_PT2_iSC_SC_.num_vgpr, max(3, .L__assert_fail.num_vgpr)
	.set _Z39paged_attention_ll4mi_QKV_mfma16_kernelI14__hip_bfloat16S0_LN4vllm18Fp8KVCacheDataTypeE0ES0_Li16ELi64ELi256ELb0ELi15EEvPKT_PKT0_S8_ifPKiSA_SA_iPKfiiiPfSD_PS3_PT2_iSC_SC_.num_agpr, max(0, .L__assert_fail.num_agpr)
	.set _Z39paged_attention_ll4mi_QKV_mfma16_kernelI14__hip_bfloat16S0_LN4vllm18Fp8KVCacheDataTypeE0ES0_Li16ELi64ELi256ELb0ELi15EEvPKT_PKT0_S8_ifPKiSA_SA_iPKfiiiPfSD_PS3_PT2_iSC_SC_.numbered_sgpr, max(33, .L__assert_fail.numbered_sgpr)
	.set _Z39paged_attention_ll4mi_QKV_mfma16_kernelI14__hip_bfloat16S0_LN4vllm18Fp8KVCacheDataTypeE0ES0_Li16ELi64ELi256ELb0ELi15EEvPKT_PKT0_S8_ifPKiSA_SA_iPKfiiiPfSD_PS3_PT2_iSC_SC_.num_named_barrier, max(0, .L__assert_fail.num_named_barrier)
	.set _Z39paged_attention_ll4mi_QKV_mfma16_kernelI14__hip_bfloat16S0_LN4vllm18Fp8KVCacheDataTypeE0ES0_Li16ELi64ELi256ELb0ELi15EEvPKT_PKT0_S8_ifPKiSA_SA_iPKfiiiPfSD_PS3_PT2_iSC_SC_.private_seg_size, 0+max(.L__assert_fail.private_seg_size)
	.set _Z39paged_attention_ll4mi_QKV_mfma16_kernelI14__hip_bfloat16S0_LN4vllm18Fp8KVCacheDataTypeE0ES0_Li16ELi64ELi256ELb0ELi15EEvPKT_PKT0_S8_ifPKiSA_SA_iPKfiiiPfSD_PS3_PT2_iSC_SC_.uses_vcc, or(1, .L__assert_fail.uses_vcc)
	.set _Z39paged_attention_ll4mi_QKV_mfma16_kernelI14__hip_bfloat16S0_LN4vllm18Fp8KVCacheDataTypeE0ES0_Li16ELi64ELi256ELb0ELi15EEvPKT_PKT0_S8_ifPKiSA_SA_iPKfiiiPfSD_PS3_PT2_iSC_SC_.uses_flat_scratch, or(0, .L__assert_fail.uses_flat_scratch)
	.set _Z39paged_attention_ll4mi_QKV_mfma16_kernelI14__hip_bfloat16S0_LN4vllm18Fp8KVCacheDataTypeE0ES0_Li16ELi64ELi256ELb0ELi15EEvPKT_PKT0_S8_ifPKiSA_SA_iPKfiiiPfSD_PS3_PT2_iSC_SC_.has_dyn_sized_stack, or(0, .L__assert_fail.has_dyn_sized_stack)
	.set _Z39paged_attention_ll4mi_QKV_mfma16_kernelI14__hip_bfloat16S0_LN4vllm18Fp8KVCacheDataTypeE0ES0_Li16ELi64ELi256ELb0ELi15EEvPKT_PKT0_S8_ifPKiSA_SA_iPKfiiiPfSD_PS3_PT2_iSC_SC_.has_recursion, or(0, .L__assert_fail.has_recursion)
	.set _Z39paged_attention_ll4mi_QKV_mfma16_kernelI14__hip_bfloat16S0_LN4vllm18Fp8KVCacheDataTypeE0ES0_Li16ELi64ELi256ELb0ELi15EEvPKT_PKT0_S8_ifPKiSA_SA_iPKfiiiPfSD_PS3_PT2_iSC_SC_.has_indirect_call, or(0, .L__assert_fail.has_indirect_call)
	.section	.AMDGPU.csdata,"",@progbits
; Kernel info:
; codeLenInByte = 68
; TotalNumSgprs: 36
; NumVgprs: 51
; ScratchSize: 64
; MemoryBound: 0
; FloatMode: 240
; IeeeMode: 1
; LDSByteSize: 0 bytes/workgroup (compile time only)
; SGPRBlocks: 0
; VGPRBlocks: 3
; NumSGPRsForWavesPerEU: 36
; NumVGPRsForWavesPerEU: 51
; NamedBarCnt: 0
; Occupancy: 16
; WaveLimiterHint : 1
; COMPUTE_PGM_RSRC2:SCRATCH_EN: 1
; COMPUTE_PGM_RSRC2:USER_SGPR: 2
; COMPUTE_PGM_RSRC2:TRAP_HANDLER: 0
; COMPUTE_PGM_RSRC2:TGID_X_EN: 1
; COMPUTE_PGM_RSRC2:TGID_Y_EN: 0
; COMPUTE_PGM_RSRC2:TGID_Z_EN: 0
; COMPUTE_PGM_RSRC2:TIDIG_COMP_CNT: 0
	.section	.text._Z39paged_attention_ll4mi_QKV_mfma16_kernelI14__hip_bfloat16S0_LN4vllm18Fp8KVCacheDataTypeE0ES0_Li16ELi64ELi256ELb0ELi16EEvPKT_PKT0_S8_ifPKiSA_SA_iPKfiiiPfSD_PS3_PT2_iSC_SC_,"axG",@progbits,_Z39paged_attention_ll4mi_QKV_mfma16_kernelI14__hip_bfloat16S0_LN4vllm18Fp8KVCacheDataTypeE0ES0_Li16ELi64ELi256ELb0ELi16EEvPKT_PKT0_S8_ifPKiSA_SA_iPKfiiiPfSD_PS3_PT2_iSC_SC_,comdat
	.protected	_Z39paged_attention_ll4mi_QKV_mfma16_kernelI14__hip_bfloat16S0_LN4vllm18Fp8KVCacheDataTypeE0ES0_Li16ELi64ELi256ELb0ELi16EEvPKT_PKT0_S8_ifPKiSA_SA_iPKfiiiPfSD_PS3_PT2_iSC_SC_ ; -- Begin function _Z39paged_attention_ll4mi_QKV_mfma16_kernelI14__hip_bfloat16S0_LN4vllm18Fp8KVCacheDataTypeE0ES0_Li16ELi64ELi256ELb0ELi16EEvPKT_PKT0_S8_ifPKiSA_SA_iPKfiiiPfSD_PS3_PT2_iSC_SC_
	.globl	_Z39paged_attention_ll4mi_QKV_mfma16_kernelI14__hip_bfloat16S0_LN4vllm18Fp8KVCacheDataTypeE0ES0_Li16ELi64ELi256ELb0ELi16EEvPKT_PKT0_S8_ifPKiSA_SA_iPKfiiiPfSD_PS3_PT2_iSC_SC_
	.p2align	8
	.type	_Z39paged_attention_ll4mi_QKV_mfma16_kernelI14__hip_bfloat16S0_LN4vllm18Fp8KVCacheDataTypeE0ES0_Li16ELi64ELi256ELb0ELi16EEvPKT_PKT0_S8_ifPKiSA_SA_iPKfiiiPfSD_PS3_PT2_iSC_SC_,@function
_Z39paged_attention_ll4mi_QKV_mfma16_kernelI14__hip_bfloat16S0_LN4vllm18Fp8KVCacheDataTypeE0ES0_Li16ELi64ELi256ELb0ELi16EEvPKT_PKT0_S8_ifPKiSA_SA_iPKfiiiPfSD_PS3_PT2_iSC_SC_: ; @_Z39paged_attention_ll4mi_QKV_mfma16_kernelI14__hip_bfloat16S0_LN4vllm18Fp8KVCacheDataTypeE0ES0_Li16ELi64ELi256ELb0ELi16EEvPKT_PKT0_S8_ifPKiSA_SA_iPKfiiiPfSD_PS3_PT2_iSC_SC_
; %bb.0:
	s_get_pc_i64 s[2:3]
	s_add_nc_u64 s[2:3], s[2:3], __PRETTY_FUNCTION__._Z39paged_attention_ll4mi_QKV_mfma16_kernelI14__hip_bfloat16S0_LN4vllm18Fp8KVCacheDataTypeE0ES0_Li16ELi64ELi256ELb0ELi16EEvPKT_PKT0_S8_ifPKiSA_SA_iPKfiiiPfSD_PS3_PT2_iSC_SC_@rel64+4
	s_delay_alu instid0(SALU_CYCLE_1)
	v_dual_mov_b32 v0, 0xbb3 :: v_dual_mov_b32 v1, s2
	v_mov_b32_e32 v2, s3
	s_add_nc_u64 s[8:9], s[0:1], 0x90
	s_get_pc_i64 s[0:1]
	s_add_nc_u64 s[0:1], s[0:1], __assert_fail@rel64+4
	s_mov_b32 s32, 0
	s_swap_pc_i64 s[30:31], s[0:1]
	.section	.rodata,"a",@progbits
	.p2align	6, 0x0
	.amdhsa_kernel _Z39paged_attention_ll4mi_QKV_mfma16_kernelI14__hip_bfloat16S0_LN4vllm18Fp8KVCacheDataTypeE0ES0_Li16ELi64ELi256ELb0ELi16EEvPKT_PKT0_S8_ifPKiSA_SA_iPKfiiiPfSD_PS3_PT2_iSC_SC_
		.amdhsa_group_segment_fixed_size 0
		.amdhsa_private_segment_fixed_size 64
		.amdhsa_kernarg_size 400
		.amdhsa_user_sgpr_count 2
		.amdhsa_user_sgpr_dispatch_ptr 0
		.amdhsa_user_sgpr_queue_ptr 0
		.amdhsa_user_sgpr_kernarg_segment_ptr 1
		.amdhsa_user_sgpr_dispatch_id 0
		.amdhsa_user_sgpr_kernarg_preload_length 0
		.amdhsa_user_sgpr_kernarg_preload_offset 0
		.amdhsa_user_sgpr_private_segment_size 0
		.amdhsa_wavefront_size32 1
		.amdhsa_uses_dynamic_stack 0
		.amdhsa_enable_private_segment 1
		.amdhsa_system_sgpr_workgroup_id_x 1
		.amdhsa_system_sgpr_workgroup_id_y 0
		.amdhsa_system_sgpr_workgroup_id_z 0
		.amdhsa_system_sgpr_workgroup_info 0
		.amdhsa_system_vgpr_workitem_id 0
		.amdhsa_next_free_vgpr 51
		.amdhsa_next_free_sgpr 34
		.amdhsa_named_barrier_count 0
		.amdhsa_reserve_vcc 1
		.amdhsa_float_round_mode_32 0
		.amdhsa_float_round_mode_16_64 0
		.amdhsa_float_denorm_mode_32 3
		.amdhsa_float_denorm_mode_16_64 3
		.amdhsa_fp16_overflow 0
		.amdhsa_memory_ordered 1
		.amdhsa_forward_progress 1
		.amdhsa_inst_pref_size 1
		.amdhsa_round_robin_scheduling 0
		.amdhsa_exception_fp_ieee_invalid_op 0
		.amdhsa_exception_fp_denorm_src 0
		.amdhsa_exception_fp_ieee_div_zero 0
		.amdhsa_exception_fp_ieee_overflow 0
		.amdhsa_exception_fp_ieee_underflow 0
		.amdhsa_exception_fp_ieee_inexact 0
		.amdhsa_exception_int_div_zero 0
	.end_amdhsa_kernel
	.section	.text._Z39paged_attention_ll4mi_QKV_mfma16_kernelI14__hip_bfloat16S0_LN4vllm18Fp8KVCacheDataTypeE0ES0_Li16ELi64ELi256ELb0ELi16EEvPKT_PKT0_S8_ifPKiSA_SA_iPKfiiiPfSD_PS3_PT2_iSC_SC_,"axG",@progbits,_Z39paged_attention_ll4mi_QKV_mfma16_kernelI14__hip_bfloat16S0_LN4vllm18Fp8KVCacheDataTypeE0ES0_Li16ELi64ELi256ELb0ELi16EEvPKT_PKT0_S8_ifPKiSA_SA_iPKfiiiPfSD_PS3_PT2_iSC_SC_,comdat
.Lfunc_end493:
	.size	_Z39paged_attention_ll4mi_QKV_mfma16_kernelI14__hip_bfloat16S0_LN4vllm18Fp8KVCacheDataTypeE0ES0_Li16ELi64ELi256ELb0ELi16EEvPKT_PKT0_S8_ifPKiSA_SA_iPKfiiiPfSD_PS3_PT2_iSC_SC_, .Lfunc_end493-_Z39paged_attention_ll4mi_QKV_mfma16_kernelI14__hip_bfloat16S0_LN4vllm18Fp8KVCacheDataTypeE0ES0_Li16ELi64ELi256ELb0ELi16EEvPKT_PKT0_S8_ifPKiSA_SA_iPKfiiiPfSD_PS3_PT2_iSC_SC_
                                        ; -- End function
	.set _Z39paged_attention_ll4mi_QKV_mfma16_kernelI14__hip_bfloat16S0_LN4vllm18Fp8KVCacheDataTypeE0ES0_Li16ELi64ELi256ELb0ELi16EEvPKT_PKT0_S8_ifPKiSA_SA_iPKfiiiPfSD_PS3_PT2_iSC_SC_.num_vgpr, max(3, .L__assert_fail.num_vgpr)
	.set _Z39paged_attention_ll4mi_QKV_mfma16_kernelI14__hip_bfloat16S0_LN4vllm18Fp8KVCacheDataTypeE0ES0_Li16ELi64ELi256ELb0ELi16EEvPKT_PKT0_S8_ifPKiSA_SA_iPKfiiiPfSD_PS3_PT2_iSC_SC_.num_agpr, max(0, .L__assert_fail.num_agpr)
	.set _Z39paged_attention_ll4mi_QKV_mfma16_kernelI14__hip_bfloat16S0_LN4vllm18Fp8KVCacheDataTypeE0ES0_Li16ELi64ELi256ELb0ELi16EEvPKT_PKT0_S8_ifPKiSA_SA_iPKfiiiPfSD_PS3_PT2_iSC_SC_.numbered_sgpr, max(33, .L__assert_fail.numbered_sgpr)
	.set _Z39paged_attention_ll4mi_QKV_mfma16_kernelI14__hip_bfloat16S0_LN4vllm18Fp8KVCacheDataTypeE0ES0_Li16ELi64ELi256ELb0ELi16EEvPKT_PKT0_S8_ifPKiSA_SA_iPKfiiiPfSD_PS3_PT2_iSC_SC_.num_named_barrier, max(0, .L__assert_fail.num_named_barrier)
	.set _Z39paged_attention_ll4mi_QKV_mfma16_kernelI14__hip_bfloat16S0_LN4vllm18Fp8KVCacheDataTypeE0ES0_Li16ELi64ELi256ELb0ELi16EEvPKT_PKT0_S8_ifPKiSA_SA_iPKfiiiPfSD_PS3_PT2_iSC_SC_.private_seg_size, 0+max(.L__assert_fail.private_seg_size)
	.set _Z39paged_attention_ll4mi_QKV_mfma16_kernelI14__hip_bfloat16S0_LN4vllm18Fp8KVCacheDataTypeE0ES0_Li16ELi64ELi256ELb0ELi16EEvPKT_PKT0_S8_ifPKiSA_SA_iPKfiiiPfSD_PS3_PT2_iSC_SC_.uses_vcc, or(1, .L__assert_fail.uses_vcc)
	.set _Z39paged_attention_ll4mi_QKV_mfma16_kernelI14__hip_bfloat16S0_LN4vllm18Fp8KVCacheDataTypeE0ES0_Li16ELi64ELi256ELb0ELi16EEvPKT_PKT0_S8_ifPKiSA_SA_iPKfiiiPfSD_PS3_PT2_iSC_SC_.uses_flat_scratch, or(0, .L__assert_fail.uses_flat_scratch)
	.set _Z39paged_attention_ll4mi_QKV_mfma16_kernelI14__hip_bfloat16S0_LN4vllm18Fp8KVCacheDataTypeE0ES0_Li16ELi64ELi256ELb0ELi16EEvPKT_PKT0_S8_ifPKiSA_SA_iPKfiiiPfSD_PS3_PT2_iSC_SC_.has_dyn_sized_stack, or(0, .L__assert_fail.has_dyn_sized_stack)
	.set _Z39paged_attention_ll4mi_QKV_mfma16_kernelI14__hip_bfloat16S0_LN4vllm18Fp8KVCacheDataTypeE0ES0_Li16ELi64ELi256ELb0ELi16EEvPKT_PKT0_S8_ifPKiSA_SA_iPKfiiiPfSD_PS3_PT2_iSC_SC_.has_recursion, or(0, .L__assert_fail.has_recursion)
	.set _Z39paged_attention_ll4mi_QKV_mfma16_kernelI14__hip_bfloat16S0_LN4vllm18Fp8KVCacheDataTypeE0ES0_Li16ELi64ELi256ELb0ELi16EEvPKT_PKT0_S8_ifPKiSA_SA_iPKfiiiPfSD_PS3_PT2_iSC_SC_.has_indirect_call, or(0, .L__assert_fail.has_indirect_call)
	.section	.AMDGPU.csdata,"",@progbits
; Kernel info:
; codeLenInByte = 68
; TotalNumSgprs: 36
; NumVgprs: 51
; ScratchSize: 64
; MemoryBound: 0
; FloatMode: 240
; IeeeMode: 1
; LDSByteSize: 0 bytes/workgroup (compile time only)
; SGPRBlocks: 0
; VGPRBlocks: 3
; NumSGPRsForWavesPerEU: 36
; NumVGPRsForWavesPerEU: 51
; NamedBarCnt: 0
; Occupancy: 16
; WaveLimiterHint : 1
; COMPUTE_PGM_RSRC2:SCRATCH_EN: 1
; COMPUTE_PGM_RSRC2:USER_SGPR: 2
; COMPUTE_PGM_RSRC2:TRAP_HANDLER: 0
; COMPUTE_PGM_RSRC2:TGID_X_EN: 1
; COMPUTE_PGM_RSRC2:TGID_Y_EN: 0
; COMPUTE_PGM_RSRC2:TGID_Z_EN: 0
; COMPUTE_PGM_RSRC2:TIDIG_COMP_CNT: 0
	.section	.text._Z39paged_attention_ll4mi_QKV_mfma16_kernelI14__hip_bfloat16S0_LN4vllm18Fp8KVCacheDataTypeE0ES0_Li16ELi64ELi256ELb0ELi1EEvPKT_PKT0_S8_ifPKiSA_SA_iPKfiiiPfSD_PS3_PT2_iSC_SC_,"axG",@progbits,_Z39paged_attention_ll4mi_QKV_mfma16_kernelI14__hip_bfloat16S0_LN4vllm18Fp8KVCacheDataTypeE0ES0_Li16ELi64ELi256ELb0ELi1EEvPKT_PKT0_S8_ifPKiSA_SA_iPKfiiiPfSD_PS3_PT2_iSC_SC_,comdat
	.protected	_Z39paged_attention_ll4mi_QKV_mfma16_kernelI14__hip_bfloat16S0_LN4vllm18Fp8KVCacheDataTypeE0ES0_Li16ELi64ELi256ELb0ELi1EEvPKT_PKT0_S8_ifPKiSA_SA_iPKfiiiPfSD_PS3_PT2_iSC_SC_ ; -- Begin function _Z39paged_attention_ll4mi_QKV_mfma16_kernelI14__hip_bfloat16S0_LN4vllm18Fp8KVCacheDataTypeE0ES0_Li16ELi64ELi256ELb0ELi1EEvPKT_PKT0_S8_ifPKiSA_SA_iPKfiiiPfSD_PS3_PT2_iSC_SC_
	.globl	_Z39paged_attention_ll4mi_QKV_mfma16_kernelI14__hip_bfloat16S0_LN4vllm18Fp8KVCacheDataTypeE0ES0_Li16ELi64ELi256ELb0ELi1EEvPKT_PKT0_S8_ifPKiSA_SA_iPKfiiiPfSD_PS3_PT2_iSC_SC_
	.p2align	8
	.type	_Z39paged_attention_ll4mi_QKV_mfma16_kernelI14__hip_bfloat16S0_LN4vllm18Fp8KVCacheDataTypeE0ES0_Li16ELi64ELi256ELb0ELi1EEvPKT_PKT0_S8_ifPKiSA_SA_iPKfiiiPfSD_PS3_PT2_iSC_SC_,@function
_Z39paged_attention_ll4mi_QKV_mfma16_kernelI14__hip_bfloat16S0_LN4vllm18Fp8KVCacheDataTypeE0ES0_Li16ELi64ELi256ELb0ELi1EEvPKT_PKT0_S8_ifPKiSA_SA_iPKfiiiPfSD_PS3_PT2_iSC_SC_: ; @_Z39paged_attention_ll4mi_QKV_mfma16_kernelI14__hip_bfloat16S0_LN4vllm18Fp8KVCacheDataTypeE0ES0_Li16ELi64ELi256ELb0ELi1EEvPKT_PKT0_S8_ifPKiSA_SA_iPKfiiiPfSD_PS3_PT2_iSC_SC_
; %bb.0:
	s_get_pc_i64 s[2:3]
	s_add_nc_u64 s[2:3], s[2:3], __PRETTY_FUNCTION__._Z39paged_attention_ll4mi_QKV_mfma16_kernelI14__hip_bfloat16S0_LN4vllm18Fp8KVCacheDataTypeE0ES0_Li16ELi64ELi256ELb0ELi1EEvPKT_PKT0_S8_ifPKiSA_SA_iPKfiiiPfSD_PS3_PT2_iSC_SC_@rel64+4
	s_delay_alu instid0(SALU_CYCLE_1)
	v_dual_mov_b32 v0, 0xbb3 :: v_dual_mov_b32 v1, s2
	v_mov_b32_e32 v2, s3
	s_add_nc_u64 s[8:9], s[0:1], 0x90
	s_get_pc_i64 s[0:1]
	s_add_nc_u64 s[0:1], s[0:1], __assert_fail@rel64+4
	s_mov_b32 s32, 0
	s_swap_pc_i64 s[30:31], s[0:1]
	.section	.rodata,"a",@progbits
	.p2align	6, 0x0
	.amdhsa_kernel _Z39paged_attention_ll4mi_QKV_mfma16_kernelI14__hip_bfloat16S0_LN4vllm18Fp8KVCacheDataTypeE0ES0_Li16ELi64ELi256ELb0ELi1EEvPKT_PKT0_S8_ifPKiSA_SA_iPKfiiiPfSD_PS3_PT2_iSC_SC_
		.amdhsa_group_segment_fixed_size 0
		.amdhsa_private_segment_fixed_size 64
		.amdhsa_kernarg_size 400
		.amdhsa_user_sgpr_count 2
		.amdhsa_user_sgpr_dispatch_ptr 0
		.amdhsa_user_sgpr_queue_ptr 0
		.amdhsa_user_sgpr_kernarg_segment_ptr 1
		.amdhsa_user_sgpr_dispatch_id 0
		.amdhsa_user_sgpr_kernarg_preload_length 0
		.amdhsa_user_sgpr_kernarg_preload_offset 0
		.amdhsa_user_sgpr_private_segment_size 0
		.amdhsa_wavefront_size32 1
		.amdhsa_uses_dynamic_stack 0
		.amdhsa_enable_private_segment 1
		.amdhsa_system_sgpr_workgroup_id_x 1
		.amdhsa_system_sgpr_workgroup_id_y 0
		.amdhsa_system_sgpr_workgroup_id_z 0
		.amdhsa_system_sgpr_workgroup_info 0
		.amdhsa_system_vgpr_workitem_id 0
		.amdhsa_next_free_vgpr 51
		.amdhsa_next_free_sgpr 34
		.amdhsa_named_barrier_count 0
		.amdhsa_reserve_vcc 1
		.amdhsa_float_round_mode_32 0
		.amdhsa_float_round_mode_16_64 0
		.amdhsa_float_denorm_mode_32 3
		.amdhsa_float_denorm_mode_16_64 3
		.amdhsa_fp16_overflow 0
		.amdhsa_memory_ordered 1
		.amdhsa_forward_progress 1
		.amdhsa_inst_pref_size 1
		.amdhsa_round_robin_scheduling 0
		.amdhsa_exception_fp_ieee_invalid_op 0
		.amdhsa_exception_fp_denorm_src 0
		.amdhsa_exception_fp_ieee_div_zero 0
		.amdhsa_exception_fp_ieee_overflow 0
		.amdhsa_exception_fp_ieee_underflow 0
		.amdhsa_exception_fp_ieee_inexact 0
		.amdhsa_exception_int_div_zero 0
	.end_amdhsa_kernel
	.section	.text._Z39paged_attention_ll4mi_QKV_mfma16_kernelI14__hip_bfloat16S0_LN4vllm18Fp8KVCacheDataTypeE0ES0_Li16ELi64ELi256ELb0ELi1EEvPKT_PKT0_S8_ifPKiSA_SA_iPKfiiiPfSD_PS3_PT2_iSC_SC_,"axG",@progbits,_Z39paged_attention_ll4mi_QKV_mfma16_kernelI14__hip_bfloat16S0_LN4vllm18Fp8KVCacheDataTypeE0ES0_Li16ELi64ELi256ELb0ELi1EEvPKT_PKT0_S8_ifPKiSA_SA_iPKfiiiPfSD_PS3_PT2_iSC_SC_,comdat
.Lfunc_end494:
	.size	_Z39paged_attention_ll4mi_QKV_mfma16_kernelI14__hip_bfloat16S0_LN4vllm18Fp8KVCacheDataTypeE0ES0_Li16ELi64ELi256ELb0ELi1EEvPKT_PKT0_S8_ifPKiSA_SA_iPKfiiiPfSD_PS3_PT2_iSC_SC_, .Lfunc_end494-_Z39paged_attention_ll4mi_QKV_mfma16_kernelI14__hip_bfloat16S0_LN4vllm18Fp8KVCacheDataTypeE0ES0_Li16ELi64ELi256ELb0ELi1EEvPKT_PKT0_S8_ifPKiSA_SA_iPKfiiiPfSD_PS3_PT2_iSC_SC_
                                        ; -- End function
	.set _Z39paged_attention_ll4mi_QKV_mfma16_kernelI14__hip_bfloat16S0_LN4vllm18Fp8KVCacheDataTypeE0ES0_Li16ELi64ELi256ELb0ELi1EEvPKT_PKT0_S8_ifPKiSA_SA_iPKfiiiPfSD_PS3_PT2_iSC_SC_.num_vgpr, max(3, .L__assert_fail.num_vgpr)
	.set _Z39paged_attention_ll4mi_QKV_mfma16_kernelI14__hip_bfloat16S0_LN4vllm18Fp8KVCacheDataTypeE0ES0_Li16ELi64ELi256ELb0ELi1EEvPKT_PKT0_S8_ifPKiSA_SA_iPKfiiiPfSD_PS3_PT2_iSC_SC_.num_agpr, max(0, .L__assert_fail.num_agpr)
	.set _Z39paged_attention_ll4mi_QKV_mfma16_kernelI14__hip_bfloat16S0_LN4vllm18Fp8KVCacheDataTypeE0ES0_Li16ELi64ELi256ELb0ELi1EEvPKT_PKT0_S8_ifPKiSA_SA_iPKfiiiPfSD_PS3_PT2_iSC_SC_.numbered_sgpr, max(33, .L__assert_fail.numbered_sgpr)
	.set _Z39paged_attention_ll4mi_QKV_mfma16_kernelI14__hip_bfloat16S0_LN4vllm18Fp8KVCacheDataTypeE0ES0_Li16ELi64ELi256ELb0ELi1EEvPKT_PKT0_S8_ifPKiSA_SA_iPKfiiiPfSD_PS3_PT2_iSC_SC_.num_named_barrier, max(0, .L__assert_fail.num_named_barrier)
	.set _Z39paged_attention_ll4mi_QKV_mfma16_kernelI14__hip_bfloat16S0_LN4vllm18Fp8KVCacheDataTypeE0ES0_Li16ELi64ELi256ELb0ELi1EEvPKT_PKT0_S8_ifPKiSA_SA_iPKfiiiPfSD_PS3_PT2_iSC_SC_.private_seg_size, 0+max(.L__assert_fail.private_seg_size)
	.set _Z39paged_attention_ll4mi_QKV_mfma16_kernelI14__hip_bfloat16S0_LN4vllm18Fp8KVCacheDataTypeE0ES0_Li16ELi64ELi256ELb0ELi1EEvPKT_PKT0_S8_ifPKiSA_SA_iPKfiiiPfSD_PS3_PT2_iSC_SC_.uses_vcc, or(1, .L__assert_fail.uses_vcc)
	.set _Z39paged_attention_ll4mi_QKV_mfma16_kernelI14__hip_bfloat16S0_LN4vllm18Fp8KVCacheDataTypeE0ES0_Li16ELi64ELi256ELb0ELi1EEvPKT_PKT0_S8_ifPKiSA_SA_iPKfiiiPfSD_PS3_PT2_iSC_SC_.uses_flat_scratch, or(0, .L__assert_fail.uses_flat_scratch)
	.set _Z39paged_attention_ll4mi_QKV_mfma16_kernelI14__hip_bfloat16S0_LN4vllm18Fp8KVCacheDataTypeE0ES0_Li16ELi64ELi256ELb0ELi1EEvPKT_PKT0_S8_ifPKiSA_SA_iPKfiiiPfSD_PS3_PT2_iSC_SC_.has_dyn_sized_stack, or(0, .L__assert_fail.has_dyn_sized_stack)
	.set _Z39paged_attention_ll4mi_QKV_mfma16_kernelI14__hip_bfloat16S0_LN4vllm18Fp8KVCacheDataTypeE0ES0_Li16ELi64ELi256ELb0ELi1EEvPKT_PKT0_S8_ifPKiSA_SA_iPKfiiiPfSD_PS3_PT2_iSC_SC_.has_recursion, or(0, .L__assert_fail.has_recursion)
	.set _Z39paged_attention_ll4mi_QKV_mfma16_kernelI14__hip_bfloat16S0_LN4vllm18Fp8KVCacheDataTypeE0ES0_Li16ELi64ELi256ELb0ELi1EEvPKT_PKT0_S8_ifPKiSA_SA_iPKfiiiPfSD_PS3_PT2_iSC_SC_.has_indirect_call, or(0, .L__assert_fail.has_indirect_call)
	.section	.AMDGPU.csdata,"",@progbits
; Kernel info:
; codeLenInByte = 68
; TotalNumSgprs: 36
; NumVgprs: 51
; ScratchSize: 64
; MemoryBound: 0
; FloatMode: 240
; IeeeMode: 1
; LDSByteSize: 0 bytes/workgroup (compile time only)
; SGPRBlocks: 0
; VGPRBlocks: 3
; NumSGPRsForWavesPerEU: 36
; NumVGPRsForWavesPerEU: 51
; NamedBarCnt: 0
; Occupancy: 16
; WaveLimiterHint : 1
; COMPUTE_PGM_RSRC2:SCRATCH_EN: 1
; COMPUTE_PGM_RSRC2:USER_SGPR: 2
; COMPUTE_PGM_RSRC2:TRAP_HANDLER: 0
; COMPUTE_PGM_RSRC2:TGID_X_EN: 1
; COMPUTE_PGM_RSRC2:TGID_Y_EN: 0
; COMPUTE_PGM_RSRC2:TGID_Z_EN: 0
; COMPUTE_PGM_RSRC2:TIDIG_COMP_CNT: 0
	.section	.text._Z39paged_attention_ll4mi_QKV_mfma16_kernelI14__hip_bfloat16S0_LN4vllm18Fp8KVCacheDataTypeE0ES0_Li16ELi64ELi256ELb0ELi2EEvPKT_PKT0_S8_ifPKiSA_SA_iPKfiiiPfSD_PS3_PT2_iSC_SC_,"axG",@progbits,_Z39paged_attention_ll4mi_QKV_mfma16_kernelI14__hip_bfloat16S0_LN4vllm18Fp8KVCacheDataTypeE0ES0_Li16ELi64ELi256ELb0ELi2EEvPKT_PKT0_S8_ifPKiSA_SA_iPKfiiiPfSD_PS3_PT2_iSC_SC_,comdat
	.protected	_Z39paged_attention_ll4mi_QKV_mfma16_kernelI14__hip_bfloat16S0_LN4vllm18Fp8KVCacheDataTypeE0ES0_Li16ELi64ELi256ELb0ELi2EEvPKT_PKT0_S8_ifPKiSA_SA_iPKfiiiPfSD_PS3_PT2_iSC_SC_ ; -- Begin function _Z39paged_attention_ll4mi_QKV_mfma16_kernelI14__hip_bfloat16S0_LN4vllm18Fp8KVCacheDataTypeE0ES0_Li16ELi64ELi256ELb0ELi2EEvPKT_PKT0_S8_ifPKiSA_SA_iPKfiiiPfSD_PS3_PT2_iSC_SC_
	.globl	_Z39paged_attention_ll4mi_QKV_mfma16_kernelI14__hip_bfloat16S0_LN4vllm18Fp8KVCacheDataTypeE0ES0_Li16ELi64ELi256ELb0ELi2EEvPKT_PKT0_S8_ifPKiSA_SA_iPKfiiiPfSD_PS3_PT2_iSC_SC_
	.p2align	8
	.type	_Z39paged_attention_ll4mi_QKV_mfma16_kernelI14__hip_bfloat16S0_LN4vllm18Fp8KVCacheDataTypeE0ES0_Li16ELi64ELi256ELb0ELi2EEvPKT_PKT0_S8_ifPKiSA_SA_iPKfiiiPfSD_PS3_PT2_iSC_SC_,@function
_Z39paged_attention_ll4mi_QKV_mfma16_kernelI14__hip_bfloat16S0_LN4vllm18Fp8KVCacheDataTypeE0ES0_Li16ELi64ELi256ELb0ELi2EEvPKT_PKT0_S8_ifPKiSA_SA_iPKfiiiPfSD_PS3_PT2_iSC_SC_: ; @_Z39paged_attention_ll4mi_QKV_mfma16_kernelI14__hip_bfloat16S0_LN4vllm18Fp8KVCacheDataTypeE0ES0_Li16ELi64ELi256ELb0ELi2EEvPKT_PKT0_S8_ifPKiSA_SA_iPKfiiiPfSD_PS3_PT2_iSC_SC_
; %bb.0:
	s_get_pc_i64 s[2:3]
	s_add_nc_u64 s[2:3], s[2:3], __PRETTY_FUNCTION__._Z39paged_attention_ll4mi_QKV_mfma16_kernelI14__hip_bfloat16S0_LN4vllm18Fp8KVCacheDataTypeE0ES0_Li16ELi64ELi256ELb0ELi2EEvPKT_PKT0_S8_ifPKiSA_SA_iPKfiiiPfSD_PS3_PT2_iSC_SC_@rel64+4
	s_delay_alu instid0(SALU_CYCLE_1)
	v_dual_mov_b32 v0, 0xbb3 :: v_dual_mov_b32 v1, s2
	v_mov_b32_e32 v2, s3
	s_add_nc_u64 s[8:9], s[0:1], 0x90
	s_get_pc_i64 s[0:1]
	s_add_nc_u64 s[0:1], s[0:1], __assert_fail@rel64+4
	s_mov_b32 s32, 0
	s_swap_pc_i64 s[30:31], s[0:1]
	.section	.rodata,"a",@progbits
	.p2align	6, 0x0
	.amdhsa_kernel _Z39paged_attention_ll4mi_QKV_mfma16_kernelI14__hip_bfloat16S0_LN4vllm18Fp8KVCacheDataTypeE0ES0_Li16ELi64ELi256ELb0ELi2EEvPKT_PKT0_S8_ifPKiSA_SA_iPKfiiiPfSD_PS3_PT2_iSC_SC_
		.amdhsa_group_segment_fixed_size 0
		.amdhsa_private_segment_fixed_size 64
		.amdhsa_kernarg_size 400
		.amdhsa_user_sgpr_count 2
		.amdhsa_user_sgpr_dispatch_ptr 0
		.amdhsa_user_sgpr_queue_ptr 0
		.amdhsa_user_sgpr_kernarg_segment_ptr 1
		.amdhsa_user_sgpr_dispatch_id 0
		.amdhsa_user_sgpr_kernarg_preload_length 0
		.amdhsa_user_sgpr_kernarg_preload_offset 0
		.amdhsa_user_sgpr_private_segment_size 0
		.amdhsa_wavefront_size32 1
		.amdhsa_uses_dynamic_stack 0
		.amdhsa_enable_private_segment 1
		.amdhsa_system_sgpr_workgroup_id_x 1
		.amdhsa_system_sgpr_workgroup_id_y 0
		.amdhsa_system_sgpr_workgroup_id_z 0
		.amdhsa_system_sgpr_workgroup_info 0
		.amdhsa_system_vgpr_workitem_id 0
		.amdhsa_next_free_vgpr 51
		.amdhsa_next_free_sgpr 34
		.amdhsa_named_barrier_count 0
		.amdhsa_reserve_vcc 1
		.amdhsa_float_round_mode_32 0
		.amdhsa_float_round_mode_16_64 0
		.amdhsa_float_denorm_mode_32 3
		.amdhsa_float_denorm_mode_16_64 3
		.amdhsa_fp16_overflow 0
		.amdhsa_memory_ordered 1
		.amdhsa_forward_progress 1
		.amdhsa_inst_pref_size 1
		.amdhsa_round_robin_scheduling 0
		.amdhsa_exception_fp_ieee_invalid_op 0
		.amdhsa_exception_fp_denorm_src 0
		.amdhsa_exception_fp_ieee_div_zero 0
		.amdhsa_exception_fp_ieee_overflow 0
		.amdhsa_exception_fp_ieee_underflow 0
		.amdhsa_exception_fp_ieee_inexact 0
		.amdhsa_exception_int_div_zero 0
	.end_amdhsa_kernel
	.section	.text._Z39paged_attention_ll4mi_QKV_mfma16_kernelI14__hip_bfloat16S0_LN4vllm18Fp8KVCacheDataTypeE0ES0_Li16ELi64ELi256ELb0ELi2EEvPKT_PKT0_S8_ifPKiSA_SA_iPKfiiiPfSD_PS3_PT2_iSC_SC_,"axG",@progbits,_Z39paged_attention_ll4mi_QKV_mfma16_kernelI14__hip_bfloat16S0_LN4vllm18Fp8KVCacheDataTypeE0ES0_Li16ELi64ELi256ELb0ELi2EEvPKT_PKT0_S8_ifPKiSA_SA_iPKfiiiPfSD_PS3_PT2_iSC_SC_,comdat
.Lfunc_end495:
	.size	_Z39paged_attention_ll4mi_QKV_mfma16_kernelI14__hip_bfloat16S0_LN4vllm18Fp8KVCacheDataTypeE0ES0_Li16ELi64ELi256ELb0ELi2EEvPKT_PKT0_S8_ifPKiSA_SA_iPKfiiiPfSD_PS3_PT2_iSC_SC_, .Lfunc_end495-_Z39paged_attention_ll4mi_QKV_mfma16_kernelI14__hip_bfloat16S0_LN4vllm18Fp8KVCacheDataTypeE0ES0_Li16ELi64ELi256ELb0ELi2EEvPKT_PKT0_S8_ifPKiSA_SA_iPKfiiiPfSD_PS3_PT2_iSC_SC_
                                        ; -- End function
	.set _Z39paged_attention_ll4mi_QKV_mfma16_kernelI14__hip_bfloat16S0_LN4vllm18Fp8KVCacheDataTypeE0ES0_Li16ELi64ELi256ELb0ELi2EEvPKT_PKT0_S8_ifPKiSA_SA_iPKfiiiPfSD_PS3_PT2_iSC_SC_.num_vgpr, max(3, .L__assert_fail.num_vgpr)
	.set _Z39paged_attention_ll4mi_QKV_mfma16_kernelI14__hip_bfloat16S0_LN4vllm18Fp8KVCacheDataTypeE0ES0_Li16ELi64ELi256ELb0ELi2EEvPKT_PKT0_S8_ifPKiSA_SA_iPKfiiiPfSD_PS3_PT2_iSC_SC_.num_agpr, max(0, .L__assert_fail.num_agpr)
	.set _Z39paged_attention_ll4mi_QKV_mfma16_kernelI14__hip_bfloat16S0_LN4vllm18Fp8KVCacheDataTypeE0ES0_Li16ELi64ELi256ELb0ELi2EEvPKT_PKT0_S8_ifPKiSA_SA_iPKfiiiPfSD_PS3_PT2_iSC_SC_.numbered_sgpr, max(33, .L__assert_fail.numbered_sgpr)
	.set _Z39paged_attention_ll4mi_QKV_mfma16_kernelI14__hip_bfloat16S0_LN4vllm18Fp8KVCacheDataTypeE0ES0_Li16ELi64ELi256ELb0ELi2EEvPKT_PKT0_S8_ifPKiSA_SA_iPKfiiiPfSD_PS3_PT2_iSC_SC_.num_named_barrier, max(0, .L__assert_fail.num_named_barrier)
	.set _Z39paged_attention_ll4mi_QKV_mfma16_kernelI14__hip_bfloat16S0_LN4vllm18Fp8KVCacheDataTypeE0ES0_Li16ELi64ELi256ELb0ELi2EEvPKT_PKT0_S8_ifPKiSA_SA_iPKfiiiPfSD_PS3_PT2_iSC_SC_.private_seg_size, 0+max(.L__assert_fail.private_seg_size)
	.set _Z39paged_attention_ll4mi_QKV_mfma16_kernelI14__hip_bfloat16S0_LN4vllm18Fp8KVCacheDataTypeE0ES0_Li16ELi64ELi256ELb0ELi2EEvPKT_PKT0_S8_ifPKiSA_SA_iPKfiiiPfSD_PS3_PT2_iSC_SC_.uses_vcc, or(1, .L__assert_fail.uses_vcc)
	.set _Z39paged_attention_ll4mi_QKV_mfma16_kernelI14__hip_bfloat16S0_LN4vllm18Fp8KVCacheDataTypeE0ES0_Li16ELi64ELi256ELb0ELi2EEvPKT_PKT0_S8_ifPKiSA_SA_iPKfiiiPfSD_PS3_PT2_iSC_SC_.uses_flat_scratch, or(0, .L__assert_fail.uses_flat_scratch)
	.set _Z39paged_attention_ll4mi_QKV_mfma16_kernelI14__hip_bfloat16S0_LN4vllm18Fp8KVCacheDataTypeE0ES0_Li16ELi64ELi256ELb0ELi2EEvPKT_PKT0_S8_ifPKiSA_SA_iPKfiiiPfSD_PS3_PT2_iSC_SC_.has_dyn_sized_stack, or(0, .L__assert_fail.has_dyn_sized_stack)
	.set _Z39paged_attention_ll4mi_QKV_mfma16_kernelI14__hip_bfloat16S0_LN4vllm18Fp8KVCacheDataTypeE0ES0_Li16ELi64ELi256ELb0ELi2EEvPKT_PKT0_S8_ifPKiSA_SA_iPKfiiiPfSD_PS3_PT2_iSC_SC_.has_recursion, or(0, .L__assert_fail.has_recursion)
	.set _Z39paged_attention_ll4mi_QKV_mfma16_kernelI14__hip_bfloat16S0_LN4vllm18Fp8KVCacheDataTypeE0ES0_Li16ELi64ELi256ELb0ELi2EEvPKT_PKT0_S8_ifPKiSA_SA_iPKfiiiPfSD_PS3_PT2_iSC_SC_.has_indirect_call, or(0, .L__assert_fail.has_indirect_call)
	.section	.AMDGPU.csdata,"",@progbits
; Kernel info:
; codeLenInByte = 68
; TotalNumSgprs: 36
; NumVgprs: 51
; ScratchSize: 64
; MemoryBound: 0
; FloatMode: 240
; IeeeMode: 1
; LDSByteSize: 0 bytes/workgroup (compile time only)
; SGPRBlocks: 0
; VGPRBlocks: 3
; NumSGPRsForWavesPerEU: 36
; NumVGPRsForWavesPerEU: 51
; NamedBarCnt: 0
; Occupancy: 16
; WaveLimiterHint : 1
; COMPUTE_PGM_RSRC2:SCRATCH_EN: 1
; COMPUTE_PGM_RSRC2:USER_SGPR: 2
; COMPUTE_PGM_RSRC2:TRAP_HANDLER: 0
; COMPUTE_PGM_RSRC2:TGID_X_EN: 1
; COMPUTE_PGM_RSRC2:TGID_Y_EN: 0
; COMPUTE_PGM_RSRC2:TGID_Z_EN: 0
; COMPUTE_PGM_RSRC2:TIDIG_COMP_CNT: 0
	.section	.text._Z39paged_attention_ll4mi_QKV_mfma16_kernelI14__hip_bfloat16S0_LN4vllm18Fp8KVCacheDataTypeE0ES0_Li16ELi64ELi256ELb0ELi3EEvPKT_PKT0_S8_ifPKiSA_SA_iPKfiiiPfSD_PS3_PT2_iSC_SC_,"axG",@progbits,_Z39paged_attention_ll4mi_QKV_mfma16_kernelI14__hip_bfloat16S0_LN4vllm18Fp8KVCacheDataTypeE0ES0_Li16ELi64ELi256ELb0ELi3EEvPKT_PKT0_S8_ifPKiSA_SA_iPKfiiiPfSD_PS3_PT2_iSC_SC_,comdat
	.protected	_Z39paged_attention_ll4mi_QKV_mfma16_kernelI14__hip_bfloat16S0_LN4vllm18Fp8KVCacheDataTypeE0ES0_Li16ELi64ELi256ELb0ELi3EEvPKT_PKT0_S8_ifPKiSA_SA_iPKfiiiPfSD_PS3_PT2_iSC_SC_ ; -- Begin function _Z39paged_attention_ll4mi_QKV_mfma16_kernelI14__hip_bfloat16S0_LN4vllm18Fp8KVCacheDataTypeE0ES0_Li16ELi64ELi256ELb0ELi3EEvPKT_PKT0_S8_ifPKiSA_SA_iPKfiiiPfSD_PS3_PT2_iSC_SC_
	.globl	_Z39paged_attention_ll4mi_QKV_mfma16_kernelI14__hip_bfloat16S0_LN4vllm18Fp8KVCacheDataTypeE0ES0_Li16ELi64ELi256ELb0ELi3EEvPKT_PKT0_S8_ifPKiSA_SA_iPKfiiiPfSD_PS3_PT2_iSC_SC_
	.p2align	8
	.type	_Z39paged_attention_ll4mi_QKV_mfma16_kernelI14__hip_bfloat16S0_LN4vllm18Fp8KVCacheDataTypeE0ES0_Li16ELi64ELi256ELb0ELi3EEvPKT_PKT0_S8_ifPKiSA_SA_iPKfiiiPfSD_PS3_PT2_iSC_SC_,@function
_Z39paged_attention_ll4mi_QKV_mfma16_kernelI14__hip_bfloat16S0_LN4vllm18Fp8KVCacheDataTypeE0ES0_Li16ELi64ELi256ELb0ELi3EEvPKT_PKT0_S8_ifPKiSA_SA_iPKfiiiPfSD_PS3_PT2_iSC_SC_: ; @_Z39paged_attention_ll4mi_QKV_mfma16_kernelI14__hip_bfloat16S0_LN4vllm18Fp8KVCacheDataTypeE0ES0_Li16ELi64ELi256ELb0ELi3EEvPKT_PKT0_S8_ifPKiSA_SA_iPKfiiiPfSD_PS3_PT2_iSC_SC_
; %bb.0:
	s_get_pc_i64 s[2:3]
	s_add_nc_u64 s[2:3], s[2:3], __PRETTY_FUNCTION__._Z39paged_attention_ll4mi_QKV_mfma16_kernelI14__hip_bfloat16S0_LN4vllm18Fp8KVCacheDataTypeE0ES0_Li16ELi64ELi256ELb0ELi3EEvPKT_PKT0_S8_ifPKiSA_SA_iPKfiiiPfSD_PS3_PT2_iSC_SC_@rel64+4
	s_delay_alu instid0(SALU_CYCLE_1)
	v_dual_mov_b32 v0, 0xbb3 :: v_dual_mov_b32 v1, s2
	v_mov_b32_e32 v2, s3
	s_add_nc_u64 s[8:9], s[0:1], 0x90
	s_get_pc_i64 s[0:1]
	s_add_nc_u64 s[0:1], s[0:1], __assert_fail@rel64+4
	s_mov_b32 s32, 0
	s_swap_pc_i64 s[30:31], s[0:1]
	.section	.rodata,"a",@progbits
	.p2align	6, 0x0
	.amdhsa_kernel _Z39paged_attention_ll4mi_QKV_mfma16_kernelI14__hip_bfloat16S0_LN4vllm18Fp8KVCacheDataTypeE0ES0_Li16ELi64ELi256ELb0ELi3EEvPKT_PKT0_S8_ifPKiSA_SA_iPKfiiiPfSD_PS3_PT2_iSC_SC_
		.amdhsa_group_segment_fixed_size 0
		.amdhsa_private_segment_fixed_size 64
		.amdhsa_kernarg_size 400
		.amdhsa_user_sgpr_count 2
		.amdhsa_user_sgpr_dispatch_ptr 0
		.amdhsa_user_sgpr_queue_ptr 0
		.amdhsa_user_sgpr_kernarg_segment_ptr 1
		.amdhsa_user_sgpr_dispatch_id 0
		.amdhsa_user_sgpr_kernarg_preload_length 0
		.amdhsa_user_sgpr_kernarg_preload_offset 0
		.amdhsa_user_sgpr_private_segment_size 0
		.amdhsa_wavefront_size32 1
		.amdhsa_uses_dynamic_stack 0
		.amdhsa_enable_private_segment 1
		.amdhsa_system_sgpr_workgroup_id_x 1
		.amdhsa_system_sgpr_workgroup_id_y 0
		.amdhsa_system_sgpr_workgroup_id_z 0
		.amdhsa_system_sgpr_workgroup_info 0
		.amdhsa_system_vgpr_workitem_id 0
		.amdhsa_next_free_vgpr 51
		.amdhsa_next_free_sgpr 34
		.amdhsa_named_barrier_count 0
		.amdhsa_reserve_vcc 1
		.amdhsa_float_round_mode_32 0
		.amdhsa_float_round_mode_16_64 0
		.amdhsa_float_denorm_mode_32 3
		.amdhsa_float_denorm_mode_16_64 3
		.amdhsa_fp16_overflow 0
		.amdhsa_memory_ordered 1
		.amdhsa_forward_progress 1
		.amdhsa_inst_pref_size 1
		.amdhsa_round_robin_scheduling 0
		.amdhsa_exception_fp_ieee_invalid_op 0
		.amdhsa_exception_fp_denorm_src 0
		.amdhsa_exception_fp_ieee_div_zero 0
		.amdhsa_exception_fp_ieee_overflow 0
		.amdhsa_exception_fp_ieee_underflow 0
		.amdhsa_exception_fp_ieee_inexact 0
		.amdhsa_exception_int_div_zero 0
	.end_amdhsa_kernel
	.section	.text._Z39paged_attention_ll4mi_QKV_mfma16_kernelI14__hip_bfloat16S0_LN4vllm18Fp8KVCacheDataTypeE0ES0_Li16ELi64ELi256ELb0ELi3EEvPKT_PKT0_S8_ifPKiSA_SA_iPKfiiiPfSD_PS3_PT2_iSC_SC_,"axG",@progbits,_Z39paged_attention_ll4mi_QKV_mfma16_kernelI14__hip_bfloat16S0_LN4vllm18Fp8KVCacheDataTypeE0ES0_Li16ELi64ELi256ELb0ELi3EEvPKT_PKT0_S8_ifPKiSA_SA_iPKfiiiPfSD_PS3_PT2_iSC_SC_,comdat
.Lfunc_end496:
	.size	_Z39paged_attention_ll4mi_QKV_mfma16_kernelI14__hip_bfloat16S0_LN4vllm18Fp8KVCacheDataTypeE0ES0_Li16ELi64ELi256ELb0ELi3EEvPKT_PKT0_S8_ifPKiSA_SA_iPKfiiiPfSD_PS3_PT2_iSC_SC_, .Lfunc_end496-_Z39paged_attention_ll4mi_QKV_mfma16_kernelI14__hip_bfloat16S0_LN4vllm18Fp8KVCacheDataTypeE0ES0_Li16ELi64ELi256ELb0ELi3EEvPKT_PKT0_S8_ifPKiSA_SA_iPKfiiiPfSD_PS3_PT2_iSC_SC_
                                        ; -- End function
	.set _Z39paged_attention_ll4mi_QKV_mfma16_kernelI14__hip_bfloat16S0_LN4vllm18Fp8KVCacheDataTypeE0ES0_Li16ELi64ELi256ELb0ELi3EEvPKT_PKT0_S8_ifPKiSA_SA_iPKfiiiPfSD_PS3_PT2_iSC_SC_.num_vgpr, max(3, .L__assert_fail.num_vgpr)
	.set _Z39paged_attention_ll4mi_QKV_mfma16_kernelI14__hip_bfloat16S0_LN4vllm18Fp8KVCacheDataTypeE0ES0_Li16ELi64ELi256ELb0ELi3EEvPKT_PKT0_S8_ifPKiSA_SA_iPKfiiiPfSD_PS3_PT2_iSC_SC_.num_agpr, max(0, .L__assert_fail.num_agpr)
	.set _Z39paged_attention_ll4mi_QKV_mfma16_kernelI14__hip_bfloat16S0_LN4vllm18Fp8KVCacheDataTypeE0ES0_Li16ELi64ELi256ELb0ELi3EEvPKT_PKT0_S8_ifPKiSA_SA_iPKfiiiPfSD_PS3_PT2_iSC_SC_.numbered_sgpr, max(33, .L__assert_fail.numbered_sgpr)
	.set _Z39paged_attention_ll4mi_QKV_mfma16_kernelI14__hip_bfloat16S0_LN4vllm18Fp8KVCacheDataTypeE0ES0_Li16ELi64ELi256ELb0ELi3EEvPKT_PKT0_S8_ifPKiSA_SA_iPKfiiiPfSD_PS3_PT2_iSC_SC_.num_named_barrier, max(0, .L__assert_fail.num_named_barrier)
	.set _Z39paged_attention_ll4mi_QKV_mfma16_kernelI14__hip_bfloat16S0_LN4vllm18Fp8KVCacheDataTypeE0ES0_Li16ELi64ELi256ELb0ELi3EEvPKT_PKT0_S8_ifPKiSA_SA_iPKfiiiPfSD_PS3_PT2_iSC_SC_.private_seg_size, 0+max(.L__assert_fail.private_seg_size)
	.set _Z39paged_attention_ll4mi_QKV_mfma16_kernelI14__hip_bfloat16S0_LN4vllm18Fp8KVCacheDataTypeE0ES0_Li16ELi64ELi256ELb0ELi3EEvPKT_PKT0_S8_ifPKiSA_SA_iPKfiiiPfSD_PS3_PT2_iSC_SC_.uses_vcc, or(1, .L__assert_fail.uses_vcc)
	.set _Z39paged_attention_ll4mi_QKV_mfma16_kernelI14__hip_bfloat16S0_LN4vllm18Fp8KVCacheDataTypeE0ES0_Li16ELi64ELi256ELb0ELi3EEvPKT_PKT0_S8_ifPKiSA_SA_iPKfiiiPfSD_PS3_PT2_iSC_SC_.uses_flat_scratch, or(0, .L__assert_fail.uses_flat_scratch)
	.set _Z39paged_attention_ll4mi_QKV_mfma16_kernelI14__hip_bfloat16S0_LN4vllm18Fp8KVCacheDataTypeE0ES0_Li16ELi64ELi256ELb0ELi3EEvPKT_PKT0_S8_ifPKiSA_SA_iPKfiiiPfSD_PS3_PT2_iSC_SC_.has_dyn_sized_stack, or(0, .L__assert_fail.has_dyn_sized_stack)
	.set _Z39paged_attention_ll4mi_QKV_mfma16_kernelI14__hip_bfloat16S0_LN4vllm18Fp8KVCacheDataTypeE0ES0_Li16ELi64ELi256ELb0ELi3EEvPKT_PKT0_S8_ifPKiSA_SA_iPKfiiiPfSD_PS3_PT2_iSC_SC_.has_recursion, or(0, .L__assert_fail.has_recursion)
	.set _Z39paged_attention_ll4mi_QKV_mfma16_kernelI14__hip_bfloat16S0_LN4vllm18Fp8KVCacheDataTypeE0ES0_Li16ELi64ELi256ELb0ELi3EEvPKT_PKT0_S8_ifPKiSA_SA_iPKfiiiPfSD_PS3_PT2_iSC_SC_.has_indirect_call, or(0, .L__assert_fail.has_indirect_call)
	.section	.AMDGPU.csdata,"",@progbits
; Kernel info:
; codeLenInByte = 68
; TotalNumSgprs: 36
; NumVgprs: 51
; ScratchSize: 64
; MemoryBound: 0
; FloatMode: 240
; IeeeMode: 1
; LDSByteSize: 0 bytes/workgroup (compile time only)
; SGPRBlocks: 0
; VGPRBlocks: 3
; NumSGPRsForWavesPerEU: 36
; NumVGPRsForWavesPerEU: 51
; NamedBarCnt: 0
; Occupancy: 16
; WaveLimiterHint : 1
; COMPUTE_PGM_RSRC2:SCRATCH_EN: 1
; COMPUTE_PGM_RSRC2:USER_SGPR: 2
; COMPUTE_PGM_RSRC2:TRAP_HANDLER: 0
; COMPUTE_PGM_RSRC2:TGID_X_EN: 1
; COMPUTE_PGM_RSRC2:TGID_Y_EN: 0
; COMPUTE_PGM_RSRC2:TGID_Z_EN: 0
; COMPUTE_PGM_RSRC2:TIDIG_COMP_CNT: 0
	.section	.text._Z39paged_attention_ll4mi_QKV_mfma16_kernelI14__hip_bfloat16S0_LN4vllm18Fp8KVCacheDataTypeE0ES0_Li16ELi64ELi256ELb0ELi4EEvPKT_PKT0_S8_ifPKiSA_SA_iPKfiiiPfSD_PS3_PT2_iSC_SC_,"axG",@progbits,_Z39paged_attention_ll4mi_QKV_mfma16_kernelI14__hip_bfloat16S0_LN4vllm18Fp8KVCacheDataTypeE0ES0_Li16ELi64ELi256ELb0ELi4EEvPKT_PKT0_S8_ifPKiSA_SA_iPKfiiiPfSD_PS3_PT2_iSC_SC_,comdat
	.protected	_Z39paged_attention_ll4mi_QKV_mfma16_kernelI14__hip_bfloat16S0_LN4vllm18Fp8KVCacheDataTypeE0ES0_Li16ELi64ELi256ELb0ELi4EEvPKT_PKT0_S8_ifPKiSA_SA_iPKfiiiPfSD_PS3_PT2_iSC_SC_ ; -- Begin function _Z39paged_attention_ll4mi_QKV_mfma16_kernelI14__hip_bfloat16S0_LN4vllm18Fp8KVCacheDataTypeE0ES0_Li16ELi64ELi256ELb0ELi4EEvPKT_PKT0_S8_ifPKiSA_SA_iPKfiiiPfSD_PS3_PT2_iSC_SC_
	.globl	_Z39paged_attention_ll4mi_QKV_mfma16_kernelI14__hip_bfloat16S0_LN4vllm18Fp8KVCacheDataTypeE0ES0_Li16ELi64ELi256ELb0ELi4EEvPKT_PKT0_S8_ifPKiSA_SA_iPKfiiiPfSD_PS3_PT2_iSC_SC_
	.p2align	8
	.type	_Z39paged_attention_ll4mi_QKV_mfma16_kernelI14__hip_bfloat16S0_LN4vllm18Fp8KVCacheDataTypeE0ES0_Li16ELi64ELi256ELb0ELi4EEvPKT_PKT0_S8_ifPKiSA_SA_iPKfiiiPfSD_PS3_PT2_iSC_SC_,@function
_Z39paged_attention_ll4mi_QKV_mfma16_kernelI14__hip_bfloat16S0_LN4vllm18Fp8KVCacheDataTypeE0ES0_Li16ELi64ELi256ELb0ELi4EEvPKT_PKT0_S8_ifPKiSA_SA_iPKfiiiPfSD_PS3_PT2_iSC_SC_: ; @_Z39paged_attention_ll4mi_QKV_mfma16_kernelI14__hip_bfloat16S0_LN4vllm18Fp8KVCacheDataTypeE0ES0_Li16ELi64ELi256ELb0ELi4EEvPKT_PKT0_S8_ifPKiSA_SA_iPKfiiiPfSD_PS3_PT2_iSC_SC_
; %bb.0:
	s_get_pc_i64 s[2:3]
	s_add_nc_u64 s[2:3], s[2:3], __PRETTY_FUNCTION__._Z39paged_attention_ll4mi_QKV_mfma16_kernelI14__hip_bfloat16S0_LN4vllm18Fp8KVCacheDataTypeE0ES0_Li16ELi64ELi256ELb0ELi4EEvPKT_PKT0_S8_ifPKiSA_SA_iPKfiiiPfSD_PS3_PT2_iSC_SC_@rel64+4
	s_delay_alu instid0(SALU_CYCLE_1)
	v_dual_mov_b32 v0, 0xbb3 :: v_dual_mov_b32 v1, s2
	v_mov_b32_e32 v2, s3
	s_add_nc_u64 s[8:9], s[0:1], 0x90
	s_get_pc_i64 s[0:1]
	s_add_nc_u64 s[0:1], s[0:1], __assert_fail@rel64+4
	s_mov_b32 s32, 0
	s_swap_pc_i64 s[30:31], s[0:1]
	.section	.rodata,"a",@progbits
	.p2align	6, 0x0
	.amdhsa_kernel _Z39paged_attention_ll4mi_QKV_mfma16_kernelI14__hip_bfloat16S0_LN4vllm18Fp8KVCacheDataTypeE0ES0_Li16ELi64ELi256ELb0ELi4EEvPKT_PKT0_S8_ifPKiSA_SA_iPKfiiiPfSD_PS3_PT2_iSC_SC_
		.amdhsa_group_segment_fixed_size 0
		.amdhsa_private_segment_fixed_size 64
		.amdhsa_kernarg_size 400
		.amdhsa_user_sgpr_count 2
		.amdhsa_user_sgpr_dispatch_ptr 0
		.amdhsa_user_sgpr_queue_ptr 0
		.amdhsa_user_sgpr_kernarg_segment_ptr 1
		.amdhsa_user_sgpr_dispatch_id 0
		.amdhsa_user_sgpr_kernarg_preload_length 0
		.amdhsa_user_sgpr_kernarg_preload_offset 0
		.amdhsa_user_sgpr_private_segment_size 0
		.amdhsa_wavefront_size32 1
		.amdhsa_uses_dynamic_stack 0
		.amdhsa_enable_private_segment 1
		.amdhsa_system_sgpr_workgroup_id_x 1
		.amdhsa_system_sgpr_workgroup_id_y 0
		.amdhsa_system_sgpr_workgroup_id_z 0
		.amdhsa_system_sgpr_workgroup_info 0
		.amdhsa_system_vgpr_workitem_id 0
		.amdhsa_next_free_vgpr 51
		.amdhsa_next_free_sgpr 34
		.amdhsa_named_barrier_count 0
		.amdhsa_reserve_vcc 1
		.amdhsa_float_round_mode_32 0
		.amdhsa_float_round_mode_16_64 0
		.amdhsa_float_denorm_mode_32 3
		.amdhsa_float_denorm_mode_16_64 3
		.amdhsa_fp16_overflow 0
		.amdhsa_memory_ordered 1
		.amdhsa_forward_progress 1
		.amdhsa_inst_pref_size 1
		.amdhsa_round_robin_scheduling 0
		.amdhsa_exception_fp_ieee_invalid_op 0
		.amdhsa_exception_fp_denorm_src 0
		.amdhsa_exception_fp_ieee_div_zero 0
		.amdhsa_exception_fp_ieee_overflow 0
		.amdhsa_exception_fp_ieee_underflow 0
		.amdhsa_exception_fp_ieee_inexact 0
		.amdhsa_exception_int_div_zero 0
	.end_amdhsa_kernel
	.section	.text._Z39paged_attention_ll4mi_QKV_mfma16_kernelI14__hip_bfloat16S0_LN4vllm18Fp8KVCacheDataTypeE0ES0_Li16ELi64ELi256ELb0ELi4EEvPKT_PKT0_S8_ifPKiSA_SA_iPKfiiiPfSD_PS3_PT2_iSC_SC_,"axG",@progbits,_Z39paged_attention_ll4mi_QKV_mfma16_kernelI14__hip_bfloat16S0_LN4vllm18Fp8KVCacheDataTypeE0ES0_Li16ELi64ELi256ELb0ELi4EEvPKT_PKT0_S8_ifPKiSA_SA_iPKfiiiPfSD_PS3_PT2_iSC_SC_,comdat
.Lfunc_end497:
	.size	_Z39paged_attention_ll4mi_QKV_mfma16_kernelI14__hip_bfloat16S0_LN4vllm18Fp8KVCacheDataTypeE0ES0_Li16ELi64ELi256ELb0ELi4EEvPKT_PKT0_S8_ifPKiSA_SA_iPKfiiiPfSD_PS3_PT2_iSC_SC_, .Lfunc_end497-_Z39paged_attention_ll4mi_QKV_mfma16_kernelI14__hip_bfloat16S0_LN4vllm18Fp8KVCacheDataTypeE0ES0_Li16ELi64ELi256ELb0ELi4EEvPKT_PKT0_S8_ifPKiSA_SA_iPKfiiiPfSD_PS3_PT2_iSC_SC_
                                        ; -- End function
	.set _Z39paged_attention_ll4mi_QKV_mfma16_kernelI14__hip_bfloat16S0_LN4vllm18Fp8KVCacheDataTypeE0ES0_Li16ELi64ELi256ELb0ELi4EEvPKT_PKT0_S8_ifPKiSA_SA_iPKfiiiPfSD_PS3_PT2_iSC_SC_.num_vgpr, max(3, .L__assert_fail.num_vgpr)
	.set _Z39paged_attention_ll4mi_QKV_mfma16_kernelI14__hip_bfloat16S0_LN4vllm18Fp8KVCacheDataTypeE0ES0_Li16ELi64ELi256ELb0ELi4EEvPKT_PKT0_S8_ifPKiSA_SA_iPKfiiiPfSD_PS3_PT2_iSC_SC_.num_agpr, max(0, .L__assert_fail.num_agpr)
	.set _Z39paged_attention_ll4mi_QKV_mfma16_kernelI14__hip_bfloat16S0_LN4vllm18Fp8KVCacheDataTypeE0ES0_Li16ELi64ELi256ELb0ELi4EEvPKT_PKT0_S8_ifPKiSA_SA_iPKfiiiPfSD_PS3_PT2_iSC_SC_.numbered_sgpr, max(33, .L__assert_fail.numbered_sgpr)
	.set _Z39paged_attention_ll4mi_QKV_mfma16_kernelI14__hip_bfloat16S0_LN4vllm18Fp8KVCacheDataTypeE0ES0_Li16ELi64ELi256ELb0ELi4EEvPKT_PKT0_S8_ifPKiSA_SA_iPKfiiiPfSD_PS3_PT2_iSC_SC_.num_named_barrier, max(0, .L__assert_fail.num_named_barrier)
	.set _Z39paged_attention_ll4mi_QKV_mfma16_kernelI14__hip_bfloat16S0_LN4vllm18Fp8KVCacheDataTypeE0ES0_Li16ELi64ELi256ELb0ELi4EEvPKT_PKT0_S8_ifPKiSA_SA_iPKfiiiPfSD_PS3_PT2_iSC_SC_.private_seg_size, 0+max(.L__assert_fail.private_seg_size)
	.set _Z39paged_attention_ll4mi_QKV_mfma16_kernelI14__hip_bfloat16S0_LN4vllm18Fp8KVCacheDataTypeE0ES0_Li16ELi64ELi256ELb0ELi4EEvPKT_PKT0_S8_ifPKiSA_SA_iPKfiiiPfSD_PS3_PT2_iSC_SC_.uses_vcc, or(1, .L__assert_fail.uses_vcc)
	.set _Z39paged_attention_ll4mi_QKV_mfma16_kernelI14__hip_bfloat16S0_LN4vllm18Fp8KVCacheDataTypeE0ES0_Li16ELi64ELi256ELb0ELi4EEvPKT_PKT0_S8_ifPKiSA_SA_iPKfiiiPfSD_PS3_PT2_iSC_SC_.uses_flat_scratch, or(0, .L__assert_fail.uses_flat_scratch)
	.set _Z39paged_attention_ll4mi_QKV_mfma16_kernelI14__hip_bfloat16S0_LN4vllm18Fp8KVCacheDataTypeE0ES0_Li16ELi64ELi256ELb0ELi4EEvPKT_PKT0_S8_ifPKiSA_SA_iPKfiiiPfSD_PS3_PT2_iSC_SC_.has_dyn_sized_stack, or(0, .L__assert_fail.has_dyn_sized_stack)
	.set _Z39paged_attention_ll4mi_QKV_mfma16_kernelI14__hip_bfloat16S0_LN4vllm18Fp8KVCacheDataTypeE0ES0_Li16ELi64ELi256ELb0ELi4EEvPKT_PKT0_S8_ifPKiSA_SA_iPKfiiiPfSD_PS3_PT2_iSC_SC_.has_recursion, or(0, .L__assert_fail.has_recursion)
	.set _Z39paged_attention_ll4mi_QKV_mfma16_kernelI14__hip_bfloat16S0_LN4vllm18Fp8KVCacheDataTypeE0ES0_Li16ELi64ELi256ELb0ELi4EEvPKT_PKT0_S8_ifPKiSA_SA_iPKfiiiPfSD_PS3_PT2_iSC_SC_.has_indirect_call, or(0, .L__assert_fail.has_indirect_call)
	.section	.AMDGPU.csdata,"",@progbits
; Kernel info:
; codeLenInByte = 68
; TotalNumSgprs: 36
; NumVgprs: 51
; ScratchSize: 64
; MemoryBound: 0
; FloatMode: 240
; IeeeMode: 1
; LDSByteSize: 0 bytes/workgroup (compile time only)
; SGPRBlocks: 0
; VGPRBlocks: 3
; NumSGPRsForWavesPerEU: 36
; NumVGPRsForWavesPerEU: 51
; NamedBarCnt: 0
; Occupancy: 16
; WaveLimiterHint : 1
; COMPUTE_PGM_RSRC2:SCRATCH_EN: 1
; COMPUTE_PGM_RSRC2:USER_SGPR: 2
; COMPUTE_PGM_RSRC2:TRAP_HANDLER: 0
; COMPUTE_PGM_RSRC2:TGID_X_EN: 1
; COMPUTE_PGM_RSRC2:TGID_Y_EN: 0
; COMPUTE_PGM_RSRC2:TGID_Z_EN: 0
; COMPUTE_PGM_RSRC2:TIDIG_COMP_CNT: 0
	.section	.text._Z38paged_attention_ll4mi_QKV_mfma4_kernelI14__hip_bfloat16S0_LN4vllm18Fp8KVCacheDataTypeE0EhLi32ELi64ELi256ELb1ELi1EEvPKT_PKT0_S8_ifPKiSA_SA_iPKfiiiPfSD_PS3_PT2_iSC_SC_,"axG",@progbits,_Z38paged_attention_ll4mi_QKV_mfma4_kernelI14__hip_bfloat16S0_LN4vllm18Fp8KVCacheDataTypeE0EhLi32ELi64ELi256ELb1ELi1EEvPKT_PKT0_S8_ifPKiSA_SA_iPKfiiiPfSD_PS3_PT2_iSC_SC_,comdat
	.protected	_Z38paged_attention_ll4mi_QKV_mfma4_kernelI14__hip_bfloat16S0_LN4vllm18Fp8KVCacheDataTypeE0EhLi32ELi64ELi256ELb1ELi1EEvPKT_PKT0_S8_ifPKiSA_SA_iPKfiiiPfSD_PS3_PT2_iSC_SC_ ; -- Begin function _Z38paged_attention_ll4mi_QKV_mfma4_kernelI14__hip_bfloat16S0_LN4vllm18Fp8KVCacheDataTypeE0EhLi32ELi64ELi256ELb1ELi1EEvPKT_PKT0_S8_ifPKiSA_SA_iPKfiiiPfSD_PS3_PT2_iSC_SC_
	.globl	_Z38paged_attention_ll4mi_QKV_mfma4_kernelI14__hip_bfloat16S0_LN4vllm18Fp8KVCacheDataTypeE0EhLi32ELi64ELi256ELb1ELi1EEvPKT_PKT0_S8_ifPKiSA_SA_iPKfiiiPfSD_PS3_PT2_iSC_SC_
	.p2align	8
	.type	_Z38paged_attention_ll4mi_QKV_mfma4_kernelI14__hip_bfloat16S0_LN4vllm18Fp8KVCacheDataTypeE0EhLi32ELi64ELi256ELb1ELi1EEvPKT_PKT0_S8_ifPKiSA_SA_iPKfiiiPfSD_PS3_PT2_iSC_SC_,@function
_Z38paged_attention_ll4mi_QKV_mfma4_kernelI14__hip_bfloat16S0_LN4vllm18Fp8KVCacheDataTypeE0EhLi32ELi64ELi256ELb1ELi1EEvPKT_PKT0_S8_ifPKiSA_SA_iPKfiiiPfSD_PS3_PT2_iSC_SC_: ; @_Z38paged_attention_ll4mi_QKV_mfma4_kernelI14__hip_bfloat16S0_LN4vllm18Fp8KVCacheDataTypeE0EhLi32ELi64ELi256ELb1ELi1EEvPKT_PKT0_S8_ifPKiSA_SA_iPKfiiiPfSD_PS3_PT2_iSC_SC_
; %bb.0:
	s_get_pc_i64 s[2:3]
	s_add_nc_u64 s[2:3], s[2:3], __PRETTY_FUNCTION__._Z38paged_attention_ll4mi_QKV_mfma4_kernelI14__hip_bfloat16S0_LN4vllm18Fp8KVCacheDataTypeE0EhLi32ELi64ELi256ELb1ELi1EEvPKT_PKT0_S8_ifPKiSA_SA_iPKfiiiPfSD_PS3_PT2_iSC_SC_@rel64+4
	s_delay_alu instid0(SALU_CYCLE_1)
	v_dual_mov_b32 v0, 0xbce :: v_dual_mov_b32 v1, s2
	v_mov_b32_e32 v2, s3
	s_add_nc_u64 s[8:9], s[0:1], 0x90
	s_get_pc_i64 s[0:1]
	s_add_nc_u64 s[0:1], s[0:1], __assert_fail@rel64+4
	s_mov_b32 s32, 0
	s_swap_pc_i64 s[30:31], s[0:1]
	.section	.rodata,"a",@progbits
	.p2align	6, 0x0
	.amdhsa_kernel _Z38paged_attention_ll4mi_QKV_mfma4_kernelI14__hip_bfloat16S0_LN4vllm18Fp8KVCacheDataTypeE0EhLi32ELi64ELi256ELb1ELi1EEvPKT_PKT0_S8_ifPKiSA_SA_iPKfiiiPfSD_PS3_PT2_iSC_SC_
		.amdhsa_group_segment_fixed_size 0
		.amdhsa_private_segment_fixed_size 64
		.amdhsa_kernarg_size 400
		.amdhsa_user_sgpr_count 2
		.amdhsa_user_sgpr_dispatch_ptr 0
		.amdhsa_user_sgpr_queue_ptr 0
		.amdhsa_user_sgpr_kernarg_segment_ptr 1
		.amdhsa_user_sgpr_dispatch_id 0
		.amdhsa_user_sgpr_kernarg_preload_length 0
		.amdhsa_user_sgpr_kernarg_preload_offset 0
		.amdhsa_user_sgpr_private_segment_size 0
		.amdhsa_wavefront_size32 1
		.amdhsa_uses_dynamic_stack 0
		.amdhsa_enable_private_segment 1
		.amdhsa_system_sgpr_workgroup_id_x 1
		.amdhsa_system_sgpr_workgroup_id_y 0
		.amdhsa_system_sgpr_workgroup_id_z 0
		.amdhsa_system_sgpr_workgroup_info 0
		.amdhsa_system_vgpr_workitem_id 0
		.amdhsa_next_free_vgpr 51
		.amdhsa_next_free_sgpr 34
		.amdhsa_named_barrier_count 0
		.amdhsa_reserve_vcc 1
		.amdhsa_float_round_mode_32 0
		.amdhsa_float_round_mode_16_64 0
		.amdhsa_float_denorm_mode_32 3
		.amdhsa_float_denorm_mode_16_64 3
		.amdhsa_fp16_overflow 0
		.amdhsa_memory_ordered 1
		.amdhsa_forward_progress 1
		.amdhsa_inst_pref_size 1
		.amdhsa_round_robin_scheduling 0
		.amdhsa_exception_fp_ieee_invalid_op 0
		.amdhsa_exception_fp_denorm_src 0
		.amdhsa_exception_fp_ieee_div_zero 0
		.amdhsa_exception_fp_ieee_overflow 0
		.amdhsa_exception_fp_ieee_underflow 0
		.amdhsa_exception_fp_ieee_inexact 0
		.amdhsa_exception_int_div_zero 0
	.end_amdhsa_kernel
	.section	.text._Z38paged_attention_ll4mi_QKV_mfma4_kernelI14__hip_bfloat16S0_LN4vllm18Fp8KVCacheDataTypeE0EhLi32ELi64ELi256ELb1ELi1EEvPKT_PKT0_S8_ifPKiSA_SA_iPKfiiiPfSD_PS3_PT2_iSC_SC_,"axG",@progbits,_Z38paged_attention_ll4mi_QKV_mfma4_kernelI14__hip_bfloat16S0_LN4vllm18Fp8KVCacheDataTypeE0EhLi32ELi64ELi256ELb1ELi1EEvPKT_PKT0_S8_ifPKiSA_SA_iPKfiiiPfSD_PS3_PT2_iSC_SC_,comdat
.Lfunc_end498:
	.size	_Z38paged_attention_ll4mi_QKV_mfma4_kernelI14__hip_bfloat16S0_LN4vllm18Fp8KVCacheDataTypeE0EhLi32ELi64ELi256ELb1ELi1EEvPKT_PKT0_S8_ifPKiSA_SA_iPKfiiiPfSD_PS3_PT2_iSC_SC_, .Lfunc_end498-_Z38paged_attention_ll4mi_QKV_mfma4_kernelI14__hip_bfloat16S0_LN4vllm18Fp8KVCacheDataTypeE0EhLi32ELi64ELi256ELb1ELi1EEvPKT_PKT0_S8_ifPKiSA_SA_iPKfiiiPfSD_PS3_PT2_iSC_SC_
                                        ; -- End function
	.set _Z38paged_attention_ll4mi_QKV_mfma4_kernelI14__hip_bfloat16S0_LN4vllm18Fp8KVCacheDataTypeE0EhLi32ELi64ELi256ELb1ELi1EEvPKT_PKT0_S8_ifPKiSA_SA_iPKfiiiPfSD_PS3_PT2_iSC_SC_.num_vgpr, max(3, .L__assert_fail.num_vgpr)
	.set _Z38paged_attention_ll4mi_QKV_mfma4_kernelI14__hip_bfloat16S0_LN4vllm18Fp8KVCacheDataTypeE0EhLi32ELi64ELi256ELb1ELi1EEvPKT_PKT0_S8_ifPKiSA_SA_iPKfiiiPfSD_PS3_PT2_iSC_SC_.num_agpr, max(0, .L__assert_fail.num_agpr)
	.set _Z38paged_attention_ll4mi_QKV_mfma4_kernelI14__hip_bfloat16S0_LN4vllm18Fp8KVCacheDataTypeE0EhLi32ELi64ELi256ELb1ELi1EEvPKT_PKT0_S8_ifPKiSA_SA_iPKfiiiPfSD_PS3_PT2_iSC_SC_.numbered_sgpr, max(33, .L__assert_fail.numbered_sgpr)
	.set _Z38paged_attention_ll4mi_QKV_mfma4_kernelI14__hip_bfloat16S0_LN4vllm18Fp8KVCacheDataTypeE0EhLi32ELi64ELi256ELb1ELi1EEvPKT_PKT0_S8_ifPKiSA_SA_iPKfiiiPfSD_PS3_PT2_iSC_SC_.num_named_barrier, max(0, .L__assert_fail.num_named_barrier)
	.set _Z38paged_attention_ll4mi_QKV_mfma4_kernelI14__hip_bfloat16S0_LN4vllm18Fp8KVCacheDataTypeE0EhLi32ELi64ELi256ELb1ELi1EEvPKT_PKT0_S8_ifPKiSA_SA_iPKfiiiPfSD_PS3_PT2_iSC_SC_.private_seg_size, 0+max(.L__assert_fail.private_seg_size)
	.set _Z38paged_attention_ll4mi_QKV_mfma4_kernelI14__hip_bfloat16S0_LN4vllm18Fp8KVCacheDataTypeE0EhLi32ELi64ELi256ELb1ELi1EEvPKT_PKT0_S8_ifPKiSA_SA_iPKfiiiPfSD_PS3_PT2_iSC_SC_.uses_vcc, or(1, .L__assert_fail.uses_vcc)
	.set _Z38paged_attention_ll4mi_QKV_mfma4_kernelI14__hip_bfloat16S0_LN4vllm18Fp8KVCacheDataTypeE0EhLi32ELi64ELi256ELb1ELi1EEvPKT_PKT0_S8_ifPKiSA_SA_iPKfiiiPfSD_PS3_PT2_iSC_SC_.uses_flat_scratch, or(0, .L__assert_fail.uses_flat_scratch)
	.set _Z38paged_attention_ll4mi_QKV_mfma4_kernelI14__hip_bfloat16S0_LN4vllm18Fp8KVCacheDataTypeE0EhLi32ELi64ELi256ELb1ELi1EEvPKT_PKT0_S8_ifPKiSA_SA_iPKfiiiPfSD_PS3_PT2_iSC_SC_.has_dyn_sized_stack, or(0, .L__assert_fail.has_dyn_sized_stack)
	.set _Z38paged_attention_ll4mi_QKV_mfma4_kernelI14__hip_bfloat16S0_LN4vllm18Fp8KVCacheDataTypeE0EhLi32ELi64ELi256ELb1ELi1EEvPKT_PKT0_S8_ifPKiSA_SA_iPKfiiiPfSD_PS3_PT2_iSC_SC_.has_recursion, or(0, .L__assert_fail.has_recursion)
	.set _Z38paged_attention_ll4mi_QKV_mfma4_kernelI14__hip_bfloat16S0_LN4vllm18Fp8KVCacheDataTypeE0EhLi32ELi64ELi256ELb1ELi1EEvPKT_PKT0_S8_ifPKiSA_SA_iPKfiiiPfSD_PS3_PT2_iSC_SC_.has_indirect_call, or(0, .L__assert_fail.has_indirect_call)
	.section	.AMDGPU.csdata,"",@progbits
; Kernel info:
; codeLenInByte = 68
; TotalNumSgprs: 36
; NumVgprs: 51
; ScratchSize: 64
; MemoryBound: 0
; FloatMode: 240
; IeeeMode: 1
; LDSByteSize: 0 bytes/workgroup (compile time only)
; SGPRBlocks: 0
; VGPRBlocks: 3
; NumSGPRsForWavesPerEU: 36
; NumVGPRsForWavesPerEU: 51
; NamedBarCnt: 0
; Occupancy: 16
; WaveLimiterHint : 1
; COMPUTE_PGM_RSRC2:SCRATCH_EN: 1
; COMPUTE_PGM_RSRC2:USER_SGPR: 2
; COMPUTE_PGM_RSRC2:TRAP_HANDLER: 0
; COMPUTE_PGM_RSRC2:TGID_X_EN: 1
; COMPUTE_PGM_RSRC2:TGID_Y_EN: 0
; COMPUTE_PGM_RSRC2:TGID_Z_EN: 0
; COMPUTE_PGM_RSRC2:TIDIG_COMP_CNT: 0
	.section	.text._Z38paged_attention_ll4mi_QKV_mfma4_kernelI14__hip_bfloat16S0_LN4vllm18Fp8KVCacheDataTypeE0EhLi32ELi64ELi256ELb1ELi2EEvPKT_PKT0_S8_ifPKiSA_SA_iPKfiiiPfSD_PS3_PT2_iSC_SC_,"axG",@progbits,_Z38paged_attention_ll4mi_QKV_mfma4_kernelI14__hip_bfloat16S0_LN4vllm18Fp8KVCacheDataTypeE0EhLi32ELi64ELi256ELb1ELi2EEvPKT_PKT0_S8_ifPKiSA_SA_iPKfiiiPfSD_PS3_PT2_iSC_SC_,comdat
	.protected	_Z38paged_attention_ll4mi_QKV_mfma4_kernelI14__hip_bfloat16S0_LN4vllm18Fp8KVCacheDataTypeE0EhLi32ELi64ELi256ELb1ELi2EEvPKT_PKT0_S8_ifPKiSA_SA_iPKfiiiPfSD_PS3_PT2_iSC_SC_ ; -- Begin function _Z38paged_attention_ll4mi_QKV_mfma4_kernelI14__hip_bfloat16S0_LN4vllm18Fp8KVCacheDataTypeE0EhLi32ELi64ELi256ELb1ELi2EEvPKT_PKT0_S8_ifPKiSA_SA_iPKfiiiPfSD_PS3_PT2_iSC_SC_
	.globl	_Z38paged_attention_ll4mi_QKV_mfma4_kernelI14__hip_bfloat16S0_LN4vllm18Fp8KVCacheDataTypeE0EhLi32ELi64ELi256ELb1ELi2EEvPKT_PKT0_S8_ifPKiSA_SA_iPKfiiiPfSD_PS3_PT2_iSC_SC_
	.p2align	8
	.type	_Z38paged_attention_ll4mi_QKV_mfma4_kernelI14__hip_bfloat16S0_LN4vllm18Fp8KVCacheDataTypeE0EhLi32ELi64ELi256ELb1ELi2EEvPKT_PKT0_S8_ifPKiSA_SA_iPKfiiiPfSD_PS3_PT2_iSC_SC_,@function
_Z38paged_attention_ll4mi_QKV_mfma4_kernelI14__hip_bfloat16S0_LN4vllm18Fp8KVCacheDataTypeE0EhLi32ELi64ELi256ELb1ELi2EEvPKT_PKT0_S8_ifPKiSA_SA_iPKfiiiPfSD_PS3_PT2_iSC_SC_: ; @_Z38paged_attention_ll4mi_QKV_mfma4_kernelI14__hip_bfloat16S0_LN4vllm18Fp8KVCacheDataTypeE0EhLi32ELi64ELi256ELb1ELi2EEvPKT_PKT0_S8_ifPKiSA_SA_iPKfiiiPfSD_PS3_PT2_iSC_SC_
; %bb.0:
	s_get_pc_i64 s[2:3]
	s_add_nc_u64 s[2:3], s[2:3], __PRETTY_FUNCTION__._Z38paged_attention_ll4mi_QKV_mfma4_kernelI14__hip_bfloat16S0_LN4vllm18Fp8KVCacheDataTypeE0EhLi32ELi64ELi256ELb1ELi2EEvPKT_PKT0_S8_ifPKiSA_SA_iPKfiiiPfSD_PS3_PT2_iSC_SC_@rel64+4
	s_delay_alu instid0(SALU_CYCLE_1)
	v_dual_mov_b32 v0, 0xbce :: v_dual_mov_b32 v1, s2
	v_mov_b32_e32 v2, s3
	s_add_nc_u64 s[8:9], s[0:1], 0x90
	s_get_pc_i64 s[0:1]
	s_add_nc_u64 s[0:1], s[0:1], __assert_fail@rel64+4
	s_mov_b32 s32, 0
	s_swap_pc_i64 s[30:31], s[0:1]
	.section	.rodata,"a",@progbits
	.p2align	6, 0x0
	.amdhsa_kernel _Z38paged_attention_ll4mi_QKV_mfma4_kernelI14__hip_bfloat16S0_LN4vllm18Fp8KVCacheDataTypeE0EhLi32ELi64ELi256ELb1ELi2EEvPKT_PKT0_S8_ifPKiSA_SA_iPKfiiiPfSD_PS3_PT2_iSC_SC_
		.amdhsa_group_segment_fixed_size 0
		.amdhsa_private_segment_fixed_size 64
		.amdhsa_kernarg_size 400
		.amdhsa_user_sgpr_count 2
		.amdhsa_user_sgpr_dispatch_ptr 0
		.amdhsa_user_sgpr_queue_ptr 0
		.amdhsa_user_sgpr_kernarg_segment_ptr 1
		.amdhsa_user_sgpr_dispatch_id 0
		.amdhsa_user_sgpr_kernarg_preload_length 0
		.amdhsa_user_sgpr_kernarg_preload_offset 0
		.amdhsa_user_sgpr_private_segment_size 0
		.amdhsa_wavefront_size32 1
		.amdhsa_uses_dynamic_stack 0
		.amdhsa_enable_private_segment 1
		.amdhsa_system_sgpr_workgroup_id_x 1
		.amdhsa_system_sgpr_workgroup_id_y 0
		.amdhsa_system_sgpr_workgroup_id_z 0
		.amdhsa_system_sgpr_workgroup_info 0
		.amdhsa_system_vgpr_workitem_id 0
		.amdhsa_next_free_vgpr 51
		.amdhsa_next_free_sgpr 34
		.amdhsa_named_barrier_count 0
		.amdhsa_reserve_vcc 1
		.amdhsa_float_round_mode_32 0
		.amdhsa_float_round_mode_16_64 0
		.amdhsa_float_denorm_mode_32 3
		.amdhsa_float_denorm_mode_16_64 3
		.amdhsa_fp16_overflow 0
		.amdhsa_memory_ordered 1
		.amdhsa_forward_progress 1
		.amdhsa_inst_pref_size 1
		.amdhsa_round_robin_scheduling 0
		.amdhsa_exception_fp_ieee_invalid_op 0
		.amdhsa_exception_fp_denorm_src 0
		.amdhsa_exception_fp_ieee_div_zero 0
		.amdhsa_exception_fp_ieee_overflow 0
		.amdhsa_exception_fp_ieee_underflow 0
		.amdhsa_exception_fp_ieee_inexact 0
		.amdhsa_exception_int_div_zero 0
	.end_amdhsa_kernel
	.section	.text._Z38paged_attention_ll4mi_QKV_mfma4_kernelI14__hip_bfloat16S0_LN4vllm18Fp8KVCacheDataTypeE0EhLi32ELi64ELi256ELb1ELi2EEvPKT_PKT0_S8_ifPKiSA_SA_iPKfiiiPfSD_PS3_PT2_iSC_SC_,"axG",@progbits,_Z38paged_attention_ll4mi_QKV_mfma4_kernelI14__hip_bfloat16S0_LN4vllm18Fp8KVCacheDataTypeE0EhLi32ELi64ELi256ELb1ELi2EEvPKT_PKT0_S8_ifPKiSA_SA_iPKfiiiPfSD_PS3_PT2_iSC_SC_,comdat
.Lfunc_end499:
	.size	_Z38paged_attention_ll4mi_QKV_mfma4_kernelI14__hip_bfloat16S0_LN4vllm18Fp8KVCacheDataTypeE0EhLi32ELi64ELi256ELb1ELi2EEvPKT_PKT0_S8_ifPKiSA_SA_iPKfiiiPfSD_PS3_PT2_iSC_SC_, .Lfunc_end499-_Z38paged_attention_ll4mi_QKV_mfma4_kernelI14__hip_bfloat16S0_LN4vllm18Fp8KVCacheDataTypeE0EhLi32ELi64ELi256ELb1ELi2EEvPKT_PKT0_S8_ifPKiSA_SA_iPKfiiiPfSD_PS3_PT2_iSC_SC_
                                        ; -- End function
	.set _Z38paged_attention_ll4mi_QKV_mfma4_kernelI14__hip_bfloat16S0_LN4vllm18Fp8KVCacheDataTypeE0EhLi32ELi64ELi256ELb1ELi2EEvPKT_PKT0_S8_ifPKiSA_SA_iPKfiiiPfSD_PS3_PT2_iSC_SC_.num_vgpr, max(3, .L__assert_fail.num_vgpr)
	.set _Z38paged_attention_ll4mi_QKV_mfma4_kernelI14__hip_bfloat16S0_LN4vllm18Fp8KVCacheDataTypeE0EhLi32ELi64ELi256ELb1ELi2EEvPKT_PKT0_S8_ifPKiSA_SA_iPKfiiiPfSD_PS3_PT2_iSC_SC_.num_agpr, max(0, .L__assert_fail.num_agpr)
	.set _Z38paged_attention_ll4mi_QKV_mfma4_kernelI14__hip_bfloat16S0_LN4vllm18Fp8KVCacheDataTypeE0EhLi32ELi64ELi256ELb1ELi2EEvPKT_PKT0_S8_ifPKiSA_SA_iPKfiiiPfSD_PS3_PT2_iSC_SC_.numbered_sgpr, max(33, .L__assert_fail.numbered_sgpr)
	.set _Z38paged_attention_ll4mi_QKV_mfma4_kernelI14__hip_bfloat16S0_LN4vllm18Fp8KVCacheDataTypeE0EhLi32ELi64ELi256ELb1ELi2EEvPKT_PKT0_S8_ifPKiSA_SA_iPKfiiiPfSD_PS3_PT2_iSC_SC_.num_named_barrier, max(0, .L__assert_fail.num_named_barrier)
	.set _Z38paged_attention_ll4mi_QKV_mfma4_kernelI14__hip_bfloat16S0_LN4vllm18Fp8KVCacheDataTypeE0EhLi32ELi64ELi256ELb1ELi2EEvPKT_PKT0_S8_ifPKiSA_SA_iPKfiiiPfSD_PS3_PT2_iSC_SC_.private_seg_size, 0+max(.L__assert_fail.private_seg_size)
	.set _Z38paged_attention_ll4mi_QKV_mfma4_kernelI14__hip_bfloat16S0_LN4vllm18Fp8KVCacheDataTypeE0EhLi32ELi64ELi256ELb1ELi2EEvPKT_PKT0_S8_ifPKiSA_SA_iPKfiiiPfSD_PS3_PT2_iSC_SC_.uses_vcc, or(1, .L__assert_fail.uses_vcc)
	.set _Z38paged_attention_ll4mi_QKV_mfma4_kernelI14__hip_bfloat16S0_LN4vllm18Fp8KVCacheDataTypeE0EhLi32ELi64ELi256ELb1ELi2EEvPKT_PKT0_S8_ifPKiSA_SA_iPKfiiiPfSD_PS3_PT2_iSC_SC_.uses_flat_scratch, or(0, .L__assert_fail.uses_flat_scratch)
	.set _Z38paged_attention_ll4mi_QKV_mfma4_kernelI14__hip_bfloat16S0_LN4vllm18Fp8KVCacheDataTypeE0EhLi32ELi64ELi256ELb1ELi2EEvPKT_PKT0_S8_ifPKiSA_SA_iPKfiiiPfSD_PS3_PT2_iSC_SC_.has_dyn_sized_stack, or(0, .L__assert_fail.has_dyn_sized_stack)
	.set _Z38paged_attention_ll4mi_QKV_mfma4_kernelI14__hip_bfloat16S0_LN4vllm18Fp8KVCacheDataTypeE0EhLi32ELi64ELi256ELb1ELi2EEvPKT_PKT0_S8_ifPKiSA_SA_iPKfiiiPfSD_PS3_PT2_iSC_SC_.has_recursion, or(0, .L__assert_fail.has_recursion)
	.set _Z38paged_attention_ll4mi_QKV_mfma4_kernelI14__hip_bfloat16S0_LN4vllm18Fp8KVCacheDataTypeE0EhLi32ELi64ELi256ELb1ELi2EEvPKT_PKT0_S8_ifPKiSA_SA_iPKfiiiPfSD_PS3_PT2_iSC_SC_.has_indirect_call, or(0, .L__assert_fail.has_indirect_call)
	.section	.AMDGPU.csdata,"",@progbits
; Kernel info:
; codeLenInByte = 68
; TotalNumSgprs: 36
; NumVgprs: 51
; ScratchSize: 64
; MemoryBound: 0
; FloatMode: 240
; IeeeMode: 1
; LDSByteSize: 0 bytes/workgroup (compile time only)
; SGPRBlocks: 0
; VGPRBlocks: 3
; NumSGPRsForWavesPerEU: 36
; NumVGPRsForWavesPerEU: 51
; NamedBarCnt: 0
; Occupancy: 16
; WaveLimiterHint : 1
; COMPUTE_PGM_RSRC2:SCRATCH_EN: 1
; COMPUTE_PGM_RSRC2:USER_SGPR: 2
; COMPUTE_PGM_RSRC2:TRAP_HANDLER: 0
; COMPUTE_PGM_RSRC2:TGID_X_EN: 1
; COMPUTE_PGM_RSRC2:TGID_Y_EN: 0
; COMPUTE_PGM_RSRC2:TGID_Z_EN: 0
; COMPUTE_PGM_RSRC2:TIDIG_COMP_CNT: 0
	.section	.text._Z38paged_attention_ll4mi_QKV_mfma4_kernelI14__hip_bfloat16S0_LN4vllm18Fp8KVCacheDataTypeE0EhLi32ELi64ELi256ELb1ELi3EEvPKT_PKT0_S8_ifPKiSA_SA_iPKfiiiPfSD_PS3_PT2_iSC_SC_,"axG",@progbits,_Z38paged_attention_ll4mi_QKV_mfma4_kernelI14__hip_bfloat16S0_LN4vllm18Fp8KVCacheDataTypeE0EhLi32ELi64ELi256ELb1ELi3EEvPKT_PKT0_S8_ifPKiSA_SA_iPKfiiiPfSD_PS3_PT2_iSC_SC_,comdat
	.protected	_Z38paged_attention_ll4mi_QKV_mfma4_kernelI14__hip_bfloat16S0_LN4vllm18Fp8KVCacheDataTypeE0EhLi32ELi64ELi256ELb1ELi3EEvPKT_PKT0_S8_ifPKiSA_SA_iPKfiiiPfSD_PS3_PT2_iSC_SC_ ; -- Begin function _Z38paged_attention_ll4mi_QKV_mfma4_kernelI14__hip_bfloat16S0_LN4vllm18Fp8KVCacheDataTypeE0EhLi32ELi64ELi256ELb1ELi3EEvPKT_PKT0_S8_ifPKiSA_SA_iPKfiiiPfSD_PS3_PT2_iSC_SC_
	.globl	_Z38paged_attention_ll4mi_QKV_mfma4_kernelI14__hip_bfloat16S0_LN4vllm18Fp8KVCacheDataTypeE0EhLi32ELi64ELi256ELb1ELi3EEvPKT_PKT0_S8_ifPKiSA_SA_iPKfiiiPfSD_PS3_PT2_iSC_SC_
	.p2align	8
	.type	_Z38paged_attention_ll4mi_QKV_mfma4_kernelI14__hip_bfloat16S0_LN4vllm18Fp8KVCacheDataTypeE0EhLi32ELi64ELi256ELb1ELi3EEvPKT_PKT0_S8_ifPKiSA_SA_iPKfiiiPfSD_PS3_PT2_iSC_SC_,@function
_Z38paged_attention_ll4mi_QKV_mfma4_kernelI14__hip_bfloat16S0_LN4vllm18Fp8KVCacheDataTypeE0EhLi32ELi64ELi256ELb1ELi3EEvPKT_PKT0_S8_ifPKiSA_SA_iPKfiiiPfSD_PS3_PT2_iSC_SC_: ; @_Z38paged_attention_ll4mi_QKV_mfma4_kernelI14__hip_bfloat16S0_LN4vllm18Fp8KVCacheDataTypeE0EhLi32ELi64ELi256ELb1ELi3EEvPKT_PKT0_S8_ifPKiSA_SA_iPKfiiiPfSD_PS3_PT2_iSC_SC_
; %bb.0:
	s_get_pc_i64 s[2:3]
	s_add_nc_u64 s[2:3], s[2:3], __PRETTY_FUNCTION__._Z38paged_attention_ll4mi_QKV_mfma4_kernelI14__hip_bfloat16S0_LN4vllm18Fp8KVCacheDataTypeE0EhLi32ELi64ELi256ELb1ELi3EEvPKT_PKT0_S8_ifPKiSA_SA_iPKfiiiPfSD_PS3_PT2_iSC_SC_@rel64+4
	s_delay_alu instid0(SALU_CYCLE_1)
	v_dual_mov_b32 v0, 0xbce :: v_dual_mov_b32 v1, s2
	v_mov_b32_e32 v2, s3
	s_add_nc_u64 s[8:9], s[0:1], 0x90
	s_get_pc_i64 s[0:1]
	s_add_nc_u64 s[0:1], s[0:1], __assert_fail@rel64+4
	s_mov_b32 s32, 0
	s_swap_pc_i64 s[30:31], s[0:1]
	.section	.rodata,"a",@progbits
	.p2align	6, 0x0
	.amdhsa_kernel _Z38paged_attention_ll4mi_QKV_mfma4_kernelI14__hip_bfloat16S0_LN4vllm18Fp8KVCacheDataTypeE0EhLi32ELi64ELi256ELb1ELi3EEvPKT_PKT0_S8_ifPKiSA_SA_iPKfiiiPfSD_PS3_PT2_iSC_SC_
		.amdhsa_group_segment_fixed_size 0
		.amdhsa_private_segment_fixed_size 64
		.amdhsa_kernarg_size 400
		.amdhsa_user_sgpr_count 2
		.amdhsa_user_sgpr_dispatch_ptr 0
		.amdhsa_user_sgpr_queue_ptr 0
		.amdhsa_user_sgpr_kernarg_segment_ptr 1
		.amdhsa_user_sgpr_dispatch_id 0
		.amdhsa_user_sgpr_kernarg_preload_length 0
		.amdhsa_user_sgpr_kernarg_preload_offset 0
		.amdhsa_user_sgpr_private_segment_size 0
		.amdhsa_wavefront_size32 1
		.amdhsa_uses_dynamic_stack 0
		.amdhsa_enable_private_segment 1
		.amdhsa_system_sgpr_workgroup_id_x 1
		.amdhsa_system_sgpr_workgroup_id_y 0
		.amdhsa_system_sgpr_workgroup_id_z 0
		.amdhsa_system_sgpr_workgroup_info 0
		.amdhsa_system_vgpr_workitem_id 0
		.amdhsa_next_free_vgpr 51
		.amdhsa_next_free_sgpr 34
		.amdhsa_named_barrier_count 0
		.amdhsa_reserve_vcc 1
		.amdhsa_float_round_mode_32 0
		.amdhsa_float_round_mode_16_64 0
		.amdhsa_float_denorm_mode_32 3
		.amdhsa_float_denorm_mode_16_64 3
		.amdhsa_fp16_overflow 0
		.amdhsa_memory_ordered 1
		.amdhsa_forward_progress 1
		.amdhsa_inst_pref_size 1
		.amdhsa_round_robin_scheduling 0
		.amdhsa_exception_fp_ieee_invalid_op 0
		.amdhsa_exception_fp_denorm_src 0
		.amdhsa_exception_fp_ieee_div_zero 0
		.amdhsa_exception_fp_ieee_overflow 0
		.amdhsa_exception_fp_ieee_underflow 0
		.amdhsa_exception_fp_ieee_inexact 0
		.amdhsa_exception_int_div_zero 0
	.end_amdhsa_kernel
	.section	.text._Z38paged_attention_ll4mi_QKV_mfma4_kernelI14__hip_bfloat16S0_LN4vllm18Fp8KVCacheDataTypeE0EhLi32ELi64ELi256ELb1ELi3EEvPKT_PKT0_S8_ifPKiSA_SA_iPKfiiiPfSD_PS3_PT2_iSC_SC_,"axG",@progbits,_Z38paged_attention_ll4mi_QKV_mfma4_kernelI14__hip_bfloat16S0_LN4vllm18Fp8KVCacheDataTypeE0EhLi32ELi64ELi256ELb1ELi3EEvPKT_PKT0_S8_ifPKiSA_SA_iPKfiiiPfSD_PS3_PT2_iSC_SC_,comdat
.Lfunc_end500:
	.size	_Z38paged_attention_ll4mi_QKV_mfma4_kernelI14__hip_bfloat16S0_LN4vllm18Fp8KVCacheDataTypeE0EhLi32ELi64ELi256ELb1ELi3EEvPKT_PKT0_S8_ifPKiSA_SA_iPKfiiiPfSD_PS3_PT2_iSC_SC_, .Lfunc_end500-_Z38paged_attention_ll4mi_QKV_mfma4_kernelI14__hip_bfloat16S0_LN4vllm18Fp8KVCacheDataTypeE0EhLi32ELi64ELi256ELb1ELi3EEvPKT_PKT0_S8_ifPKiSA_SA_iPKfiiiPfSD_PS3_PT2_iSC_SC_
                                        ; -- End function
	.set _Z38paged_attention_ll4mi_QKV_mfma4_kernelI14__hip_bfloat16S0_LN4vllm18Fp8KVCacheDataTypeE0EhLi32ELi64ELi256ELb1ELi3EEvPKT_PKT0_S8_ifPKiSA_SA_iPKfiiiPfSD_PS3_PT2_iSC_SC_.num_vgpr, max(3, .L__assert_fail.num_vgpr)
	.set _Z38paged_attention_ll4mi_QKV_mfma4_kernelI14__hip_bfloat16S0_LN4vllm18Fp8KVCacheDataTypeE0EhLi32ELi64ELi256ELb1ELi3EEvPKT_PKT0_S8_ifPKiSA_SA_iPKfiiiPfSD_PS3_PT2_iSC_SC_.num_agpr, max(0, .L__assert_fail.num_agpr)
	.set _Z38paged_attention_ll4mi_QKV_mfma4_kernelI14__hip_bfloat16S0_LN4vllm18Fp8KVCacheDataTypeE0EhLi32ELi64ELi256ELb1ELi3EEvPKT_PKT0_S8_ifPKiSA_SA_iPKfiiiPfSD_PS3_PT2_iSC_SC_.numbered_sgpr, max(33, .L__assert_fail.numbered_sgpr)
	.set _Z38paged_attention_ll4mi_QKV_mfma4_kernelI14__hip_bfloat16S0_LN4vllm18Fp8KVCacheDataTypeE0EhLi32ELi64ELi256ELb1ELi3EEvPKT_PKT0_S8_ifPKiSA_SA_iPKfiiiPfSD_PS3_PT2_iSC_SC_.num_named_barrier, max(0, .L__assert_fail.num_named_barrier)
	.set _Z38paged_attention_ll4mi_QKV_mfma4_kernelI14__hip_bfloat16S0_LN4vllm18Fp8KVCacheDataTypeE0EhLi32ELi64ELi256ELb1ELi3EEvPKT_PKT0_S8_ifPKiSA_SA_iPKfiiiPfSD_PS3_PT2_iSC_SC_.private_seg_size, 0+max(.L__assert_fail.private_seg_size)
	.set _Z38paged_attention_ll4mi_QKV_mfma4_kernelI14__hip_bfloat16S0_LN4vllm18Fp8KVCacheDataTypeE0EhLi32ELi64ELi256ELb1ELi3EEvPKT_PKT0_S8_ifPKiSA_SA_iPKfiiiPfSD_PS3_PT2_iSC_SC_.uses_vcc, or(1, .L__assert_fail.uses_vcc)
	.set _Z38paged_attention_ll4mi_QKV_mfma4_kernelI14__hip_bfloat16S0_LN4vllm18Fp8KVCacheDataTypeE0EhLi32ELi64ELi256ELb1ELi3EEvPKT_PKT0_S8_ifPKiSA_SA_iPKfiiiPfSD_PS3_PT2_iSC_SC_.uses_flat_scratch, or(0, .L__assert_fail.uses_flat_scratch)
	.set _Z38paged_attention_ll4mi_QKV_mfma4_kernelI14__hip_bfloat16S0_LN4vllm18Fp8KVCacheDataTypeE0EhLi32ELi64ELi256ELb1ELi3EEvPKT_PKT0_S8_ifPKiSA_SA_iPKfiiiPfSD_PS3_PT2_iSC_SC_.has_dyn_sized_stack, or(0, .L__assert_fail.has_dyn_sized_stack)
	.set _Z38paged_attention_ll4mi_QKV_mfma4_kernelI14__hip_bfloat16S0_LN4vllm18Fp8KVCacheDataTypeE0EhLi32ELi64ELi256ELb1ELi3EEvPKT_PKT0_S8_ifPKiSA_SA_iPKfiiiPfSD_PS3_PT2_iSC_SC_.has_recursion, or(0, .L__assert_fail.has_recursion)
	.set _Z38paged_attention_ll4mi_QKV_mfma4_kernelI14__hip_bfloat16S0_LN4vllm18Fp8KVCacheDataTypeE0EhLi32ELi64ELi256ELb1ELi3EEvPKT_PKT0_S8_ifPKiSA_SA_iPKfiiiPfSD_PS3_PT2_iSC_SC_.has_indirect_call, or(0, .L__assert_fail.has_indirect_call)
	.section	.AMDGPU.csdata,"",@progbits
; Kernel info:
; codeLenInByte = 68
; TotalNumSgprs: 36
; NumVgprs: 51
; ScratchSize: 64
; MemoryBound: 0
; FloatMode: 240
; IeeeMode: 1
; LDSByteSize: 0 bytes/workgroup (compile time only)
; SGPRBlocks: 0
; VGPRBlocks: 3
; NumSGPRsForWavesPerEU: 36
; NumVGPRsForWavesPerEU: 51
; NamedBarCnt: 0
; Occupancy: 16
; WaveLimiterHint : 1
; COMPUTE_PGM_RSRC2:SCRATCH_EN: 1
; COMPUTE_PGM_RSRC2:USER_SGPR: 2
; COMPUTE_PGM_RSRC2:TRAP_HANDLER: 0
; COMPUTE_PGM_RSRC2:TGID_X_EN: 1
; COMPUTE_PGM_RSRC2:TGID_Y_EN: 0
; COMPUTE_PGM_RSRC2:TGID_Z_EN: 0
; COMPUTE_PGM_RSRC2:TIDIG_COMP_CNT: 0
	.section	.text._Z38paged_attention_ll4mi_QKV_mfma4_kernelI14__hip_bfloat16S0_LN4vllm18Fp8KVCacheDataTypeE0EhLi32ELi64ELi256ELb1ELi4EEvPKT_PKT0_S8_ifPKiSA_SA_iPKfiiiPfSD_PS3_PT2_iSC_SC_,"axG",@progbits,_Z38paged_attention_ll4mi_QKV_mfma4_kernelI14__hip_bfloat16S0_LN4vllm18Fp8KVCacheDataTypeE0EhLi32ELi64ELi256ELb1ELi4EEvPKT_PKT0_S8_ifPKiSA_SA_iPKfiiiPfSD_PS3_PT2_iSC_SC_,comdat
	.protected	_Z38paged_attention_ll4mi_QKV_mfma4_kernelI14__hip_bfloat16S0_LN4vllm18Fp8KVCacheDataTypeE0EhLi32ELi64ELi256ELb1ELi4EEvPKT_PKT0_S8_ifPKiSA_SA_iPKfiiiPfSD_PS3_PT2_iSC_SC_ ; -- Begin function _Z38paged_attention_ll4mi_QKV_mfma4_kernelI14__hip_bfloat16S0_LN4vllm18Fp8KVCacheDataTypeE0EhLi32ELi64ELi256ELb1ELi4EEvPKT_PKT0_S8_ifPKiSA_SA_iPKfiiiPfSD_PS3_PT2_iSC_SC_
	.globl	_Z38paged_attention_ll4mi_QKV_mfma4_kernelI14__hip_bfloat16S0_LN4vllm18Fp8KVCacheDataTypeE0EhLi32ELi64ELi256ELb1ELi4EEvPKT_PKT0_S8_ifPKiSA_SA_iPKfiiiPfSD_PS3_PT2_iSC_SC_
	.p2align	8
	.type	_Z38paged_attention_ll4mi_QKV_mfma4_kernelI14__hip_bfloat16S0_LN4vllm18Fp8KVCacheDataTypeE0EhLi32ELi64ELi256ELb1ELi4EEvPKT_PKT0_S8_ifPKiSA_SA_iPKfiiiPfSD_PS3_PT2_iSC_SC_,@function
_Z38paged_attention_ll4mi_QKV_mfma4_kernelI14__hip_bfloat16S0_LN4vllm18Fp8KVCacheDataTypeE0EhLi32ELi64ELi256ELb1ELi4EEvPKT_PKT0_S8_ifPKiSA_SA_iPKfiiiPfSD_PS3_PT2_iSC_SC_: ; @_Z38paged_attention_ll4mi_QKV_mfma4_kernelI14__hip_bfloat16S0_LN4vllm18Fp8KVCacheDataTypeE0EhLi32ELi64ELi256ELb1ELi4EEvPKT_PKT0_S8_ifPKiSA_SA_iPKfiiiPfSD_PS3_PT2_iSC_SC_
; %bb.0:
	s_get_pc_i64 s[2:3]
	s_add_nc_u64 s[2:3], s[2:3], __PRETTY_FUNCTION__._Z38paged_attention_ll4mi_QKV_mfma4_kernelI14__hip_bfloat16S0_LN4vllm18Fp8KVCacheDataTypeE0EhLi32ELi64ELi256ELb1ELi4EEvPKT_PKT0_S8_ifPKiSA_SA_iPKfiiiPfSD_PS3_PT2_iSC_SC_@rel64+4
	s_delay_alu instid0(SALU_CYCLE_1)
	v_dual_mov_b32 v0, 0xbce :: v_dual_mov_b32 v1, s2
	v_mov_b32_e32 v2, s3
	s_add_nc_u64 s[8:9], s[0:1], 0x90
	s_get_pc_i64 s[0:1]
	s_add_nc_u64 s[0:1], s[0:1], __assert_fail@rel64+4
	s_mov_b32 s32, 0
	s_swap_pc_i64 s[30:31], s[0:1]
	.section	.rodata,"a",@progbits
	.p2align	6, 0x0
	.amdhsa_kernel _Z38paged_attention_ll4mi_QKV_mfma4_kernelI14__hip_bfloat16S0_LN4vllm18Fp8KVCacheDataTypeE0EhLi32ELi64ELi256ELb1ELi4EEvPKT_PKT0_S8_ifPKiSA_SA_iPKfiiiPfSD_PS3_PT2_iSC_SC_
		.amdhsa_group_segment_fixed_size 0
		.amdhsa_private_segment_fixed_size 64
		.amdhsa_kernarg_size 400
		.amdhsa_user_sgpr_count 2
		.amdhsa_user_sgpr_dispatch_ptr 0
		.amdhsa_user_sgpr_queue_ptr 0
		.amdhsa_user_sgpr_kernarg_segment_ptr 1
		.amdhsa_user_sgpr_dispatch_id 0
		.amdhsa_user_sgpr_kernarg_preload_length 0
		.amdhsa_user_sgpr_kernarg_preload_offset 0
		.amdhsa_user_sgpr_private_segment_size 0
		.amdhsa_wavefront_size32 1
		.amdhsa_uses_dynamic_stack 0
		.amdhsa_enable_private_segment 1
		.amdhsa_system_sgpr_workgroup_id_x 1
		.amdhsa_system_sgpr_workgroup_id_y 0
		.amdhsa_system_sgpr_workgroup_id_z 0
		.amdhsa_system_sgpr_workgroup_info 0
		.amdhsa_system_vgpr_workitem_id 0
		.amdhsa_next_free_vgpr 51
		.amdhsa_next_free_sgpr 34
		.amdhsa_named_barrier_count 0
		.amdhsa_reserve_vcc 1
		.amdhsa_float_round_mode_32 0
		.amdhsa_float_round_mode_16_64 0
		.amdhsa_float_denorm_mode_32 3
		.amdhsa_float_denorm_mode_16_64 3
		.amdhsa_fp16_overflow 0
		.amdhsa_memory_ordered 1
		.amdhsa_forward_progress 1
		.amdhsa_inst_pref_size 1
		.amdhsa_round_robin_scheduling 0
		.amdhsa_exception_fp_ieee_invalid_op 0
		.amdhsa_exception_fp_denorm_src 0
		.amdhsa_exception_fp_ieee_div_zero 0
		.amdhsa_exception_fp_ieee_overflow 0
		.amdhsa_exception_fp_ieee_underflow 0
		.amdhsa_exception_fp_ieee_inexact 0
		.amdhsa_exception_int_div_zero 0
	.end_amdhsa_kernel
	.section	.text._Z38paged_attention_ll4mi_QKV_mfma4_kernelI14__hip_bfloat16S0_LN4vllm18Fp8KVCacheDataTypeE0EhLi32ELi64ELi256ELb1ELi4EEvPKT_PKT0_S8_ifPKiSA_SA_iPKfiiiPfSD_PS3_PT2_iSC_SC_,"axG",@progbits,_Z38paged_attention_ll4mi_QKV_mfma4_kernelI14__hip_bfloat16S0_LN4vllm18Fp8KVCacheDataTypeE0EhLi32ELi64ELi256ELb1ELi4EEvPKT_PKT0_S8_ifPKiSA_SA_iPKfiiiPfSD_PS3_PT2_iSC_SC_,comdat
.Lfunc_end501:
	.size	_Z38paged_attention_ll4mi_QKV_mfma4_kernelI14__hip_bfloat16S0_LN4vllm18Fp8KVCacheDataTypeE0EhLi32ELi64ELi256ELb1ELi4EEvPKT_PKT0_S8_ifPKiSA_SA_iPKfiiiPfSD_PS3_PT2_iSC_SC_, .Lfunc_end501-_Z38paged_attention_ll4mi_QKV_mfma4_kernelI14__hip_bfloat16S0_LN4vllm18Fp8KVCacheDataTypeE0EhLi32ELi64ELi256ELb1ELi4EEvPKT_PKT0_S8_ifPKiSA_SA_iPKfiiiPfSD_PS3_PT2_iSC_SC_
                                        ; -- End function
	.set _Z38paged_attention_ll4mi_QKV_mfma4_kernelI14__hip_bfloat16S0_LN4vllm18Fp8KVCacheDataTypeE0EhLi32ELi64ELi256ELb1ELi4EEvPKT_PKT0_S8_ifPKiSA_SA_iPKfiiiPfSD_PS3_PT2_iSC_SC_.num_vgpr, max(3, .L__assert_fail.num_vgpr)
	.set _Z38paged_attention_ll4mi_QKV_mfma4_kernelI14__hip_bfloat16S0_LN4vllm18Fp8KVCacheDataTypeE0EhLi32ELi64ELi256ELb1ELi4EEvPKT_PKT0_S8_ifPKiSA_SA_iPKfiiiPfSD_PS3_PT2_iSC_SC_.num_agpr, max(0, .L__assert_fail.num_agpr)
	.set _Z38paged_attention_ll4mi_QKV_mfma4_kernelI14__hip_bfloat16S0_LN4vllm18Fp8KVCacheDataTypeE0EhLi32ELi64ELi256ELb1ELi4EEvPKT_PKT0_S8_ifPKiSA_SA_iPKfiiiPfSD_PS3_PT2_iSC_SC_.numbered_sgpr, max(33, .L__assert_fail.numbered_sgpr)
	.set _Z38paged_attention_ll4mi_QKV_mfma4_kernelI14__hip_bfloat16S0_LN4vllm18Fp8KVCacheDataTypeE0EhLi32ELi64ELi256ELb1ELi4EEvPKT_PKT0_S8_ifPKiSA_SA_iPKfiiiPfSD_PS3_PT2_iSC_SC_.num_named_barrier, max(0, .L__assert_fail.num_named_barrier)
	.set _Z38paged_attention_ll4mi_QKV_mfma4_kernelI14__hip_bfloat16S0_LN4vllm18Fp8KVCacheDataTypeE0EhLi32ELi64ELi256ELb1ELi4EEvPKT_PKT0_S8_ifPKiSA_SA_iPKfiiiPfSD_PS3_PT2_iSC_SC_.private_seg_size, 0+max(.L__assert_fail.private_seg_size)
	.set _Z38paged_attention_ll4mi_QKV_mfma4_kernelI14__hip_bfloat16S0_LN4vllm18Fp8KVCacheDataTypeE0EhLi32ELi64ELi256ELb1ELi4EEvPKT_PKT0_S8_ifPKiSA_SA_iPKfiiiPfSD_PS3_PT2_iSC_SC_.uses_vcc, or(1, .L__assert_fail.uses_vcc)
	.set _Z38paged_attention_ll4mi_QKV_mfma4_kernelI14__hip_bfloat16S0_LN4vllm18Fp8KVCacheDataTypeE0EhLi32ELi64ELi256ELb1ELi4EEvPKT_PKT0_S8_ifPKiSA_SA_iPKfiiiPfSD_PS3_PT2_iSC_SC_.uses_flat_scratch, or(0, .L__assert_fail.uses_flat_scratch)
	.set _Z38paged_attention_ll4mi_QKV_mfma4_kernelI14__hip_bfloat16S0_LN4vllm18Fp8KVCacheDataTypeE0EhLi32ELi64ELi256ELb1ELi4EEvPKT_PKT0_S8_ifPKiSA_SA_iPKfiiiPfSD_PS3_PT2_iSC_SC_.has_dyn_sized_stack, or(0, .L__assert_fail.has_dyn_sized_stack)
	.set _Z38paged_attention_ll4mi_QKV_mfma4_kernelI14__hip_bfloat16S0_LN4vllm18Fp8KVCacheDataTypeE0EhLi32ELi64ELi256ELb1ELi4EEvPKT_PKT0_S8_ifPKiSA_SA_iPKfiiiPfSD_PS3_PT2_iSC_SC_.has_recursion, or(0, .L__assert_fail.has_recursion)
	.set _Z38paged_attention_ll4mi_QKV_mfma4_kernelI14__hip_bfloat16S0_LN4vllm18Fp8KVCacheDataTypeE0EhLi32ELi64ELi256ELb1ELi4EEvPKT_PKT0_S8_ifPKiSA_SA_iPKfiiiPfSD_PS3_PT2_iSC_SC_.has_indirect_call, or(0, .L__assert_fail.has_indirect_call)
	.section	.AMDGPU.csdata,"",@progbits
; Kernel info:
; codeLenInByte = 68
; TotalNumSgprs: 36
; NumVgprs: 51
; ScratchSize: 64
; MemoryBound: 0
; FloatMode: 240
; IeeeMode: 1
; LDSByteSize: 0 bytes/workgroup (compile time only)
; SGPRBlocks: 0
; VGPRBlocks: 3
; NumSGPRsForWavesPerEU: 36
; NumVGPRsForWavesPerEU: 51
; NamedBarCnt: 0
; Occupancy: 16
; WaveLimiterHint : 1
; COMPUTE_PGM_RSRC2:SCRATCH_EN: 1
; COMPUTE_PGM_RSRC2:USER_SGPR: 2
; COMPUTE_PGM_RSRC2:TRAP_HANDLER: 0
; COMPUTE_PGM_RSRC2:TGID_X_EN: 1
; COMPUTE_PGM_RSRC2:TGID_Y_EN: 0
; COMPUTE_PGM_RSRC2:TGID_Z_EN: 0
; COMPUTE_PGM_RSRC2:TIDIG_COMP_CNT: 0
	.section	.text._Z39paged_attention_ll4mi_QKV_mfma16_kernelI14__hip_bfloat16S0_LN4vllm18Fp8KVCacheDataTypeE0EhLi32ELi64ELi256ELb1ELi5EEvPKT_PKT0_S8_ifPKiSA_SA_iPKfiiiPfSD_PS3_PT2_iSC_SC_,"axG",@progbits,_Z39paged_attention_ll4mi_QKV_mfma16_kernelI14__hip_bfloat16S0_LN4vllm18Fp8KVCacheDataTypeE0EhLi32ELi64ELi256ELb1ELi5EEvPKT_PKT0_S8_ifPKiSA_SA_iPKfiiiPfSD_PS3_PT2_iSC_SC_,comdat
	.protected	_Z39paged_attention_ll4mi_QKV_mfma16_kernelI14__hip_bfloat16S0_LN4vllm18Fp8KVCacheDataTypeE0EhLi32ELi64ELi256ELb1ELi5EEvPKT_PKT0_S8_ifPKiSA_SA_iPKfiiiPfSD_PS3_PT2_iSC_SC_ ; -- Begin function _Z39paged_attention_ll4mi_QKV_mfma16_kernelI14__hip_bfloat16S0_LN4vllm18Fp8KVCacheDataTypeE0EhLi32ELi64ELi256ELb1ELi5EEvPKT_PKT0_S8_ifPKiSA_SA_iPKfiiiPfSD_PS3_PT2_iSC_SC_
	.globl	_Z39paged_attention_ll4mi_QKV_mfma16_kernelI14__hip_bfloat16S0_LN4vllm18Fp8KVCacheDataTypeE0EhLi32ELi64ELi256ELb1ELi5EEvPKT_PKT0_S8_ifPKiSA_SA_iPKfiiiPfSD_PS3_PT2_iSC_SC_
	.p2align	8
	.type	_Z39paged_attention_ll4mi_QKV_mfma16_kernelI14__hip_bfloat16S0_LN4vllm18Fp8KVCacheDataTypeE0EhLi32ELi64ELi256ELb1ELi5EEvPKT_PKT0_S8_ifPKiSA_SA_iPKfiiiPfSD_PS3_PT2_iSC_SC_,@function
_Z39paged_attention_ll4mi_QKV_mfma16_kernelI14__hip_bfloat16S0_LN4vllm18Fp8KVCacheDataTypeE0EhLi32ELi64ELi256ELb1ELi5EEvPKT_PKT0_S8_ifPKiSA_SA_iPKfiiiPfSD_PS3_PT2_iSC_SC_: ; @_Z39paged_attention_ll4mi_QKV_mfma16_kernelI14__hip_bfloat16S0_LN4vllm18Fp8KVCacheDataTypeE0EhLi32ELi64ELi256ELb1ELi5EEvPKT_PKT0_S8_ifPKiSA_SA_iPKfiiiPfSD_PS3_PT2_iSC_SC_
; %bb.0:
	s_get_pc_i64 s[2:3]
	s_add_nc_u64 s[2:3], s[2:3], __PRETTY_FUNCTION__._Z39paged_attention_ll4mi_QKV_mfma16_kernelI14__hip_bfloat16S0_LN4vllm18Fp8KVCacheDataTypeE0EhLi32ELi64ELi256ELb1ELi5EEvPKT_PKT0_S8_ifPKiSA_SA_iPKfiiiPfSD_PS3_PT2_iSC_SC_@rel64+4
	s_delay_alu instid0(SALU_CYCLE_1)
	v_dual_mov_b32 v0, 0xbb3 :: v_dual_mov_b32 v1, s2
	v_mov_b32_e32 v2, s3
	s_add_nc_u64 s[8:9], s[0:1], 0x90
	s_get_pc_i64 s[0:1]
	s_add_nc_u64 s[0:1], s[0:1], __assert_fail@rel64+4
	s_mov_b32 s32, 0
	s_swap_pc_i64 s[30:31], s[0:1]
	.section	.rodata,"a",@progbits
	.p2align	6, 0x0
	.amdhsa_kernel _Z39paged_attention_ll4mi_QKV_mfma16_kernelI14__hip_bfloat16S0_LN4vllm18Fp8KVCacheDataTypeE0EhLi32ELi64ELi256ELb1ELi5EEvPKT_PKT0_S8_ifPKiSA_SA_iPKfiiiPfSD_PS3_PT2_iSC_SC_
		.amdhsa_group_segment_fixed_size 0
		.amdhsa_private_segment_fixed_size 64
		.amdhsa_kernarg_size 400
		.amdhsa_user_sgpr_count 2
		.amdhsa_user_sgpr_dispatch_ptr 0
		.amdhsa_user_sgpr_queue_ptr 0
		.amdhsa_user_sgpr_kernarg_segment_ptr 1
		.amdhsa_user_sgpr_dispatch_id 0
		.amdhsa_user_sgpr_kernarg_preload_length 0
		.amdhsa_user_sgpr_kernarg_preload_offset 0
		.amdhsa_user_sgpr_private_segment_size 0
		.amdhsa_wavefront_size32 1
		.amdhsa_uses_dynamic_stack 0
		.amdhsa_enable_private_segment 1
		.amdhsa_system_sgpr_workgroup_id_x 1
		.amdhsa_system_sgpr_workgroup_id_y 0
		.amdhsa_system_sgpr_workgroup_id_z 0
		.amdhsa_system_sgpr_workgroup_info 0
		.amdhsa_system_vgpr_workitem_id 0
		.amdhsa_next_free_vgpr 51
		.amdhsa_next_free_sgpr 34
		.amdhsa_named_barrier_count 0
		.amdhsa_reserve_vcc 1
		.amdhsa_float_round_mode_32 0
		.amdhsa_float_round_mode_16_64 0
		.amdhsa_float_denorm_mode_32 3
		.amdhsa_float_denorm_mode_16_64 3
		.amdhsa_fp16_overflow 0
		.amdhsa_memory_ordered 1
		.amdhsa_forward_progress 1
		.amdhsa_inst_pref_size 1
		.amdhsa_round_robin_scheduling 0
		.amdhsa_exception_fp_ieee_invalid_op 0
		.amdhsa_exception_fp_denorm_src 0
		.amdhsa_exception_fp_ieee_div_zero 0
		.amdhsa_exception_fp_ieee_overflow 0
		.amdhsa_exception_fp_ieee_underflow 0
		.amdhsa_exception_fp_ieee_inexact 0
		.amdhsa_exception_int_div_zero 0
	.end_amdhsa_kernel
	.section	.text._Z39paged_attention_ll4mi_QKV_mfma16_kernelI14__hip_bfloat16S0_LN4vllm18Fp8KVCacheDataTypeE0EhLi32ELi64ELi256ELb1ELi5EEvPKT_PKT0_S8_ifPKiSA_SA_iPKfiiiPfSD_PS3_PT2_iSC_SC_,"axG",@progbits,_Z39paged_attention_ll4mi_QKV_mfma16_kernelI14__hip_bfloat16S0_LN4vllm18Fp8KVCacheDataTypeE0EhLi32ELi64ELi256ELb1ELi5EEvPKT_PKT0_S8_ifPKiSA_SA_iPKfiiiPfSD_PS3_PT2_iSC_SC_,comdat
.Lfunc_end502:
	.size	_Z39paged_attention_ll4mi_QKV_mfma16_kernelI14__hip_bfloat16S0_LN4vllm18Fp8KVCacheDataTypeE0EhLi32ELi64ELi256ELb1ELi5EEvPKT_PKT0_S8_ifPKiSA_SA_iPKfiiiPfSD_PS3_PT2_iSC_SC_, .Lfunc_end502-_Z39paged_attention_ll4mi_QKV_mfma16_kernelI14__hip_bfloat16S0_LN4vllm18Fp8KVCacheDataTypeE0EhLi32ELi64ELi256ELb1ELi5EEvPKT_PKT0_S8_ifPKiSA_SA_iPKfiiiPfSD_PS3_PT2_iSC_SC_
                                        ; -- End function
	.set _Z39paged_attention_ll4mi_QKV_mfma16_kernelI14__hip_bfloat16S0_LN4vllm18Fp8KVCacheDataTypeE0EhLi32ELi64ELi256ELb1ELi5EEvPKT_PKT0_S8_ifPKiSA_SA_iPKfiiiPfSD_PS3_PT2_iSC_SC_.num_vgpr, max(3, .L__assert_fail.num_vgpr)
	.set _Z39paged_attention_ll4mi_QKV_mfma16_kernelI14__hip_bfloat16S0_LN4vllm18Fp8KVCacheDataTypeE0EhLi32ELi64ELi256ELb1ELi5EEvPKT_PKT0_S8_ifPKiSA_SA_iPKfiiiPfSD_PS3_PT2_iSC_SC_.num_agpr, max(0, .L__assert_fail.num_agpr)
	.set _Z39paged_attention_ll4mi_QKV_mfma16_kernelI14__hip_bfloat16S0_LN4vllm18Fp8KVCacheDataTypeE0EhLi32ELi64ELi256ELb1ELi5EEvPKT_PKT0_S8_ifPKiSA_SA_iPKfiiiPfSD_PS3_PT2_iSC_SC_.numbered_sgpr, max(33, .L__assert_fail.numbered_sgpr)
	.set _Z39paged_attention_ll4mi_QKV_mfma16_kernelI14__hip_bfloat16S0_LN4vllm18Fp8KVCacheDataTypeE0EhLi32ELi64ELi256ELb1ELi5EEvPKT_PKT0_S8_ifPKiSA_SA_iPKfiiiPfSD_PS3_PT2_iSC_SC_.num_named_barrier, max(0, .L__assert_fail.num_named_barrier)
	.set _Z39paged_attention_ll4mi_QKV_mfma16_kernelI14__hip_bfloat16S0_LN4vllm18Fp8KVCacheDataTypeE0EhLi32ELi64ELi256ELb1ELi5EEvPKT_PKT0_S8_ifPKiSA_SA_iPKfiiiPfSD_PS3_PT2_iSC_SC_.private_seg_size, 0+max(.L__assert_fail.private_seg_size)
	.set _Z39paged_attention_ll4mi_QKV_mfma16_kernelI14__hip_bfloat16S0_LN4vllm18Fp8KVCacheDataTypeE0EhLi32ELi64ELi256ELb1ELi5EEvPKT_PKT0_S8_ifPKiSA_SA_iPKfiiiPfSD_PS3_PT2_iSC_SC_.uses_vcc, or(1, .L__assert_fail.uses_vcc)
	.set _Z39paged_attention_ll4mi_QKV_mfma16_kernelI14__hip_bfloat16S0_LN4vllm18Fp8KVCacheDataTypeE0EhLi32ELi64ELi256ELb1ELi5EEvPKT_PKT0_S8_ifPKiSA_SA_iPKfiiiPfSD_PS3_PT2_iSC_SC_.uses_flat_scratch, or(0, .L__assert_fail.uses_flat_scratch)
	.set _Z39paged_attention_ll4mi_QKV_mfma16_kernelI14__hip_bfloat16S0_LN4vllm18Fp8KVCacheDataTypeE0EhLi32ELi64ELi256ELb1ELi5EEvPKT_PKT0_S8_ifPKiSA_SA_iPKfiiiPfSD_PS3_PT2_iSC_SC_.has_dyn_sized_stack, or(0, .L__assert_fail.has_dyn_sized_stack)
	.set _Z39paged_attention_ll4mi_QKV_mfma16_kernelI14__hip_bfloat16S0_LN4vllm18Fp8KVCacheDataTypeE0EhLi32ELi64ELi256ELb1ELi5EEvPKT_PKT0_S8_ifPKiSA_SA_iPKfiiiPfSD_PS3_PT2_iSC_SC_.has_recursion, or(0, .L__assert_fail.has_recursion)
	.set _Z39paged_attention_ll4mi_QKV_mfma16_kernelI14__hip_bfloat16S0_LN4vllm18Fp8KVCacheDataTypeE0EhLi32ELi64ELi256ELb1ELi5EEvPKT_PKT0_S8_ifPKiSA_SA_iPKfiiiPfSD_PS3_PT2_iSC_SC_.has_indirect_call, or(0, .L__assert_fail.has_indirect_call)
	.section	.AMDGPU.csdata,"",@progbits
; Kernel info:
; codeLenInByte = 68
; TotalNumSgprs: 36
; NumVgprs: 51
; ScratchSize: 64
; MemoryBound: 0
; FloatMode: 240
; IeeeMode: 1
; LDSByteSize: 0 bytes/workgroup (compile time only)
; SGPRBlocks: 0
; VGPRBlocks: 3
; NumSGPRsForWavesPerEU: 36
; NumVGPRsForWavesPerEU: 51
; NamedBarCnt: 0
; Occupancy: 16
; WaveLimiterHint : 1
; COMPUTE_PGM_RSRC2:SCRATCH_EN: 1
; COMPUTE_PGM_RSRC2:USER_SGPR: 2
; COMPUTE_PGM_RSRC2:TRAP_HANDLER: 0
; COMPUTE_PGM_RSRC2:TGID_X_EN: 1
; COMPUTE_PGM_RSRC2:TGID_Y_EN: 0
; COMPUTE_PGM_RSRC2:TGID_Z_EN: 0
; COMPUTE_PGM_RSRC2:TIDIG_COMP_CNT: 0
	.section	.text._Z39paged_attention_ll4mi_QKV_mfma16_kernelI14__hip_bfloat16S0_LN4vllm18Fp8KVCacheDataTypeE0EhLi32ELi64ELi256ELb1ELi6EEvPKT_PKT0_S8_ifPKiSA_SA_iPKfiiiPfSD_PS3_PT2_iSC_SC_,"axG",@progbits,_Z39paged_attention_ll4mi_QKV_mfma16_kernelI14__hip_bfloat16S0_LN4vllm18Fp8KVCacheDataTypeE0EhLi32ELi64ELi256ELb1ELi6EEvPKT_PKT0_S8_ifPKiSA_SA_iPKfiiiPfSD_PS3_PT2_iSC_SC_,comdat
	.protected	_Z39paged_attention_ll4mi_QKV_mfma16_kernelI14__hip_bfloat16S0_LN4vllm18Fp8KVCacheDataTypeE0EhLi32ELi64ELi256ELb1ELi6EEvPKT_PKT0_S8_ifPKiSA_SA_iPKfiiiPfSD_PS3_PT2_iSC_SC_ ; -- Begin function _Z39paged_attention_ll4mi_QKV_mfma16_kernelI14__hip_bfloat16S0_LN4vllm18Fp8KVCacheDataTypeE0EhLi32ELi64ELi256ELb1ELi6EEvPKT_PKT0_S8_ifPKiSA_SA_iPKfiiiPfSD_PS3_PT2_iSC_SC_
	.globl	_Z39paged_attention_ll4mi_QKV_mfma16_kernelI14__hip_bfloat16S0_LN4vllm18Fp8KVCacheDataTypeE0EhLi32ELi64ELi256ELb1ELi6EEvPKT_PKT0_S8_ifPKiSA_SA_iPKfiiiPfSD_PS3_PT2_iSC_SC_
	.p2align	8
	.type	_Z39paged_attention_ll4mi_QKV_mfma16_kernelI14__hip_bfloat16S0_LN4vllm18Fp8KVCacheDataTypeE0EhLi32ELi64ELi256ELb1ELi6EEvPKT_PKT0_S8_ifPKiSA_SA_iPKfiiiPfSD_PS3_PT2_iSC_SC_,@function
_Z39paged_attention_ll4mi_QKV_mfma16_kernelI14__hip_bfloat16S0_LN4vllm18Fp8KVCacheDataTypeE0EhLi32ELi64ELi256ELb1ELi6EEvPKT_PKT0_S8_ifPKiSA_SA_iPKfiiiPfSD_PS3_PT2_iSC_SC_: ; @_Z39paged_attention_ll4mi_QKV_mfma16_kernelI14__hip_bfloat16S0_LN4vllm18Fp8KVCacheDataTypeE0EhLi32ELi64ELi256ELb1ELi6EEvPKT_PKT0_S8_ifPKiSA_SA_iPKfiiiPfSD_PS3_PT2_iSC_SC_
; %bb.0:
	s_get_pc_i64 s[2:3]
	s_add_nc_u64 s[2:3], s[2:3], __PRETTY_FUNCTION__._Z39paged_attention_ll4mi_QKV_mfma16_kernelI14__hip_bfloat16S0_LN4vllm18Fp8KVCacheDataTypeE0EhLi32ELi64ELi256ELb1ELi6EEvPKT_PKT0_S8_ifPKiSA_SA_iPKfiiiPfSD_PS3_PT2_iSC_SC_@rel64+4
	s_delay_alu instid0(SALU_CYCLE_1)
	v_dual_mov_b32 v0, 0xbb3 :: v_dual_mov_b32 v1, s2
	v_mov_b32_e32 v2, s3
	s_add_nc_u64 s[8:9], s[0:1], 0x90
	s_get_pc_i64 s[0:1]
	s_add_nc_u64 s[0:1], s[0:1], __assert_fail@rel64+4
	s_mov_b32 s32, 0
	s_swap_pc_i64 s[30:31], s[0:1]
	.section	.rodata,"a",@progbits
	.p2align	6, 0x0
	.amdhsa_kernel _Z39paged_attention_ll4mi_QKV_mfma16_kernelI14__hip_bfloat16S0_LN4vllm18Fp8KVCacheDataTypeE0EhLi32ELi64ELi256ELb1ELi6EEvPKT_PKT0_S8_ifPKiSA_SA_iPKfiiiPfSD_PS3_PT2_iSC_SC_
		.amdhsa_group_segment_fixed_size 0
		.amdhsa_private_segment_fixed_size 64
		.amdhsa_kernarg_size 400
		.amdhsa_user_sgpr_count 2
		.amdhsa_user_sgpr_dispatch_ptr 0
		.amdhsa_user_sgpr_queue_ptr 0
		.amdhsa_user_sgpr_kernarg_segment_ptr 1
		.amdhsa_user_sgpr_dispatch_id 0
		.amdhsa_user_sgpr_kernarg_preload_length 0
		.amdhsa_user_sgpr_kernarg_preload_offset 0
		.amdhsa_user_sgpr_private_segment_size 0
		.amdhsa_wavefront_size32 1
		.amdhsa_uses_dynamic_stack 0
		.amdhsa_enable_private_segment 1
		.amdhsa_system_sgpr_workgroup_id_x 1
		.amdhsa_system_sgpr_workgroup_id_y 0
		.amdhsa_system_sgpr_workgroup_id_z 0
		.amdhsa_system_sgpr_workgroup_info 0
		.amdhsa_system_vgpr_workitem_id 0
		.amdhsa_next_free_vgpr 51
		.amdhsa_next_free_sgpr 34
		.amdhsa_named_barrier_count 0
		.amdhsa_reserve_vcc 1
		.amdhsa_float_round_mode_32 0
		.amdhsa_float_round_mode_16_64 0
		.amdhsa_float_denorm_mode_32 3
		.amdhsa_float_denorm_mode_16_64 3
		.amdhsa_fp16_overflow 0
		.amdhsa_memory_ordered 1
		.amdhsa_forward_progress 1
		.amdhsa_inst_pref_size 1
		.amdhsa_round_robin_scheduling 0
		.amdhsa_exception_fp_ieee_invalid_op 0
		.amdhsa_exception_fp_denorm_src 0
		.amdhsa_exception_fp_ieee_div_zero 0
		.amdhsa_exception_fp_ieee_overflow 0
		.amdhsa_exception_fp_ieee_underflow 0
		.amdhsa_exception_fp_ieee_inexact 0
		.amdhsa_exception_int_div_zero 0
	.end_amdhsa_kernel
	.section	.text._Z39paged_attention_ll4mi_QKV_mfma16_kernelI14__hip_bfloat16S0_LN4vllm18Fp8KVCacheDataTypeE0EhLi32ELi64ELi256ELb1ELi6EEvPKT_PKT0_S8_ifPKiSA_SA_iPKfiiiPfSD_PS3_PT2_iSC_SC_,"axG",@progbits,_Z39paged_attention_ll4mi_QKV_mfma16_kernelI14__hip_bfloat16S0_LN4vllm18Fp8KVCacheDataTypeE0EhLi32ELi64ELi256ELb1ELi6EEvPKT_PKT0_S8_ifPKiSA_SA_iPKfiiiPfSD_PS3_PT2_iSC_SC_,comdat
.Lfunc_end503:
	.size	_Z39paged_attention_ll4mi_QKV_mfma16_kernelI14__hip_bfloat16S0_LN4vllm18Fp8KVCacheDataTypeE0EhLi32ELi64ELi256ELb1ELi6EEvPKT_PKT0_S8_ifPKiSA_SA_iPKfiiiPfSD_PS3_PT2_iSC_SC_, .Lfunc_end503-_Z39paged_attention_ll4mi_QKV_mfma16_kernelI14__hip_bfloat16S0_LN4vllm18Fp8KVCacheDataTypeE0EhLi32ELi64ELi256ELb1ELi6EEvPKT_PKT0_S8_ifPKiSA_SA_iPKfiiiPfSD_PS3_PT2_iSC_SC_
                                        ; -- End function
	.set _Z39paged_attention_ll4mi_QKV_mfma16_kernelI14__hip_bfloat16S0_LN4vllm18Fp8KVCacheDataTypeE0EhLi32ELi64ELi256ELb1ELi6EEvPKT_PKT0_S8_ifPKiSA_SA_iPKfiiiPfSD_PS3_PT2_iSC_SC_.num_vgpr, max(3, .L__assert_fail.num_vgpr)
	.set _Z39paged_attention_ll4mi_QKV_mfma16_kernelI14__hip_bfloat16S0_LN4vllm18Fp8KVCacheDataTypeE0EhLi32ELi64ELi256ELb1ELi6EEvPKT_PKT0_S8_ifPKiSA_SA_iPKfiiiPfSD_PS3_PT2_iSC_SC_.num_agpr, max(0, .L__assert_fail.num_agpr)
	.set _Z39paged_attention_ll4mi_QKV_mfma16_kernelI14__hip_bfloat16S0_LN4vllm18Fp8KVCacheDataTypeE0EhLi32ELi64ELi256ELb1ELi6EEvPKT_PKT0_S8_ifPKiSA_SA_iPKfiiiPfSD_PS3_PT2_iSC_SC_.numbered_sgpr, max(33, .L__assert_fail.numbered_sgpr)
	.set _Z39paged_attention_ll4mi_QKV_mfma16_kernelI14__hip_bfloat16S0_LN4vllm18Fp8KVCacheDataTypeE0EhLi32ELi64ELi256ELb1ELi6EEvPKT_PKT0_S8_ifPKiSA_SA_iPKfiiiPfSD_PS3_PT2_iSC_SC_.num_named_barrier, max(0, .L__assert_fail.num_named_barrier)
	.set _Z39paged_attention_ll4mi_QKV_mfma16_kernelI14__hip_bfloat16S0_LN4vllm18Fp8KVCacheDataTypeE0EhLi32ELi64ELi256ELb1ELi6EEvPKT_PKT0_S8_ifPKiSA_SA_iPKfiiiPfSD_PS3_PT2_iSC_SC_.private_seg_size, 0+max(.L__assert_fail.private_seg_size)
	.set _Z39paged_attention_ll4mi_QKV_mfma16_kernelI14__hip_bfloat16S0_LN4vllm18Fp8KVCacheDataTypeE0EhLi32ELi64ELi256ELb1ELi6EEvPKT_PKT0_S8_ifPKiSA_SA_iPKfiiiPfSD_PS3_PT2_iSC_SC_.uses_vcc, or(1, .L__assert_fail.uses_vcc)
	.set _Z39paged_attention_ll4mi_QKV_mfma16_kernelI14__hip_bfloat16S0_LN4vllm18Fp8KVCacheDataTypeE0EhLi32ELi64ELi256ELb1ELi6EEvPKT_PKT0_S8_ifPKiSA_SA_iPKfiiiPfSD_PS3_PT2_iSC_SC_.uses_flat_scratch, or(0, .L__assert_fail.uses_flat_scratch)
	.set _Z39paged_attention_ll4mi_QKV_mfma16_kernelI14__hip_bfloat16S0_LN4vllm18Fp8KVCacheDataTypeE0EhLi32ELi64ELi256ELb1ELi6EEvPKT_PKT0_S8_ifPKiSA_SA_iPKfiiiPfSD_PS3_PT2_iSC_SC_.has_dyn_sized_stack, or(0, .L__assert_fail.has_dyn_sized_stack)
	.set _Z39paged_attention_ll4mi_QKV_mfma16_kernelI14__hip_bfloat16S0_LN4vllm18Fp8KVCacheDataTypeE0EhLi32ELi64ELi256ELb1ELi6EEvPKT_PKT0_S8_ifPKiSA_SA_iPKfiiiPfSD_PS3_PT2_iSC_SC_.has_recursion, or(0, .L__assert_fail.has_recursion)
	.set _Z39paged_attention_ll4mi_QKV_mfma16_kernelI14__hip_bfloat16S0_LN4vllm18Fp8KVCacheDataTypeE0EhLi32ELi64ELi256ELb1ELi6EEvPKT_PKT0_S8_ifPKiSA_SA_iPKfiiiPfSD_PS3_PT2_iSC_SC_.has_indirect_call, or(0, .L__assert_fail.has_indirect_call)
	.section	.AMDGPU.csdata,"",@progbits
; Kernel info:
; codeLenInByte = 68
; TotalNumSgprs: 36
; NumVgprs: 51
; ScratchSize: 64
; MemoryBound: 0
; FloatMode: 240
; IeeeMode: 1
; LDSByteSize: 0 bytes/workgroup (compile time only)
; SGPRBlocks: 0
; VGPRBlocks: 3
; NumSGPRsForWavesPerEU: 36
; NumVGPRsForWavesPerEU: 51
; NamedBarCnt: 0
; Occupancy: 16
; WaveLimiterHint : 1
; COMPUTE_PGM_RSRC2:SCRATCH_EN: 1
; COMPUTE_PGM_RSRC2:USER_SGPR: 2
; COMPUTE_PGM_RSRC2:TRAP_HANDLER: 0
; COMPUTE_PGM_RSRC2:TGID_X_EN: 1
; COMPUTE_PGM_RSRC2:TGID_Y_EN: 0
; COMPUTE_PGM_RSRC2:TGID_Z_EN: 0
; COMPUTE_PGM_RSRC2:TIDIG_COMP_CNT: 0
	.section	.text._Z39paged_attention_ll4mi_QKV_mfma16_kernelI14__hip_bfloat16S0_LN4vllm18Fp8KVCacheDataTypeE0EhLi32ELi64ELi256ELb1ELi7EEvPKT_PKT0_S8_ifPKiSA_SA_iPKfiiiPfSD_PS3_PT2_iSC_SC_,"axG",@progbits,_Z39paged_attention_ll4mi_QKV_mfma16_kernelI14__hip_bfloat16S0_LN4vllm18Fp8KVCacheDataTypeE0EhLi32ELi64ELi256ELb1ELi7EEvPKT_PKT0_S8_ifPKiSA_SA_iPKfiiiPfSD_PS3_PT2_iSC_SC_,comdat
	.protected	_Z39paged_attention_ll4mi_QKV_mfma16_kernelI14__hip_bfloat16S0_LN4vllm18Fp8KVCacheDataTypeE0EhLi32ELi64ELi256ELb1ELi7EEvPKT_PKT0_S8_ifPKiSA_SA_iPKfiiiPfSD_PS3_PT2_iSC_SC_ ; -- Begin function _Z39paged_attention_ll4mi_QKV_mfma16_kernelI14__hip_bfloat16S0_LN4vllm18Fp8KVCacheDataTypeE0EhLi32ELi64ELi256ELb1ELi7EEvPKT_PKT0_S8_ifPKiSA_SA_iPKfiiiPfSD_PS3_PT2_iSC_SC_
	.globl	_Z39paged_attention_ll4mi_QKV_mfma16_kernelI14__hip_bfloat16S0_LN4vllm18Fp8KVCacheDataTypeE0EhLi32ELi64ELi256ELb1ELi7EEvPKT_PKT0_S8_ifPKiSA_SA_iPKfiiiPfSD_PS3_PT2_iSC_SC_
	.p2align	8
	.type	_Z39paged_attention_ll4mi_QKV_mfma16_kernelI14__hip_bfloat16S0_LN4vllm18Fp8KVCacheDataTypeE0EhLi32ELi64ELi256ELb1ELi7EEvPKT_PKT0_S8_ifPKiSA_SA_iPKfiiiPfSD_PS3_PT2_iSC_SC_,@function
_Z39paged_attention_ll4mi_QKV_mfma16_kernelI14__hip_bfloat16S0_LN4vllm18Fp8KVCacheDataTypeE0EhLi32ELi64ELi256ELb1ELi7EEvPKT_PKT0_S8_ifPKiSA_SA_iPKfiiiPfSD_PS3_PT2_iSC_SC_: ; @_Z39paged_attention_ll4mi_QKV_mfma16_kernelI14__hip_bfloat16S0_LN4vllm18Fp8KVCacheDataTypeE0EhLi32ELi64ELi256ELb1ELi7EEvPKT_PKT0_S8_ifPKiSA_SA_iPKfiiiPfSD_PS3_PT2_iSC_SC_
; %bb.0:
	s_get_pc_i64 s[2:3]
	s_add_nc_u64 s[2:3], s[2:3], __PRETTY_FUNCTION__._Z39paged_attention_ll4mi_QKV_mfma16_kernelI14__hip_bfloat16S0_LN4vllm18Fp8KVCacheDataTypeE0EhLi32ELi64ELi256ELb1ELi7EEvPKT_PKT0_S8_ifPKiSA_SA_iPKfiiiPfSD_PS3_PT2_iSC_SC_@rel64+4
	s_delay_alu instid0(SALU_CYCLE_1)
	v_dual_mov_b32 v0, 0xbb3 :: v_dual_mov_b32 v1, s2
	v_mov_b32_e32 v2, s3
	s_add_nc_u64 s[8:9], s[0:1], 0x90
	s_get_pc_i64 s[0:1]
	s_add_nc_u64 s[0:1], s[0:1], __assert_fail@rel64+4
	s_mov_b32 s32, 0
	s_swap_pc_i64 s[30:31], s[0:1]
	.section	.rodata,"a",@progbits
	.p2align	6, 0x0
	.amdhsa_kernel _Z39paged_attention_ll4mi_QKV_mfma16_kernelI14__hip_bfloat16S0_LN4vllm18Fp8KVCacheDataTypeE0EhLi32ELi64ELi256ELb1ELi7EEvPKT_PKT0_S8_ifPKiSA_SA_iPKfiiiPfSD_PS3_PT2_iSC_SC_
		.amdhsa_group_segment_fixed_size 0
		.amdhsa_private_segment_fixed_size 64
		.amdhsa_kernarg_size 400
		.amdhsa_user_sgpr_count 2
		.amdhsa_user_sgpr_dispatch_ptr 0
		.amdhsa_user_sgpr_queue_ptr 0
		.amdhsa_user_sgpr_kernarg_segment_ptr 1
		.amdhsa_user_sgpr_dispatch_id 0
		.amdhsa_user_sgpr_kernarg_preload_length 0
		.amdhsa_user_sgpr_kernarg_preload_offset 0
		.amdhsa_user_sgpr_private_segment_size 0
		.amdhsa_wavefront_size32 1
		.amdhsa_uses_dynamic_stack 0
		.amdhsa_enable_private_segment 1
		.amdhsa_system_sgpr_workgroup_id_x 1
		.amdhsa_system_sgpr_workgroup_id_y 0
		.amdhsa_system_sgpr_workgroup_id_z 0
		.amdhsa_system_sgpr_workgroup_info 0
		.amdhsa_system_vgpr_workitem_id 0
		.amdhsa_next_free_vgpr 51
		.amdhsa_next_free_sgpr 34
		.amdhsa_named_barrier_count 0
		.amdhsa_reserve_vcc 1
		.amdhsa_float_round_mode_32 0
		.amdhsa_float_round_mode_16_64 0
		.amdhsa_float_denorm_mode_32 3
		.amdhsa_float_denorm_mode_16_64 3
		.amdhsa_fp16_overflow 0
		.amdhsa_memory_ordered 1
		.amdhsa_forward_progress 1
		.amdhsa_inst_pref_size 1
		.amdhsa_round_robin_scheduling 0
		.amdhsa_exception_fp_ieee_invalid_op 0
		.amdhsa_exception_fp_denorm_src 0
		.amdhsa_exception_fp_ieee_div_zero 0
		.amdhsa_exception_fp_ieee_overflow 0
		.amdhsa_exception_fp_ieee_underflow 0
		.amdhsa_exception_fp_ieee_inexact 0
		.amdhsa_exception_int_div_zero 0
	.end_amdhsa_kernel
	.section	.text._Z39paged_attention_ll4mi_QKV_mfma16_kernelI14__hip_bfloat16S0_LN4vllm18Fp8KVCacheDataTypeE0EhLi32ELi64ELi256ELb1ELi7EEvPKT_PKT0_S8_ifPKiSA_SA_iPKfiiiPfSD_PS3_PT2_iSC_SC_,"axG",@progbits,_Z39paged_attention_ll4mi_QKV_mfma16_kernelI14__hip_bfloat16S0_LN4vllm18Fp8KVCacheDataTypeE0EhLi32ELi64ELi256ELb1ELi7EEvPKT_PKT0_S8_ifPKiSA_SA_iPKfiiiPfSD_PS3_PT2_iSC_SC_,comdat
.Lfunc_end504:
	.size	_Z39paged_attention_ll4mi_QKV_mfma16_kernelI14__hip_bfloat16S0_LN4vllm18Fp8KVCacheDataTypeE0EhLi32ELi64ELi256ELb1ELi7EEvPKT_PKT0_S8_ifPKiSA_SA_iPKfiiiPfSD_PS3_PT2_iSC_SC_, .Lfunc_end504-_Z39paged_attention_ll4mi_QKV_mfma16_kernelI14__hip_bfloat16S0_LN4vllm18Fp8KVCacheDataTypeE0EhLi32ELi64ELi256ELb1ELi7EEvPKT_PKT0_S8_ifPKiSA_SA_iPKfiiiPfSD_PS3_PT2_iSC_SC_
                                        ; -- End function
	.set _Z39paged_attention_ll4mi_QKV_mfma16_kernelI14__hip_bfloat16S0_LN4vllm18Fp8KVCacheDataTypeE0EhLi32ELi64ELi256ELb1ELi7EEvPKT_PKT0_S8_ifPKiSA_SA_iPKfiiiPfSD_PS3_PT2_iSC_SC_.num_vgpr, max(3, .L__assert_fail.num_vgpr)
	.set _Z39paged_attention_ll4mi_QKV_mfma16_kernelI14__hip_bfloat16S0_LN4vllm18Fp8KVCacheDataTypeE0EhLi32ELi64ELi256ELb1ELi7EEvPKT_PKT0_S8_ifPKiSA_SA_iPKfiiiPfSD_PS3_PT2_iSC_SC_.num_agpr, max(0, .L__assert_fail.num_agpr)
	.set _Z39paged_attention_ll4mi_QKV_mfma16_kernelI14__hip_bfloat16S0_LN4vllm18Fp8KVCacheDataTypeE0EhLi32ELi64ELi256ELb1ELi7EEvPKT_PKT0_S8_ifPKiSA_SA_iPKfiiiPfSD_PS3_PT2_iSC_SC_.numbered_sgpr, max(33, .L__assert_fail.numbered_sgpr)
	.set _Z39paged_attention_ll4mi_QKV_mfma16_kernelI14__hip_bfloat16S0_LN4vllm18Fp8KVCacheDataTypeE0EhLi32ELi64ELi256ELb1ELi7EEvPKT_PKT0_S8_ifPKiSA_SA_iPKfiiiPfSD_PS3_PT2_iSC_SC_.num_named_barrier, max(0, .L__assert_fail.num_named_barrier)
	.set _Z39paged_attention_ll4mi_QKV_mfma16_kernelI14__hip_bfloat16S0_LN4vllm18Fp8KVCacheDataTypeE0EhLi32ELi64ELi256ELb1ELi7EEvPKT_PKT0_S8_ifPKiSA_SA_iPKfiiiPfSD_PS3_PT2_iSC_SC_.private_seg_size, 0+max(.L__assert_fail.private_seg_size)
	.set _Z39paged_attention_ll4mi_QKV_mfma16_kernelI14__hip_bfloat16S0_LN4vllm18Fp8KVCacheDataTypeE0EhLi32ELi64ELi256ELb1ELi7EEvPKT_PKT0_S8_ifPKiSA_SA_iPKfiiiPfSD_PS3_PT2_iSC_SC_.uses_vcc, or(1, .L__assert_fail.uses_vcc)
	.set _Z39paged_attention_ll4mi_QKV_mfma16_kernelI14__hip_bfloat16S0_LN4vllm18Fp8KVCacheDataTypeE0EhLi32ELi64ELi256ELb1ELi7EEvPKT_PKT0_S8_ifPKiSA_SA_iPKfiiiPfSD_PS3_PT2_iSC_SC_.uses_flat_scratch, or(0, .L__assert_fail.uses_flat_scratch)
	.set _Z39paged_attention_ll4mi_QKV_mfma16_kernelI14__hip_bfloat16S0_LN4vllm18Fp8KVCacheDataTypeE0EhLi32ELi64ELi256ELb1ELi7EEvPKT_PKT0_S8_ifPKiSA_SA_iPKfiiiPfSD_PS3_PT2_iSC_SC_.has_dyn_sized_stack, or(0, .L__assert_fail.has_dyn_sized_stack)
	.set _Z39paged_attention_ll4mi_QKV_mfma16_kernelI14__hip_bfloat16S0_LN4vllm18Fp8KVCacheDataTypeE0EhLi32ELi64ELi256ELb1ELi7EEvPKT_PKT0_S8_ifPKiSA_SA_iPKfiiiPfSD_PS3_PT2_iSC_SC_.has_recursion, or(0, .L__assert_fail.has_recursion)
	.set _Z39paged_attention_ll4mi_QKV_mfma16_kernelI14__hip_bfloat16S0_LN4vllm18Fp8KVCacheDataTypeE0EhLi32ELi64ELi256ELb1ELi7EEvPKT_PKT0_S8_ifPKiSA_SA_iPKfiiiPfSD_PS3_PT2_iSC_SC_.has_indirect_call, or(0, .L__assert_fail.has_indirect_call)
	.section	.AMDGPU.csdata,"",@progbits
; Kernel info:
; codeLenInByte = 68
; TotalNumSgprs: 36
; NumVgprs: 51
; ScratchSize: 64
; MemoryBound: 0
; FloatMode: 240
; IeeeMode: 1
; LDSByteSize: 0 bytes/workgroup (compile time only)
; SGPRBlocks: 0
; VGPRBlocks: 3
; NumSGPRsForWavesPerEU: 36
; NumVGPRsForWavesPerEU: 51
; NamedBarCnt: 0
; Occupancy: 16
; WaveLimiterHint : 1
; COMPUTE_PGM_RSRC2:SCRATCH_EN: 1
; COMPUTE_PGM_RSRC2:USER_SGPR: 2
; COMPUTE_PGM_RSRC2:TRAP_HANDLER: 0
; COMPUTE_PGM_RSRC2:TGID_X_EN: 1
; COMPUTE_PGM_RSRC2:TGID_Y_EN: 0
; COMPUTE_PGM_RSRC2:TGID_Z_EN: 0
; COMPUTE_PGM_RSRC2:TIDIG_COMP_CNT: 0
	.section	.text._Z39paged_attention_ll4mi_QKV_mfma16_kernelI14__hip_bfloat16S0_LN4vllm18Fp8KVCacheDataTypeE0EhLi32ELi64ELi256ELb1ELi8EEvPKT_PKT0_S8_ifPKiSA_SA_iPKfiiiPfSD_PS3_PT2_iSC_SC_,"axG",@progbits,_Z39paged_attention_ll4mi_QKV_mfma16_kernelI14__hip_bfloat16S0_LN4vllm18Fp8KVCacheDataTypeE0EhLi32ELi64ELi256ELb1ELi8EEvPKT_PKT0_S8_ifPKiSA_SA_iPKfiiiPfSD_PS3_PT2_iSC_SC_,comdat
	.protected	_Z39paged_attention_ll4mi_QKV_mfma16_kernelI14__hip_bfloat16S0_LN4vllm18Fp8KVCacheDataTypeE0EhLi32ELi64ELi256ELb1ELi8EEvPKT_PKT0_S8_ifPKiSA_SA_iPKfiiiPfSD_PS3_PT2_iSC_SC_ ; -- Begin function _Z39paged_attention_ll4mi_QKV_mfma16_kernelI14__hip_bfloat16S0_LN4vllm18Fp8KVCacheDataTypeE0EhLi32ELi64ELi256ELb1ELi8EEvPKT_PKT0_S8_ifPKiSA_SA_iPKfiiiPfSD_PS3_PT2_iSC_SC_
	.globl	_Z39paged_attention_ll4mi_QKV_mfma16_kernelI14__hip_bfloat16S0_LN4vllm18Fp8KVCacheDataTypeE0EhLi32ELi64ELi256ELb1ELi8EEvPKT_PKT0_S8_ifPKiSA_SA_iPKfiiiPfSD_PS3_PT2_iSC_SC_
	.p2align	8
	.type	_Z39paged_attention_ll4mi_QKV_mfma16_kernelI14__hip_bfloat16S0_LN4vllm18Fp8KVCacheDataTypeE0EhLi32ELi64ELi256ELb1ELi8EEvPKT_PKT0_S8_ifPKiSA_SA_iPKfiiiPfSD_PS3_PT2_iSC_SC_,@function
_Z39paged_attention_ll4mi_QKV_mfma16_kernelI14__hip_bfloat16S0_LN4vllm18Fp8KVCacheDataTypeE0EhLi32ELi64ELi256ELb1ELi8EEvPKT_PKT0_S8_ifPKiSA_SA_iPKfiiiPfSD_PS3_PT2_iSC_SC_: ; @_Z39paged_attention_ll4mi_QKV_mfma16_kernelI14__hip_bfloat16S0_LN4vllm18Fp8KVCacheDataTypeE0EhLi32ELi64ELi256ELb1ELi8EEvPKT_PKT0_S8_ifPKiSA_SA_iPKfiiiPfSD_PS3_PT2_iSC_SC_
; %bb.0:
	s_get_pc_i64 s[2:3]
	s_add_nc_u64 s[2:3], s[2:3], __PRETTY_FUNCTION__._Z39paged_attention_ll4mi_QKV_mfma16_kernelI14__hip_bfloat16S0_LN4vllm18Fp8KVCacheDataTypeE0EhLi32ELi64ELi256ELb1ELi8EEvPKT_PKT0_S8_ifPKiSA_SA_iPKfiiiPfSD_PS3_PT2_iSC_SC_@rel64+4
	s_delay_alu instid0(SALU_CYCLE_1)
	v_dual_mov_b32 v0, 0xbb3 :: v_dual_mov_b32 v1, s2
	v_mov_b32_e32 v2, s3
	s_add_nc_u64 s[8:9], s[0:1], 0x90
	s_get_pc_i64 s[0:1]
	s_add_nc_u64 s[0:1], s[0:1], __assert_fail@rel64+4
	s_mov_b32 s32, 0
	s_swap_pc_i64 s[30:31], s[0:1]
	.section	.rodata,"a",@progbits
	.p2align	6, 0x0
	.amdhsa_kernel _Z39paged_attention_ll4mi_QKV_mfma16_kernelI14__hip_bfloat16S0_LN4vllm18Fp8KVCacheDataTypeE0EhLi32ELi64ELi256ELb1ELi8EEvPKT_PKT0_S8_ifPKiSA_SA_iPKfiiiPfSD_PS3_PT2_iSC_SC_
		.amdhsa_group_segment_fixed_size 0
		.amdhsa_private_segment_fixed_size 64
		.amdhsa_kernarg_size 400
		.amdhsa_user_sgpr_count 2
		.amdhsa_user_sgpr_dispatch_ptr 0
		.amdhsa_user_sgpr_queue_ptr 0
		.amdhsa_user_sgpr_kernarg_segment_ptr 1
		.amdhsa_user_sgpr_dispatch_id 0
		.amdhsa_user_sgpr_kernarg_preload_length 0
		.amdhsa_user_sgpr_kernarg_preload_offset 0
		.amdhsa_user_sgpr_private_segment_size 0
		.amdhsa_wavefront_size32 1
		.amdhsa_uses_dynamic_stack 0
		.amdhsa_enable_private_segment 1
		.amdhsa_system_sgpr_workgroup_id_x 1
		.amdhsa_system_sgpr_workgroup_id_y 0
		.amdhsa_system_sgpr_workgroup_id_z 0
		.amdhsa_system_sgpr_workgroup_info 0
		.amdhsa_system_vgpr_workitem_id 0
		.amdhsa_next_free_vgpr 51
		.amdhsa_next_free_sgpr 34
		.amdhsa_named_barrier_count 0
		.amdhsa_reserve_vcc 1
		.amdhsa_float_round_mode_32 0
		.amdhsa_float_round_mode_16_64 0
		.amdhsa_float_denorm_mode_32 3
		.amdhsa_float_denorm_mode_16_64 3
		.amdhsa_fp16_overflow 0
		.amdhsa_memory_ordered 1
		.amdhsa_forward_progress 1
		.amdhsa_inst_pref_size 1
		.amdhsa_round_robin_scheduling 0
		.amdhsa_exception_fp_ieee_invalid_op 0
		.amdhsa_exception_fp_denorm_src 0
		.amdhsa_exception_fp_ieee_div_zero 0
		.amdhsa_exception_fp_ieee_overflow 0
		.amdhsa_exception_fp_ieee_underflow 0
		.amdhsa_exception_fp_ieee_inexact 0
		.amdhsa_exception_int_div_zero 0
	.end_amdhsa_kernel
	.section	.text._Z39paged_attention_ll4mi_QKV_mfma16_kernelI14__hip_bfloat16S0_LN4vllm18Fp8KVCacheDataTypeE0EhLi32ELi64ELi256ELb1ELi8EEvPKT_PKT0_S8_ifPKiSA_SA_iPKfiiiPfSD_PS3_PT2_iSC_SC_,"axG",@progbits,_Z39paged_attention_ll4mi_QKV_mfma16_kernelI14__hip_bfloat16S0_LN4vllm18Fp8KVCacheDataTypeE0EhLi32ELi64ELi256ELb1ELi8EEvPKT_PKT0_S8_ifPKiSA_SA_iPKfiiiPfSD_PS3_PT2_iSC_SC_,comdat
.Lfunc_end505:
	.size	_Z39paged_attention_ll4mi_QKV_mfma16_kernelI14__hip_bfloat16S0_LN4vllm18Fp8KVCacheDataTypeE0EhLi32ELi64ELi256ELb1ELi8EEvPKT_PKT0_S8_ifPKiSA_SA_iPKfiiiPfSD_PS3_PT2_iSC_SC_, .Lfunc_end505-_Z39paged_attention_ll4mi_QKV_mfma16_kernelI14__hip_bfloat16S0_LN4vllm18Fp8KVCacheDataTypeE0EhLi32ELi64ELi256ELb1ELi8EEvPKT_PKT0_S8_ifPKiSA_SA_iPKfiiiPfSD_PS3_PT2_iSC_SC_
                                        ; -- End function
	.set _Z39paged_attention_ll4mi_QKV_mfma16_kernelI14__hip_bfloat16S0_LN4vllm18Fp8KVCacheDataTypeE0EhLi32ELi64ELi256ELb1ELi8EEvPKT_PKT0_S8_ifPKiSA_SA_iPKfiiiPfSD_PS3_PT2_iSC_SC_.num_vgpr, max(3, .L__assert_fail.num_vgpr)
	.set _Z39paged_attention_ll4mi_QKV_mfma16_kernelI14__hip_bfloat16S0_LN4vllm18Fp8KVCacheDataTypeE0EhLi32ELi64ELi256ELb1ELi8EEvPKT_PKT0_S8_ifPKiSA_SA_iPKfiiiPfSD_PS3_PT2_iSC_SC_.num_agpr, max(0, .L__assert_fail.num_agpr)
	.set _Z39paged_attention_ll4mi_QKV_mfma16_kernelI14__hip_bfloat16S0_LN4vllm18Fp8KVCacheDataTypeE0EhLi32ELi64ELi256ELb1ELi8EEvPKT_PKT0_S8_ifPKiSA_SA_iPKfiiiPfSD_PS3_PT2_iSC_SC_.numbered_sgpr, max(33, .L__assert_fail.numbered_sgpr)
	.set _Z39paged_attention_ll4mi_QKV_mfma16_kernelI14__hip_bfloat16S0_LN4vllm18Fp8KVCacheDataTypeE0EhLi32ELi64ELi256ELb1ELi8EEvPKT_PKT0_S8_ifPKiSA_SA_iPKfiiiPfSD_PS3_PT2_iSC_SC_.num_named_barrier, max(0, .L__assert_fail.num_named_barrier)
	.set _Z39paged_attention_ll4mi_QKV_mfma16_kernelI14__hip_bfloat16S0_LN4vllm18Fp8KVCacheDataTypeE0EhLi32ELi64ELi256ELb1ELi8EEvPKT_PKT0_S8_ifPKiSA_SA_iPKfiiiPfSD_PS3_PT2_iSC_SC_.private_seg_size, 0+max(.L__assert_fail.private_seg_size)
	.set _Z39paged_attention_ll4mi_QKV_mfma16_kernelI14__hip_bfloat16S0_LN4vllm18Fp8KVCacheDataTypeE0EhLi32ELi64ELi256ELb1ELi8EEvPKT_PKT0_S8_ifPKiSA_SA_iPKfiiiPfSD_PS3_PT2_iSC_SC_.uses_vcc, or(1, .L__assert_fail.uses_vcc)
	.set _Z39paged_attention_ll4mi_QKV_mfma16_kernelI14__hip_bfloat16S0_LN4vllm18Fp8KVCacheDataTypeE0EhLi32ELi64ELi256ELb1ELi8EEvPKT_PKT0_S8_ifPKiSA_SA_iPKfiiiPfSD_PS3_PT2_iSC_SC_.uses_flat_scratch, or(0, .L__assert_fail.uses_flat_scratch)
	.set _Z39paged_attention_ll4mi_QKV_mfma16_kernelI14__hip_bfloat16S0_LN4vllm18Fp8KVCacheDataTypeE0EhLi32ELi64ELi256ELb1ELi8EEvPKT_PKT0_S8_ifPKiSA_SA_iPKfiiiPfSD_PS3_PT2_iSC_SC_.has_dyn_sized_stack, or(0, .L__assert_fail.has_dyn_sized_stack)
	.set _Z39paged_attention_ll4mi_QKV_mfma16_kernelI14__hip_bfloat16S0_LN4vllm18Fp8KVCacheDataTypeE0EhLi32ELi64ELi256ELb1ELi8EEvPKT_PKT0_S8_ifPKiSA_SA_iPKfiiiPfSD_PS3_PT2_iSC_SC_.has_recursion, or(0, .L__assert_fail.has_recursion)
	.set _Z39paged_attention_ll4mi_QKV_mfma16_kernelI14__hip_bfloat16S0_LN4vllm18Fp8KVCacheDataTypeE0EhLi32ELi64ELi256ELb1ELi8EEvPKT_PKT0_S8_ifPKiSA_SA_iPKfiiiPfSD_PS3_PT2_iSC_SC_.has_indirect_call, or(0, .L__assert_fail.has_indirect_call)
	.section	.AMDGPU.csdata,"",@progbits
; Kernel info:
; codeLenInByte = 68
; TotalNumSgprs: 36
; NumVgprs: 51
; ScratchSize: 64
; MemoryBound: 0
; FloatMode: 240
; IeeeMode: 1
; LDSByteSize: 0 bytes/workgroup (compile time only)
; SGPRBlocks: 0
; VGPRBlocks: 3
; NumSGPRsForWavesPerEU: 36
; NumVGPRsForWavesPerEU: 51
; NamedBarCnt: 0
; Occupancy: 16
; WaveLimiterHint : 1
; COMPUTE_PGM_RSRC2:SCRATCH_EN: 1
; COMPUTE_PGM_RSRC2:USER_SGPR: 2
; COMPUTE_PGM_RSRC2:TRAP_HANDLER: 0
; COMPUTE_PGM_RSRC2:TGID_X_EN: 1
; COMPUTE_PGM_RSRC2:TGID_Y_EN: 0
; COMPUTE_PGM_RSRC2:TGID_Z_EN: 0
; COMPUTE_PGM_RSRC2:TIDIG_COMP_CNT: 0
	.section	.text._Z39paged_attention_ll4mi_QKV_mfma16_kernelI14__hip_bfloat16S0_LN4vllm18Fp8KVCacheDataTypeE0EhLi32ELi64ELi256ELb1ELi9EEvPKT_PKT0_S8_ifPKiSA_SA_iPKfiiiPfSD_PS3_PT2_iSC_SC_,"axG",@progbits,_Z39paged_attention_ll4mi_QKV_mfma16_kernelI14__hip_bfloat16S0_LN4vllm18Fp8KVCacheDataTypeE0EhLi32ELi64ELi256ELb1ELi9EEvPKT_PKT0_S8_ifPKiSA_SA_iPKfiiiPfSD_PS3_PT2_iSC_SC_,comdat
	.protected	_Z39paged_attention_ll4mi_QKV_mfma16_kernelI14__hip_bfloat16S0_LN4vllm18Fp8KVCacheDataTypeE0EhLi32ELi64ELi256ELb1ELi9EEvPKT_PKT0_S8_ifPKiSA_SA_iPKfiiiPfSD_PS3_PT2_iSC_SC_ ; -- Begin function _Z39paged_attention_ll4mi_QKV_mfma16_kernelI14__hip_bfloat16S0_LN4vllm18Fp8KVCacheDataTypeE0EhLi32ELi64ELi256ELb1ELi9EEvPKT_PKT0_S8_ifPKiSA_SA_iPKfiiiPfSD_PS3_PT2_iSC_SC_
	.globl	_Z39paged_attention_ll4mi_QKV_mfma16_kernelI14__hip_bfloat16S0_LN4vllm18Fp8KVCacheDataTypeE0EhLi32ELi64ELi256ELb1ELi9EEvPKT_PKT0_S8_ifPKiSA_SA_iPKfiiiPfSD_PS3_PT2_iSC_SC_
	.p2align	8
	.type	_Z39paged_attention_ll4mi_QKV_mfma16_kernelI14__hip_bfloat16S0_LN4vllm18Fp8KVCacheDataTypeE0EhLi32ELi64ELi256ELb1ELi9EEvPKT_PKT0_S8_ifPKiSA_SA_iPKfiiiPfSD_PS3_PT2_iSC_SC_,@function
_Z39paged_attention_ll4mi_QKV_mfma16_kernelI14__hip_bfloat16S0_LN4vllm18Fp8KVCacheDataTypeE0EhLi32ELi64ELi256ELb1ELi9EEvPKT_PKT0_S8_ifPKiSA_SA_iPKfiiiPfSD_PS3_PT2_iSC_SC_: ; @_Z39paged_attention_ll4mi_QKV_mfma16_kernelI14__hip_bfloat16S0_LN4vllm18Fp8KVCacheDataTypeE0EhLi32ELi64ELi256ELb1ELi9EEvPKT_PKT0_S8_ifPKiSA_SA_iPKfiiiPfSD_PS3_PT2_iSC_SC_
; %bb.0:
	s_get_pc_i64 s[2:3]
	s_add_nc_u64 s[2:3], s[2:3], __PRETTY_FUNCTION__._Z39paged_attention_ll4mi_QKV_mfma16_kernelI14__hip_bfloat16S0_LN4vllm18Fp8KVCacheDataTypeE0EhLi32ELi64ELi256ELb1ELi9EEvPKT_PKT0_S8_ifPKiSA_SA_iPKfiiiPfSD_PS3_PT2_iSC_SC_@rel64+4
	s_delay_alu instid0(SALU_CYCLE_1)
	v_dual_mov_b32 v0, 0xbb3 :: v_dual_mov_b32 v1, s2
	v_mov_b32_e32 v2, s3
	s_add_nc_u64 s[8:9], s[0:1], 0x90
	s_get_pc_i64 s[0:1]
	s_add_nc_u64 s[0:1], s[0:1], __assert_fail@rel64+4
	s_mov_b32 s32, 0
	s_swap_pc_i64 s[30:31], s[0:1]
	.section	.rodata,"a",@progbits
	.p2align	6, 0x0
	.amdhsa_kernel _Z39paged_attention_ll4mi_QKV_mfma16_kernelI14__hip_bfloat16S0_LN4vllm18Fp8KVCacheDataTypeE0EhLi32ELi64ELi256ELb1ELi9EEvPKT_PKT0_S8_ifPKiSA_SA_iPKfiiiPfSD_PS3_PT2_iSC_SC_
		.amdhsa_group_segment_fixed_size 0
		.amdhsa_private_segment_fixed_size 64
		.amdhsa_kernarg_size 400
		.amdhsa_user_sgpr_count 2
		.amdhsa_user_sgpr_dispatch_ptr 0
		.amdhsa_user_sgpr_queue_ptr 0
		.amdhsa_user_sgpr_kernarg_segment_ptr 1
		.amdhsa_user_sgpr_dispatch_id 0
		.amdhsa_user_sgpr_kernarg_preload_length 0
		.amdhsa_user_sgpr_kernarg_preload_offset 0
		.amdhsa_user_sgpr_private_segment_size 0
		.amdhsa_wavefront_size32 1
		.amdhsa_uses_dynamic_stack 0
		.amdhsa_enable_private_segment 1
		.amdhsa_system_sgpr_workgroup_id_x 1
		.amdhsa_system_sgpr_workgroup_id_y 0
		.amdhsa_system_sgpr_workgroup_id_z 0
		.amdhsa_system_sgpr_workgroup_info 0
		.amdhsa_system_vgpr_workitem_id 0
		.amdhsa_next_free_vgpr 51
		.amdhsa_next_free_sgpr 34
		.amdhsa_named_barrier_count 0
		.amdhsa_reserve_vcc 1
		.amdhsa_float_round_mode_32 0
		.amdhsa_float_round_mode_16_64 0
		.amdhsa_float_denorm_mode_32 3
		.amdhsa_float_denorm_mode_16_64 3
		.amdhsa_fp16_overflow 0
		.amdhsa_memory_ordered 1
		.amdhsa_forward_progress 1
		.amdhsa_inst_pref_size 1
		.amdhsa_round_robin_scheduling 0
		.amdhsa_exception_fp_ieee_invalid_op 0
		.amdhsa_exception_fp_denorm_src 0
		.amdhsa_exception_fp_ieee_div_zero 0
		.amdhsa_exception_fp_ieee_overflow 0
		.amdhsa_exception_fp_ieee_underflow 0
		.amdhsa_exception_fp_ieee_inexact 0
		.amdhsa_exception_int_div_zero 0
	.end_amdhsa_kernel
	.section	.text._Z39paged_attention_ll4mi_QKV_mfma16_kernelI14__hip_bfloat16S0_LN4vllm18Fp8KVCacheDataTypeE0EhLi32ELi64ELi256ELb1ELi9EEvPKT_PKT0_S8_ifPKiSA_SA_iPKfiiiPfSD_PS3_PT2_iSC_SC_,"axG",@progbits,_Z39paged_attention_ll4mi_QKV_mfma16_kernelI14__hip_bfloat16S0_LN4vllm18Fp8KVCacheDataTypeE0EhLi32ELi64ELi256ELb1ELi9EEvPKT_PKT0_S8_ifPKiSA_SA_iPKfiiiPfSD_PS3_PT2_iSC_SC_,comdat
.Lfunc_end506:
	.size	_Z39paged_attention_ll4mi_QKV_mfma16_kernelI14__hip_bfloat16S0_LN4vllm18Fp8KVCacheDataTypeE0EhLi32ELi64ELi256ELb1ELi9EEvPKT_PKT0_S8_ifPKiSA_SA_iPKfiiiPfSD_PS3_PT2_iSC_SC_, .Lfunc_end506-_Z39paged_attention_ll4mi_QKV_mfma16_kernelI14__hip_bfloat16S0_LN4vllm18Fp8KVCacheDataTypeE0EhLi32ELi64ELi256ELb1ELi9EEvPKT_PKT0_S8_ifPKiSA_SA_iPKfiiiPfSD_PS3_PT2_iSC_SC_
                                        ; -- End function
	.set _Z39paged_attention_ll4mi_QKV_mfma16_kernelI14__hip_bfloat16S0_LN4vllm18Fp8KVCacheDataTypeE0EhLi32ELi64ELi256ELb1ELi9EEvPKT_PKT0_S8_ifPKiSA_SA_iPKfiiiPfSD_PS3_PT2_iSC_SC_.num_vgpr, max(3, .L__assert_fail.num_vgpr)
	.set _Z39paged_attention_ll4mi_QKV_mfma16_kernelI14__hip_bfloat16S0_LN4vllm18Fp8KVCacheDataTypeE0EhLi32ELi64ELi256ELb1ELi9EEvPKT_PKT0_S8_ifPKiSA_SA_iPKfiiiPfSD_PS3_PT2_iSC_SC_.num_agpr, max(0, .L__assert_fail.num_agpr)
	.set _Z39paged_attention_ll4mi_QKV_mfma16_kernelI14__hip_bfloat16S0_LN4vllm18Fp8KVCacheDataTypeE0EhLi32ELi64ELi256ELb1ELi9EEvPKT_PKT0_S8_ifPKiSA_SA_iPKfiiiPfSD_PS3_PT2_iSC_SC_.numbered_sgpr, max(33, .L__assert_fail.numbered_sgpr)
	.set _Z39paged_attention_ll4mi_QKV_mfma16_kernelI14__hip_bfloat16S0_LN4vllm18Fp8KVCacheDataTypeE0EhLi32ELi64ELi256ELb1ELi9EEvPKT_PKT0_S8_ifPKiSA_SA_iPKfiiiPfSD_PS3_PT2_iSC_SC_.num_named_barrier, max(0, .L__assert_fail.num_named_barrier)
	.set _Z39paged_attention_ll4mi_QKV_mfma16_kernelI14__hip_bfloat16S0_LN4vllm18Fp8KVCacheDataTypeE0EhLi32ELi64ELi256ELb1ELi9EEvPKT_PKT0_S8_ifPKiSA_SA_iPKfiiiPfSD_PS3_PT2_iSC_SC_.private_seg_size, 0+max(.L__assert_fail.private_seg_size)
	.set _Z39paged_attention_ll4mi_QKV_mfma16_kernelI14__hip_bfloat16S0_LN4vllm18Fp8KVCacheDataTypeE0EhLi32ELi64ELi256ELb1ELi9EEvPKT_PKT0_S8_ifPKiSA_SA_iPKfiiiPfSD_PS3_PT2_iSC_SC_.uses_vcc, or(1, .L__assert_fail.uses_vcc)
	.set _Z39paged_attention_ll4mi_QKV_mfma16_kernelI14__hip_bfloat16S0_LN4vllm18Fp8KVCacheDataTypeE0EhLi32ELi64ELi256ELb1ELi9EEvPKT_PKT0_S8_ifPKiSA_SA_iPKfiiiPfSD_PS3_PT2_iSC_SC_.uses_flat_scratch, or(0, .L__assert_fail.uses_flat_scratch)
	.set _Z39paged_attention_ll4mi_QKV_mfma16_kernelI14__hip_bfloat16S0_LN4vllm18Fp8KVCacheDataTypeE0EhLi32ELi64ELi256ELb1ELi9EEvPKT_PKT0_S8_ifPKiSA_SA_iPKfiiiPfSD_PS3_PT2_iSC_SC_.has_dyn_sized_stack, or(0, .L__assert_fail.has_dyn_sized_stack)
	.set _Z39paged_attention_ll4mi_QKV_mfma16_kernelI14__hip_bfloat16S0_LN4vllm18Fp8KVCacheDataTypeE0EhLi32ELi64ELi256ELb1ELi9EEvPKT_PKT0_S8_ifPKiSA_SA_iPKfiiiPfSD_PS3_PT2_iSC_SC_.has_recursion, or(0, .L__assert_fail.has_recursion)
	.set _Z39paged_attention_ll4mi_QKV_mfma16_kernelI14__hip_bfloat16S0_LN4vllm18Fp8KVCacheDataTypeE0EhLi32ELi64ELi256ELb1ELi9EEvPKT_PKT0_S8_ifPKiSA_SA_iPKfiiiPfSD_PS3_PT2_iSC_SC_.has_indirect_call, or(0, .L__assert_fail.has_indirect_call)
	.section	.AMDGPU.csdata,"",@progbits
; Kernel info:
; codeLenInByte = 68
; TotalNumSgprs: 36
; NumVgprs: 51
; ScratchSize: 64
; MemoryBound: 0
; FloatMode: 240
; IeeeMode: 1
; LDSByteSize: 0 bytes/workgroup (compile time only)
; SGPRBlocks: 0
; VGPRBlocks: 3
; NumSGPRsForWavesPerEU: 36
; NumVGPRsForWavesPerEU: 51
; NamedBarCnt: 0
; Occupancy: 16
; WaveLimiterHint : 1
; COMPUTE_PGM_RSRC2:SCRATCH_EN: 1
; COMPUTE_PGM_RSRC2:USER_SGPR: 2
; COMPUTE_PGM_RSRC2:TRAP_HANDLER: 0
; COMPUTE_PGM_RSRC2:TGID_X_EN: 1
; COMPUTE_PGM_RSRC2:TGID_Y_EN: 0
; COMPUTE_PGM_RSRC2:TGID_Z_EN: 0
; COMPUTE_PGM_RSRC2:TIDIG_COMP_CNT: 0
	.section	.text._Z39paged_attention_ll4mi_QKV_mfma16_kernelI14__hip_bfloat16S0_LN4vllm18Fp8KVCacheDataTypeE0EhLi32ELi64ELi256ELb1ELi10EEvPKT_PKT0_S8_ifPKiSA_SA_iPKfiiiPfSD_PS3_PT2_iSC_SC_,"axG",@progbits,_Z39paged_attention_ll4mi_QKV_mfma16_kernelI14__hip_bfloat16S0_LN4vllm18Fp8KVCacheDataTypeE0EhLi32ELi64ELi256ELb1ELi10EEvPKT_PKT0_S8_ifPKiSA_SA_iPKfiiiPfSD_PS3_PT2_iSC_SC_,comdat
	.protected	_Z39paged_attention_ll4mi_QKV_mfma16_kernelI14__hip_bfloat16S0_LN4vllm18Fp8KVCacheDataTypeE0EhLi32ELi64ELi256ELb1ELi10EEvPKT_PKT0_S8_ifPKiSA_SA_iPKfiiiPfSD_PS3_PT2_iSC_SC_ ; -- Begin function _Z39paged_attention_ll4mi_QKV_mfma16_kernelI14__hip_bfloat16S0_LN4vllm18Fp8KVCacheDataTypeE0EhLi32ELi64ELi256ELb1ELi10EEvPKT_PKT0_S8_ifPKiSA_SA_iPKfiiiPfSD_PS3_PT2_iSC_SC_
	.globl	_Z39paged_attention_ll4mi_QKV_mfma16_kernelI14__hip_bfloat16S0_LN4vllm18Fp8KVCacheDataTypeE0EhLi32ELi64ELi256ELb1ELi10EEvPKT_PKT0_S8_ifPKiSA_SA_iPKfiiiPfSD_PS3_PT2_iSC_SC_
	.p2align	8
	.type	_Z39paged_attention_ll4mi_QKV_mfma16_kernelI14__hip_bfloat16S0_LN4vllm18Fp8KVCacheDataTypeE0EhLi32ELi64ELi256ELb1ELi10EEvPKT_PKT0_S8_ifPKiSA_SA_iPKfiiiPfSD_PS3_PT2_iSC_SC_,@function
_Z39paged_attention_ll4mi_QKV_mfma16_kernelI14__hip_bfloat16S0_LN4vllm18Fp8KVCacheDataTypeE0EhLi32ELi64ELi256ELb1ELi10EEvPKT_PKT0_S8_ifPKiSA_SA_iPKfiiiPfSD_PS3_PT2_iSC_SC_: ; @_Z39paged_attention_ll4mi_QKV_mfma16_kernelI14__hip_bfloat16S0_LN4vllm18Fp8KVCacheDataTypeE0EhLi32ELi64ELi256ELb1ELi10EEvPKT_PKT0_S8_ifPKiSA_SA_iPKfiiiPfSD_PS3_PT2_iSC_SC_
; %bb.0:
	s_get_pc_i64 s[2:3]
	s_add_nc_u64 s[2:3], s[2:3], __PRETTY_FUNCTION__._Z39paged_attention_ll4mi_QKV_mfma16_kernelI14__hip_bfloat16S0_LN4vllm18Fp8KVCacheDataTypeE0EhLi32ELi64ELi256ELb1ELi10EEvPKT_PKT0_S8_ifPKiSA_SA_iPKfiiiPfSD_PS3_PT2_iSC_SC_@rel64+4
	s_delay_alu instid0(SALU_CYCLE_1)
	v_dual_mov_b32 v0, 0xbb3 :: v_dual_mov_b32 v1, s2
	v_mov_b32_e32 v2, s3
	s_add_nc_u64 s[8:9], s[0:1], 0x90
	s_get_pc_i64 s[0:1]
	s_add_nc_u64 s[0:1], s[0:1], __assert_fail@rel64+4
	s_mov_b32 s32, 0
	s_swap_pc_i64 s[30:31], s[0:1]
	.section	.rodata,"a",@progbits
	.p2align	6, 0x0
	.amdhsa_kernel _Z39paged_attention_ll4mi_QKV_mfma16_kernelI14__hip_bfloat16S0_LN4vllm18Fp8KVCacheDataTypeE0EhLi32ELi64ELi256ELb1ELi10EEvPKT_PKT0_S8_ifPKiSA_SA_iPKfiiiPfSD_PS3_PT2_iSC_SC_
		.amdhsa_group_segment_fixed_size 0
		.amdhsa_private_segment_fixed_size 64
		.amdhsa_kernarg_size 400
		.amdhsa_user_sgpr_count 2
		.amdhsa_user_sgpr_dispatch_ptr 0
		.amdhsa_user_sgpr_queue_ptr 0
		.amdhsa_user_sgpr_kernarg_segment_ptr 1
		.amdhsa_user_sgpr_dispatch_id 0
		.amdhsa_user_sgpr_kernarg_preload_length 0
		.amdhsa_user_sgpr_kernarg_preload_offset 0
		.amdhsa_user_sgpr_private_segment_size 0
		.amdhsa_wavefront_size32 1
		.amdhsa_uses_dynamic_stack 0
		.amdhsa_enable_private_segment 1
		.amdhsa_system_sgpr_workgroup_id_x 1
		.amdhsa_system_sgpr_workgroup_id_y 0
		.amdhsa_system_sgpr_workgroup_id_z 0
		.amdhsa_system_sgpr_workgroup_info 0
		.amdhsa_system_vgpr_workitem_id 0
		.amdhsa_next_free_vgpr 51
		.amdhsa_next_free_sgpr 34
		.amdhsa_named_barrier_count 0
		.amdhsa_reserve_vcc 1
		.amdhsa_float_round_mode_32 0
		.amdhsa_float_round_mode_16_64 0
		.amdhsa_float_denorm_mode_32 3
		.amdhsa_float_denorm_mode_16_64 3
		.amdhsa_fp16_overflow 0
		.amdhsa_memory_ordered 1
		.amdhsa_forward_progress 1
		.amdhsa_inst_pref_size 1
		.amdhsa_round_robin_scheduling 0
		.amdhsa_exception_fp_ieee_invalid_op 0
		.amdhsa_exception_fp_denorm_src 0
		.amdhsa_exception_fp_ieee_div_zero 0
		.amdhsa_exception_fp_ieee_overflow 0
		.amdhsa_exception_fp_ieee_underflow 0
		.amdhsa_exception_fp_ieee_inexact 0
		.amdhsa_exception_int_div_zero 0
	.end_amdhsa_kernel
	.section	.text._Z39paged_attention_ll4mi_QKV_mfma16_kernelI14__hip_bfloat16S0_LN4vllm18Fp8KVCacheDataTypeE0EhLi32ELi64ELi256ELb1ELi10EEvPKT_PKT0_S8_ifPKiSA_SA_iPKfiiiPfSD_PS3_PT2_iSC_SC_,"axG",@progbits,_Z39paged_attention_ll4mi_QKV_mfma16_kernelI14__hip_bfloat16S0_LN4vllm18Fp8KVCacheDataTypeE0EhLi32ELi64ELi256ELb1ELi10EEvPKT_PKT0_S8_ifPKiSA_SA_iPKfiiiPfSD_PS3_PT2_iSC_SC_,comdat
.Lfunc_end507:
	.size	_Z39paged_attention_ll4mi_QKV_mfma16_kernelI14__hip_bfloat16S0_LN4vllm18Fp8KVCacheDataTypeE0EhLi32ELi64ELi256ELb1ELi10EEvPKT_PKT0_S8_ifPKiSA_SA_iPKfiiiPfSD_PS3_PT2_iSC_SC_, .Lfunc_end507-_Z39paged_attention_ll4mi_QKV_mfma16_kernelI14__hip_bfloat16S0_LN4vllm18Fp8KVCacheDataTypeE0EhLi32ELi64ELi256ELb1ELi10EEvPKT_PKT0_S8_ifPKiSA_SA_iPKfiiiPfSD_PS3_PT2_iSC_SC_
                                        ; -- End function
	.set _Z39paged_attention_ll4mi_QKV_mfma16_kernelI14__hip_bfloat16S0_LN4vllm18Fp8KVCacheDataTypeE0EhLi32ELi64ELi256ELb1ELi10EEvPKT_PKT0_S8_ifPKiSA_SA_iPKfiiiPfSD_PS3_PT2_iSC_SC_.num_vgpr, max(3, .L__assert_fail.num_vgpr)
	.set _Z39paged_attention_ll4mi_QKV_mfma16_kernelI14__hip_bfloat16S0_LN4vllm18Fp8KVCacheDataTypeE0EhLi32ELi64ELi256ELb1ELi10EEvPKT_PKT0_S8_ifPKiSA_SA_iPKfiiiPfSD_PS3_PT2_iSC_SC_.num_agpr, max(0, .L__assert_fail.num_agpr)
	.set _Z39paged_attention_ll4mi_QKV_mfma16_kernelI14__hip_bfloat16S0_LN4vllm18Fp8KVCacheDataTypeE0EhLi32ELi64ELi256ELb1ELi10EEvPKT_PKT0_S8_ifPKiSA_SA_iPKfiiiPfSD_PS3_PT2_iSC_SC_.numbered_sgpr, max(33, .L__assert_fail.numbered_sgpr)
	.set _Z39paged_attention_ll4mi_QKV_mfma16_kernelI14__hip_bfloat16S0_LN4vllm18Fp8KVCacheDataTypeE0EhLi32ELi64ELi256ELb1ELi10EEvPKT_PKT0_S8_ifPKiSA_SA_iPKfiiiPfSD_PS3_PT2_iSC_SC_.num_named_barrier, max(0, .L__assert_fail.num_named_barrier)
	.set _Z39paged_attention_ll4mi_QKV_mfma16_kernelI14__hip_bfloat16S0_LN4vllm18Fp8KVCacheDataTypeE0EhLi32ELi64ELi256ELb1ELi10EEvPKT_PKT0_S8_ifPKiSA_SA_iPKfiiiPfSD_PS3_PT2_iSC_SC_.private_seg_size, 0+max(.L__assert_fail.private_seg_size)
	.set _Z39paged_attention_ll4mi_QKV_mfma16_kernelI14__hip_bfloat16S0_LN4vllm18Fp8KVCacheDataTypeE0EhLi32ELi64ELi256ELb1ELi10EEvPKT_PKT0_S8_ifPKiSA_SA_iPKfiiiPfSD_PS3_PT2_iSC_SC_.uses_vcc, or(1, .L__assert_fail.uses_vcc)
	.set _Z39paged_attention_ll4mi_QKV_mfma16_kernelI14__hip_bfloat16S0_LN4vllm18Fp8KVCacheDataTypeE0EhLi32ELi64ELi256ELb1ELi10EEvPKT_PKT0_S8_ifPKiSA_SA_iPKfiiiPfSD_PS3_PT2_iSC_SC_.uses_flat_scratch, or(0, .L__assert_fail.uses_flat_scratch)
	.set _Z39paged_attention_ll4mi_QKV_mfma16_kernelI14__hip_bfloat16S0_LN4vllm18Fp8KVCacheDataTypeE0EhLi32ELi64ELi256ELb1ELi10EEvPKT_PKT0_S8_ifPKiSA_SA_iPKfiiiPfSD_PS3_PT2_iSC_SC_.has_dyn_sized_stack, or(0, .L__assert_fail.has_dyn_sized_stack)
	.set _Z39paged_attention_ll4mi_QKV_mfma16_kernelI14__hip_bfloat16S0_LN4vllm18Fp8KVCacheDataTypeE0EhLi32ELi64ELi256ELb1ELi10EEvPKT_PKT0_S8_ifPKiSA_SA_iPKfiiiPfSD_PS3_PT2_iSC_SC_.has_recursion, or(0, .L__assert_fail.has_recursion)
	.set _Z39paged_attention_ll4mi_QKV_mfma16_kernelI14__hip_bfloat16S0_LN4vllm18Fp8KVCacheDataTypeE0EhLi32ELi64ELi256ELb1ELi10EEvPKT_PKT0_S8_ifPKiSA_SA_iPKfiiiPfSD_PS3_PT2_iSC_SC_.has_indirect_call, or(0, .L__assert_fail.has_indirect_call)
	.section	.AMDGPU.csdata,"",@progbits
; Kernel info:
; codeLenInByte = 68
; TotalNumSgprs: 36
; NumVgprs: 51
; ScratchSize: 64
; MemoryBound: 0
; FloatMode: 240
; IeeeMode: 1
; LDSByteSize: 0 bytes/workgroup (compile time only)
; SGPRBlocks: 0
; VGPRBlocks: 3
; NumSGPRsForWavesPerEU: 36
; NumVGPRsForWavesPerEU: 51
; NamedBarCnt: 0
; Occupancy: 16
; WaveLimiterHint : 1
; COMPUTE_PGM_RSRC2:SCRATCH_EN: 1
; COMPUTE_PGM_RSRC2:USER_SGPR: 2
; COMPUTE_PGM_RSRC2:TRAP_HANDLER: 0
; COMPUTE_PGM_RSRC2:TGID_X_EN: 1
; COMPUTE_PGM_RSRC2:TGID_Y_EN: 0
; COMPUTE_PGM_RSRC2:TGID_Z_EN: 0
; COMPUTE_PGM_RSRC2:TIDIG_COMP_CNT: 0
	.section	.text._Z39paged_attention_ll4mi_QKV_mfma16_kernelI14__hip_bfloat16S0_LN4vllm18Fp8KVCacheDataTypeE0EhLi32ELi64ELi256ELb1ELi11EEvPKT_PKT0_S8_ifPKiSA_SA_iPKfiiiPfSD_PS3_PT2_iSC_SC_,"axG",@progbits,_Z39paged_attention_ll4mi_QKV_mfma16_kernelI14__hip_bfloat16S0_LN4vllm18Fp8KVCacheDataTypeE0EhLi32ELi64ELi256ELb1ELi11EEvPKT_PKT0_S8_ifPKiSA_SA_iPKfiiiPfSD_PS3_PT2_iSC_SC_,comdat
	.protected	_Z39paged_attention_ll4mi_QKV_mfma16_kernelI14__hip_bfloat16S0_LN4vllm18Fp8KVCacheDataTypeE0EhLi32ELi64ELi256ELb1ELi11EEvPKT_PKT0_S8_ifPKiSA_SA_iPKfiiiPfSD_PS3_PT2_iSC_SC_ ; -- Begin function _Z39paged_attention_ll4mi_QKV_mfma16_kernelI14__hip_bfloat16S0_LN4vllm18Fp8KVCacheDataTypeE0EhLi32ELi64ELi256ELb1ELi11EEvPKT_PKT0_S8_ifPKiSA_SA_iPKfiiiPfSD_PS3_PT2_iSC_SC_
	.globl	_Z39paged_attention_ll4mi_QKV_mfma16_kernelI14__hip_bfloat16S0_LN4vllm18Fp8KVCacheDataTypeE0EhLi32ELi64ELi256ELb1ELi11EEvPKT_PKT0_S8_ifPKiSA_SA_iPKfiiiPfSD_PS3_PT2_iSC_SC_
	.p2align	8
	.type	_Z39paged_attention_ll4mi_QKV_mfma16_kernelI14__hip_bfloat16S0_LN4vllm18Fp8KVCacheDataTypeE0EhLi32ELi64ELi256ELb1ELi11EEvPKT_PKT0_S8_ifPKiSA_SA_iPKfiiiPfSD_PS3_PT2_iSC_SC_,@function
_Z39paged_attention_ll4mi_QKV_mfma16_kernelI14__hip_bfloat16S0_LN4vllm18Fp8KVCacheDataTypeE0EhLi32ELi64ELi256ELb1ELi11EEvPKT_PKT0_S8_ifPKiSA_SA_iPKfiiiPfSD_PS3_PT2_iSC_SC_: ; @_Z39paged_attention_ll4mi_QKV_mfma16_kernelI14__hip_bfloat16S0_LN4vllm18Fp8KVCacheDataTypeE0EhLi32ELi64ELi256ELb1ELi11EEvPKT_PKT0_S8_ifPKiSA_SA_iPKfiiiPfSD_PS3_PT2_iSC_SC_
; %bb.0:
	s_get_pc_i64 s[2:3]
	s_add_nc_u64 s[2:3], s[2:3], __PRETTY_FUNCTION__._Z39paged_attention_ll4mi_QKV_mfma16_kernelI14__hip_bfloat16S0_LN4vllm18Fp8KVCacheDataTypeE0EhLi32ELi64ELi256ELb1ELi11EEvPKT_PKT0_S8_ifPKiSA_SA_iPKfiiiPfSD_PS3_PT2_iSC_SC_@rel64+4
	s_delay_alu instid0(SALU_CYCLE_1)
	v_dual_mov_b32 v0, 0xbb3 :: v_dual_mov_b32 v1, s2
	v_mov_b32_e32 v2, s3
	s_add_nc_u64 s[8:9], s[0:1], 0x90
	s_get_pc_i64 s[0:1]
	s_add_nc_u64 s[0:1], s[0:1], __assert_fail@rel64+4
	s_mov_b32 s32, 0
	s_swap_pc_i64 s[30:31], s[0:1]
	.section	.rodata,"a",@progbits
	.p2align	6, 0x0
	.amdhsa_kernel _Z39paged_attention_ll4mi_QKV_mfma16_kernelI14__hip_bfloat16S0_LN4vllm18Fp8KVCacheDataTypeE0EhLi32ELi64ELi256ELb1ELi11EEvPKT_PKT0_S8_ifPKiSA_SA_iPKfiiiPfSD_PS3_PT2_iSC_SC_
		.amdhsa_group_segment_fixed_size 0
		.amdhsa_private_segment_fixed_size 64
		.amdhsa_kernarg_size 400
		.amdhsa_user_sgpr_count 2
		.amdhsa_user_sgpr_dispatch_ptr 0
		.amdhsa_user_sgpr_queue_ptr 0
		.amdhsa_user_sgpr_kernarg_segment_ptr 1
		.amdhsa_user_sgpr_dispatch_id 0
		.amdhsa_user_sgpr_kernarg_preload_length 0
		.amdhsa_user_sgpr_kernarg_preload_offset 0
		.amdhsa_user_sgpr_private_segment_size 0
		.amdhsa_wavefront_size32 1
		.amdhsa_uses_dynamic_stack 0
		.amdhsa_enable_private_segment 1
		.amdhsa_system_sgpr_workgroup_id_x 1
		.amdhsa_system_sgpr_workgroup_id_y 0
		.amdhsa_system_sgpr_workgroup_id_z 0
		.amdhsa_system_sgpr_workgroup_info 0
		.amdhsa_system_vgpr_workitem_id 0
		.amdhsa_next_free_vgpr 51
		.amdhsa_next_free_sgpr 34
		.amdhsa_named_barrier_count 0
		.amdhsa_reserve_vcc 1
		.amdhsa_float_round_mode_32 0
		.amdhsa_float_round_mode_16_64 0
		.amdhsa_float_denorm_mode_32 3
		.amdhsa_float_denorm_mode_16_64 3
		.amdhsa_fp16_overflow 0
		.amdhsa_memory_ordered 1
		.amdhsa_forward_progress 1
		.amdhsa_inst_pref_size 1
		.amdhsa_round_robin_scheduling 0
		.amdhsa_exception_fp_ieee_invalid_op 0
		.amdhsa_exception_fp_denorm_src 0
		.amdhsa_exception_fp_ieee_div_zero 0
		.amdhsa_exception_fp_ieee_overflow 0
		.amdhsa_exception_fp_ieee_underflow 0
		.amdhsa_exception_fp_ieee_inexact 0
		.amdhsa_exception_int_div_zero 0
	.end_amdhsa_kernel
	.section	.text._Z39paged_attention_ll4mi_QKV_mfma16_kernelI14__hip_bfloat16S0_LN4vllm18Fp8KVCacheDataTypeE0EhLi32ELi64ELi256ELb1ELi11EEvPKT_PKT0_S8_ifPKiSA_SA_iPKfiiiPfSD_PS3_PT2_iSC_SC_,"axG",@progbits,_Z39paged_attention_ll4mi_QKV_mfma16_kernelI14__hip_bfloat16S0_LN4vllm18Fp8KVCacheDataTypeE0EhLi32ELi64ELi256ELb1ELi11EEvPKT_PKT0_S8_ifPKiSA_SA_iPKfiiiPfSD_PS3_PT2_iSC_SC_,comdat
.Lfunc_end508:
	.size	_Z39paged_attention_ll4mi_QKV_mfma16_kernelI14__hip_bfloat16S0_LN4vllm18Fp8KVCacheDataTypeE0EhLi32ELi64ELi256ELb1ELi11EEvPKT_PKT0_S8_ifPKiSA_SA_iPKfiiiPfSD_PS3_PT2_iSC_SC_, .Lfunc_end508-_Z39paged_attention_ll4mi_QKV_mfma16_kernelI14__hip_bfloat16S0_LN4vllm18Fp8KVCacheDataTypeE0EhLi32ELi64ELi256ELb1ELi11EEvPKT_PKT0_S8_ifPKiSA_SA_iPKfiiiPfSD_PS3_PT2_iSC_SC_
                                        ; -- End function
	.set _Z39paged_attention_ll4mi_QKV_mfma16_kernelI14__hip_bfloat16S0_LN4vllm18Fp8KVCacheDataTypeE0EhLi32ELi64ELi256ELb1ELi11EEvPKT_PKT0_S8_ifPKiSA_SA_iPKfiiiPfSD_PS3_PT2_iSC_SC_.num_vgpr, max(3, .L__assert_fail.num_vgpr)
	.set _Z39paged_attention_ll4mi_QKV_mfma16_kernelI14__hip_bfloat16S0_LN4vllm18Fp8KVCacheDataTypeE0EhLi32ELi64ELi256ELb1ELi11EEvPKT_PKT0_S8_ifPKiSA_SA_iPKfiiiPfSD_PS3_PT2_iSC_SC_.num_agpr, max(0, .L__assert_fail.num_agpr)
	.set _Z39paged_attention_ll4mi_QKV_mfma16_kernelI14__hip_bfloat16S0_LN4vllm18Fp8KVCacheDataTypeE0EhLi32ELi64ELi256ELb1ELi11EEvPKT_PKT0_S8_ifPKiSA_SA_iPKfiiiPfSD_PS3_PT2_iSC_SC_.numbered_sgpr, max(33, .L__assert_fail.numbered_sgpr)
	.set _Z39paged_attention_ll4mi_QKV_mfma16_kernelI14__hip_bfloat16S0_LN4vllm18Fp8KVCacheDataTypeE0EhLi32ELi64ELi256ELb1ELi11EEvPKT_PKT0_S8_ifPKiSA_SA_iPKfiiiPfSD_PS3_PT2_iSC_SC_.num_named_barrier, max(0, .L__assert_fail.num_named_barrier)
	.set _Z39paged_attention_ll4mi_QKV_mfma16_kernelI14__hip_bfloat16S0_LN4vllm18Fp8KVCacheDataTypeE0EhLi32ELi64ELi256ELb1ELi11EEvPKT_PKT0_S8_ifPKiSA_SA_iPKfiiiPfSD_PS3_PT2_iSC_SC_.private_seg_size, 0+max(.L__assert_fail.private_seg_size)
	.set _Z39paged_attention_ll4mi_QKV_mfma16_kernelI14__hip_bfloat16S0_LN4vllm18Fp8KVCacheDataTypeE0EhLi32ELi64ELi256ELb1ELi11EEvPKT_PKT0_S8_ifPKiSA_SA_iPKfiiiPfSD_PS3_PT2_iSC_SC_.uses_vcc, or(1, .L__assert_fail.uses_vcc)
	.set _Z39paged_attention_ll4mi_QKV_mfma16_kernelI14__hip_bfloat16S0_LN4vllm18Fp8KVCacheDataTypeE0EhLi32ELi64ELi256ELb1ELi11EEvPKT_PKT0_S8_ifPKiSA_SA_iPKfiiiPfSD_PS3_PT2_iSC_SC_.uses_flat_scratch, or(0, .L__assert_fail.uses_flat_scratch)
	.set _Z39paged_attention_ll4mi_QKV_mfma16_kernelI14__hip_bfloat16S0_LN4vllm18Fp8KVCacheDataTypeE0EhLi32ELi64ELi256ELb1ELi11EEvPKT_PKT0_S8_ifPKiSA_SA_iPKfiiiPfSD_PS3_PT2_iSC_SC_.has_dyn_sized_stack, or(0, .L__assert_fail.has_dyn_sized_stack)
	.set _Z39paged_attention_ll4mi_QKV_mfma16_kernelI14__hip_bfloat16S0_LN4vllm18Fp8KVCacheDataTypeE0EhLi32ELi64ELi256ELb1ELi11EEvPKT_PKT0_S8_ifPKiSA_SA_iPKfiiiPfSD_PS3_PT2_iSC_SC_.has_recursion, or(0, .L__assert_fail.has_recursion)
	.set _Z39paged_attention_ll4mi_QKV_mfma16_kernelI14__hip_bfloat16S0_LN4vllm18Fp8KVCacheDataTypeE0EhLi32ELi64ELi256ELb1ELi11EEvPKT_PKT0_S8_ifPKiSA_SA_iPKfiiiPfSD_PS3_PT2_iSC_SC_.has_indirect_call, or(0, .L__assert_fail.has_indirect_call)
	.section	.AMDGPU.csdata,"",@progbits
; Kernel info:
; codeLenInByte = 68
; TotalNumSgprs: 36
; NumVgprs: 51
; ScratchSize: 64
; MemoryBound: 0
; FloatMode: 240
; IeeeMode: 1
; LDSByteSize: 0 bytes/workgroup (compile time only)
; SGPRBlocks: 0
; VGPRBlocks: 3
; NumSGPRsForWavesPerEU: 36
; NumVGPRsForWavesPerEU: 51
; NamedBarCnt: 0
; Occupancy: 16
; WaveLimiterHint : 1
; COMPUTE_PGM_RSRC2:SCRATCH_EN: 1
; COMPUTE_PGM_RSRC2:USER_SGPR: 2
; COMPUTE_PGM_RSRC2:TRAP_HANDLER: 0
; COMPUTE_PGM_RSRC2:TGID_X_EN: 1
; COMPUTE_PGM_RSRC2:TGID_Y_EN: 0
; COMPUTE_PGM_RSRC2:TGID_Z_EN: 0
; COMPUTE_PGM_RSRC2:TIDIG_COMP_CNT: 0
	.section	.text._Z39paged_attention_ll4mi_QKV_mfma16_kernelI14__hip_bfloat16S0_LN4vllm18Fp8KVCacheDataTypeE0EhLi32ELi64ELi256ELb1ELi12EEvPKT_PKT0_S8_ifPKiSA_SA_iPKfiiiPfSD_PS3_PT2_iSC_SC_,"axG",@progbits,_Z39paged_attention_ll4mi_QKV_mfma16_kernelI14__hip_bfloat16S0_LN4vllm18Fp8KVCacheDataTypeE0EhLi32ELi64ELi256ELb1ELi12EEvPKT_PKT0_S8_ifPKiSA_SA_iPKfiiiPfSD_PS3_PT2_iSC_SC_,comdat
	.protected	_Z39paged_attention_ll4mi_QKV_mfma16_kernelI14__hip_bfloat16S0_LN4vllm18Fp8KVCacheDataTypeE0EhLi32ELi64ELi256ELb1ELi12EEvPKT_PKT0_S8_ifPKiSA_SA_iPKfiiiPfSD_PS3_PT2_iSC_SC_ ; -- Begin function _Z39paged_attention_ll4mi_QKV_mfma16_kernelI14__hip_bfloat16S0_LN4vllm18Fp8KVCacheDataTypeE0EhLi32ELi64ELi256ELb1ELi12EEvPKT_PKT0_S8_ifPKiSA_SA_iPKfiiiPfSD_PS3_PT2_iSC_SC_
	.globl	_Z39paged_attention_ll4mi_QKV_mfma16_kernelI14__hip_bfloat16S0_LN4vllm18Fp8KVCacheDataTypeE0EhLi32ELi64ELi256ELb1ELi12EEvPKT_PKT0_S8_ifPKiSA_SA_iPKfiiiPfSD_PS3_PT2_iSC_SC_
	.p2align	8
	.type	_Z39paged_attention_ll4mi_QKV_mfma16_kernelI14__hip_bfloat16S0_LN4vllm18Fp8KVCacheDataTypeE0EhLi32ELi64ELi256ELb1ELi12EEvPKT_PKT0_S8_ifPKiSA_SA_iPKfiiiPfSD_PS3_PT2_iSC_SC_,@function
_Z39paged_attention_ll4mi_QKV_mfma16_kernelI14__hip_bfloat16S0_LN4vllm18Fp8KVCacheDataTypeE0EhLi32ELi64ELi256ELb1ELi12EEvPKT_PKT0_S8_ifPKiSA_SA_iPKfiiiPfSD_PS3_PT2_iSC_SC_: ; @_Z39paged_attention_ll4mi_QKV_mfma16_kernelI14__hip_bfloat16S0_LN4vllm18Fp8KVCacheDataTypeE0EhLi32ELi64ELi256ELb1ELi12EEvPKT_PKT0_S8_ifPKiSA_SA_iPKfiiiPfSD_PS3_PT2_iSC_SC_
; %bb.0:
	s_get_pc_i64 s[2:3]
	s_add_nc_u64 s[2:3], s[2:3], __PRETTY_FUNCTION__._Z39paged_attention_ll4mi_QKV_mfma16_kernelI14__hip_bfloat16S0_LN4vllm18Fp8KVCacheDataTypeE0EhLi32ELi64ELi256ELb1ELi12EEvPKT_PKT0_S8_ifPKiSA_SA_iPKfiiiPfSD_PS3_PT2_iSC_SC_@rel64+4
	s_delay_alu instid0(SALU_CYCLE_1)
	v_dual_mov_b32 v0, 0xbb3 :: v_dual_mov_b32 v1, s2
	v_mov_b32_e32 v2, s3
	s_add_nc_u64 s[8:9], s[0:1], 0x90
	s_get_pc_i64 s[0:1]
	s_add_nc_u64 s[0:1], s[0:1], __assert_fail@rel64+4
	s_mov_b32 s32, 0
	s_swap_pc_i64 s[30:31], s[0:1]
	.section	.rodata,"a",@progbits
	.p2align	6, 0x0
	.amdhsa_kernel _Z39paged_attention_ll4mi_QKV_mfma16_kernelI14__hip_bfloat16S0_LN4vllm18Fp8KVCacheDataTypeE0EhLi32ELi64ELi256ELb1ELi12EEvPKT_PKT0_S8_ifPKiSA_SA_iPKfiiiPfSD_PS3_PT2_iSC_SC_
		.amdhsa_group_segment_fixed_size 0
		.amdhsa_private_segment_fixed_size 64
		.amdhsa_kernarg_size 400
		.amdhsa_user_sgpr_count 2
		.amdhsa_user_sgpr_dispatch_ptr 0
		.amdhsa_user_sgpr_queue_ptr 0
		.amdhsa_user_sgpr_kernarg_segment_ptr 1
		.amdhsa_user_sgpr_dispatch_id 0
		.amdhsa_user_sgpr_kernarg_preload_length 0
		.amdhsa_user_sgpr_kernarg_preload_offset 0
		.amdhsa_user_sgpr_private_segment_size 0
		.amdhsa_wavefront_size32 1
		.amdhsa_uses_dynamic_stack 0
		.amdhsa_enable_private_segment 1
		.amdhsa_system_sgpr_workgroup_id_x 1
		.amdhsa_system_sgpr_workgroup_id_y 0
		.amdhsa_system_sgpr_workgroup_id_z 0
		.amdhsa_system_sgpr_workgroup_info 0
		.amdhsa_system_vgpr_workitem_id 0
		.amdhsa_next_free_vgpr 51
		.amdhsa_next_free_sgpr 34
		.amdhsa_named_barrier_count 0
		.amdhsa_reserve_vcc 1
		.amdhsa_float_round_mode_32 0
		.amdhsa_float_round_mode_16_64 0
		.amdhsa_float_denorm_mode_32 3
		.amdhsa_float_denorm_mode_16_64 3
		.amdhsa_fp16_overflow 0
		.amdhsa_memory_ordered 1
		.amdhsa_forward_progress 1
		.amdhsa_inst_pref_size 1
		.amdhsa_round_robin_scheduling 0
		.amdhsa_exception_fp_ieee_invalid_op 0
		.amdhsa_exception_fp_denorm_src 0
		.amdhsa_exception_fp_ieee_div_zero 0
		.amdhsa_exception_fp_ieee_overflow 0
		.amdhsa_exception_fp_ieee_underflow 0
		.amdhsa_exception_fp_ieee_inexact 0
		.amdhsa_exception_int_div_zero 0
	.end_amdhsa_kernel
	.section	.text._Z39paged_attention_ll4mi_QKV_mfma16_kernelI14__hip_bfloat16S0_LN4vllm18Fp8KVCacheDataTypeE0EhLi32ELi64ELi256ELb1ELi12EEvPKT_PKT0_S8_ifPKiSA_SA_iPKfiiiPfSD_PS3_PT2_iSC_SC_,"axG",@progbits,_Z39paged_attention_ll4mi_QKV_mfma16_kernelI14__hip_bfloat16S0_LN4vllm18Fp8KVCacheDataTypeE0EhLi32ELi64ELi256ELb1ELi12EEvPKT_PKT0_S8_ifPKiSA_SA_iPKfiiiPfSD_PS3_PT2_iSC_SC_,comdat
.Lfunc_end509:
	.size	_Z39paged_attention_ll4mi_QKV_mfma16_kernelI14__hip_bfloat16S0_LN4vllm18Fp8KVCacheDataTypeE0EhLi32ELi64ELi256ELb1ELi12EEvPKT_PKT0_S8_ifPKiSA_SA_iPKfiiiPfSD_PS3_PT2_iSC_SC_, .Lfunc_end509-_Z39paged_attention_ll4mi_QKV_mfma16_kernelI14__hip_bfloat16S0_LN4vllm18Fp8KVCacheDataTypeE0EhLi32ELi64ELi256ELb1ELi12EEvPKT_PKT0_S8_ifPKiSA_SA_iPKfiiiPfSD_PS3_PT2_iSC_SC_
                                        ; -- End function
	.set _Z39paged_attention_ll4mi_QKV_mfma16_kernelI14__hip_bfloat16S0_LN4vllm18Fp8KVCacheDataTypeE0EhLi32ELi64ELi256ELb1ELi12EEvPKT_PKT0_S8_ifPKiSA_SA_iPKfiiiPfSD_PS3_PT2_iSC_SC_.num_vgpr, max(3, .L__assert_fail.num_vgpr)
	.set _Z39paged_attention_ll4mi_QKV_mfma16_kernelI14__hip_bfloat16S0_LN4vllm18Fp8KVCacheDataTypeE0EhLi32ELi64ELi256ELb1ELi12EEvPKT_PKT0_S8_ifPKiSA_SA_iPKfiiiPfSD_PS3_PT2_iSC_SC_.num_agpr, max(0, .L__assert_fail.num_agpr)
	.set _Z39paged_attention_ll4mi_QKV_mfma16_kernelI14__hip_bfloat16S0_LN4vllm18Fp8KVCacheDataTypeE0EhLi32ELi64ELi256ELb1ELi12EEvPKT_PKT0_S8_ifPKiSA_SA_iPKfiiiPfSD_PS3_PT2_iSC_SC_.numbered_sgpr, max(33, .L__assert_fail.numbered_sgpr)
	.set _Z39paged_attention_ll4mi_QKV_mfma16_kernelI14__hip_bfloat16S0_LN4vllm18Fp8KVCacheDataTypeE0EhLi32ELi64ELi256ELb1ELi12EEvPKT_PKT0_S8_ifPKiSA_SA_iPKfiiiPfSD_PS3_PT2_iSC_SC_.num_named_barrier, max(0, .L__assert_fail.num_named_barrier)
	.set _Z39paged_attention_ll4mi_QKV_mfma16_kernelI14__hip_bfloat16S0_LN4vllm18Fp8KVCacheDataTypeE0EhLi32ELi64ELi256ELb1ELi12EEvPKT_PKT0_S8_ifPKiSA_SA_iPKfiiiPfSD_PS3_PT2_iSC_SC_.private_seg_size, 0+max(.L__assert_fail.private_seg_size)
	.set _Z39paged_attention_ll4mi_QKV_mfma16_kernelI14__hip_bfloat16S0_LN4vllm18Fp8KVCacheDataTypeE0EhLi32ELi64ELi256ELb1ELi12EEvPKT_PKT0_S8_ifPKiSA_SA_iPKfiiiPfSD_PS3_PT2_iSC_SC_.uses_vcc, or(1, .L__assert_fail.uses_vcc)
	.set _Z39paged_attention_ll4mi_QKV_mfma16_kernelI14__hip_bfloat16S0_LN4vllm18Fp8KVCacheDataTypeE0EhLi32ELi64ELi256ELb1ELi12EEvPKT_PKT0_S8_ifPKiSA_SA_iPKfiiiPfSD_PS3_PT2_iSC_SC_.uses_flat_scratch, or(0, .L__assert_fail.uses_flat_scratch)
	.set _Z39paged_attention_ll4mi_QKV_mfma16_kernelI14__hip_bfloat16S0_LN4vllm18Fp8KVCacheDataTypeE0EhLi32ELi64ELi256ELb1ELi12EEvPKT_PKT0_S8_ifPKiSA_SA_iPKfiiiPfSD_PS3_PT2_iSC_SC_.has_dyn_sized_stack, or(0, .L__assert_fail.has_dyn_sized_stack)
	.set _Z39paged_attention_ll4mi_QKV_mfma16_kernelI14__hip_bfloat16S0_LN4vllm18Fp8KVCacheDataTypeE0EhLi32ELi64ELi256ELb1ELi12EEvPKT_PKT0_S8_ifPKiSA_SA_iPKfiiiPfSD_PS3_PT2_iSC_SC_.has_recursion, or(0, .L__assert_fail.has_recursion)
	.set _Z39paged_attention_ll4mi_QKV_mfma16_kernelI14__hip_bfloat16S0_LN4vllm18Fp8KVCacheDataTypeE0EhLi32ELi64ELi256ELb1ELi12EEvPKT_PKT0_S8_ifPKiSA_SA_iPKfiiiPfSD_PS3_PT2_iSC_SC_.has_indirect_call, or(0, .L__assert_fail.has_indirect_call)
	.section	.AMDGPU.csdata,"",@progbits
; Kernel info:
; codeLenInByte = 68
; TotalNumSgprs: 36
; NumVgprs: 51
; ScratchSize: 64
; MemoryBound: 0
; FloatMode: 240
; IeeeMode: 1
; LDSByteSize: 0 bytes/workgroup (compile time only)
; SGPRBlocks: 0
; VGPRBlocks: 3
; NumSGPRsForWavesPerEU: 36
; NumVGPRsForWavesPerEU: 51
; NamedBarCnt: 0
; Occupancy: 16
; WaveLimiterHint : 1
; COMPUTE_PGM_RSRC2:SCRATCH_EN: 1
; COMPUTE_PGM_RSRC2:USER_SGPR: 2
; COMPUTE_PGM_RSRC2:TRAP_HANDLER: 0
; COMPUTE_PGM_RSRC2:TGID_X_EN: 1
; COMPUTE_PGM_RSRC2:TGID_Y_EN: 0
; COMPUTE_PGM_RSRC2:TGID_Z_EN: 0
; COMPUTE_PGM_RSRC2:TIDIG_COMP_CNT: 0
	.section	.text._Z39paged_attention_ll4mi_QKV_mfma16_kernelI14__hip_bfloat16S0_LN4vllm18Fp8KVCacheDataTypeE0EhLi32ELi64ELi256ELb1ELi13EEvPKT_PKT0_S8_ifPKiSA_SA_iPKfiiiPfSD_PS3_PT2_iSC_SC_,"axG",@progbits,_Z39paged_attention_ll4mi_QKV_mfma16_kernelI14__hip_bfloat16S0_LN4vllm18Fp8KVCacheDataTypeE0EhLi32ELi64ELi256ELb1ELi13EEvPKT_PKT0_S8_ifPKiSA_SA_iPKfiiiPfSD_PS3_PT2_iSC_SC_,comdat
	.protected	_Z39paged_attention_ll4mi_QKV_mfma16_kernelI14__hip_bfloat16S0_LN4vllm18Fp8KVCacheDataTypeE0EhLi32ELi64ELi256ELb1ELi13EEvPKT_PKT0_S8_ifPKiSA_SA_iPKfiiiPfSD_PS3_PT2_iSC_SC_ ; -- Begin function _Z39paged_attention_ll4mi_QKV_mfma16_kernelI14__hip_bfloat16S0_LN4vllm18Fp8KVCacheDataTypeE0EhLi32ELi64ELi256ELb1ELi13EEvPKT_PKT0_S8_ifPKiSA_SA_iPKfiiiPfSD_PS3_PT2_iSC_SC_
	.globl	_Z39paged_attention_ll4mi_QKV_mfma16_kernelI14__hip_bfloat16S0_LN4vllm18Fp8KVCacheDataTypeE0EhLi32ELi64ELi256ELb1ELi13EEvPKT_PKT0_S8_ifPKiSA_SA_iPKfiiiPfSD_PS3_PT2_iSC_SC_
	.p2align	8
	.type	_Z39paged_attention_ll4mi_QKV_mfma16_kernelI14__hip_bfloat16S0_LN4vllm18Fp8KVCacheDataTypeE0EhLi32ELi64ELi256ELb1ELi13EEvPKT_PKT0_S8_ifPKiSA_SA_iPKfiiiPfSD_PS3_PT2_iSC_SC_,@function
_Z39paged_attention_ll4mi_QKV_mfma16_kernelI14__hip_bfloat16S0_LN4vllm18Fp8KVCacheDataTypeE0EhLi32ELi64ELi256ELb1ELi13EEvPKT_PKT0_S8_ifPKiSA_SA_iPKfiiiPfSD_PS3_PT2_iSC_SC_: ; @_Z39paged_attention_ll4mi_QKV_mfma16_kernelI14__hip_bfloat16S0_LN4vllm18Fp8KVCacheDataTypeE0EhLi32ELi64ELi256ELb1ELi13EEvPKT_PKT0_S8_ifPKiSA_SA_iPKfiiiPfSD_PS3_PT2_iSC_SC_
; %bb.0:
	s_get_pc_i64 s[2:3]
	s_add_nc_u64 s[2:3], s[2:3], __PRETTY_FUNCTION__._Z39paged_attention_ll4mi_QKV_mfma16_kernelI14__hip_bfloat16S0_LN4vllm18Fp8KVCacheDataTypeE0EhLi32ELi64ELi256ELb1ELi13EEvPKT_PKT0_S8_ifPKiSA_SA_iPKfiiiPfSD_PS3_PT2_iSC_SC_@rel64+4
	s_delay_alu instid0(SALU_CYCLE_1)
	v_dual_mov_b32 v0, 0xbb3 :: v_dual_mov_b32 v1, s2
	v_mov_b32_e32 v2, s3
	s_add_nc_u64 s[8:9], s[0:1], 0x90
	s_get_pc_i64 s[0:1]
	s_add_nc_u64 s[0:1], s[0:1], __assert_fail@rel64+4
	s_mov_b32 s32, 0
	s_swap_pc_i64 s[30:31], s[0:1]
	.section	.rodata,"a",@progbits
	.p2align	6, 0x0
	.amdhsa_kernel _Z39paged_attention_ll4mi_QKV_mfma16_kernelI14__hip_bfloat16S0_LN4vllm18Fp8KVCacheDataTypeE0EhLi32ELi64ELi256ELb1ELi13EEvPKT_PKT0_S8_ifPKiSA_SA_iPKfiiiPfSD_PS3_PT2_iSC_SC_
		.amdhsa_group_segment_fixed_size 0
		.amdhsa_private_segment_fixed_size 64
		.amdhsa_kernarg_size 400
		.amdhsa_user_sgpr_count 2
		.amdhsa_user_sgpr_dispatch_ptr 0
		.amdhsa_user_sgpr_queue_ptr 0
		.amdhsa_user_sgpr_kernarg_segment_ptr 1
		.amdhsa_user_sgpr_dispatch_id 0
		.amdhsa_user_sgpr_kernarg_preload_length 0
		.amdhsa_user_sgpr_kernarg_preload_offset 0
		.amdhsa_user_sgpr_private_segment_size 0
		.amdhsa_wavefront_size32 1
		.amdhsa_uses_dynamic_stack 0
		.amdhsa_enable_private_segment 1
		.amdhsa_system_sgpr_workgroup_id_x 1
		.amdhsa_system_sgpr_workgroup_id_y 0
		.amdhsa_system_sgpr_workgroup_id_z 0
		.amdhsa_system_sgpr_workgroup_info 0
		.amdhsa_system_vgpr_workitem_id 0
		.amdhsa_next_free_vgpr 51
		.amdhsa_next_free_sgpr 34
		.amdhsa_named_barrier_count 0
		.amdhsa_reserve_vcc 1
		.amdhsa_float_round_mode_32 0
		.amdhsa_float_round_mode_16_64 0
		.amdhsa_float_denorm_mode_32 3
		.amdhsa_float_denorm_mode_16_64 3
		.amdhsa_fp16_overflow 0
		.amdhsa_memory_ordered 1
		.amdhsa_forward_progress 1
		.amdhsa_inst_pref_size 1
		.amdhsa_round_robin_scheduling 0
		.amdhsa_exception_fp_ieee_invalid_op 0
		.amdhsa_exception_fp_denorm_src 0
		.amdhsa_exception_fp_ieee_div_zero 0
		.amdhsa_exception_fp_ieee_overflow 0
		.amdhsa_exception_fp_ieee_underflow 0
		.amdhsa_exception_fp_ieee_inexact 0
		.amdhsa_exception_int_div_zero 0
	.end_amdhsa_kernel
	.section	.text._Z39paged_attention_ll4mi_QKV_mfma16_kernelI14__hip_bfloat16S0_LN4vllm18Fp8KVCacheDataTypeE0EhLi32ELi64ELi256ELb1ELi13EEvPKT_PKT0_S8_ifPKiSA_SA_iPKfiiiPfSD_PS3_PT2_iSC_SC_,"axG",@progbits,_Z39paged_attention_ll4mi_QKV_mfma16_kernelI14__hip_bfloat16S0_LN4vllm18Fp8KVCacheDataTypeE0EhLi32ELi64ELi256ELb1ELi13EEvPKT_PKT0_S8_ifPKiSA_SA_iPKfiiiPfSD_PS3_PT2_iSC_SC_,comdat
.Lfunc_end510:
	.size	_Z39paged_attention_ll4mi_QKV_mfma16_kernelI14__hip_bfloat16S0_LN4vllm18Fp8KVCacheDataTypeE0EhLi32ELi64ELi256ELb1ELi13EEvPKT_PKT0_S8_ifPKiSA_SA_iPKfiiiPfSD_PS3_PT2_iSC_SC_, .Lfunc_end510-_Z39paged_attention_ll4mi_QKV_mfma16_kernelI14__hip_bfloat16S0_LN4vllm18Fp8KVCacheDataTypeE0EhLi32ELi64ELi256ELb1ELi13EEvPKT_PKT0_S8_ifPKiSA_SA_iPKfiiiPfSD_PS3_PT2_iSC_SC_
                                        ; -- End function
	.set _Z39paged_attention_ll4mi_QKV_mfma16_kernelI14__hip_bfloat16S0_LN4vllm18Fp8KVCacheDataTypeE0EhLi32ELi64ELi256ELb1ELi13EEvPKT_PKT0_S8_ifPKiSA_SA_iPKfiiiPfSD_PS3_PT2_iSC_SC_.num_vgpr, max(3, .L__assert_fail.num_vgpr)
	.set _Z39paged_attention_ll4mi_QKV_mfma16_kernelI14__hip_bfloat16S0_LN4vllm18Fp8KVCacheDataTypeE0EhLi32ELi64ELi256ELb1ELi13EEvPKT_PKT0_S8_ifPKiSA_SA_iPKfiiiPfSD_PS3_PT2_iSC_SC_.num_agpr, max(0, .L__assert_fail.num_agpr)
	.set _Z39paged_attention_ll4mi_QKV_mfma16_kernelI14__hip_bfloat16S0_LN4vllm18Fp8KVCacheDataTypeE0EhLi32ELi64ELi256ELb1ELi13EEvPKT_PKT0_S8_ifPKiSA_SA_iPKfiiiPfSD_PS3_PT2_iSC_SC_.numbered_sgpr, max(33, .L__assert_fail.numbered_sgpr)
	.set _Z39paged_attention_ll4mi_QKV_mfma16_kernelI14__hip_bfloat16S0_LN4vllm18Fp8KVCacheDataTypeE0EhLi32ELi64ELi256ELb1ELi13EEvPKT_PKT0_S8_ifPKiSA_SA_iPKfiiiPfSD_PS3_PT2_iSC_SC_.num_named_barrier, max(0, .L__assert_fail.num_named_barrier)
	.set _Z39paged_attention_ll4mi_QKV_mfma16_kernelI14__hip_bfloat16S0_LN4vllm18Fp8KVCacheDataTypeE0EhLi32ELi64ELi256ELb1ELi13EEvPKT_PKT0_S8_ifPKiSA_SA_iPKfiiiPfSD_PS3_PT2_iSC_SC_.private_seg_size, 0+max(.L__assert_fail.private_seg_size)
	.set _Z39paged_attention_ll4mi_QKV_mfma16_kernelI14__hip_bfloat16S0_LN4vllm18Fp8KVCacheDataTypeE0EhLi32ELi64ELi256ELb1ELi13EEvPKT_PKT0_S8_ifPKiSA_SA_iPKfiiiPfSD_PS3_PT2_iSC_SC_.uses_vcc, or(1, .L__assert_fail.uses_vcc)
	.set _Z39paged_attention_ll4mi_QKV_mfma16_kernelI14__hip_bfloat16S0_LN4vllm18Fp8KVCacheDataTypeE0EhLi32ELi64ELi256ELb1ELi13EEvPKT_PKT0_S8_ifPKiSA_SA_iPKfiiiPfSD_PS3_PT2_iSC_SC_.uses_flat_scratch, or(0, .L__assert_fail.uses_flat_scratch)
	.set _Z39paged_attention_ll4mi_QKV_mfma16_kernelI14__hip_bfloat16S0_LN4vllm18Fp8KVCacheDataTypeE0EhLi32ELi64ELi256ELb1ELi13EEvPKT_PKT0_S8_ifPKiSA_SA_iPKfiiiPfSD_PS3_PT2_iSC_SC_.has_dyn_sized_stack, or(0, .L__assert_fail.has_dyn_sized_stack)
	.set _Z39paged_attention_ll4mi_QKV_mfma16_kernelI14__hip_bfloat16S0_LN4vllm18Fp8KVCacheDataTypeE0EhLi32ELi64ELi256ELb1ELi13EEvPKT_PKT0_S8_ifPKiSA_SA_iPKfiiiPfSD_PS3_PT2_iSC_SC_.has_recursion, or(0, .L__assert_fail.has_recursion)
	.set _Z39paged_attention_ll4mi_QKV_mfma16_kernelI14__hip_bfloat16S0_LN4vllm18Fp8KVCacheDataTypeE0EhLi32ELi64ELi256ELb1ELi13EEvPKT_PKT0_S8_ifPKiSA_SA_iPKfiiiPfSD_PS3_PT2_iSC_SC_.has_indirect_call, or(0, .L__assert_fail.has_indirect_call)
	.section	.AMDGPU.csdata,"",@progbits
; Kernel info:
; codeLenInByte = 68
; TotalNumSgprs: 36
; NumVgprs: 51
; ScratchSize: 64
; MemoryBound: 0
; FloatMode: 240
; IeeeMode: 1
; LDSByteSize: 0 bytes/workgroup (compile time only)
; SGPRBlocks: 0
; VGPRBlocks: 3
; NumSGPRsForWavesPerEU: 36
; NumVGPRsForWavesPerEU: 51
; NamedBarCnt: 0
; Occupancy: 16
; WaveLimiterHint : 1
; COMPUTE_PGM_RSRC2:SCRATCH_EN: 1
; COMPUTE_PGM_RSRC2:USER_SGPR: 2
; COMPUTE_PGM_RSRC2:TRAP_HANDLER: 0
; COMPUTE_PGM_RSRC2:TGID_X_EN: 1
; COMPUTE_PGM_RSRC2:TGID_Y_EN: 0
; COMPUTE_PGM_RSRC2:TGID_Z_EN: 0
; COMPUTE_PGM_RSRC2:TIDIG_COMP_CNT: 0
	.section	.text._Z39paged_attention_ll4mi_QKV_mfma16_kernelI14__hip_bfloat16S0_LN4vllm18Fp8KVCacheDataTypeE0EhLi32ELi64ELi256ELb1ELi14EEvPKT_PKT0_S8_ifPKiSA_SA_iPKfiiiPfSD_PS3_PT2_iSC_SC_,"axG",@progbits,_Z39paged_attention_ll4mi_QKV_mfma16_kernelI14__hip_bfloat16S0_LN4vllm18Fp8KVCacheDataTypeE0EhLi32ELi64ELi256ELb1ELi14EEvPKT_PKT0_S8_ifPKiSA_SA_iPKfiiiPfSD_PS3_PT2_iSC_SC_,comdat
	.protected	_Z39paged_attention_ll4mi_QKV_mfma16_kernelI14__hip_bfloat16S0_LN4vllm18Fp8KVCacheDataTypeE0EhLi32ELi64ELi256ELb1ELi14EEvPKT_PKT0_S8_ifPKiSA_SA_iPKfiiiPfSD_PS3_PT2_iSC_SC_ ; -- Begin function _Z39paged_attention_ll4mi_QKV_mfma16_kernelI14__hip_bfloat16S0_LN4vllm18Fp8KVCacheDataTypeE0EhLi32ELi64ELi256ELb1ELi14EEvPKT_PKT0_S8_ifPKiSA_SA_iPKfiiiPfSD_PS3_PT2_iSC_SC_
	.globl	_Z39paged_attention_ll4mi_QKV_mfma16_kernelI14__hip_bfloat16S0_LN4vllm18Fp8KVCacheDataTypeE0EhLi32ELi64ELi256ELb1ELi14EEvPKT_PKT0_S8_ifPKiSA_SA_iPKfiiiPfSD_PS3_PT2_iSC_SC_
	.p2align	8
	.type	_Z39paged_attention_ll4mi_QKV_mfma16_kernelI14__hip_bfloat16S0_LN4vllm18Fp8KVCacheDataTypeE0EhLi32ELi64ELi256ELb1ELi14EEvPKT_PKT0_S8_ifPKiSA_SA_iPKfiiiPfSD_PS3_PT2_iSC_SC_,@function
_Z39paged_attention_ll4mi_QKV_mfma16_kernelI14__hip_bfloat16S0_LN4vllm18Fp8KVCacheDataTypeE0EhLi32ELi64ELi256ELb1ELi14EEvPKT_PKT0_S8_ifPKiSA_SA_iPKfiiiPfSD_PS3_PT2_iSC_SC_: ; @_Z39paged_attention_ll4mi_QKV_mfma16_kernelI14__hip_bfloat16S0_LN4vllm18Fp8KVCacheDataTypeE0EhLi32ELi64ELi256ELb1ELi14EEvPKT_PKT0_S8_ifPKiSA_SA_iPKfiiiPfSD_PS3_PT2_iSC_SC_
; %bb.0:
	s_get_pc_i64 s[2:3]
	s_add_nc_u64 s[2:3], s[2:3], __PRETTY_FUNCTION__._Z39paged_attention_ll4mi_QKV_mfma16_kernelI14__hip_bfloat16S0_LN4vllm18Fp8KVCacheDataTypeE0EhLi32ELi64ELi256ELb1ELi14EEvPKT_PKT0_S8_ifPKiSA_SA_iPKfiiiPfSD_PS3_PT2_iSC_SC_@rel64+4
	s_delay_alu instid0(SALU_CYCLE_1)
	v_dual_mov_b32 v0, 0xbb3 :: v_dual_mov_b32 v1, s2
	v_mov_b32_e32 v2, s3
	s_add_nc_u64 s[8:9], s[0:1], 0x90
	s_get_pc_i64 s[0:1]
	s_add_nc_u64 s[0:1], s[0:1], __assert_fail@rel64+4
	s_mov_b32 s32, 0
	s_swap_pc_i64 s[30:31], s[0:1]
	.section	.rodata,"a",@progbits
	.p2align	6, 0x0
	.amdhsa_kernel _Z39paged_attention_ll4mi_QKV_mfma16_kernelI14__hip_bfloat16S0_LN4vllm18Fp8KVCacheDataTypeE0EhLi32ELi64ELi256ELb1ELi14EEvPKT_PKT0_S8_ifPKiSA_SA_iPKfiiiPfSD_PS3_PT2_iSC_SC_
		.amdhsa_group_segment_fixed_size 0
		.amdhsa_private_segment_fixed_size 64
		.amdhsa_kernarg_size 400
		.amdhsa_user_sgpr_count 2
		.amdhsa_user_sgpr_dispatch_ptr 0
		.amdhsa_user_sgpr_queue_ptr 0
		.amdhsa_user_sgpr_kernarg_segment_ptr 1
		.amdhsa_user_sgpr_dispatch_id 0
		.amdhsa_user_sgpr_kernarg_preload_length 0
		.amdhsa_user_sgpr_kernarg_preload_offset 0
		.amdhsa_user_sgpr_private_segment_size 0
		.amdhsa_wavefront_size32 1
		.amdhsa_uses_dynamic_stack 0
		.amdhsa_enable_private_segment 1
		.amdhsa_system_sgpr_workgroup_id_x 1
		.amdhsa_system_sgpr_workgroup_id_y 0
		.amdhsa_system_sgpr_workgroup_id_z 0
		.amdhsa_system_sgpr_workgroup_info 0
		.amdhsa_system_vgpr_workitem_id 0
		.amdhsa_next_free_vgpr 51
		.amdhsa_next_free_sgpr 34
		.amdhsa_named_barrier_count 0
		.amdhsa_reserve_vcc 1
		.amdhsa_float_round_mode_32 0
		.amdhsa_float_round_mode_16_64 0
		.amdhsa_float_denorm_mode_32 3
		.amdhsa_float_denorm_mode_16_64 3
		.amdhsa_fp16_overflow 0
		.amdhsa_memory_ordered 1
		.amdhsa_forward_progress 1
		.amdhsa_inst_pref_size 1
		.amdhsa_round_robin_scheduling 0
		.amdhsa_exception_fp_ieee_invalid_op 0
		.amdhsa_exception_fp_denorm_src 0
		.amdhsa_exception_fp_ieee_div_zero 0
		.amdhsa_exception_fp_ieee_overflow 0
		.amdhsa_exception_fp_ieee_underflow 0
		.amdhsa_exception_fp_ieee_inexact 0
		.amdhsa_exception_int_div_zero 0
	.end_amdhsa_kernel
	.section	.text._Z39paged_attention_ll4mi_QKV_mfma16_kernelI14__hip_bfloat16S0_LN4vllm18Fp8KVCacheDataTypeE0EhLi32ELi64ELi256ELb1ELi14EEvPKT_PKT0_S8_ifPKiSA_SA_iPKfiiiPfSD_PS3_PT2_iSC_SC_,"axG",@progbits,_Z39paged_attention_ll4mi_QKV_mfma16_kernelI14__hip_bfloat16S0_LN4vllm18Fp8KVCacheDataTypeE0EhLi32ELi64ELi256ELb1ELi14EEvPKT_PKT0_S8_ifPKiSA_SA_iPKfiiiPfSD_PS3_PT2_iSC_SC_,comdat
.Lfunc_end511:
	.size	_Z39paged_attention_ll4mi_QKV_mfma16_kernelI14__hip_bfloat16S0_LN4vllm18Fp8KVCacheDataTypeE0EhLi32ELi64ELi256ELb1ELi14EEvPKT_PKT0_S8_ifPKiSA_SA_iPKfiiiPfSD_PS3_PT2_iSC_SC_, .Lfunc_end511-_Z39paged_attention_ll4mi_QKV_mfma16_kernelI14__hip_bfloat16S0_LN4vllm18Fp8KVCacheDataTypeE0EhLi32ELi64ELi256ELb1ELi14EEvPKT_PKT0_S8_ifPKiSA_SA_iPKfiiiPfSD_PS3_PT2_iSC_SC_
                                        ; -- End function
	.set _Z39paged_attention_ll4mi_QKV_mfma16_kernelI14__hip_bfloat16S0_LN4vllm18Fp8KVCacheDataTypeE0EhLi32ELi64ELi256ELb1ELi14EEvPKT_PKT0_S8_ifPKiSA_SA_iPKfiiiPfSD_PS3_PT2_iSC_SC_.num_vgpr, max(3, .L__assert_fail.num_vgpr)
	.set _Z39paged_attention_ll4mi_QKV_mfma16_kernelI14__hip_bfloat16S0_LN4vllm18Fp8KVCacheDataTypeE0EhLi32ELi64ELi256ELb1ELi14EEvPKT_PKT0_S8_ifPKiSA_SA_iPKfiiiPfSD_PS3_PT2_iSC_SC_.num_agpr, max(0, .L__assert_fail.num_agpr)
	.set _Z39paged_attention_ll4mi_QKV_mfma16_kernelI14__hip_bfloat16S0_LN4vllm18Fp8KVCacheDataTypeE0EhLi32ELi64ELi256ELb1ELi14EEvPKT_PKT0_S8_ifPKiSA_SA_iPKfiiiPfSD_PS3_PT2_iSC_SC_.numbered_sgpr, max(33, .L__assert_fail.numbered_sgpr)
	.set _Z39paged_attention_ll4mi_QKV_mfma16_kernelI14__hip_bfloat16S0_LN4vllm18Fp8KVCacheDataTypeE0EhLi32ELi64ELi256ELb1ELi14EEvPKT_PKT0_S8_ifPKiSA_SA_iPKfiiiPfSD_PS3_PT2_iSC_SC_.num_named_barrier, max(0, .L__assert_fail.num_named_barrier)
	.set _Z39paged_attention_ll4mi_QKV_mfma16_kernelI14__hip_bfloat16S0_LN4vllm18Fp8KVCacheDataTypeE0EhLi32ELi64ELi256ELb1ELi14EEvPKT_PKT0_S8_ifPKiSA_SA_iPKfiiiPfSD_PS3_PT2_iSC_SC_.private_seg_size, 0+max(.L__assert_fail.private_seg_size)
	.set _Z39paged_attention_ll4mi_QKV_mfma16_kernelI14__hip_bfloat16S0_LN4vllm18Fp8KVCacheDataTypeE0EhLi32ELi64ELi256ELb1ELi14EEvPKT_PKT0_S8_ifPKiSA_SA_iPKfiiiPfSD_PS3_PT2_iSC_SC_.uses_vcc, or(1, .L__assert_fail.uses_vcc)
	.set _Z39paged_attention_ll4mi_QKV_mfma16_kernelI14__hip_bfloat16S0_LN4vllm18Fp8KVCacheDataTypeE0EhLi32ELi64ELi256ELb1ELi14EEvPKT_PKT0_S8_ifPKiSA_SA_iPKfiiiPfSD_PS3_PT2_iSC_SC_.uses_flat_scratch, or(0, .L__assert_fail.uses_flat_scratch)
	.set _Z39paged_attention_ll4mi_QKV_mfma16_kernelI14__hip_bfloat16S0_LN4vllm18Fp8KVCacheDataTypeE0EhLi32ELi64ELi256ELb1ELi14EEvPKT_PKT0_S8_ifPKiSA_SA_iPKfiiiPfSD_PS3_PT2_iSC_SC_.has_dyn_sized_stack, or(0, .L__assert_fail.has_dyn_sized_stack)
	.set _Z39paged_attention_ll4mi_QKV_mfma16_kernelI14__hip_bfloat16S0_LN4vllm18Fp8KVCacheDataTypeE0EhLi32ELi64ELi256ELb1ELi14EEvPKT_PKT0_S8_ifPKiSA_SA_iPKfiiiPfSD_PS3_PT2_iSC_SC_.has_recursion, or(0, .L__assert_fail.has_recursion)
	.set _Z39paged_attention_ll4mi_QKV_mfma16_kernelI14__hip_bfloat16S0_LN4vllm18Fp8KVCacheDataTypeE0EhLi32ELi64ELi256ELb1ELi14EEvPKT_PKT0_S8_ifPKiSA_SA_iPKfiiiPfSD_PS3_PT2_iSC_SC_.has_indirect_call, or(0, .L__assert_fail.has_indirect_call)
	.section	.AMDGPU.csdata,"",@progbits
; Kernel info:
; codeLenInByte = 68
; TotalNumSgprs: 36
; NumVgprs: 51
; ScratchSize: 64
; MemoryBound: 0
; FloatMode: 240
; IeeeMode: 1
; LDSByteSize: 0 bytes/workgroup (compile time only)
; SGPRBlocks: 0
; VGPRBlocks: 3
; NumSGPRsForWavesPerEU: 36
; NumVGPRsForWavesPerEU: 51
; NamedBarCnt: 0
; Occupancy: 16
; WaveLimiterHint : 1
; COMPUTE_PGM_RSRC2:SCRATCH_EN: 1
; COMPUTE_PGM_RSRC2:USER_SGPR: 2
; COMPUTE_PGM_RSRC2:TRAP_HANDLER: 0
; COMPUTE_PGM_RSRC2:TGID_X_EN: 1
; COMPUTE_PGM_RSRC2:TGID_Y_EN: 0
; COMPUTE_PGM_RSRC2:TGID_Z_EN: 0
; COMPUTE_PGM_RSRC2:TIDIG_COMP_CNT: 0
	.section	.text._Z39paged_attention_ll4mi_QKV_mfma16_kernelI14__hip_bfloat16S0_LN4vllm18Fp8KVCacheDataTypeE0EhLi32ELi64ELi256ELb1ELi15EEvPKT_PKT0_S8_ifPKiSA_SA_iPKfiiiPfSD_PS3_PT2_iSC_SC_,"axG",@progbits,_Z39paged_attention_ll4mi_QKV_mfma16_kernelI14__hip_bfloat16S0_LN4vllm18Fp8KVCacheDataTypeE0EhLi32ELi64ELi256ELb1ELi15EEvPKT_PKT0_S8_ifPKiSA_SA_iPKfiiiPfSD_PS3_PT2_iSC_SC_,comdat
	.protected	_Z39paged_attention_ll4mi_QKV_mfma16_kernelI14__hip_bfloat16S0_LN4vllm18Fp8KVCacheDataTypeE0EhLi32ELi64ELi256ELb1ELi15EEvPKT_PKT0_S8_ifPKiSA_SA_iPKfiiiPfSD_PS3_PT2_iSC_SC_ ; -- Begin function _Z39paged_attention_ll4mi_QKV_mfma16_kernelI14__hip_bfloat16S0_LN4vllm18Fp8KVCacheDataTypeE0EhLi32ELi64ELi256ELb1ELi15EEvPKT_PKT0_S8_ifPKiSA_SA_iPKfiiiPfSD_PS3_PT2_iSC_SC_
	.globl	_Z39paged_attention_ll4mi_QKV_mfma16_kernelI14__hip_bfloat16S0_LN4vllm18Fp8KVCacheDataTypeE0EhLi32ELi64ELi256ELb1ELi15EEvPKT_PKT0_S8_ifPKiSA_SA_iPKfiiiPfSD_PS3_PT2_iSC_SC_
	.p2align	8
	.type	_Z39paged_attention_ll4mi_QKV_mfma16_kernelI14__hip_bfloat16S0_LN4vllm18Fp8KVCacheDataTypeE0EhLi32ELi64ELi256ELb1ELi15EEvPKT_PKT0_S8_ifPKiSA_SA_iPKfiiiPfSD_PS3_PT2_iSC_SC_,@function
_Z39paged_attention_ll4mi_QKV_mfma16_kernelI14__hip_bfloat16S0_LN4vllm18Fp8KVCacheDataTypeE0EhLi32ELi64ELi256ELb1ELi15EEvPKT_PKT0_S8_ifPKiSA_SA_iPKfiiiPfSD_PS3_PT2_iSC_SC_: ; @_Z39paged_attention_ll4mi_QKV_mfma16_kernelI14__hip_bfloat16S0_LN4vllm18Fp8KVCacheDataTypeE0EhLi32ELi64ELi256ELb1ELi15EEvPKT_PKT0_S8_ifPKiSA_SA_iPKfiiiPfSD_PS3_PT2_iSC_SC_
; %bb.0:
	s_get_pc_i64 s[2:3]
	s_add_nc_u64 s[2:3], s[2:3], __PRETTY_FUNCTION__._Z39paged_attention_ll4mi_QKV_mfma16_kernelI14__hip_bfloat16S0_LN4vllm18Fp8KVCacheDataTypeE0EhLi32ELi64ELi256ELb1ELi15EEvPKT_PKT0_S8_ifPKiSA_SA_iPKfiiiPfSD_PS3_PT2_iSC_SC_@rel64+4
	s_delay_alu instid0(SALU_CYCLE_1)
	v_dual_mov_b32 v0, 0xbb3 :: v_dual_mov_b32 v1, s2
	v_mov_b32_e32 v2, s3
	s_add_nc_u64 s[8:9], s[0:1], 0x90
	s_get_pc_i64 s[0:1]
	s_add_nc_u64 s[0:1], s[0:1], __assert_fail@rel64+4
	s_mov_b32 s32, 0
	s_swap_pc_i64 s[30:31], s[0:1]
	.section	.rodata,"a",@progbits
	.p2align	6, 0x0
	.amdhsa_kernel _Z39paged_attention_ll4mi_QKV_mfma16_kernelI14__hip_bfloat16S0_LN4vllm18Fp8KVCacheDataTypeE0EhLi32ELi64ELi256ELb1ELi15EEvPKT_PKT0_S8_ifPKiSA_SA_iPKfiiiPfSD_PS3_PT2_iSC_SC_
		.amdhsa_group_segment_fixed_size 0
		.amdhsa_private_segment_fixed_size 64
		.amdhsa_kernarg_size 400
		.amdhsa_user_sgpr_count 2
		.amdhsa_user_sgpr_dispatch_ptr 0
		.amdhsa_user_sgpr_queue_ptr 0
		.amdhsa_user_sgpr_kernarg_segment_ptr 1
		.amdhsa_user_sgpr_dispatch_id 0
		.amdhsa_user_sgpr_kernarg_preload_length 0
		.amdhsa_user_sgpr_kernarg_preload_offset 0
		.amdhsa_user_sgpr_private_segment_size 0
		.amdhsa_wavefront_size32 1
		.amdhsa_uses_dynamic_stack 0
		.amdhsa_enable_private_segment 1
		.amdhsa_system_sgpr_workgroup_id_x 1
		.amdhsa_system_sgpr_workgroup_id_y 0
		.amdhsa_system_sgpr_workgroup_id_z 0
		.amdhsa_system_sgpr_workgroup_info 0
		.amdhsa_system_vgpr_workitem_id 0
		.amdhsa_next_free_vgpr 51
		.amdhsa_next_free_sgpr 34
		.amdhsa_named_barrier_count 0
		.amdhsa_reserve_vcc 1
		.amdhsa_float_round_mode_32 0
		.amdhsa_float_round_mode_16_64 0
		.amdhsa_float_denorm_mode_32 3
		.amdhsa_float_denorm_mode_16_64 3
		.amdhsa_fp16_overflow 0
		.amdhsa_memory_ordered 1
		.amdhsa_forward_progress 1
		.amdhsa_inst_pref_size 1
		.amdhsa_round_robin_scheduling 0
		.amdhsa_exception_fp_ieee_invalid_op 0
		.amdhsa_exception_fp_denorm_src 0
		.amdhsa_exception_fp_ieee_div_zero 0
		.amdhsa_exception_fp_ieee_overflow 0
		.amdhsa_exception_fp_ieee_underflow 0
		.amdhsa_exception_fp_ieee_inexact 0
		.amdhsa_exception_int_div_zero 0
	.end_amdhsa_kernel
	.section	.text._Z39paged_attention_ll4mi_QKV_mfma16_kernelI14__hip_bfloat16S0_LN4vllm18Fp8KVCacheDataTypeE0EhLi32ELi64ELi256ELb1ELi15EEvPKT_PKT0_S8_ifPKiSA_SA_iPKfiiiPfSD_PS3_PT2_iSC_SC_,"axG",@progbits,_Z39paged_attention_ll4mi_QKV_mfma16_kernelI14__hip_bfloat16S0_LN4vllm18Fp8KVCacheDataTypeE0EhLi32ELi64ELi256ELb1ELi15EEvPKT_PKT0_S8_ifPKiSA_SA_iPKfiiiPfSD_PS3_PT2_iSC_SC_,comdat
.Lfunc_end512:
	.size	_Z39paged_attention_ll4mi_QKV_mfma16_kernelI14__hip_bfloat16S0_LN4vllm18Fp8KVCacheDataTypeE0EhLi32ELi64ELi256ELb1ELi15EEvPKT_PKT0_S8_ifPKiSA_SA_iPKfiiiPfSD_PS3_PT2_iSC_SC_, .Lfunc_end512-_Z39paged_attention_ll4mi_QKV_mfma16_kernelI14__hip_bfloat16S0_LN4vllm18Fp8KVCacheDataTypeE0EhLi32ELi64ELi256ELb1ELi15EEvPKT_PKT0_S8_ifPKiSA_SA_iPKfiiiPfSD_PS3_PT2_iSC_SC_
                                        ; -- End function
	.set _Z39paged_attention_ll4mi_QKV_mfma16_kernelI14__hip_bfloat16S0_LN4vllm18Fp8KVCacheDataTypeE0EhLi32ELi64ELi256ELb1ELi15EEvPKT_PKT0_S8_ifPKiSA_SA_iPKfiiiPfSD_PS3_PT2_iSC_SC_.num_vgpr, max(3, .L__assert_fail.num_vgpr)
	.set _Z39paged_attention_ll4mi_QKV_mfma16_kernelI14__hip_bfloat16S0_LN4vllm18Fp8KVCacheDataTypeE0EhLi32ELi64ELi256ELb1ELi15EEvPKT_PKT0_S8_ifPKiSA_SA_iPKfiiiPfSD_PS3_PT2_iSC_SC_.num_agpr, max(0, .L__assert_fail.num_agpr)
	.set _Z39paged_attention_ll4mi_QKV_mfma16_kernelI14__hip_bfloat16S0_LN4vllm18Fp8KVCacheDataTypeE0EhLi32ELi64ELi256ELb1ELi15EEvPKT_PKT0_S8_ifPKiSA_SA_iPKfiiiPfSD_PS3_PT2_iSC_SC_.numbered_sgpr, max(33, .L__assert_fail.numbered_sgpr)
	.set _Z39paged_attention_ll4mi_QKV_mfma16_kernelI14__hip_bfloat16S0_LN4vllm18Fp8KVCacheDataTypeE0EhLi32ELi64ELi256ELb1ELi15EEvPKT_PKT0_S8_ifPKiSA_SA_iPKfiiiPfSD_PS3_PT2_iSC_SC_.num_named_barrier, max(0, .L__assert_fail.num_named_barrier)
	.set _Z39paged_attention_ll4mi_QKV_mfma16_kernelI14__hip_bfloat16S0_LN4vllm18Fp8KVCacheDataTypeE0EhLi32ELi64ELi256ELb1ELi15EEvPKT_PKT0_S8_ifPKiSA_SA_iPKfiiiPfSD_PS3_PT2_iSC_SC_.private_seg_size, 0+max(.L__assert_fail.private_seg_size)
	.set _Z39paged_attention_ll4mi_QKV_mfma16_kernelI14__hip_bfloat16S0_LN4vllm18Fp8KVCacheDataTypeE0EhLi32ELi64ELi256ELb1ELi15EEvPKT_PKT0_S8_ifPKiSA_SA_iPKfiiiPfSD_PS3_PT2_iSC_SC_.uses_vcc, or(1, .L__assert_fail.uses_vcc)
	.set _Z39paged_attention_ll4mi_QKV_mfma16_kernelI14__hip_bfloat16S0_LN4vllm18Fp8KVCacheDataTypeE0EhLi32ELi64ELi256ELb1ELi15EEvPKT_PKT0_S8_ifPKiSA_SA_iPKfiiiPfSD_PS3_PT2_iSC_SC_.uses_flat_scratch, or(0, .L__assert_fail.uses_flat_scratch)
	.set _Z39paged_attention_ll4mi_QKV_mfma16_kernelI14__hip_bfloat16S0_LN4vllm18Fp8KVCacheDataTypeE0EhLi32ELi64ELi256ELb1ELi15EEvPKT_PKT0_S8_ifPKiSA_SA_iPKfiiiPfSD_PS3_PT2_iSC_SC_.has_dyn_sized_stack, or(0, .L__assert_fail.has_dyn_sized_stack)
	.set _Z39paged_attention_ll4mi_QKV_mfma16_kernelI14__hip_bfloat16S0_LN4vllm18Fp8KVCacheDataTypeE0EhLi32ELi64ELi256ELb1ELi15EEvPKT_PKT0_S8_ifPKiSA_SA_iPKfiiiPfSD_PS3_PT2_iSC_SC_.has_recursion, or(0, .L__assert_fail.has_recursion)
	.set _Z39paged_attention_ll4mi_QKV_mfma16_kernelI14__hip_bfloat16S0_LN4vllm18Fp8KVCacheDataTypeE0EhLi32ELi64ELi256ELb1ELi15EEvPKT_PKT0_S8_ifPKiSA_SA_iPKfiiiPfSD_PS3_PT2_iSC_SC_.has_indirect_call, or(0, .L__assert_fail.has_indirect_call)
	.section	.AMDGPU.csdata,"",@progbits
; Kernel info:
; codeLenInByte = 68
; TotalNumSgprs: 36
; NumVgprs: 51
; ScratchSize: 64
; MemoryBound: 0
; FloatMode: 240
; IeeeMode: 1
; LDSByteSize: 0 bytes/workgroup (compile time only)
; SGPRBlocks: 0
; VGPRBlocks: 3
; NumSGPRsForWavesPerEU: 36
; NumVGPRsForWavesPerEU: 51
; NamedBarCnt: 0
; Occupancy: 16
; WaveLimiterHint : 1
; COMPUTE_PGM_RSRC2:SCRATCH_EN: 1
; COMPUTE_PGM_RSRC2:USER_SGPR: 2
; COMPUTE_PGM_RSRC2:TRAP_HANDLER: 0
; COMPUTE_PGM_RSRC2:TGID_X_EN: 1
; COMPUTE_PGM_RSRC2:TGID_Y_EN: 0
; COMPUTE_PGM_RSRC2:TGID_Z_EN: 0
; COMPUTE_PGM_RSRC2:TIDIG_COMP_CNT: 0
	.section	.text._Z39paged_attention_ll4mi_QKV_mfma16_kernelI14__hip_bfloat16S0_LN4vllm18Fp8KVCacheDataTypeE0EhLi32ELi64ELi256ELb1ELi16EEvPKT_PKT0_S8_ifPKiSA_SA_iPKfiiiPfSD_PS3_PT2_iSC_SC_,"axG",@progbits,_Z39paged_attention_ll4mi_QKV_mfma16_kernelI14__hip_bfloat16S0_LN4vllm18Fp8KVCacheDataTypeE0EhLi32ELi64ELi256ELb1ELi16EEvPKT_PKT0_S8_ifPKiSA_SA_iPKfiiiPfSD_PS3_PT2_iSC_SC_,comdat
	.protected	_Z39paged_attention_ll4mi_QKV_mfma16_kernelI14__hip_bfloat16S0_LN4vllm18Fp8KVCacheDataTypeE0EhLi32ELi64ELi256ELb1ELi16EEvPKT_PKT0_S8_ifPKiSA_SA_iPKfiiiPfSD_PS3_PT2_iSC_SC_ ; -- Begin function _Z39paged_attention_ll4mi_QKV_mfma16_kernelI14__hip_bfloat16S0_LN4vllm18Fp8KVCacheDataTypeE0EhLi32ELi64ELi256ELb1ELi16EEvPKT_PKT0_S8_ifPKiSA_SA_iPKfiiiPfSD_PS3_PT2_iSC_SC_
	.globl	_Z39paged_attention_ll4mi_QKV_mfma16_kernelI14__hip_bfloat16S0_LN4vllm18Fp8KVCacheDataTypeE0EhLi32ELi64ELi256ELb1ELi16EEvPKT_PKT0_S8_ifPKiSA_SA_iPKfiiiPfSD_PS3_PT2_iSC_SC_
	.p2align	8
	.type	_Z39paged_attention_ll4mi_QKV_mfma16_kernelI14__hip_bfloat16S0_LN4vllm18Fp8KVCacheDataTypeE0EhLi32ELi64ELi256ELb1ELi16EEvPKT_PKT0_S8_ifPKiSA_SA_iPKfiiiPfSD_PS3_PT2_iSC_SC_,@function
_Z39paged_attention_ll4mi_QKV_mfma16_kernelI14__hip_bfloat16S0_LN4vllm18Fp8KVCacheDataTypeE0EhLi32ELi64ELi256ELb1ELi16EEvPKT_PKT0_S8_ifPKiSA_SA_iPKfiiiPfSD_PS3_PT2_iSC_SC_: ; @_Z39paged_attention_ll4mi_QKV_mfma16_kernelI14__hip_bfloat16S0_LN4vllm18Fp8KVCacheDataTypeE0EhLi32ELi64ELi256ELb1ELi16EEvPKT_PKT0_S8_ifPKiSA_SA_iPKfiiiPfSD_PS3_PT2_iSC_SC_
; %bb.0:
	s_get_pc_i64 s[2:3]
	s_add_nc_u64 s[2:3], s[2:3], __PRETTY_FUNCTION__._Z39paged_attention_ll4mi_QKV_mfma16_kernelI14__hip_bfloat16S0_LN4vllm18Fp8KVCacheDataTypeE0EhLi32ELi64ELi256ELb1ELi16EEvPKT_PKT0_S8_ifPKiSA_SA_iPKfiiiPfSD_PS3_PT2_iSC_SC_@rel64+4
	s_delay_alu instid0(SALU_CYCLE_1)
	v_dual_mov_b32 v0, 0xbb3 :: v_dual_mov_b32 v1, s2
	v_mov_b32_e32 v2, s3
	s_add_nc_u64 s[8:9], s[0:1], 0x90
	s_get_pc_i64 s[0:1]
	s_add_nc_u64 s[0:1], s[0:1], __assert_fail@rel64+4
	s_mov_b32 s32, 0
	s_swap_pc_i64 s[30:31], s[0:1]
	.section	.rodata,"a",@progbits
	.p2align	6, 0x0
	.amdhsa_kernel _Z39paged_attention_ll4mi_QKV_mfma16_kernelI14__hip_bfloat16S0_LN4vllm18Fp8KVCacheDataTypeE0EhLi32ELi64ELi256ELb1ELi16EEvPKT_PKT0_S8_ifPKiSA_SA_iPKfiiiPfSD_PS3_PT2_iSC_SC_
		.amdhsa_group_segment_fixed_size 0
		.amdhsa_private_segment_fixed_size 64
		.amdhsa_kernarg_size 400
		.amdhsa_user_sgpr_count 2
		.amdhsa_user_sgpr_dispatch_ptr 0
		.amdhsa_user_sgpr_queue_ptr 0
		.amdhsa_user_sgpr_kernarg_segment_ptr 1
		.amdhsa_user_sgpr_dispatch_id 0
		.amdhsa_user_sgpr_kernarg_preload_length 0
		.amdhsa_user_sgpr_kernarg_preload_offset 0
		.amdhsa_user_sgpr_private_segment_size 0
		.amdhsa_wavefront_size32 1
		.amdhsa_uses_dynamic_stack 0
		.amdhsa_enable_private_segment 1
		.amdhsa_system_sgpr_workgroup_id_x 1
		.amdhsa_system_sgpr_workgroup_id_y 0
		.amdhsa_system_sgpr_workgroup_id_z 0
		.amdhsa_system_sgpr_workgroup_info 0
		.amdhsa_system_vgpr_workitem_id 0
		.amdhsa_next_free_vgpr 51
		.amdhsa_next_free_sgpr 34
		.amdhsa_named_barrier_count 0
		.amdhsa_reserve_vcc 1
		.amdhsa_float_round_mode_32 0
		.amdhsa_float_round_mode_16_64 0
		.amdhsa_float_denorm_mode_32 3
		.amdhsa_float_denorm_mode_16_64 3
		.amdhsa_fp16_overflow 0
		.amdhsa_memory_ordered 1
		.amdhsa_forward_progress 1
		.amdhsa_inst_pref_size 1
		.amdhsa_round_robin_scheduling 0
		.amdhsa_exception_fp_ieee_invalid_op 0
		.amdhsa_exception_fp_denorm_src 0
		.amdhsa_exception_fp_ieee_div_zero 0
		.amdhsa_exception_fp_ieee_overflow 0
		.amdhsa_exception_fp_ieee_underflow 0
		.amdhsa_exception_fp_ieee_inexact 0
		.amdhsa_exception_int_div_zero 0
	.end_amdhsa_kernel
	.section	.text._Z39paged_attention_ll4mi_QKV_mfma16_kernelI14__hip_bfloat16S0_LN4vllm18Fp8KVCacheDataTypeE0EhLi32ELi64ELi256ELb1ELi16EEvPKT_PKT0_S8_ifPKiSA_SA_iPKfiiiPfSD_PS3_PT2_iSC_SC_,"axG",@progbits,_Z39paged_attention_ll4mi_QKV_mfma16_kernelI14__hip_bfloat16S0_LN4vllm18Fp8KVCacheDataTypeE0EhLi32ELi64ELi256ELb1ELi16EEvPKT_PKT0_S8_ifPKiSA_SA_iPKfiiiPfSD_PS3_PT2_iSC_SC_,comdat
.Lfunc_end513:
	.size	_Z39paged_attention_ll4mi_QKV_mfma16_kernelI14__hip_bfloat16S0_LN4vllm18Fp8KVCacheDataTypeE0EhLi32ELi64ELi256ELb1ELi16EEvPKT_PKT0_S8_ifPKiSA_SA_iPKfiiiPfSD_PS3_PT2_iSC_SC_, .Lfunc_end513-_Z39paged_attention_ll4mi_QKV_mfma16_kernelI14__hip_bfloat16S0_LN4vllm18Fp8KVCacheDataTypeE0EhLi32ELi64ELi256ELb1ELi16EEvPKT_PKT0_S8_ifPKiSA_SA_iPKfiiiPfSD_PS3_PT2_iSC_SC_
                                        ; -- End function
	.set _Z39paged_attention_ll4mi_QKV_mfma16_kernelI14__hip_bfloat16S0_LN4vllm18Fp8KVCacheDataTypeE0EhLi32ELi64ELi256ELb1ELi16EEvPKT_PKT0_S8_ifPKiSA_SA_iPKfiiiPfSD_PS3_PT2_iSC_SC_.num_vgpr, max(3, .L__assert_fail.num_vgpr)
	.set _Z39paged_attention_ll4mi_QKV_mfma16_kernelI14__hip_bfloat16S0_LN4vllm18Fp8KVCacheDataTypeE0EhLi32ELi64ELi256ELb1ELi16EEvPKT_PKT0_S8_ifPKiSA_SA_iPKfiiiPfSD_PS3_PT2_iSC_SC_.num_agpr, max(0, .L__assert_fail.num_agpr)
	.set _Z39paged_attention_ll4mi_QKV_mfma16_kernelI14__hip_bfloat16S0_LN4vllm18Fp8KVCacheDataTypeE0EhLi32ELi64ELi256ELb1ELi16EEvPKT_PKT0_S8_ifPKiSA_SA_iPKfiiiPfSD_PS3_PT2_iSC_SC_.numbered_sgpr, max(33, .L__assert_fail.numbered_sgpr)
	.set _Z39paged_attention_ll4mi_QKV_mfma16_kernelI14__hip_bfloat16S0_LN4vllm18Fp8KVCacheDataTypeE0EhLi32ELi64ELi256ELb1ELi16EEvPKT_PKT0_S8_ifPKiSA_SA_iPKfiiiPfSD_PS3_PT2_iSC_SC_.num_named_barrier, max(0, .L__assert_fail.num_named_barrier)
	.set _Z39paged_attention_ll4mi_QKV_mfma16_kernelI14__hip_bfloat16S0_LN4vllm18Fp8KVCacheDataTypeE0EhLi32ELi64ELi256ELb1ELi16EEvPKT_PKT0_S8_ifPKiSA_SA_iPKfiiiPfSD_PS3_PT2_iSC_SC_.private_seg_size, 0+max(.L__assert_fail.private_seg_size)
	.set _Z39paged_attention_ll4mi_QKV_mfma16_kernelI14__hip_bfloat16S0_LN4vllm18Fp8KVCacheDataTypeE0EhLi32ELi64ELi256ELb1ELi16EEvPKT_PKT0_S8_ifPKiSA_SA_iPKfiiiPfSD_PS3_PT2_iSC_SC_.uses_vcc, or(1, .L__assert_fail.uses_vcc)
	.set _Z39paged_attention_ll4mi_QKV_mfma16_kernelI14__hip_bfloat16S0_LN4vllm18Fp8KVCacheDataTypeE0EhLi32ELi64ELi256ELb1ELi16EEvPKT_PKT0_S8_ifPKiSA_SA_iPKfiiiPfSD_PS3_PT2_iSC_SC_.uses_flat_scratch, or(0, .L__assert_fail.uses_flat_scratch)
	.set _Z39paged_attention_ll4mi_QKV_mfma16_kernelI14__hip_bfloat16S0_LN4vllm18Fp8KVCacheDataTypeE0EhLi32ELi64ELi256ELb1ELi16EEvPKT_PKT0_S8_ifPKiSA_SA_iPKfiiiPfSD_PS3_PT2_iSC_SC_.has_dyn_sized_stack, or(0, .L__assert_fail.has_dyn_sized_stack)
	.set _Z39paged_attention_ll4mi_QKV_mfma16_kernelI14__hip_bfloat16S0_LN4vllm18Fp8KVCacheDataTypeE0EhLi32ELi64ELi256ELb1ELi16EEvPKT_PKT0_S8_ifPKiSA_SA_iPKfiiiPfSD_PS3_PT2_iSC_SC_.has_recursion, or(0, .L__assert_fail.has_recursion)
	.set _Z39paged_attention_ll4mi_QKV_mfma16_kernelI14__hip_bfloat16S0_LN4vllm18Fp8KVCacheDataTypeE0EhLi32ELi64ELi256ELb1ELi16EEvPKT_PKT0_S8_ifPKiSA_SA_iPKfiiiPfSD_PS3_PT2_iSC_SC_.has_indirect_call, or(0, .L__assert_fail.has_indirect_call)
	.section	.AMDGPU.csdata,"",@progbits
; Kernel info:
; codeLenInByte = 68
; TotalNumSgprs: 36
; NumVgprs: 51
; ScratchSize: 64
; MemoryBound: 0
; FloatMode: 240
; IeeeMode: 1
; LDSByteSize: 0 bytes/workgroup (compile time only)
; SGPRBlocks: 0
; VGPRBlocks: 3
; NumSGPRsForWavesPerEU: 36
; NumVGPRsForWavesPerEU: 51
; NamedBarCnt: 0
; Occupancy: 16
; WaveLimiterHint : 1
; COMPUTE_PGM_RSRC2:SCRATCH_EN: 1
; COMPUTE_PGM_RSRC2:USER_SGPR: 2
; COMPUTE_PGM_RSRC2:TRAP_HANDLER: 0
; COMPUTE_PGM_RSRC2:TGID_X_EN: 1
; COMPUTE_PGM_RSRC2:TGID_Y_EN: 0
; COMPUTE_PGM_RSRC2:TGID_Z_EN: 0
; COMPUTE_PGM_RSRC2:TIDIG_COMP_CNT: 0
	.section	.text._Z39paged_attention_ll4mi_QKV_mfma16_kernelI14__hip_bfloat16S0_LN4vllm18Fp8KVCacheDataTypeE0EhLi32ELi64ELi256ELb1ELi1EEvPKT_PKT0_S8_ifPKiSA_SA_iPKfiiiPfSD_PS3_PT2_iSC_SC_,"axG",@progbits,_Z39paged_attention_ll4mi_QKV_mfma16_kernelI14__hip_bfloat16S0_LN4vllm18Fp8KVCacheDataTypeE0EhLi32ELi64ELi256ELb1ELi1EEvPKT_PKT0_S8_ifPKiSA_SA_iPKfiiiPfSD_PS3_PT2_iSC_SC_,comdat
	.protected	_Z39paged_attention_ll4mi_QKV_mfma16_kernelI14__hip_bfloat16S0_LN4vllm18Fp8KVCacheDataTypeE0EhLi32ELi64ELi256ELb1ELi1EEvPKT_PKT0_S8_ifPKiSA_SA_iPKfiiiPfSD_PS3_PT2_iSC_SC_ ; -- Begin function _Z39paged_attention_ll4mi_QKV_mfma16_kernelI14__hip_bfloat16S0_LN4vllm18Fp8KVCacheDataTypeE0EhLi32ELi64ELi256ELb1ELi1EEvPKT_PKT0_S8_ifPKiSA_SA_iPKfiiiPfSD_PS3_PT2_iSC_SC_
	.globl	_Z39paged_attention_ll4mi_QKV_mfma16_kernelI14__hip_bfloat16S0_LN4vllm18Fp8KVCacheDataTypeE0EhLi32ELi64ELi256ELb1ELi1EEvPKT_PKT0_S8_ifPKiSA_SA_iPKfiiiPfSD_PS3_PT2_iSC_SC_
	.p2align	8
	.type	_Z39paged_attention_ll4mi_QKV_mfma16_kernelI14__hip_bfloat16S0_LN4vllm18Fp8KVCacheDataTypeE0EhLi32ELi64ELi256ELb1ELi1EEvPKT_PKT0_S8_ifPKiSA_SA_iPKfiiiPfSD_PS3_PT2_iSC_SC_,@function
_Z39paged_attention_ll4mi_QKV_mfma16_kernelI14__hip_bfloat16S0_LN4vllm18Fp8KVCacheDataTypeE0EhLi32ELi64ELi256ELb1ELi1EEvPKT_PKT0_S8_ifPKiSA_SA_iPKfiiiPfSD_PS3_PT2_iSC_SC_: ; @_Z39paged_attention_ll4mi_QKV_mfma16_kernelI14__hip_bfloat16S0_LN4vllm18Fp8KVCacheDataTypeE0EhLi32ELi64ELi256ELb1ELi1EEvPKT_PKT0_S8_ifPKiSA_SA_iPKfiiiPfSD_PS3_PT2_iSC_SC_
; %bb.0:
	s_get_pc_i64 s[2:3]
	s_add_nc_u64 s[2:3], s[2:3], __PRETTY_FUNCTION__._Z39paged_attention_ll4mi_QKV_mfma16_kernelI14__hip_bfloat16S0_LN4vllm18Fp8KVCacheDataTypeE0EhLi32ELi64ELi256ELb1ELi1EEvPKT_PKT0_S8_ifPKiSA_SA_iPKfiiiPfSD_PS3_PT2_iSC_SC_@rel64+4
	s_delay_alu instid0(SALU_CYCLE_1)
	v_dual_mov_b32 v0, 0xbb3 :: v_dual_mov_b32 v1, s2
	v_mov_b32_e32 v2, s3
	s_add_nc_u64 s[8:9], s[0:1], 0x90
	s_get_pc_i64 s[0:1]
	s_add_nc_u64 s[0:1], s[0:1], __assert_fail@rel64+4
	s_mov_b32 s32, 0
	s_swap_pc_i64 s[30:31], s[0:1]
	.section	.rodata,"a",@progbits
	.p2align	6, 0x0
	.amdhsa_kernel _Z39paged_attention_ll4mi_QKV_mfma16_kernelI14__hip_bfloat16S0_LN4vllm18Fp8KVCacheDataTypeE0EhLi32ELi64ELi256ELb1ELi1EEvPKT_PKT0_S8_ifPKiSA_SA_iPKfiiiPfSD_PS3_PT2_iSC_SC_
		.amdhsa_group_segment_fixed_size 0
		.amdhsa_private_segment_fixed_size 64
		.amdhsa_kernarg_size 400
		.amdhsa_user_sgpr_count 2
		.amdhsa_user_sgpr_dispatch_ptr 0
		.amdhsa_user_sgpr_queue_ptr 0
		.amdhsa_user_sgpr_kernarg_segment_ptr 1
		.amdhsa_user_sgpr_dispatch_id 0
		.amdhsa_user_sgpr_kernarg_preload_length 0
		.amdhsa_user_sgpr_kernarg_preload_offset 0
		.amdhsa_user_sgpr_private_segment_size 0
		.amdhsa_wavefront_size32 1
		.amdhsa_uses_dynamic_stack 0
		.amdhsa_enable_private_segment 1
		.amdhsa_system_sgpr_workgroup_id_x 1
		.amdhsa_system_sgpr_workgroup_id_y 0
		.amdhsa_system_sgpr_workgroup_id_z 0
		.amdhsa_system_sgpr_workgroup_info 0
		.amdhsa_system_vgpr_workitem_id 0
		.amdhsa_next_free_vgpr 51
		.amdhsa_next_free_sgpr 34
		.amdhsa_named_barrier_count 0
		.amdhsa_reserve_vcc 1
		.amdhsa_float_round_mode_32 0
		.amdhsa_float_round_mode_16_64 0
		.amdhsa_float_denorm_mode_32 3
		.amdhsa_float_denorm_mode_16_64 3
		.amdhsa_fp16_overflow 0
		.amdhsa_memory_ordered 1
		.amdhsa_forward_progress 1
		.amdhsa_inst_pref_size 1
		.amdhsa_round_robin_scheduling 0
		.amdhsa_exception_fp_ieee_invalid_op 0
		.amdhsa_exception_fp_denorm_src 0
		.amdhsa_exception_fp_ieee_div_zero 0
		.amdhsa_exception_fp_ieee_overflow 0
		.amdhsa_exception_fp_ieee_underflow 0
		.amdhsa_exception_fp_ieee_inexact 0
		.amdhsa_exception_int_div_zero 0
	.end_amdhsa_kernel
	.section	.text._Z39paged_attention_ll4mi_QKV_mfma16_kernelI14__hip_bfloat16S0_LN4vllm18Fp8KVCacheDataTypeE0EhLi32ELi64ELi256ELb1ELi1EEvPKT_PKT0_S8_ifPKiSA_SA_iPKfiiiPfSD_PS3_PT2_iSC_SC_,"axG",@progbits,_Z39paged_attention_ll4mi_QKV_mfma16_kernelI14__hip_bfloat16S0_LN4vllm18Fp8KVCacheDataTypeE0EhLi32ELi64ELi256ELb1ELi1EEvPKT_PKT0_S8_ifPKiSA_SA_iPKfiiiPfSD_PS3_PT2_iSC_SC_,comdat
.Lfunc_end514:
	.size	_Z39paged_attention_ll4mi_QKV_mfma16_kernelI14__hip_bfloat16S0_LN4vllm18Fp8KVCacheDataTypeE0EhLi32ELi64ELi256ELb1ELi1EEvPKT_PKT0_S8_ifPKiSA_SA_iPKfiiiPfSD_PS3_PT2_iSC_SC_, .Lfunc_end514-_Z39paged_attention_ll4mi_QKV_mfma16_kernelI14__hip_bfloat16S0_LN4vllm18Fp8KVCacheDataTypeE0EhLi32ELi64ELi256ELb1ELi1EEvPKT_PKT0_S8_ifPKiSA_SA_iPKfiiiPfSD_PS3_PT2_iSC_SC_
                                        ; -- End function
	.set _Z39paged_attention_ll4mi_QKV_mfma16_kernelI14__hip_bfloat16S0_LN4vllm18Fp8KVCacheDataTypeE0EhLi32ELi64ELi256ELb1ELi1EEvPKT_PKT0_S8_ifPKiSA_SA_iPKfiiiPfSD_PS3_PT2_iSC_SC_.num_vgpr, max(3, .L__assert_fail.num_vgpr)
	.set _Z39paged_attention_ll4mi_QKV_mfma16_kernelI14__hip_bfloat16S0_LN4vllm18Fp8KVCacheDataTypeE0EhLi32ELi64ELi256ELb1ELi1EEvPKT_PKT0_S8_ifPKiSA_SA_iPKfiiiPfSD_PS3_PT2_iSC_SC_.num_agpr, max(0, .L__assert_fail.num_agpr)
	.set _Z39paged_attention_ll4mi_QKV_mfma16_kernelI14__hip_bfloat16S0_LN4vllm18Fp8KVCacheDataTypeE0EhLi32ELi64ELi256ELb1ELi1EEvPKT_PKT0_S8_ifPKiSA_SA_iPKfiiiPfSD_PS3_PT2_iSC_SC_.numbered_sgpr, max(33, .L__assert_fail.numbered_sgpr)
	.set _Z39paged_attention_ll4mi_QKV_mfma16_kernelI14__hip_bfloat16S0_LN4vllm18Fp8KVCacheDataTypeE0EhLi32ELi64ELi256ELb1ELi1EEvPKT_PKT0_S8_ifPKiSA_SA_iPKfiiiPfSD_PS3_PT2_iSC_SC_.num_named_barrier, max(0, .L__assert_fail.num_named_barrier)
	.set _Z39paged_attention_ll4mi_QKV_mfma16_kernelI14__hip_bfloat16S0_LN4vllm18Fp8KVCacheDataTypeE0EhLi32ELi64ELi256ELb1ELi1EEvPKT_PKT0_S8_ifPKiSA_SA_iPKfiiiPfSD_PS3_PT2_iSC_SC_.private_seg_size, 0+max(.L__assert_fail.private_seg_size)
	.set _Z39paged_attention_ll4mi_QKV_mfma16_kernelI14__hip_bfloat16S0_LN4vllm18Fp8KVCacheDataTypeE0EhLi32ELi64ELi256ELb1ELi1EEvPKT_PKT0_S8_ifPKiSA_SA_iPKfiiiPfSD_PS3_PT2_iSC_SC_.uses_vcc, or(1, .L__assert_fail.uses_vcc)
	.set _Z39paged_attention_ll4mi_QKV_mfma16_kernelI14__hip_bfloat16S0_LN4vllm18Fp8KVCacheDataTypeE0EhLi32ELi64ELi256ELb1ELi1EEvPKT_PKT0_S8_ifPKiSA_SA_iPKfiiiPfSD_PS3_PT2_iSC_SC_.uses_flat_scratch, or(0, .L__assert_fail.uses_flat_scratch)
	.set _Z39paged_attention_ll4mi_QKV_mfma16_kernelI14__hip_bfloat16S0_LN4vllm18Fp8KVCacheDataTypeE0EhLi32ELi64ELi256ELb1ELi1EEvPKT_PKT0_S8_ifPKiSA_SA_iPKfiiiPfSD_PS3_PT2_iSC_SC_.has_dyn_sized_stack, or(0, .L__assert_fail.has_dyn_sized_stack)
	.set _Z39paged_attention_ll4mi_QKV_mfma16_kernelI14__hip_bfloat16S0_LN4vllm18Fp8KVCacheDataTypeE0EhLi32ELi64ELi256ELb1ELi1EEvPKT_PKT0_S8_ifPKiSA_SA_iPKfiiiPfSD_PS3_PT2_iSC_SC_.has_recursion, or(0, .L__assert_fail.has_recursion)
	.set _Z39paged_attention_ll4mi_QKV_mfma16_kernelI14__hip_bfloat16S0_LN4vllm18Fp8KVCacheDataTypeE0EhLi32ELi64ELi256ELb1ELi1EEvPKT_PKT0_S8_ifPKiSA_SA_iPKfiiiPfSD_PS3_PT2_iSC_SC_.has_indirect_call, or(0, .L__assert_fail.has_indirect_call)
	.section	.AMDGPU.csdata,"",@progbits
; Kernel info:
; codeLenInByte = 68
; TotalNumSgprs: 36
; NumVgprs: 51
; ScratchSize: 64
; MemoryBound: 0
; FloatMode: 240
; IeeeMode: 1
; LDSByteSize: 0 bytes/workgroup (compile time only)
; SGPRBlocks: 0
; VGPRBlocks: 3
; NumSGPRsForWavesPerEU: 36
; NumVGPRsForWavesPerEU: 51
; NamedBarCnt: 0
; Occupancy: 16
; WaveLimiterHint : 1
; COMPUTE_PGM_RSRC2:SCRATCH_EN: 1
; COMPUTE_PGM_RSRC2:USER_SGPR: 2
; COMPUTE_PGM_RSRC2:TRAP_HANDLER: 0
; COMPUTE_PGM_RSRC2:TGID_X_EN: 1
; COMPUTE_PGM_RSRC2:TGID_Y_EN: 0
; COMPUTE_PGM_RSRC2:TGID_Z_EN: 0
; COMPUTE_PGM_RSRC2:TIDIG_COMP_CNT: 0
	.section	.text._Z39paged_attention_ll4mi_QKV_mfma16_kernelI14__hip_bfloat16S0_LN4vllm18Fp8KVCacheDataTypeE0EhLi32ELi64ELi256ELb1ELi2EEvPKT_PKT0_S8_ifPKiSA_SA_iPKfiiiPfSD_PS3_PT2_iSC_SC_,"axG",@progbits,_Z39paged_attention_ll4mi_QKV_mfma16_kernelI14__hip_bfloat16S0_LN4vllm18Fp8KVCacheDataTypeE0EhLi32ELi64ELi256ELb1ELi2EEvPKT_PKT0_S8_ifPKiSA_SA_iPKfiiiPfSD_PS3_PT2_iSC_SC_,comdat
	.protected	_Z39paged_attention_ll4mi_QKV_mfma16_kernelI14__hip_bfloat16S0_LN4vllm18Fp8KVCacheDataTypeE0EhLi32ELi64ELi256ELb1ELi2EEvPKT_PKT0_S8_ifPKiSA_SA_iPKfiiiPfSD_PS3_PT2_iSC_SC_ ; -- Begin function _Z39paged_attention_ll4mi_QKV_mfma16_kernelI14__hip_bfloat16S0_LN4vllm18Fp8KVCacheDataTypeE0EhLi32ELi64ELi256ELb1ELi2EEvPKT_PKT0_S8_ifPKiSA_SA_iPKfiiiPfSD_PS3_PT2_iSC_SC_
	.globl	_Z39paged_attention_ll4mi_QKV_mfma16_kernelI14__hip_bfloat16S0_LN4vllm18Fp8KVCacheDataTypeE0EhLi32ELi64ELi256ELb1ELi2EEvPKT_PKT0_S8_ifPKiSA_SA_iPKfiiiPfSD_PS3_PT2_iSC_SC_
	.p2align	8
	.type	_Z39paged_attention_ll4mi_QKV_mfma16_kernelI14__hip_bfloat16S0_LN4vllm18Fp8KVCacheDataTypeE0EhLi32ELi64ELi256ELb1ELi2EEvPKT_PKT0_S8_ifPKiSA_SA_iPKfiiiPfSD_PS3_PT2_iSC_SC_,@function
_Z39paged_attention_ll4mi_QKV_mfma16_kernelI14__hip_bfloat16S0_LN4vllm18Fp8KVCacheDataTypeE0EhLi32ELi64ELi256ELb1ELi2EEvPKT_PKT0_S8_ifPKiSA_SA_iPKfiiiPfSD_PS3_PT2_iSC_SC_: ; @_Z39paged_attention_ll4mi_QKV_mfma16_kernelI14__hip_bfloat16S0_LN4vllm18Fp8KVCacheDataTypeE0EhLi32ELi64ELi256ELb1ELi2EEvPKT_PKT0_S8_ifPKiSA_SA_iPKfiiiPfSD_PS3_PT2_iSC_SC_
; %bb.0:
	s_get_pc_i64 s[2:3]
	s_add_nc_u64 s[2:3], s[2:3], __PRETTY_FUNCTION__._Z39paged_attention_ll4mi_QKV_mfma16_kernelI14__hip_bfloat16S0_LN4vllm18Fp8KVCacheDataTypeE0EhLi32ELi64ELi256ELb1ELi2EEvPKT_PKT0_S8_ifPKiSA_SA_iPKfiiiPfSD_PS3_PT2_iSC_SC_@rel64+4
	s_delay_alu instid0(SALU_CYCLE_1)
	v_dual_mov_b32 v0, 0xbb3 :: v_dual_mov_b32 v1, s2
	v_mov_b32_e32 v2, s3
	s_add_nc_u64 s[8:9], s[0:1], 0x90
	s_get_pc_i64 s[0:1]
	s_add_nc_u64 s[0:1], s[0:1], __assert_fail@rel64+4
	s_mov_b32 s32, 0
	s_swap_pc_i64 s[30:31], s[0:1]
	.section	.rodata,"a",@progbits
	.p2align	6, 0x0
	.amdhsa_kernel _Z39paged_attention_ll4mi_QKV_mfma16_kernelI14__hip_bfloat16S0_LN4vllm18Fp8KVCacheDataTypeE0EhLi32ELi64ELi256ELb1ELi2EEvPKT_PKT0_S8_ifPKiSA_SA_iPKfiiiPfSD_PS3_PT2_iSC_SC_
		.amdhsa_group_segment_fixed_size 0
		.amdhsa_private_segment_fixed_size 64
		.amdhsa_kernarg_size 400
		.amdhsa_user_sgpr_count 2
		.amdhsa_user_sgpr_dispatch_ptr 0
		.amdhsa_user_sgpr_queue_ptr 0
		.amdhsa_user_sgpr_kernarg_segment_ptr 1
		.amdhsa_user_sgpr_dispatch_id 0
		.amdhsa_user_sgpr_kernarg_preload_length 0
		.amdhsa_user_sgpr_kernarg_preload_offset 0
		.amdhsa_user_sgpr_private_segment_size 0
		.amdhsa_wavefront_size32 1
		.amdhsa_uses_dynamic_stack 0
		.amdhsa_enable_private_segment 1
		.amdhsa_system_sgpr_workgroup_id_x 1
		.amdhsa_system_sgpr_workgroup_id_y 0
		.amdhsa_system_sgpr_workgroup_id_z 0
		.amdhsa_system_sgpr_workgroup_info 0
		.amdhsa_system_vgpr_workitem_id 0
		.amdhsa_next_free_vgpr 51
		.amdhsa_next_free_sgpr 34
		.amdhsa_named_barrier_count 0
		.amdhsa_reserve_vcc 1
		.amdhsa_float_round_mode_32 0
		.amdhsa_float_round_mode_16_64 0
		.amdhsa_float_denorm_mode_32 3
		.amdhsa_float_denorm_mode_16_64 3
		.amdhsa_fp16_overflow 0
		.amdhsa_memory_ordered 1
		.amdhsa_forward_progress 1
		.amdhsa_inst_pref_size 1
		.amdhsa_round_robin_scheduling 0
		.amdhsa_exception_fp_ieee_invalid_op 0
		.amdhsa_exception_fp_denorm_src 0
		.amdhsa_exception_fp_ieee_div_zero 0
		.amdhsa_exception_fp_ieee_overflow 0
		.amdhsa_exception_fp_ieee_underflow 0
		.amdhsa_exception_fp_ieee_inexact 0
		.amdhsa_exception_int_div_zero 0
	.end_amdhsa_kernel
	.section	.text._Z39paged_attention_ll4mi_QKV_mfma16_kernelI14__hip_bfloat16S0_LN4vllm18Fp8KVCacheDataTypeE0EhLi32ELi64ELi256ELb1ELi2EEvPKT_PKT0_S8_ifPKiSA_SA_iPKfiiiPfSD_PS3_PT2_iSC_SC_,"axG",@progbits,_Z39paged_attention_ll4mi_QKV_mfma16_kernelI14__hip_bfloat16S0_LN4vllm18Fp8KVCacheDataTypeE0EhLi32ELi64ELi256ELb1ELi2EEvPKT_PKT0_S8_ifPKiSA_SA_iPKfiiiPfSD_PS3_PT2_iSC_SC_,comdat
.Lfunc_end515:
	.size	_Z39paged_attention_ll4mi_QKV_mfma16_kernelI14__hip_bfloat16S0_LN4vllm18Fp8KVCacheDataTypeE0EhLi32ELi64ELi256ELb1ELi2EEvPKT_PKT0_S8_ifPKiSA_SA_iPKfiiiPfSD_PS3_PT2_iSC_SC_, .Lfunc_end515-_Z39paged_attention_ll4mi_QKV_mfma16_kernelI14__hip_bfloat16S0_LN4vllm18Fp8KVCacheDataTypeE0EhLi32ELi64ELi256ELb1ELi2EEvPKT_PKT0_S8_ifPKiSA_SA_iPKfiiiPfSD_PS3_PT2_iSC_SC_
                                        ; -- End function
	.set _Z39paged_attention_ll4mi_QKV_mfma16_kernelI14__hip_bfloat16S0_LN4vllm18Fp8KVCacheDataTypeE0EhLi32ELi64ELi256ELb1ELi2EEvPKT_PKT0_S8_ifPKiSA_SA_iPKfiiiPfSD_PS3_PT2_iSC_SC_.num_vgpr, max(3, .L__assert_fail.num_vgpr)
	.set _Z39paged_attention_ll4mi_QKV_mfma16_kernelI14__hip_bfloat16S0_LN4vllm18Fp8KVCacheDataTypeE0EhLi32ELi64ELi256ELb1ELi2EEvPKT_PKT0_S8_ifPKiSA_SA_iPKfiiiPfSD_PS3_PT2_iSC_SC_.num_agpr, max(0, .L__assert_fail.num_agpr)
	.set _Z39paged_attention_ll4mi_QKV_mfma16_kernelI14__hip_bfloat16S0_LN4vllm18Fp8KVCacheDataTypeE0EhLi32ELi64ELi256ELb1ELi2EEvPKT_PKT0_S8_ifPKiSA_SA_iPKfiiiPfSD_PS3_PT2_iSC_SC_.numbered_sgpr, max(33, .L__assert_fail.numbered_sgpr)
	.set _Z39paged_attention_ll4mi_QKV_mfma16_kernelI14__hip_bfloat16S0_LN4vllm18Fp8KVCacheDataTypeE0EhLi32ELi64ELi256ELb1ELi2EEvPKT_PKT0_S8_ifPKiSA_SA_iPKfiiiPfSD_PS3_PT2_iSC_SC_.num_named_barrier, max(0, .L__assert_fail.num_named_barrier)
	.set _Z39paged_attention_ll4mi_QKV_mfma16_kernelI14__hip_bfloat16S0_LN4vllm18Fp8KVCacheDataTypeE0EhLi32ELi64ELi256ELb1ELi2EEvPKT_PKT0_S8_ifPKiSA_SA_iPKfiiiPfSD_PS3_PT2_iSC_SC_.private_seg_size, 0+max(.L__assert_fail.private_seg_size)
	.set _Z39paged_attention_ll4mi_QKV_mfma16_kernelI14__hip_bfloat16S0_LN4vllm18Fp8KVCacheDataTypeE0EhLi32ELi64ELi256ELb1ELi2EEvPKT_PKT0_S8_ifPKiSA_SA_iPKfiiiPfSD_PS3_PT2_iSC_SC_.uses_vcc, or(1, .L__assert_fail.uses_vcc)
	.set _Z39paged_attention_ll4mi_QKV_mfma16_kernelI14__hip_bfloat16S0_LN4vllm18Fp8KVCacheDataTypeE0EhLi32ELi64ELi256ELb1ELi2EEvPKT_PKT0_S8_ifPKiSA_SA_iPKfiiiPfSD_PS3_PT2_iSC_SC_.uses_flat_scratch, or(0, .L__assert_fail.uses_flat_scratch)
	.set _Z39paged_attention_ll4mi_QKV_mfma16_kernelI14__hip_bfloat16S0_LN4vllm18Fp8KVCacheDataTypeE0EhLi32ELi64ELi256ELb1ELi2EEvPKT_PKT0_S8_ifPKiSA_SA_iPKfiiiPfSD_PS3_PT2_iSC_SC_.has_dyn_sized_stack, or(0, .L__assert_fail.has_dyn_sized_stack)
	.set _Z39paged_attention_ll4mi_QKV_mfma16_kernelI14__hip_bfloat16S0_LN4vllm18Fp8KVCacheDataTypeE0EhLi32ELi64ELi256ELb1ELi2EEvPKT_PKT0_S8_ifPKiSA_SA_iPKfiiiPfSD_PS3_PT2_iSC_SC_.has_recursion, or(0, .L__assert_fail.has_recursion)
	.set _Z39paged_attention_ll4mi_QKV_mfma16_kernelI14__hip_bfloat16S0_LN4vllm18Fp8KVCacheDataTypeE0EhLi32ELi64ELi256ELb1ELi2EEvPKT_PKT0_S8_ifPKiSA_SA_iPKfiiiPfSD_PS3_PT2_iSC_SC_.has_indirect_call, or(0, .L__assert_fail.has_indirect_call)
	.section	.AMDGPU.csdata,"",@progbits
; Kernel info:
; codeLenInByte = 68
; TotalNumSgprs: 36
; NumVgprs: 51
; ScratchSize: 64
; MemoryBound: 0
; FloatMode: 240
; IeeeMode: 1
; LDSByteSize: 0 bytes/workgroup (compile time only)
; SGPRBlocks: 0
; VGPRBlocks: 3
; NumSGPRsForWavesPerEU: 36
; NumVGPRsForWavesPerEU: 51
; NamedBarCnt: 0
; Occupancy: 16
; WaveLimiterHint : 1
; COMPUTE_PGM_RSRC2:SCRATCH_EN: 1
; COMPUTE_PGM_RSRC2:USER_SGPR: 2
; COMPUTE_PGM_RSRC2:TRAP_HANDLER: 0
; COMPUTE_PGM_RSRC2:TGID_X_EN: 1
; COMPUTE_PGM_RSRC2:TGID_Y_EN: 0
; COMPUTE_PGM_RSRC2:TGID_Z_EN: 0
; COMPUTE_PGM_RSRC2:TIDIG_COMP_CNT: 0
	.section	.text._Z39paged_attention_ll4mi_QKV_mfma16_kernelI14__hip_bfloat16S0_LN4vllm18Fp8KVCacheDataTypeE0EhLi32ELi64ELi256ELb1ELi3EEvPKT_PKT0_S8_ifPKiSA_SA_iPKfiiiPfSD_PS3_PT2_iSC_SC_,"axG",@progbits,_Z39paged_attention_ll4mi_QKV_mfma16_kernelI14__hip_bfloat16S0_LN4vllm18Fp8KVCacheDataTypeE0EhLi32ELi64ELi256ELb1ELi3EEvPKT_PKT0_S8_ifPKiSA_SA_iPKfiiiPfSD_PS3_PT2_iSC_SC_,comdat
	.protected	_Z39paged_attention_ll4mi_QKV_mfma16_kernelI14__hip_bfloat16S0_LN4vllm18Fp8KVCacheDataTypeE0EhLi32ELi64ELi256ELb1ELi3EEvPKT_PKT0_S8_ifPKiSA_SA_iPKfiiiPfSD_PS3_PT2_iSC_SC_ ; -- Begin function _Z39paged_attention_ll4mi_QKV_mfma16_kernelI14__hip_bfloat16S0_LN4vllm18Fp8KVCacheDataTypeE0EhLi32ELi64ELi256ELb1ELi3EEvPKT_PKT0_S8_ifPKiSA_SA_iPKfiiiPfSD_PS3_PT2_iSC_SC_
	.globl	_Z39paged_attention_ll4mi_QKV_mfma16_kernelI14__hip_bfloat16S0_LN4vllm18Fp8KVCacheDataTypeE0EhLi32ELi64ELi256ELb1ELi3EEvPKT_PKT0_S8_ifPKiSA_SA_iPKfiiiPfSD_PS3_PT2_iSC_SC_
	.p2align	8
	.type	_Z39paged_attention_ll4mi_QKV_mfma16_kernelI14__hip_bfloat16S0_LN4vllm18Fp8KVCacheDataTypeE0EhLi32ELi64ELi256ELb1ELi3EEvPKT_PKT0_S8_ifPKiSA_SA_iPKfiiiPfSD_PS3_PT2_iSC_SC_,@function
_Z39paged_attention_ll4mi_QKV_mfma16_kernelI14__hip_bfloat16S0_LN4vllm18Fp8KVCacheDataTypeE0EhLi32ELi64ELi256ELb1ELi3EEvPKT_PKT0_S8_ifPKiSA_SA_iPKfiiiPfSD_PS3_PT2_iSC_SC_: ; @_Z39paged_attention_ll4mi_QKV_mfma16_kernelI14__hip_bfloat16S0_LN4vllm18Fp8KVCacheDataTypeE0EhLi32ELi64ELi256ELb1ELi3EEvPKT_PKT0_S8_ifPKiSA_SA_iPKfiiiPfSD_PS3_PT2_iSC_SC_
; %bb.0:
	s_get_pc_i64 s[2:3]
	s_add_nc_u64 s[2:3], s[2:3], __PRETTY_FUNCTION__._Z39paged_attention_ll4mi_QKV_mfma16_kernelI14__hip_bfloat16S0_LN4vllm18Fp8KVCacheDataTypeE0EhLi32ELi64ELi256ELb1ELi3EEvPKT_PKT0_S8_ifPKiSA_SA_iPKfiiiPfSD_PS3_PT2_iSC_SC_@rel64+4
	s_delay_alu instid0(SALU_CYCLE_1)
	v_dual_mov_b32 v0, 0xbb3 :: v_dual_mov_b32 v1, s2
	v_mov_b32_e32 v2, s3
	s_add_nc_u64 s[8:9], s[0:1], 0x90
	s_get_pc_i64 s[0:1]
	s_add_nc_u64 s[0:1], s[0:1], __assert_fail@rel64+4
	s_mov_b32 s32, 0
	s_swap_pc_i64 s[30:31], s[0:1]
	.section	.rodata,"a",@progbits
	.p2align	6, 0x0
	.amdhsa_kernel _Z39paged_attention_ll4mi_QKV_mfma16_kernelI14__hip_bfloat16S0_LN4vllm18Fp8KVCacheDataTypeE0EhLi32ELi64ELi256ELb1ELi3EEvPKT_PKT0_S8_ifPKiSA_SA_iPKfiiiPfSD_PS3_PT2_iSC_SC_
		.amdhsa_group_segment_fixed_size 0
		.amdhsa_private_segment_fixed_size 64
		.amdhsa_kernarg_size 400
		.amdhsa_user_sgpr_count 2
		.amdhsa_user_sgpr_dispatch_ptr 0
		.amdhsa_user_sgpr_queue_ptr 0
		.amdhsa_user_sgpr_kernarg_segment_ptr 1
		.amdhsa_user_sgpr_dispatch_id 0
		.amdhsa_user_sgpr_kernarg_preload_length 0
		.amdhsa_user_sgpr_kernarg_preload_offset 0
		.amdhsa_user_sgpr_private_segment_size 0
		.amdhsa_wavefront_size32 1
		.amdhsa_uses_dynamic_stack 0
		.amdhsa_enable_private_segment 1
		.amdhsa_system_sgpr_workgroup_id_x 1
		.amdhsa_system_sgpr_workgroup_id_y 0
		.amdhsa_system_sgpr_workgroup_id_z 0
		.amdhsa_system_sgpr_workgroup_info 0
		.amdhsa_system_vgpr_workitem_id 0
		.amdhsa_next_free_vgpr 51
		.amdhsa_next_free_sgpr 34
		.amdhsa_named_barrier_count 0
		.amdhsa_reserve_vcc 1
		.amdhsa_float_round_mode_32 0
		.amdhsa_float_round_mode_16_64 0
		.amdhsa_float_denorm_mode_32 3
		.amdhsa_float_denorm_mode_16_64 3
		.amdhsa_fp16_overflow 0
		.amdhsa_memory_ordered 1
		.amdhsa_forward_progress 1
		.amdhsa_inst_pref_size 1
		.amdhsa_round_robin_scheduling 0
		.amdhsa_exception_fp_ieee_invalid_op 0
		.amdhsa_exception_fp_denorm_src 0
		.amdhsa_exception_fp_ieee_div_zero 0
		.amdhsa_exception_fp_ieee_overflow 0
		.amdhsa_exception_fp_ieee_underflow 0
		.amdhsa_exception_fp_ieee_inexact 0
		.amdhsa_exception_int_div_zero 0
	.end_amdhsa_kernel
	.section	.text._Z39paged_attention_ll4mi_QKV_mfma16_kernelI14__hip_bfloat16S0_LN4vllm18Fp8KVCacheDataTypeE0EhLi32ELi64ELi256ELb1ELi3EEvPKT_PKT0_S8_ifPKiSA_SA_iPKfiiiPfSD_PS3_PT2_iSC_SC_,"axG",@progbits,_Z39paged_attention_ll4mi_QKV_mfma16_kernelI14__hip_bfloat16S0_LN4vllm18Fp8KVCacheDataTypeE0EhLi32ELi64ELi256ELb1ELi3EEvPKT_PKT0_S8_ifPKiSA_SA_iPKfiiiPfSD_PS3_PT2_iSC_SC_,comdat
.Lfunc_end516:
	.size	_Z39paged_attention_ll4mi_QKV_mfma16_kernelI14__hip_bfloat16S0_LN4vllm18Fp8KVCacheDataTypeE0EhLi32ELi64ELi256ELb1ELi3EEvPKT_PKT0_S8_ifPKiSA_SA_iPKfiiiPfSD_PS3_PT2_iSC_SC_, .Lfunc_end516-_Z39paged_attention_ll4mi_QKV_mfma16_kernelI14__hip_bfloat16S0_LN4vllm18Fp8KVCacheDataTypeE0EhLi32ELi64ELi256ELb1ELi3EEvPKT_PKT0_S8_ifPKiSA_SA_iPKfiiiPfSD_PS3_PT2_iSC_SC_
                                        ; -- End function
	.set _Z39paged_attention_ll4mi_QKV_mfma16_kernelI14__hip_bfloat16S0_LN4vllm18Fp8KVCacheDataTypeE0EhLi32ELi64ELi256ELb1ELi3EEvPKT_PKT0_S8_ifPKiSA_SA_iPKfiiiPfSD_PS3_PT2_iSC_SC_.num_vgpr, max(3, .L__assert_fail.num_vgpr)
	.set _Z39paged_attention_ll4mi_QKV_mfma16_kernelI14__hip_bfloat16S0_LN4vllm18Fp8KVCacheDataTypeE0EhLi32ELi64ELi256ELb1ELi3EEvPKT_PKT0_S8_ifPKiSA_SA_iPKfiiiPfSD_PS3_PT2_iSC_SC_.num_agpr, max(0, .L__assert_fail.num_agpr)
	.set _Z39paged_attention_ll4mi_QKV_mfma16_kernelI14__hip_bfloat16S0_LN4vllm18Fp8KVCacheDataTypeE0EhLi32ELi64ELi256ELb1ELi3EEvPKT_PKT0_S8_ifPKiSA_SA_iPKfiiiPfSD_PS3_PT2_iSC_SC_.numbered_sgpr, max(33, .L__assert_fail.numbered_sgpr)
	.set _Z39paged_attention_ll4mi_QKV_mfma16_kernelI14__hip_bfloat16S0_LN4vllm18Fp8KVCacheDataTypeE0EhLi32ELi64ELi256ELb1ELi3EEvPKT_PKT0_S8_ifPKiSA_SA_iPKfiiiPfSD_PS3_PT2_iSC_SC_.num_named_barrier, max(0, .L__assert_fail.num_named_barrier)
	.set _Z39paged_attention_ll4mi_QKV_mfma16_kernelI14__hip_bfloat16S0_LN4vllm18Fp8KVCacheDataTypeE0EhLi32ELi64ELi256ELb1ELi3EEvPKT_PKT0_S8_ifPKiSA_SA_iPKfiiiPfSD_PS3_PT2_iSC_SC_.private_seg_size, 0+max(.L__assert_fail.private_seg_size)
	.set _Z39paged_attention_ll4mi_QKV_mfma16_kernelI14__hip_bfloat16S0_LN4vllm18Fp8KVCacheDataTypeE0EhLi32ELi64ELi256ELb1ELi3EEvPKT_PKT0_S8_ifPKiSA_SA_iPKfiiiPfSD_PS3_PT2_iSC_SC_.uses_vcc, or(1, .L__assert_fail.uses_vcc)
	.set _Z39paged_attention_ll4mi_QKV_mfma16_kernelI14__hip_bfloat16S0_LN4vllm18Fp8KVCacheDataTypeE0EhLi32ELi64ELi256ELb1ELi3EEvPKT_PKT0_S8_ifPKiSA_SA_iPKfiiiPfSD_PS3_PT2_iSC_SC_.uses_flat_scratch, or(0, .L__assert_fail.uses_flat_scratch)
	.set _Z39paged_attention_ll4mi_QKV_mfma16_kernelI14__hip_bfloat16S0_LN4vllm18Fp8KVCacheDataTypeE0EhLi32ELi64ELi256ELb1ELi3EEvPKT_PKT0_S8_ifPKiSA_SA_iPKfiiiPfSD_PS3_PT2_iSC_SC_.has_dyn_sized_stack, or(0, .L__assert_fail.has_dyn_sized_stack)
	.set _Z39paged_attention_ll4mi_QKV_mfma16_kernelI14__hip_bfloat16S0_LN4vllm18Fp8KVCacheDataTypeE0EhLi32ELi64ELi256ELb1ELi3EEvPKT_PKT0_S8_ifPKiSA_SA_iPKfiiiPfSD_PS3_PT2_iSC_SC_.has_recursion, or(0, .L__assert_fail.has_recursion)
	.set _Z39paged_attention_ll4mi_QKV_mfma16_kernelI14__hip_bfloat16S0_LN4vllm18Fp8KVCacheDataTypeE0EhLi32ELi64ELi256ELb1ELi3EEvPKT_PKT0_S8_ifPKiSA_SA_iPKfiiiPfSD_PS3_PT2_iSC_SC_.has_indirect_call, or(0, .L__assert_fail.has_indirect_call)
	.section	.AMDGPU.csdata,"",@progbits
; Kernel info:
; codeLenInByte = 68
; TotalNumSgprs: 36
; NumVgprs: 51
; ScratchSize: 64
; MemoryBound: 0
; FloatMode: 240
; IeeeMode: 1
; LDSByteSize: 0 bytes/workgroup (compile time only)
; SGPRBlocks: 0
; VGPRBlocks: 3
; NumSGPRsForWavesPerEU: 36
; NumVGPRsForWavesPerEU: 51
; NamedBarCnt: 0
; Occupancy: 16
; WaveLimiterHint : 1
; COMPUTE_PGM_RSRC2:SCRATCH_EN: 1
; COMPUTE_PGM_RSRC2:USER_SGPR: 2
; COMPUTE_PGM_RSRC2:TRAP_HANDLER: 0
; COMPUTE_PGM_RSRC2:TGID_X_EN: 1
; COMPUTE_PGM_RSRC2:TGID_Y_EN: 0
; COMPUTE_PGM_RSRC2:TGID_Z_EN: 0
; COMPUTE_PGM_RSRC2:TIDIG_COMP_CNT: 0
	.section	.text._Z39paged_attention_ll4mi_QKV_mfma16_kernelI14__hip_bfloat16S0_LN4vllm18Fp8KVCacheDataTypeE0EhLi32ELi64ELi256ELb1ELi4EEvPKT_PKT0_S8_ifPKiSA_SA_iPKfiiiPfSD_PS3_PT2_iSC_SC_,"axG",@progbits,_Z39paged_attention_ll4mi_QKV_mfma16_kernelI14__hip_bfloat16S0_LN4vllm18Fp8KVCacheDataTypeE0EhLi32ELi64ELi256ELb1ELi4EEvPKT_PKT0_S8_ifPKiSA_SA_iPKfiiiPfSD_PS3_PT2_iSC_SC_,comdat
	.protected	_Z39paged_attention_ll4mi_QKV_mfma16_kernelI14__hip_bfloat16S0_LN4vllm18Fp8KVCacheDataTypeE0EhLi32ELi64ELi256ELb1ELi4EEvPKT_PKT0_S8_ifPKiSA_SA_iPKfiiiPfSD_PS3_PT2_iSC_SC_ ; -- Begin function _Z39paged_attention_ll4mi_QKV_mfma16_kernelI14__hip_bfloat16S0_LN4vllm18Fp8KVCacheDataTypeE0EhLi32ELi64ELi256ELb1ELi4EEvPKT_PKT0_S8_ifPKiSA_SA_iPKfiiiPfSD_PS3_PT2_iSC_SC_
	.globl	_Z39paged_attention_ll4mi_QKV_mfma16_kernelI14__hip_bfloat16S0_LN4vllm18Fp8KVCacheDataTypeE0EhLi32ELi64ELi256ELb1ELi4EEvPKT_PKT0_S8_ifPKiSA_SA_iPKfiiiPfSD_PS3_PT2_iSC_SC_
	.p2align	8
	.type	_Z39paged_attention_ll4mi_QKV_mfma16_kernelI14__hip_bfloat16S0_LN4vllm18Fp8KVCacheDataTypeE0EhLi32ELi64ELi256ELb1ELi4EEvPKT_PKT0_S8_ifPKiSA_SA_iPKfiiiPfSD_PS3_PT2_iSC_SC_,@function
_Z39paged_attention_ll4mi_QKV_mfma16_kernelI14__hip_bfloat16S0_LN4vllm18Fp8KVCacheDataTypeE0EhLi32ELi64ELi256ELb1ELi4EEvPKT_PKT0_S8_ifPKiSA_SA_iPKfiiiPfSD_PS3_PT2_iSC_SC_: ; @_Z39paged_attention_ll4mi_QKV_mfma16_kernelI14__hip_bfloat16S0_LN4vllm18Fp8KVCacheDataTypeE0EhLi32ELi64ELi256ELb1ELi4EEvPKT_PKT0_S8_ifPKiSA_SA_iPKfiiiPfSD_PS3_PT2_iSC_SC_
; %bb.0:
	s_get_pc_i64 s[2:3]
	s_add_nc_u64 s[2:3], s[2:3], __PRETTY_FUNCTION__._Z39paged_attention_ll4mi_QKV_mfma16_kernelI14__hip_bfloat16S0_LN4vllm18Fp8KVCacheDataTypeE0EhLi32ELi64ELi256ELb1ELi4EEvPKT_PKT0_S8_ifPKiSA_SA_iPKfiiiPfSD_PS3_PT2_iSC_SC_@rel64+4
	s_delay_alu instid0(SALU_CYCLE_1)
	v_dual_mov_b32 v0, 0xbb3 :: v_dual_mov_b32 v1, s2
	v_mov_b32_e32 v2, s3
	s_add_nc_u64 s[8:9], s[0:1], 0x90
	s_get_pc_i64 s[0:1]
	s_add_nc_u64 s[0:1], s[0:1], __assert_fail@rel64+4
	s_mov_b32 s32, 0
	s_swap_pc_i64 s[30:31], s[0:1]
	.section	.rodata,"a",@progbits
	.p2align	6, 0x0
	.amdhsa_kernel _Z39paged_attention_ll4mi_QKV_mfma16_kernelI14__hip_bfloat16S0_LN4vllm18Fp8KVCacheDataTypeE0EhLi32ELi64ELi256ELb1ELi4EEvPKT_PKT0_S8_ifPKiSA_SA_iPKfiiiPfSD_PS3_PT2_iSC_SC_
		.amdhsa_group_segment_fixed_size 0
		.amdhsa_private_segment_fixed_size 64
		.amdhsa_kernarg_size 400
		.amdhsa_user_sgpr_count 2
		.amdhsa_user_sgpr_dispatch_ptr 0
		.amdhsa_user_sgpr_queue_ptr 0
		.amdhsa_user_sgpr_kernarg_segment_ptr 1
		.amdhsa_user_sgpr_dispatch_id 0
		.amdhsa_user_sgpr_kernarg_preload_length 0
		.amdhsa_user_sgpr_kernarg_preload_offset 0
		.amdhsa_user_sgpr_private_segment_size 0
		.amdhsa_wavefront_size32 1
		.amdhsa_uses_dynamic_stack 0
		.amdhsa_enable_private_segment 1
		.amdhsa_system_sgpr_workgroup_id_x 1
		.amdhsa_system_sgpr_workgroup_id_y 0
		.amdhsa_system_sgpr_workgroup_id_z 0
		.amdhsa_system_sgpr_workgroup_info 0
		.amdhsa_system_vgpr_workitem_id 0
		.amdhsa_next_free_vgpr 51
		.amdhsa_next_free_sgpr 34
		.amdhsa_named_barrier_count 0
		.amdhsa_reserve_vcc 1
		.amdhsa_float_round_mode_32 0
		.amdhsa_float_round_mode_16_64 0
		.amdhsa_float_denorm_mode_32 3
		.amdhsa_float_denorm_mode_16_64 3
		.amdhsa_fp16_overflow 0
		.amdhsa_memory_ordered 1
		.amdhsa_forward_progress 1
		.amdhsa_inst_pref_size 1
		.amdhsa_round_robin_scheduling 0
		.amdhsa_exception_fp_ieee_invalid_op 0
		.amdhsa_exception_fp_denorm_src 0
		.amdhsa_exception_fp_ieee_div_zero 0
		.amdhsa_exception_fp_ieee_overflow 0
		.amdhsa_exception_fp_ieee_underflow 0
		.amdhsa_exception_fp_ieee_inexact 0
		.amdhsa_exception_int_div_zero 0
	.end_amdhsa_kernel
	.section	.text._Z39paged_attention_ll4mi_QKV_mfma16_kernelI14__hip_bfloat16S0_LN4vllm18Fp8KVCacheDataTypeE0EhLi32ELi64ELi256ELb1ELi4EEvPKT_PKT0_S8_ifPKiSA_SA_iPKfiiiPfSD_PS3_PT2_iSC_SC_,"axG",@progbits,_Z39paged_attention_ll4mi_QKV_mfma16_kernelI14__hip_bfloat16S0_LN4vllm18Fp8KVCacheDataTypeE0EhLi32ELi64ELi256ELb1ELi4EEvPKT_PKT0_S8_ifPKiSA_SA_iPKfiiiPfSD_PS3_PT2_iSC_SC_,comdat
.Lfunc_end517:
	.size	_Z39paged_attention_ll4mi_QKV_mfma16_kernelI14__hip_bfloat16S0_LN4vllm18Fp8KVCacheDataTypeE0EhLi32ELi64ELi256ELb1ELi4EEvPKT_PKT0_S8_ifPKiSA_SA_iPKfiiiPfSD_PS3_PT2_iSC_SC_, .Lfunc_end517-_Z39paged_attention_ll4mi_QKV_mfma16_kernelI14__hip_bfloat16S0_LN4vllm18Fp8KVCacheDataTypeE0EhLi32ELi64ELi256ELb1ELi4EEvPKT_PKT0_S8_ifPKiSA_SA_iPKfiiiPfSD_PS3_PT2_iSC_SC_
                                        ; -- End function
	.set _Z39paged_attention_ll4mi_QKV_mfma16_kernelI14__hip_bfloat16S0_LN4vllm18Fp8KVCacheDataTypeE0EhLi32ELi64ELi256ELb1ELi4EEvPKT_PKT0_S8_ifPKiSA_SA_iPKfiiiPfSD_PS3_PT2_iSC_SC_.num_vgpr, max(3, .L__assert_fail.num_vgpr)
	.set _Z39paged_attention_ll4mi_QKV_mfma16_kernelI14__hip_bfloat16S0_LN4vllm18Fp8KVCacheDataTypeE0EhLi32ELi64ELi256ELb1ELi4EEvPKT_PKT0_S8_ifPKiSA_SA_iPKfiiiPfSD_PS3_PT2_iSC_SC_.num_agpr, max(0, .L__assert_fail.num_agpr)
	.set _Z39paged_attention_ll4mi_QKV_mfma16_kernelI14__hip_bfloat16S0_LN4vllm18Fp8KVCacheDataTypeE0EhLi32ELi64ELi256ELb1ELi4EEvPKT_PKT0_S8_ifPKiSA_SA_iPKfiiiPfSD_PS3_PT2_iSC_SC_.numbered_sgpr, max(33, .L__assert_fail.numbered_sgpr)
	.set _Z39paged_attention_ll4mi_QKV_mfma16_kernelI14__hip_bfloat16S0_LN4vllm18Fp8KVCacheDataTypeE0EhLi32ELi64ELi256ELb1ELi4EEvPKT_PKT0_S8_ifPKiSA_SA_iPKfiiiPfSD_PS3_PT2_iSC_SC_.num_named_barrier, max(0, .L__assert_fail.num_named_barrier)
	.set _Z39paged_attention_ll4mi_QKV_mfma16_kernelI14__hip_bfloat16S0_LN4vllm18Fp8KVCacheDataTypeE0EhLi32ELi64ELi256ELb1ELi4EEvPKT_PKT0_S8_ifPKiSA_SA_iPKfiiiPfSD_PS3_PT2_iSC_SC_.private_seg_size, 0+max(.L__assert_fail.private_seg_size)
	.set _Z39paged_attention_ll4mi_QKV_mfma16_kernelI14__hip_bfloat16S0_LN4vllm18Fp8KVCacheDataTypeE0EhLi32ELi64ELi256ELb1ELi4EEvPKT_PKT0_S8_ifPKiSA_SA_iPKfiiiPfSD_PS3_PT2_iSC_SC_.uses_vcc, or(1, .L__assert_fail.uses_vcc)
	.set _Z39paged_attention_ll4mi_QKV_mfma16_kernelI14__hip_bfloat16S0_LN4vllm18Fp8KVCacheDataTypeE0EhLi32ELi64ELi256ELb1ELi4EEvPKT_PKT0_S8_ifPKiSA_SA_iPKfiiiPfSD_PS3_PT2_iSC_SC_.uses_flat_scratch, or(0, .L__assert_fail.uses_flat_scratch)
	.set _Z39paged_attention_ll4mi_QKV_mfma16_kernelI14__hip_bfloat16S0_LN4vllm18Fp8KVCacheDataTypeE0EhLi32ELi64ELi256ELb1ELi4EEvPKT_PKT0_S8_ifPKiSA_SA_iPKfiiiPfSD_PS3_PT2_iSC_SC_.has_dyn_sized_stack, or(0, .L__assert_fail.has_dyn_sized_stack)
	.set _Z39paged_attention_ll4mi_QKV_mfma16_kernelI14__hip_bfloat16S0_LN4vllm18Fp8KVCacheDataTypeE0EhLi32ELi64ELi256ELb1ELi4EEvPKT_PKT0_S8_ifPKiSA_SA_iPKfiiiPfSD_PS3_PT2_iSC_SC_.has_recursion, or(0, .L__assert_fail.has_recursion)
	.set _Z39paged_attention_ll4mi_QKV_mfma16_kernelI14__hip_bfloat16S0_LN4vllm18Fp8KVCacheDataTypeE0EhLi32ELi64ELi256ELb1ELi4EEvPKT_PKT0_S8_ifPKiSA_SA_iPKfiiiPfSD_PS3_PT2_iSC_SC_.has_indirect_call, or(0, .L__assert_fail.has_indirect_call)
	.section	.AMDGPU.csdata,"",@progbits
; Kernel info:
; codeLenInByte = 68
; TotalNumSgprs: 36
; NumVgprs: 51
; ScratchSize: 64
; MemoryBound: 0
; FloatMode: 240
; IeeeMode: 1
; LDSByteSize: 0 bytes/workgroup (compile time only)
; SGPRBlocks: 0
; VGPRBlocks: 3
; NumSGPRsForWavesPerEU: 36
; NumVGPRsForWavesPerEU: 51
; NamedBarCnt: 0
; Occupancy: 16
; WaveLimiterHint : 1
; COMPUTE_PGM_RSRC2:SCRATCH_EN: 1
; COMPUTE_PGM_RSRC2:USER_SGPR: 2
; COMPUTE_PGM_RSRC2:TRAP_HANDLER: 0
; COMPUTE_PGM_RSRC2:TGID_X_EN: 1
; COMPUTE_PGM_RSRC2:TGID_Y_EN: 0
; COMPUTE_PGM_RSRC2:TGID_Z_EN: 0
; COMPUTE_PGM_RSRC2:TIDIG_COMP_CNT: 0
	.section	.text._Z38paged_attention_ll4mi_QKV_mfma4_kernelI14__hip_bfloat16S0_LN4vllm18Fp8KVCacheDataTypeE0EhLi32ELi64ELi256ELb0ELi1EEvPKT_PKT0_S8_ifPKiSA_SA_iPKfiiiPfSD_PS3_PT2_iSC_SC_,"axG",@progbits,_Z38paged_attention_ll4mi_QKV_mfma4_kernelI14__hip_bfloat16S0_LN4vllm18Fp8KVCacheDataTypeE0EhLi32ELi64ELi256ELb0ELi1EEvPKT_PKT0_S8_ifPKiSA_SA_iPKfiiiPfSD_PS3_PT2_iSC_SC_,comdat
	.protected	_Z38paged_attention_ll4mi_QKV_mfma4_kernelI14__hip_bfloat16S0_LN4vllm18Fp8KVCacheDataTypeE0EhLi32ELi64ELi256ELb0ELi1EEvPKT_PKT0_S8_ifPKiSA_SA_iPKfiiiPfSD_PS3_PT2_iSC_SC_ ; -- Begin function _Z38paged_attention_ll4mi_QKV_mfma4_kernelI14__hip_bfloat16S0_LN4vllm18Fp8KVCacheDataTypeE0EhLi32ELi64ELi256ELb0ELi1EEvPKT_PKT0_S8_ifPKiSA_SA_iPKfiiiPfSD_PS3_PT2_iSC_SC_
	.globl	_Z38paged_attention_ll4mi_QKV_mfma4_kernelI14__hip_bfloat16S0_LN4vllm18Fp8KVCacheDataTypeE0EhLi32ELi64ELi256ELb0ELi1EEvPKT_PKT0_S8_ifPKiSA_SA_iPKfiiiPfSD_PS3_PT2_iSC_SC_
	.p2align	8
	.type	_Z38paged_attention_ll4mi_QKV_mfma4_kernelI14__hip_bfloat16S0_LN4vllm18Fp8KVCacheDataTypeE0EhLi32ELi64ELi256ELb0ELi1EEvPKT_PKT0_S8_ifPKiSA_SA_iPKfiiiPfSD_PS3_PT2_iSC_SC_,@function
_Z38paged_attention_ll4mi_QKV_mfma4_kernelI14__hip_bfloat16S0_LN4vllm18Fp8KVCacheDataTypeE0EhLi32ELi64ELi256ELb0ELi1EEvPKT_PKT0_S8_ifPKiSA_SA_iPKfiiiPfSD_PS3_PT2_iSC_SC_: ; @_Z38paged_attention_ll4mi_QKV_mfma4_kernelI14__hip_bfloat16S0_LN4vllm18Fp8KVCacheDataTypeE0EhLi32ELi64ELi256ELb0ELi1EEvPKT_PKT0_S8_ifPKiSA_SA_iPKfiiiPfSD_PS3_PT2_iSC_SC_
; %bb.0:
	s_get_pc_i64 s[2:3]
	s_add_nc_u64 s[2:3], s[2:3], __PRETTY_FUNCTION__._Z38paged_attention_ll4mi_QKV_mfma4_kernelI14__hip_bfloat16S0_LN4vllm18Fp8KVCacheDataTypeE0EhLi32ELi64ELi256ELb0ELi1EEvPKT_PKT0_S8_ifPKiSA_SA_iPKfiiiPfSD_PS3_PT2_iSC_SC_@rel64+4
	s_delay_alu instid0(SALU_CYCLE_1)
	v_dual_mov_b32 v0, 0xbce :: v_dual_mov_b32 v1, s2
	v_mov_b32_e32 v2, s3
	s_add_nc_u64 s[8:9], s[0:1], 0x90
	s_get_pc_i64 s[0:1]
	s_add_nc_u64 s[0:1], s[0:1], __assert_fail@rel64+4
	s_mov_b32 s32, 0
	s_swap_pc_i64 s[30:31], s[0:1]
	.section	.rodata,"a",@progbits
	.p2align	6, 0x0
	.amdhsa_kernel _Z38paged_attention_ll4mi_QKV_mfma4_kernelI14__hip_bfloat16S0_LN4vllm18Fp8KVCacheDataTypeE0EhLi32ELi64ELi256ELb0ELi1EEvPKT_PKT0_S8_ifPKiSA_SA_iPKfiiiPfSD_PS3_PT2_iSC_SC_
		.amdhsa_group_segment_fixed_size 0
		.amdhsa_private_segment_fixed_size 64
		.amdhsa_kernarg_size 400
		.amdhsa_user_sgpr_count 2
		.amdhsa_user_sgpr_dispatch_ptr 0
		.amdhsa_user_sgpr_queue_ptr 0
		.amdhsa_user_sgpr_kernarg_segment_ptr 1
		.amdhsa_user_sgpr_dispatch_id 0
		.amdhsa_user_sgpr_kernarg_preload_length 0
		.amdhsa_user_sgpr_kernarg_preload_offset 0
		.amdhsa_user_sgpr_private_segment_size 0
		.amdhsa_wavefront_size32 1
		.amdhsa_uses_dynamic_stack 0
		.amdhsa_enable_private_segment 1
		.amdhsa_system_sgpr_workgroup_id_x 1
		.amdhsa_system_sgpr_workgroup_id_y 0
		.amdhsa_system_sgpr_workgroup_id_z 0
		.amdhsa_system_sgpr_workgroup_info 0
		.amdhsa_system_vgpr_workitem_id 0
		.amdhsa_next_free_vgpr 51
		.amdhsa_next_free_sgpr 34
		.amdhsa_named_barrier_count 0
		.amdhsa_reserve_vcc 1
		.amdhsa_float_round_mode_32 0
		.amdhsa_float_round_mode_16_64 0
		.amdhsa_float_denorm_mode_32 3
		.amdhsa_float_denorm_mode_16_64 3
		.amdhsa_fp16_overflow 0
		.amdhsa_memory_ordered 1
		.amdhsa_forward_progress 1
		.amdhsa_inst_pref_size 1
		.amdhsa_round_robin_scheduling 0
		.amdhsa_exception_fp_ieee_invalid_op 0
		.amdhsa_exception_fp_denorm_src 0
		.amdhsa_exception_fp_ieee_div_zero 0
		.amdhsa_exception_fp_ieee_overflow 0
		.amdhsa_exception_fp_ieee_underflow 0
		.amdhsa_exception_fp_ieee_inexact 0
		.amdhsa_exception_int_div_zero 0
	.end_amdhsa_kernel
	.section	.text._Z38paged_attention_ll4mi_QKV_mfma4_kernelI14__hip_bfloat16S0_LN4vllm18Fp8KVCacheDataTypeE0EhLi32ELi64ELi256ELb0ELi1EEvPKT_PKT0_S8_ifPKiSA_SA_iPKfiiiPfSD_PS3_PT2_iSC_SC_,"axG",@progbits,_Z38paged_attention_ll4mi_QKV_mfma4_kernelI14__hip_bfloat16S0_LN4vllm18Fp8KVCacheDataTypeE0EhLi32ELi64ELi256ELb0ELi1EEvPKT_PKT0_S8_ifPKiSA_SA_iPKfiiiPfSD_PS3_PT2_iSC_SC_,comdat
.Lfunc_end518:
	.size	_Z38paged_attention_ll4mi_QKV_mfma4_kernelI14__hip_bfloat16S0_LN4vllm18Fp8KVCacheDataTypeE0EhLi32ELi64ELi256ELb0ELi1EEvPKT_PKT0_S8_ifPKiSA_SA_iPKfiiiPfSD_PS3_PT2_iSC_SC_, .Lfunc_end518-_Z38paged_attention_ll4mi_QKV_mfma4_kernelI14__hip_bfloat16S0_LN4vllm18Fp8KVCacheDataTypeE0EhLi32ELi64ELi256ELb0ELi1EEvPKT_PKT0_S8_ifPKiSA_SA_iPKfiiiPfSD_PS3_PT2_iSC_SC_
                                        ; -- End function
	.set _Z38paged_attention_ll4mi_QKV_mfma4_kernelI14__hip_bfloat16S0_LN4vllm18Fp8KVCacheDataTypeE0EhLi32ELi64ELi256ELb0ELi1EEvPKT_PKT0_S8_ifPKiSA_SA_iPKfiiiPfSD_PS3_PT2_iSC_SC_.num_vgpr, max(3, .L__assert_fail.num_vgpr)
	.set _Z38paged_attention_ll4mi_QKV_mfma4_kernelI14__hip_bfloat16S0_LN4vllm18Fp8KVCacheDataTypeE0EhLi32ELi64ELi256ELb0ELi1EEvPKT_PKT0_S8_ifPKiSA_SA_iPKfiiiPfSD_PS3_PT2_iSC_SC_.num_agpr, max(0, .L__assert_fail.num_agpr)
	.set _Z38paged_attention_ll4mi_QKV_mfma4_kernelI14__hip_bfloat16S0_LN4vllm18Fp8KVCacheDataTypeE0EhLi32ELi64ELi256ELb0ELi1EEvPKT_PKT0_S8_ifPKiSA_SA_iPKfiiiPfSD_PS3_PT2_iSC_SC_.numbered_sgpr, max(33, .L__assert_fail.numbered_sgpr)
	.set _Z38paged_attention_ll4mi_QKV_mfma4_kernelI14__hip_bfloat16S0_LN4vllm18Fp8KVCacheDataTypeE0EhLi32ELi64ELi256ELb0ELi1EEvPKT_PKT0_S8_ifPKiSA_SA_iPKfiiiPfSD_PS3_PT2_iSC_SC_.num_named_barrier, max(0, .L__assert_fail.num_named_barrier)
	.set _Z38paged_attention_ll4mi_QKV_mfma4_kernelI14__hip_bfloat16S0_LN4vllm18Fp8KVCacheDataTypeE0EhLi32ELi64ELi256ELb0ELi1EEvPKT_PKT0_S8_ifPKiSA_SA_iPKfiiiPfSD_PS3_PT2_iSC_SC_.private_seg_size, 0+max(.L__assert_fail.private_seg_size)
	.set _Z38paged_attention_ll4mi_QKV_mfma4_kernelI14__hip_bfloat16S0_LN4vllm18Fp8KVCacheDataTypeE0EhLi32ELi64ELi256ELb0ELi1EEvPKT_PKT0_S8_ifPKiSA_SA_iPKfiiiPfSD_PS3_PT2_iSC_SC_.uses_vcc, or(1, .L__assert_fail.uses_vcc)
	.set _Z38paged_attention_ll4mi_QKV_mfma4_kernelI14__hip_bfloat16S0_LN4vllm18Fp8KVCacheDataTypeE0EhLi32ELi64ELi256ELb0ELi1EEvPKT_PKT0_S8_ifPKiSA_SA_iPKfiiiPfSD_PS3_PT2_iSC_SC_.uses_flat_scratch, or(0, .L__assert_fail.uses_flat_scratch)
	.set _Z38paged_attention_ll4mi_QKV_mfma4_kernelI14__hip_bfloat16S0_LN4vllm18Fp8KVCacheDataTypeE0EhLi32ELi64ELi256ELb0ELi1EEvPKT_PKT0_S8_ifPKiSA_SA_iPKfiiiPfSD_PS3_PT2_iSC_SC_.has_dyn_sized_stack, or(0, .L__assert_fail.has_dyn_sized_stack)
	.set _Z38paged_attention_ll4mi_QKV_mfma4_kernelI14__hip_bfloat16S0_LN4vllm18Fp8KVCacheDataTypeE0EhLi32ELi64ELi256ELb0ELi1EEvPKT_PKT0_S8_ifPKiSA_SA_iPKfiiiPfSD_PS3_PT2_iSC_SC_.has_recursion, or(0, .L__assert_fail.has_recursion)
	.set _Z38paged_attention_ll4mi_QKV_mfma4_kernelI14__hip_bfloat16S0_LN4vllm18Fp8KVCacheDataTypeE0EhLi32ELi64ELi256ELb0ELi1EEvPKT_PKT0_S8_ifPKiSA_SA_iPKfiiiPfSD_PS3_PT2_iSC_SC_.has_indirect_call, or(0, .L__assert_fail.has_indirect_call)
	.section	.AMDGPU.csdata,"",@progbits
; Kernel info:
; codeLenInByte = 68
; TotalNumSgprs: 36
; NumVgprs: 51
; ScratchSize: 64
; MemoryBound: 0
; FloatMode: 240
; IeeeMode: 1
; LDSByteSize: 0 bytes/workgroup (compile time only)
; SGPRBlocks: 0
; VGPRBlocks: 3
; NumSGPRsForWavesPerEU: 36
; NumVGPRsForWavesPerEU: 51
; NamedBarCnt: 0
; Occupancy: 16
; WaveLimiterHint : 1
; COMPUTE_PGM_RSRC2:SCRATCH_EN: 1
; COMPUTE_PGM_RSRC2:USER_SGPR: 2
; COMPUTE_PGM_RSRC2:TRAP_HANDLER: 0
; COMPUTE_PGM_RSRC2:TGID_X_EN: 1
; COMPUTE_PGM_RSRC2:TGID_Y_EN: 0
; COMPUTE_PGM_RSRC2:TGID_Z_EN: 0
; COMPUTE_PGM_RSRC2:TIDIG_COMP_CNT: 0
	.section	.text._Z38paged_attention_ll4mi_QKV_mfma4_kernelI14__hip_bfloat16S0_LN4vllm18Fp8KVCacheDataTypeE0EhLi32ELi64ELi256ELb0ELi2EEvPKT_PKT0_S8_ifPKiSA_SA_iPKfiiiPfSD_PS3_PT2_iSC_SC_,"axG",@progbits,_Z38paged_attention_ll4mi_QKV_mfma4_kernelI14__hip_bfloat16S0_LN4vllm18Fp8KVCacheDataTypeE0EhLi32ELi64ELi256ELb0ELi2EEvPKT_PKT0_S8_ifPKiSA_SA_iPKfiiiPfSD_PS3_PT2_iSC_SC_,comdat
	.protected	_Z38paged_attention_ll4mi_QKV_mfma4_kernelI14__hip_bfloat16S0_LN4vllm18Fp8KVCacheDataTypeE0EhLi32ELi64ELi256ELb0ELi2EEvPKT_PKT0_S8_ifPKiSA_SA_iPKfiiiPfSD_PS3_PT2_iSC_SC_ ; -- Begin function _Z38paged_attention_ll4mi_QKV_mfma4_kernelI14__hip_bfloat16S0_LN4vllm18Fp8KVCacheDataTypeE0EhLi32ELi64ELi256ELb0ELi2EEvPKT_PKT0_S8_ifPKiSA_SA_iPKfiiiPfSD_PS3_PT2_iSC_SC_
	.globl	_Z38paged_attention_ll4mi_QKV_mfma4_kernelI14__hip_bfloat16S0_LN4vllm18Fp8KVCacheDataTypeE0EhLi32ELi64ELi256ELb0ELi2EEvPKT_PKT0_S8_ifPKiSA_SA_iPKfiiiPfSD_PS3_PT2_iSC_SC_
	.p2align	8
	.type	_Z38paged_attention_ll4mi_QKV_mfma4_kernelI14__hip_bfloat16S0_LN4vllm18Fp8KVCacheDataTypeE0EhLi32ELi64ELi256ELb0ELi2EEvPKT_PKT0_S8_ifPKiSA_SA_iPKfiiiPfSD_PS3_PT2_iSC_SC_,@function
_Z38paged_attention_ll4mi_QKV_mfma4_kernelI14__hip_bfloat16S0_LN4vllm18Fp8KVCacheDataTypeE0EhLi32ELi64ELi256ELb0ELi2EEvPKT_PKT0_S8_ifPKiSA_SA_iPKfiiiPfSD_PS3_PT2_iSC_SC_: ; @_Z38paged_attention_ll4mi_QKV_mfma4_kernelI14__hip_bfloat16S0_LN4vllm18Fp8KVCacheDataTypeE0EhLi32ELi64ELi256ELb0ELi2EEvPKT_PKT0_S8_ifPKiSA_SA_iPKfiiiPfSD_PS3_PT2_iSC_SC_
; %bb.0:
	s_get_pc_i64 s[2:3]
	s_add_nc_u64 s[2:3], s[2:3], __PRETTY_FUNCTION__._Z38paged_attention_ll4mi_QKV_mfma4_kernelI14__hip_bfloat16S0_LN4vllm18Fp8KVCacheDataTypeE0EhLi32ELi64ELi256ELb0ELi2EEvPKT_PKT0_S8_ifPKiSA_SA_iPKfiiiPfSD_PS3_PT2_iSC_SC_@rel64+4
	s_delay_alu instid0(SALU_CYCLE_1)
	v_dual_mov_b32 v0, 0xbce :: v_dual_mov_b32 v1, s2
	v_mov_b32_e32 v2, s3
	s_add_nc_u64 s[8:9], s[0:1], 0x90
	s_get_pc_i64 s[0:1]
	s_add_nc_u64 s[0:1], s[0:1], __assert_fail@rel64+4
	s_mov_b32 s32, 0
	s_swap_pc_i64 s[30:31], s[0:1]
	.section	.rodata,"a",@progbits
	.p2align	6, 0x0
	.amdhsa_kernel _Z38paged_attention_ll4mi_QKV_mfma4_kernelI14__hip_bfloat16S0_LN4vllm18Fp8KVCacheDataTypeE0EhLi32ELi64ELi256ELb0ELi2EEvPKT_PKT0_S8_ifPKiSA_SA_iPKfiiiPfSD_PS3_PT2_iSC_SC_
		.amdhsa_group_segment_fixed_size 0
		.amdhsa_private_segment_fixed_size 64
		.amdhsa_kernarg_size 400
		.amdhsa_user_sgpr_count 2
		.amdhsa_user_sgpr_dispatch_ptr 0
		.amdhsa_user_sgpr_queue_ptr 0
		.amdhsa_user_sgpr_kernarg_segment_ptr 1
		.amdhsa_user_sgpr_dispatch_id 0
		.amdhsa_user_sgpr_kernarg_preload_length 0
		.amdhsa_user_sgpr_kernarg_preload_offset 0
		.amdhsa_user_sgpr_private_segment_size 0
		.amdhsa_wavefront_size32 1
		.amdhsa_uses_dynamic_stack 0
		.amdhsa_enable_private_segment 1
		.amdhsa_system_sgpr_workgroup_id_x 1
		.amdhsa_system_sgpr_workgroup_id_y 0
		.amdhsa_system_sgpr_workgroup_id_z 0
		.amdhsa_system_sgpr_workgroup_info 0
		.amdhsa_system_vgpr_workitem_id 0
		.amdhsa_next_free_vgpr 51
		.amdhsa_next_free_sgpr 34
		.amdhsa_named_barrier_count 0
		.amdhsa_reserve_vcc 1
		.amdhsa_float_round_mode_32 0
		.amdhsa_float_round_mode_16_64 0
		.amdhsa_float_denorm_mode_32 3
		.amdhsa_float_denorm_mode_16_64 3
		.amdhsa_fp16_overflow 0
		.amdhsa_memory_ordered 1
		.amdhsa_forward_progress 1
		.amdhsa_inst_pref_size 1
		.amdhsa_round_robin_scheduling 0
		.amdhsa_exception_fp_ieee_invalid_op 0
		.amdhsa_exception_fp_denorm_src 0
		.amdhsa_exception_fp_ieee_div_zero 0
		.amdhsa_exception_fp_ieee_overflow 0
		.amdhsa_exception_fp_ieee_underflow 0
		.amdhsa_exception_fp_ieee_inexact 0
		.amdhsa_exception_int_div_zero 0
	.end_amdhsa_kernel
	.section	.text._Z38paged_attention_ll4mi_QKV_mfma4_kernelI14__hip_bfloat16S0_LN4vllm18Fp8KVCacheDataTypeE0EhLi32ELi64ELi256ELb0ELi2EEvPKT_PKT0_S8_ifPKiSA_SA_iPKfiiiPfSD_PS3_PT2_iSC_SC_,"axG",@progbits,_Z38paged_attention_ll4mi_QKV_mfma4_kernelI14__hip_bfloat16S0_LN4vllm18Fp8KVCacheDataTypeE0EhLi32ELi64ELi256ELb0ELi2EEvPKT_PKT0_S8_ifPKiSA_SA_iPKfiiiPfSD_PS3_PT2_iSC_SC_,comdat
.Lfunc_end519:
	.size	_Z38paged_attention_ll4mi_QKV_mfma4_kernelI14__hip_bfloat16S0_LN4vllm18Fp8KVCacheDataTypeE0EhLi32ELi64ELi256ELb0ELi2EEvPKT_PKT0_S8_ifPKiSA_SA_iPKfiiiPfSD_PS3_PT2_iSC_SC_, .Lfunc_end519-_Z38paged_attention_ll4mi_QKV_mfma4_kernelI14__hip_bfloat16S0_LN4vllm18Fp8KVCacheDataTypeE0EhLi32ELi64ELi256ELb0ELi2EEvPKT_PKT0_S8_ifPKiSA_SA_iPKfiiiPfSD_PS3_PT2_iSC_SC_
                                        ; -- End function
	.set _Z38paged_attention_ll4mi_QKV_mfma4_kernelI14__hip_bfloat16S0_LN4vllm18Fp8KVCacheDataTypeE0EhLi32ELi64ELi256ELb0ELi2EEvPKT_PKT0_S8_ifPKiSA_SA_iPKfiiiPfSD_PS3_PT2_iSC_SC_.num_vgpr, max(3, .L__assert_fail.num_vgpr)
	.set _Z38paged_attention_ll4mi_QKV_mfma4_kernelI14__hip_bfloat16S0_LN4vllm18Fp8KVCacheDataTypeE0EhLi32ELi64ELi256ELb0ELi2EEvPKT_PKT0_S8_ifPKiSA_SA_iPKfiiiPfSD_PS3_PT2_iSC_SC_.num_agpr, max(0, .L__assert_fail.num_agpr)
	.set _Z38paged_attention_ll4mi_QKV_mfma4_kernelI14__hip_bfloat16S0_LN4vllm18Fp8KVCacheDataTypeE0EhLi32ELi64ELi256ELb0ELi2EEvPKT_PKT0_S8_ifPKiSA_SA_iPKfiiiPfSD_PS3_PT2_iSC_SC_.numbered_sgpr, max(33, .L__assert_fail.numbered_sgpr)
	.set _Z38paged_attention_ll4mi_QKV_mfma4_kernelI14__hip_bfloat16S0_LN4vllm18Fp8KVCacheDataTypeE0EhLi32ELi64ELi256ELb0ELi2EEvPKT_PKT0_S8_ifPKiSA_SA_iPKfiiiPfSD_PS3_PT2_iSC_SC_.num_named_barrier, max(0, .L__assert_fail.num_named_barrier)
	.set _Z38paged_attention_ll4mi_QKV_mfma4_kernelI14__hip_bfloat16S0_LN4vllm18Fp8KVCacheDataTypeE0EhLi32ELi64ELi256ELb0ELi2EEvPKT_PKT0_S8_ifPKiSA_SA_iPKfiiiPfSD_PS3_PT2_iSC_SC_.private_seg_size, 0+max(.L__assert_fail.private_seg_size)
	.set _Z38paged_attention_ll4mi_QKV_mfma4_kernelI14__hip_bfloat16S0_LN4vllm18Fp8KVCacheDataTypeE0EhLi32ELi64ELi256ELb0ELi2EEvPKT_PKT0_S8_ifPKiSA_SA_iPKfiiiPfSD_PS3_PT2_iSC_SC_.uses_vcc, or(1, .L__assert_fail.uses_vcc)
	.set _Z38paged_attention_ll4mi_QKV_mfma4_kernelI14__hip_bfloat16S0_LN4vllm18Fp8KVCacheDataTypeE0EhLi32ELi64ELi256ELb0ELi2EEvPKT_PKT0_S8_ifPKiSA_SA_iPKfiiiPfSD_PS3_PT2_iSC_SC_.uses_flat_scratch, or(0, .L__assert_fail.uses_flat_scratch)
	.set _Z38paged_attention_ll4mi_QKV_mfma4_kernelI14__hip_bfloat16S0_LN4vllm18Fp8KVCacheDataTypeE0EhLi32ELi64ELi256ELb0ELi2EEvPKT_PKT0_S8_ifPKiSA_SA_iPKfiiiPfSD_PS3_PT2_iSC_SC_.has_dyn_sized_stack, or(0, .L__assert_fail.has_dyn_sized_stack)
	.set _Z38paged_attention_ll4mi_QKV_mfma4_kernelI14__hip_bfloat16S0_LN4vllm18Fp8KVCacheDataTypeE0EhLi32ELi64ELi256ELb0ELi2EEvPKT_PKT0_S8_ifPKiSA_SA_iPKfiiiPfSD_PS3_PT2_iSC_SC_.has_recursion, or(0, .L__assert_fail.has_recursion)
	.set _Z38paged_attention_ll4mi_QKV_mfma4_kernelI14__hip_bfloat16S0_LN4vllm18Fp8KVCacheDataTypeE0EhLi32ELi64ELi256ELb0ELi2EEvPKT_PKT0_S8_ifPKiSA_SA_iPKfiiiPfSD_PS3_PT2_iSC_SC_.has_indirect_call, or(0, .L__assert_fail.has_indirect_call)
	.section	.AMDGPU.csdata,"",@progbits
; Kernel info:
; codeLenInByte = 68
; TotalNumSgprs: 36
; NumVgprs: 51
; ScratchSize: 64
; MemoryBound: 0
; FloatMode: 240
; IeeeMode: 1
; LDSByteSize: 0 bytes/workgroup (compile time only)
; SGPRBlocks: 0
; VGPRBlocks: 3
; NumSGPRsForWavesPerEU: 36
; NumVGPRsForWavesPerEU: 51
; NamedBarCnt: 0
; Occupancy: 16
; WaveLimiterHint : 1
; COMPUTE_PGM_RSRC2:SCRATCH_EN: 1
; COMPUTE_PGM_RSRC2:USER_SGPR: 2
; COMPUTE_PGM_RSRC2:TRAP_HANDLER: 0
; COMPUTE_PGM_RSRC2:TGID_X_EN: 1
; COMPUTE_PGM_RSRC2:TGID_Y_EN: 0
; COMPUTE_PGM_RSRC2:TGID_Z_EN: 0
; COMPUTE_PGM_RSRC2:TIDIG_COMP_CNT: 0
	.section	.text._Z38paged_attention_ll4mi_QKV_mfma4_kernelI14__hip_bfloat16S0_LN4vllm18Fp8KVCacheDataTypeE0EhLi32ELi64ELi256ELb0ELi3EEvPKT_PKT0_S8_ifPKiSA_SA_iPKfiiiPfSD_PS3_PT2_iSC_SC_,"axG",@progbits,_Z38paged_attention_ll4mi_QKV_mfma4_kernelI14__hip_bfloat16S0_LN4vllm18Fp8KVCacheDataTypeE0EhLi32ELi64ELi256ELb0ELi3EEvPKT_PKT0_S8_ifPKiSA_SA_iPKfiiiPfSD_PS3_PT2_iSC_SC_,comdat
	.protected	_Z38paged_attention_ll4mi_QKV_mfma4_kernelI14__hip_bfloat16S0_LN4vllm18Fp8KVCacheDataTypeE0EhLi32ELi64ELi256ELb0ELi3EEvPKT_PKT0_S8_ifPKiSA_SA_iPKfiiiPfSD_PS3_PT2_iSC_SC_ ; -- Begin function _Z38paged_attention_ll4mi_QKV_mfma4_kernelI14__hip_bfloat16S0_LN4vllm18Fp8KVCacheDataTypeE0EhLi32ELi64ELi256ELb0ELi3EEvPKT_PKT0_S8_ifPKiSA_SA_iPKfiiiPfSD_PS3_PT2_iSC_SC_
	.globl	_Z38paged_attention_ll4mi_QKV_mfma4_kernelI14__hip_bfloat16S0_LN4vllm18Fp8KVCacheDataTypeE0EhLi32ELi64ELi256ELb0ELi3EEvPKT_PKT0_S8_ifPKiSA_SA_iPKfiiiPfSD_PS3_PT2_iSC_SC_
	.p2align	8
	.type	_Z38paged_attention_ll4mi_QKV_mfma4_kernelI14__hip_bfloat16S0_LN4vllm18Fp8KVCacheDataTypeE0EhLi32ELi64ELi256ELb0ELi3EEvPKT_PKT0_S8_ifPKiSA_SA_iPKfiiiPfSD_PS3_PT2_iSC_SC_,@function
_Z38paged_attention_ll4mi_QKV_mfma4_kernelI14__hip_bfloat16S0_LN4vllm18Fp8KVCacheDataTypeE0EhLi32ELi64ELi256ELb0ELi3EEvPKT_PKT0_S8_ifPKiSA_SA_iPKfiiiPfSD_PS3_PT2_iSC_SC_: ; @_Z38paged_attention_ll4mi_QKV_mfma4_kernelI14__hip_bfloat16S0_LN4vllm18Fp8KVCacheDataTypeE0EhLi32ELi64ELi256ELb0ELi3EEvPKT_PKT0_S8_ifPKiSA_SA_iPKfiiiPfSD_PS3_PT2_iSC_SC_
; %bb.0:
	s_get_pc_i64 s[2:3]
	s_add_nc_u64 s[2:3], s[2:3], __PRETTY_FUNCTION__._Z38paged_attention_ll4mi_QKV_mfma4_kernelI14__hip_bfloat16S0_LN4vllm18Fp8KVCacheDataTypeE0EhLi32ELi64ELi256ELb0ELi3EEvPKT_PKT0_S8_ifPKiSA_SA_iPKfiiiPfSD_PS3_PT2_iSC_SC_@rel64+4
	s_delay_alu instid0(SALU_CYCLE_1)
	v_dual_mov_b32 v0, 0xbce :: v_dual_mov_b32 v1, s2
	v_mov_b32_e32 v2, s3
	s_add_nc_u64 s[8:9], s[0:1], 0x90
	s_get_pc_i64 s[0:1]
	s_add_nc_u64 s[0:1], s[0:1], __assert_fail@rel64+4
	s_mov_b32 s32, 0
	s_swap_pc_i64 s[30:31], s[0:1]
	.section	.rodata,"a",@progbits
	.p2align	6, 0x0
	.amdhsa_kernel _Z38paged_attention_ll4mi_QKV_mfma4_kernelI14__hip_bfloat16S0_LN4vllm18Fp8KVCacheDataTypeE0EhLi32ELi64ELi256ELb0ELi3EEvPKT_PKT0_S8_ifPKiSA_SA_iPKfiiiPfSD_PS3_PT2_iSC_SC_
		.amdhsa_group_segment_fixed_size 0
		.amdhsa_private_segment_fixed_size 64
		.amdhsa_kernarg_size 400
		.amdhsa_user_sgpr_count 2
		.amdhsa_user_sgpr_dispatch_ptr 0
		.amdhsa_user_sgpr_queue_ptr 0
		.amdhsa_user_sgpr_kernarg_segment_ptr 1
		.amdhsa_user_sgpr_dispatch_id 0
		.amdhsa_user_sgpr_kernarg_preload_length 0
		.amdhsa_user_sgpr_kernarg_preload_offset 0
		.amdhsa_user_sgpr_private_segment_size 0
		.amdhsa_wavefront_size32 1
		.amdhsa_uses_dynamic_stack 0
		.amdhsa_enable_private_segment 1
		.amdhsa_system_sgpr_workgroup_id_x 1
		.amdhsa_system_sgpr_workgroup_id_y 0
		.amdhsa_system_sgpr_workgroup_id_z 0
		.amdhsa_system_sgpr_workgroup_info 0
		.amdhsa_system_vgpr_workitem_id 0
		.amdhsa_next_free_vgpr 51
		.amdhsa_next_free_sgpr 34
		.amdhsa_named_barrier_count 0
		.amdhsa_reserve_vcc 1
		.amdhsa_float_round_mode_32 0
		.amdhsa_float_round_mode_16_64 0
		.amdhsa_float_denorm_mode_32 3
		.amdhsa_float_denorm_mode_16_64 3
		.amdhsa_fp16_overflow 0
		.amdhsa_memory_ordered 1
		.amdhsa_forward_progress 1
		.amdhsa_inst_pref_size 1
		.amdhsa_round_robin_scheduling 0
		.amdhsa_exception_fp_ieee_invalid_op 0
		.amdhsa_exception_fp_denorm_src 0
		.amdhsa_exception_fp_ieee_div_zero 0
		.amdhsa_exception_fp_ieee_overflow 0
		.amdhsa_exception_fp_ieee_underflow 0
		.amdhsa_exception_fp_ieee_inexact 0
		.amdhsa_exception_int_div_zero 0
	.end_amdhsa_kernel
	.section	.text._Z38paged_attention_ll4mi_QKV_mfma4_kernelI14__hip_bfloat16S0_LN4vllm18Fp8KVCacheDataTypeE0EhLi32ELi64ELi256ELb0ELi3EEvPKT_PKT0_S8_ifPKiSA_SA_iPKfiiiPfSD_PS3_PT2_iSC_SC_,"axG",@progbits,_Z38paged_attention_ll4mi_QKV_mfma4_kernelI14__hip_bfloat16S0_LN4vllm18Fp8KVCacheDataTypeE0EhLi32ELi64ELi256ELb0ELi3EEvPKT_PKT0_S8_ifPKiSA_SA_iPKfiiiPfSD_PS3_PT2_iSC_SC_,comdat
.Lfunc_end520:
	.size	_Z38paged_attention_ll4mi_QKV_mfma4_kernelI14__hip_bfloat16S0_LN4vllm18Fp8KVCacheDataTypeE0EhLi32ELi64ELi256ELb0ELi3EEvPKT_PKT0_S8_ifPKiSA_SA_iPKfiiiPfSD_PS3_PT2_iSC_SC_, .Lfunc_end520-_Z38paged_attention_ll4mi_QKV_mfma4_kernelI14__hip_bfloat16S0_LN4vllm18Fp8KVCacheDataTypeE0EhLi32ELi64ELi256ELb0ELi3EEvPKT_PKT0_S8_ifPKiSA_SA_iPKfiiiPfSD_PS3_PT2_iSC_SC_
                                        ; -- End function
	.set _Z38paged_attention_ll4mi_QKV_mfma4_kernelI14__hip_bfloat16S0_LN4vllm18Fp8KVCacheDataTypeE0EhLi32ELi64ELi256ELb0ELi3EEvPKT_PKT0_S8_ifPKiSA_SA_iPKfiiiPfSD_PS3_PT2_iSC_SC_.num_vgpr, max(3, .L__assert_fail.num_vgpr)
	.set _Z38paged_attention_ll4mi_QKV_mfma4_kernelI14__hip_bfloat16S0_LN4vllm18Fp8KVCacheDataTypeE0EhLi32ELi64ELi256ELb0ELi3EEvPKT_PKT0_S8_ifPKiSA_SA_iPKfiiiPfSD_PS3_PT2_iSC_SC_.num_agpr, max(0, .L__assert_fail.num_agpr)
	.set _Z38paged_attention_ll4mi_QKV_mfma4_kernelI14__hip_bfloat16S0_LN4vllm18Fp8KVCacheDataTypeE0EhLi32ELi64ELi256ELb0ELi3EEvPKT_PKT0_S8_ifPKiSA_SA_iPKfiiiPfSD_PS3_PT2_iSC_SC_.numbered_sgpr, max(33, .L__assert_fail.numbered_sgpr)
	.set _Z38paged_attention_ll4mi_QKV_mfma4_kernelI14__hip_bfloat16S0_LN4vllm18Fp8KVCacheDataTypeE0EhLi32ELi64ELi256ELb0ELi3EEvPKT_PKT0_S8_ifPKiSA_SA_iPKfiiiPfSD_PS3_PT2_iSC_SC_.num_named_barrier, max(0, .L__assert_fail.num_named_barrier)
	.set _Z38paged_attention_ll4mi_QKV_mfma4_kernelI14__hip_bfloat16S0_LN4vllm18Fp8KVCacheDataTypeE0EhLi32ELi64ELi256ELb0ELi3EEvPKT_PKT0_S8_ifPKiSA_SA_iPKfiiiPfSD_PS3_PT2_iSC_SC_.private_seg_size, 0+max(.L__assert_fail.private_seg_size)
	.set _Z38paged_attention_ll4mi_QKV_mfma4_kernelI14__hip_bfloat16S0_LN4vllm18Fp8KVCacheDataTypeE0EhLi32ELi64ELi256ELb0ELi3EEvPKT_PKT0_S8_ifPKiSA_SA_iPKfiiiPfSD_PS3_PT2_iSC_SC_.uses_vcc, or(1, .L__assert_fail.uses_vcc)
	.set _Z38paged_attention_ll4mi_QKV_mfma4_kernelI14__hip_bfloat16S0_LN4vllm18Fp8KVCacheDataTypeE0EhLi32ELi64ELi256ELb0ELi3EEvPKT_PKT0_S8_ifPKiSA_SA_iPKfiiiPfSD_PS3_PT2_iSC_SC_.uses_flat_scratch, or(0, .L__assert_fail.uses_flat_scratch)
	.set _Z38paged_attention_ll4mi_QKV_mfma4_kernelI14__hip_bfloat16S0_LN4vllm18Fp8KVCacheDataTypeE0EhLi32ELi64ELi256ELb0ELi3EEvPKT_PKT0_S8_ifPKiSA_SA_iPKfiiiPfSD_PS3_PT2_iSC_SC_.has_dyn_sized_stack, or(0, .L__assert_fail.has_dyn_sized_stack)
	.set _Z38paged_attention_ll4mi_QKV_mfma4_kernelI14__hip_bfloat16S0_LN4vllm18Fp8KVCacheDataTypeE0EhLi32ELi64ELi256ELb0ELi3EEvPKT_PKT0_S8_ifPKiSA_SA_iPKfiiiPfSD_PS3_PT2_iSC_SC_.has_recursion, or(0, .L__assert_fail.has_recursion)
	.set _Z38paged_attention_ll4mi_QKV_mfma4_kernelI14__hip_bfloat16S0_LN4vllm18Fp8KVCacheDataTypeE0EhLi32ELi64ELi256ELb0ELi3EEvPKT_PKT0_S8_ifPKiSA_SA_iPKfiiiPfSD_PS3_PT2_iSC_SC_.has_indirect_call, or(0, .L__assert_fail.has_indirect_call)
	.section	.AMDGPU.csdata,"",@progbits
; Kernel info:
; codeLenInByte = 68
; TotalNumSgprs: 36
; NumVgprs: 51
; ScratchSize: 64
; MemoryBound: 0
; FloatMode: 240
; IeeeMode: 1
; LDSByteSize: 0 bytes/workgroup (compile time only)
; SGPRBlocks: 0
; VGPRBlocks: 3
; NumSGPRsForWavesPerEU: 36
; NumVGPRsForWavesPerEU: 51
; NamedBarCnt: 0
; Occupancy: 16
; WaveLimiterHint : 1
; COMPUTE_PGM_RSRC2:SCRATCH_EN: 1
; COMPUTE_PGM_RSRC2:USER_SGPR: 2
; COMPUTE_PGM_RSRC2:TRAP_HANDLER: 0
; COMPUTE_PGM_RSRC2:TGID_X_EN: 1
; COMPUTE_PGM_RSRC2:TGID_Y_EN: 0
; COMPUTE_PGM_RSRC2:TGID_Z_EN: 0
; COMPUTE_PGM_RSRC2:TIDIG_COMP_CNT: 0
	.section	.text._Z38paged_attention_ll4mi_QKV_mfma4_kernelI14__hip_bfloat16S0_LN4vllm18Fp8KVCacheDataTypeE0EhLi32ELi64ELi256ELb0ELi4EEvPKT_PKT0_S8_ifPKiSA_SA_iPKfiiiPfSD_PS3_PT2_iSC_SC_,"axG",@progbits,_Z38paged_attention_ll4mi_QKV_mfma4_kernelI14__hip_bfloat16S0_LN4vllm18Fp8KVCacheDataTypeE0EhLi32ELi64ELi256ELb0ELi4EEvPKT_PKT0_S8_ifPKiSA_SA_iPKfiiiPfSD_PS3_PT2_iSC_SC_,comdat
	.protected	_Z38paged_attention_ll4mi_QKV_mfma4_kernelI14__hip_bfloat16S0_LN4vllm18Fp8KVCacheDataTypeE0EhLi32ELi64ELi256ELb0ELi4EEvPKT_PKT0_S8_ifPKiSA_SA_iPKfiiiPfSD_PS3_PT2_iSC_SC_ ; -- Begin function _Z38paged_attention_ll4mi_QKV_mfma4_kernelI14__hip_bfloat16S0_LN4vllm18Fp8KVCacheDataTypeE0EhLi32ELi64ELi256ELb0ELi4EEvPKT_PKT0_S8_ifPKiSA_SA_iPKfiiiPfSD_PS3_PT2_iSC_SC_
	.globl	_Z38paged_attention_ll4mi_QKV_mfma4_kernelI14__hip_bfloat16S0_LN4vllm18Fp8KVCacheDataTypeE0EhLi32ELi64ELi256ELb0ELi4EEvPKT_PKT0_S8_ifPKiSA_SA_iPKfiiiPfSD_PS3_PT2_iSC_SC_
	.p2align	8
	.type	_Z38paged_attention_ll4mi_QKV_mfma4_kernelI14__hip_bfloat16S0_LN4vllm18Fp8KVCacheDataTypeE0EhLi32ELi64ELi256ELb0ELi4EEvPKT_PKT0_S8_ifPKiSA_SA_iPKfiiiPfSD_PS3_PT2_iSC_SC_,@function
_Z38paged_attention_ll4mi_QKV_mfma4_kernelI14__hip_bfloat16S0_LN4vllm18Fp8KVCacheDataTypeE0EhLi32ELi64ELi256ELb0ELi4EEvPKT_PKT0_S8_ifPKiSA_SA_iPKfiiiPfSD_PS3_PT2_iSC_SC_: ; @_Z38paged_attention_ll4mi_QKV_mfma4_kernelI14__hip_bfloat16S0_LN4vllm18Fp8KVCacheDataTypeE0EhLi32ELi64ELi256ELb0ELi4EEvPKT_PKT0_S8_ifPKiSA_SA_iPKfiiiPfSD_PS3_PT2_iSC_SC_
; %bb.0:
	s_get_pc_i64 s[2:3]
	s_add_nc_u64 s[2:3], s[2:3], __PRETTY_FUNCTION__._Z38paged_attention_ll4mi_QKV_mfma4_kernelI14__hip_bfloat16S0_LN4vllm18Fp8KVCacheDataTypeE0EhLi32ELi64ELi256ELb0ELi4EEvPKT_PKT0_S8_ifPKiSA_SA_iPKfiiiPfSD_PS3_PT2_iSC_SC_@rel64+4
	s_delay_alu instid0(SALU_CYCLE_1)
	v_dual_mov_b32 v0, 0xbce :: v_dual_mov_b32 v1, s2
	v_mov_b32_e32 v2, s3
	s_add_nc_u64 s[8:9], s[0:1], 0x90
	s_get_pc_i64 s[0:1]
	s_add_nc_u64 s[0:1], s[0:1], __assert_fail@rel64+4
	s_mov_b32 s32, 0
	s_swap_pc_i64 s[30:31], s[0:1]
	.section	.rodata,"a",@progbits
	.p2align	6, 0x0
	.amdhsa_kernel _Z38paged_attention_ll4mi_QKV_mfma4_kernelI14__hip_bfloat16S0_LN4vllm18Fp8KVCacheDataTypeE0EhLi32ELi64ELi256ELb0ELi4EEvPKT_PKT0_S8_ifPKiSA_SA_iPKfiiiPfSD_PS3_PT2_iSC_SC_
		.amdhsa_group_segment_fixed_size 0
		.amdhsa_private_segment_fixed_size 64
		.amdhsa_kernarg_size 400
		.amdhsa_user_sgpr_count 2
		.amdhsa_user_sgpr_dispatch_ptr 0
		.amdhsa_user_sgpr_queue_ptr 0
		.amdhsa_user_sgpr_kernarg_segment_ptr 1
		.amdhsa_user_sgpr_dispatch_id 0
		.amdhsa_user_sgpr_kernarg_preload_length 0
		.amdhsa_user_sgpr_kernarg_preload_offset 0
		.amdhsa_user_sgpr_private_segment_size 0
		.amdhsa_wavefront_size32 1
		.amdhsa_uses_dynamic_stack 0
		.amdhsa_enable_private_segment 1
		.amdhsa_system_sgpr_workgroup_id_x 1
		.amdhsa_system_sgpr_workgroup_id_y 0
		.amdhsa_system_sgpr_workgroup_id_z 0
		.amdhsa_system_sgpr_workgroup_info 0
		.amdhsa_system_vgpr_workitem_id 0
		.amdhsa_next_free_vgpr 51
		.amdhsa_next_free_sgpr 34
		.amdhsa_named_barrier_count 0
		.amdhsa_reserve_vcc 1
		.amdhsa_float_round_mode_32 0
		.amdhsa_float_round_mode_16_64 0
		.amdhsa_float_denorm_mode_32 3
		.amdhsa_float_denorm_mode_16_64 3
		.amdhsa_fp16_overflow 0
		.amdhsa_memory_ordered 1
		.amdhsa_forward_progress 1
		.amdhsa_inst_pref_size 1
		.amdhsa_round_robin_scheduling 0
		.amdhsa_exception_fp_ieee_invalid_op 0
		.amdhsa_exception_fp_denorm_src 0
		.amdhsa_exception_fp_ieee_div_zero 0
		.amdhsa_exception_fp_ieee_overflow 0
		.amdhsa_exception_fp_ieee_underflow 0
		.amdhsa_exception_fp_ieee_inexact 0
		.amdhsa_exception_int_div_zero 0
	.end_amdhsa_kernel
	.section	.text._Z38paged_attention_ll4mi_QKV_mfma4_kernelI14__hip_bfloat16S0_LN4vllm18Fp8KVCacheDataTypeE0EhLi32ELi64ELi256ELb0ELi4EEvPKT_PKT0_S8_ifPKiSA_SA_iPKfiiiPfSD_PS3_PT2_iSC_SC_,"axG",@progbits,_Z38paged_attention_ll4mi_QKV_mfma4_kernelI14__hip_bfloat16S0_LN4vllm18Fp8KVCacheDataTypeE0EhLi32ELi64ELi256ELb0ELi4EEvPKT_PKT0_S8_ifPKiSA_SA_iPKfiiiPfSD_PS3_PT2_iSC_SC_,comdat
.Lfunc_end521:
	.size	_Z38paged_attention_ll4mi_QKV_mfma4_kernelI14__hip_bfloat16S0_LN4vllm18Fp8KVCacheDataTypeE0EhLi32ELi64ELi256ELb0ELi4EEvPKT_PKT0_S8_ifPKiSA_SA_iPKfiiiPfSD_PS3_PT2_iSC_SC_, .Lfunc_end521-_Z38paged_attention_ll4mi_QKV_mfma4_kernelI14__hip_bfloat16S0_LN4vllm18Fp8KVCacheDataTypeE0EhLi32ELi64ELi256ELb0ELi4EEvPKT_PKT0_S8_ifPKiSA_SA_iPKfiiiPfSD_PS3_PT2_iSC_SC_
                                        ; -- End function
	.set _Z38paged_attention_ll4mi_QKV_mfma4_kernelI14__hip_bfloat16S0_LN4vllm18Fp8KVCacheDataTypeE0EhLi32ELi64ELi256ELb0ELi4EEvPKT_PKT0_S8_ifPKiSA_SA_iPKfiiiPfSD_PS3_PT2_iSC_SC_.num_vgpr, max(3, .L__assert_fail.num_vgpr)
	.set _Z38paged_attention_ll4mi_QKV_mfma4_kernelI14__hip_bfloat16S0_LN4vllm18Fp8KVCacheDataTypeE0EhLi32ELi64ELi256ELb0ELi4EEvPKT_PKT0_S8_ifPKiSA_SA_iPKfiiiPfSD_PS3_PT2_iSC_SC_.num_agpr, max(0, .L__assert_fail.num_agpr)
	.set _Z38paged_attention_ll4mi_QKV_mfma4_kernelI14__hip_bfloat16S0_LN4vllm18Fp8KVCacheDataTypeE0EhLi32ELi64ELi256ELb0ELi4EEvPKT_PKT0_S8_ifPKiSA_SA_iPKfiiiPfSD_PS3_PT2_iSC_SC_.numbered_sgpr, max(33, .L__assert_fail.numbered_sgpr)
	.set _Z38paged_attention_ll4mi_QKV_mfma4_kernelI14__hip_bfloat16S0_LN4vllm18Fp8KVCacheDataTypeE0EhLi32ELi64ELi256ELb0ELi4EEvPKT_PKT0_S8_ifPKiSA_SA_iPKfiiiPfSD_PS3_PT2_iSC_SC_.num_named_barrier, max(0, .L__assert_fail.num_named_barrier)
	.set _Z38paged_attention_ll4mi_QKV_mfma4_kernelI14__hip_bfloat16S0_LN4vllm18Fp8KVCacheDataTypeE0EhLi32ELi64ELi256ELb0ELi4EEvPKT_PKT0_S8_ifPKiSA_SA_iPKfiiiPfSD_PS3_PT2_iSC_SC_.private_seg_size, 0+max(.L__assert_fail.private_seg_size)
	.set _Z38paged_attention_ll4mi_QKV_mfma4_kernelI14__hip_bfloat16S0_LN4vllm18Fp8KVCacheDataTypeE0EhLi32ELi64ELi256ELb0ELi4EEvPKT_PKT0_S8_ifPKiSA_SA_iPKfiiiPfSD_PS3_PT2_iSC_SC_.uses_vcc, or(1, .L__assert_fail.uses_vcc)
	.set _Z38paged_attention_ll4mi_QKV_mfma4_kernelI14__hip_bfloat16S0_LN4vllm18Fp8KVCacheDataTypeE0EhLi32ELi64ELi256ELb0ELi4EEvPKT_PKT0_S8_ifPKiSA_SA_iPKfiiiPfSD_PS3_PT2_iSC_SC_.uses_flat_scratch, or(0, .L__assert_fail.uses_flat_scratch)
	.set _Z38paged_attention_ll4mi_QKV_mfma4_kernelI14__hip_bfloat16S0_LN4vllm18Fp8KVCacheDataTypeE0EhLi32ELi64ELi256ELb0ELi4EEvPKT_PKT0_S8_ifPKiSA_SA_iPKfiiiPfSD_PS3_PT2_iSC_SC_.has_dyn_sized_stack, or(0, .L__assert_fail.has_dyn_sized_stack)
	.set _Z38paged_attention_ll4mi_QKV_mfma4_kernelI14__hip_bfloat16S0_LN4vllm18Fp8KVCacheDataTypeE0EhLi32ELi64ELi256ELb0ELi4EEvPKT_PKT0_S8_ifPKiSA_SA_iPKfiiiPfSD_PS3_PT2_iSC_SC_.has_recursion, or(0, .L__assert_fail.has_recursion)
	.set _Z38paged_attention_ll4mi_QKV_mfma4_kernelI14__hip_bfloat16S0_LN4vllm18Fp8KVCacheDataTypeE0EhLi32ELi64ELi256ELb0ELi4EEvPKT_PKT0_S8_ifPKiSA_SA_iPKfiiiPfSD_PS3_PT2_iSC_SC_.has_indirect_call, or(0, .L__assert_fail.has_indirect_call)
	.section	.AMDGPU.csdata,"",@progbits
; Kernel info:
; codeLenInByte = 68
; TotalNumSgprs: 36
; NumVgprs: 51
; ScratchSize: 64
; MemoryBound: 0
; FloatMode: 240
; IeeeMode: 1
; LDSByteSize: 0 bytes/workgroup (compile time only)
; SGPRBlocks: 0
; VGPRBlocks: 3
; NumSGPRsForWavesPerEU: 36
; NumVGPRsForWavesPerEU: 51
; NamedBarCnt: 0
; Occupancy: 16
; WaveLimiterHint : 1
; COMPUTE_PGM_RSRC2:SCRATCH_EN: 1
; COMPUTE_PGM_RSRC2:USER_SGPR: 2
; COMPUTE_PGM_RSRC2:TRAP_HANDLER: 0
; COMPUTE_PGM_RSRC2:TGID_X_EN: 1
; COMPUTE_PGM_RSRC2:TGID_Y_EN: 0
; COMPUTE_PGM_RSRC2:TGID_Z_EN: 0
; COMPUTE_PGM_RSRC2:TIDIG_COMP_CNT: 0
	.section	.text._Z39paged_attention_ll4mi_QKV_mfma16_kernelI14__hip_bfloat16S0_LN4vllm18Fp8KVCacheDataTypeE0EhLi32ELi64ELi256ELb0ELi5EEvPKT_PKT0_S8_ifPKiSA_SA_iPKfiiiPfSD_PS3_PT2_iSC_SC_,"axG",@progbits,_Z39paged_attention_ll4mi_QKV_mfma16_kernelI14__hip_bfloat16S0_LN4vllm18Fp8KVCacheDataTypeE0EhLi32ELi64ELi256ELb0ELi5EEvPKT_PKT0_S8_ifPKiSA_SA_iPKfiiiPfSD_PS3_PT2_iSC_SC_,comdat
	.protected	_Z39paged_attention_ll4mi_QKV_mfma16_kernelI14__hip_bfloat16S0_LN4vllm18Fp8KVCacheDataTypeE0EhLi32ELi64ELi256ELb0ELi5EEvPKT_PKT0_S8_ifPKiSA_SA_iPKfiiiPfSD_PS3_PT2_iSC_SC_ ; -- Begin function _Z39paged_attention_ll4mi_QKV_mfma16_kernelI14__hip_bfloat16S0_LN4vllm18Fp8KVCacheDataTypeE0EhLi32ELi64ELi256ELb0ELi5EEvPKT_PKT0_S8_ifPKiSA_SA_iPKfiiiPfSD_PS3_PT2_iSC_SC_
	.globl	_Z39paged_attention_ll4mi_QKV_mfma16_kernelI14__hip_bfloat16S0_LN4vllm18Fp8KVCacheDataTypeE0EhLi32ELi64ELi256ELb0ELi5EEvPKT_PKT0_S8_ifPKiSA_SA_iPKfiiiPfSD_PS3_PT2_iSC_SC_
	.p2align	8
	.type	_Z39paged_attention_ll4mi_QKV_mfma16_kernelI14__hip_bfloat16S0_LN4vllm18Fp8KVCacheDataTypeE0EhLi32ELi64ELi256ELb0ELi5EEvPKT_PKT0_S8_ifPKiSA_SA_iPKfiiiPfSD_PS3_PT2_iSC_SC_,@function
_Z39paged_attention_ll4mi_QKV_mfma16_kernelI14__hip_bfloat16S0_LN4vllm18Fp8KVCacheDataTypeE0EhLi32ELi64ELi256ELb0ELi5EEvPKT_PKT0_S8_ifPKiSA_SA_iPKfiiiPfSD_PS3_PT2_iSC_SC_: ; @_Z39paged_attention_ll4mi_QKV_mfma16_kernelI14__hip_bfloat16S0_LN4vllm18Fp8KVCacheDataTypeE0EhLi32ELi64ELi256ELb0ELi5EEvPKT_PKT0_S8_ifPKiSA_SA_iPKfiiiPfSD_PS3_PT2_iSC_SC_
; %bb.0:
	s_get_pc_i64 s[2:3]
	s_add_nc_u64 s[2:3], s[2:3], __PRETTY_FUNCTION__._Z39paged_attention_ll4mi_QKV_mfma16_kernelI14__hip_bfloat16S0_LN4vllm18Fp8KVCacheDataTypeE0EhLi32ELi64ELi256ELb0ELi5EEvPKT_PKT0_S8_ifPKiSA_SA_iPKfiiiPfSD_PS3_PT2_iSC_SC_@rel64+4
	s_delay_alu instid0(SALU_CYCLE_1)
	v_dual_mov_b32 v0, 0xbb3 :: v_dual_mov_b32 v1, s2
	v_mov_b32_e32 v2, s3
	s_add_nc_u64 s[8:9], s[0:1], 0x90
	s_get_pc_i64 s[0:1]
	s_add_nc_u64 s[0:1], s[0:1], __assert_fail@rel64+4
	s_mov_b32 s32, 0
	s_swap_pc_i64 s[30:31], s[0:1]
	.section	.rodata,"a",@progbits
	.p2align	6, 0x0
	.amdhsa_kernel _Z39paged_attention_ll4mi_QKV_mfma16_kernelI14__hip_bfloat16S0_LN4vllm18Fp8KVCacheDataTypeE0EhLi32ELi64ELi256ELb0ELi5EEvPKT_PKT0_S8_ifPKiSA_SA_iPKfiiiPfSD_PS3_PT2_iSC_SC_
		.amdhsa_group_segment_fixed_size 0
		.amdhsa_private_segment_fixed_size 64
		.amdhsa_kernarg_size 400
		.amdhsa_user_sgpr_count 2
		.amdhsa_user_sgpr_dispatch_ptr 0
		.amdhsa_user_sgpr_queue_ptr 0
		.amdhsa_user_sgpr_kernarg_segment_ptr 1
		.amdhsa_user_sgpr_dispatch_id 0
		.amdhsa_user_sgpr_kernarg_preload_length 0
		.amdhsa_user_sgpr_kernarg_preload_offset 0
		.amdhsa_user_sgpr_private_segment_size 0
		.amdhsa_wavefront_size32 1
		.amdhsa_uses_dynamic_stack 0
		.amdhsa_enable_private_segment 1
		.amdhsa_system_sgpr_workgroup_id_x 1
		.amdhsa_system_sgpr_workgroup_id_y 0
		.amdhsa_system_sgpr_workgroup_id_z 0
		.amdhsa_system_sgpr_workgroup_info 0
		.amdhsa_system_vgpr_workitem_id 0
		.amdhsa_next_free_vgpr 51
		.amdhsa_next_free_sgpr 34
		.amdhsa_named_barrier_count 0
		.amdhsa_reserve_vcc 1
		.amdhsa_float_round_mode_32 0
		.amdhsa_float_round_mode_16_64 0
		.amdhsa_float_denorm_mode_32 3
		.amdhsa_float_denorm_mode_16_64 3
		.amdhsa_fp16_overflow 0
		.amdhsa_memory_ordered 1
		.amdhsa_forward_progress 1
		.amdhsa_inst_pref_size 1
		.amdhsa_round_robin_scheduling 0
		.amdhsa_exception_fp_ieee_invalid_op 0
		.amdhsa_exception_fp_denorm_src 0
		.amdhsa_exception_fp_ieee_div_zero 0
		.amdhsa_exception_fp_ieee_overflow 0
		.amdhsa_exception_fp_ieee_underflow 0
		.amdhsa_exception_fp_ieee_inexact 0
		.amdhsa_exception_int_div_zero 0
	.end_amdhsa_kernel
	.section	.text._Z39paged_attention_ll4mi_QKV_mfma16_kernelI14__hip_bfloat16S0_LN4vllm18Fp8KVCacheDataTypeE0EhLi32ELi64ELi256ELb0ELi5EEvPKT_PKT0_S8_ifPKiSA_SA_iPKfiiiPfSD_PS3_PT2_iSC_SC_,"axG",@progbits,_Z39paged_attention_ll4mi_QKV_mfma16_kernelI14__hip_bfloat16S0_LN4vllm18Fp8KVCacheDataTypeE0EhLi32ELi64ELi256ELb0ELi5EEvPKT_PKT0_S8_ifPKiSA_SA_iPKfiiiPfSD_PS3_PT2_iSC_SC_,comdat
.Lfunc_end522:
	.size	_Z39paged_attention_ll4mi_QKV_mfma16_kernelI14__hip_bfloat16S0_LN4vllm18Fp8KVCacheDataTypeE0EhLi32ELi64ELi256ELb0ELi5EEvPKT_PKT0_S8_ifPKiSA_SA_iPKfiiiPfSD_PS3_PT2_iSC_SC_, .Lfunc_end522-_Z39paged_attention_ll4mi_QKV_mfma16_kernelI14__hip_bfloat16S0_LN4vllm18Fp8KVCacheDataTypeE0EhLi32ELi64ELi256ELb0ELi5EEvPKT_PKT0_S8_ifPKiSA_SA_iPKfiiiPfSD_PS3_PT2_iSC_SC_
                                        ; -- End function
	.set _Z39paged_attention_ll4mi_QKV_mfma16_kernelI14__hip_bfloat16S0_LN4vllm18Fp8KVCacheDataTypeE0EhLi32ELi64ELi256ELb0ELi5EEvPKT_PKT0_S8_ifPKiSA_SA_iPKfiiiPfSD_PS3_PT2_iSC_SC_.num_vgpr, max(3, .L__assert_fail.num_vgpr)
	.set _Z39paged_attention_ll4mi_QKV_mfma16_kernelI14__hip_bfloat16S0_LN4vllm18Fp8KVCacheDataTypeE0EhLi32ELi64ELi256ELb0ELi5EEvPKT_PKT0_S8_ifPKiSA_SA_iPKfiiiPfSD_PS3_PT2_iSC_SC_.num_agpr, max(0, .L__assert_fail.num_agpr)
	.set _Z39paged_attention_ll4mi_QKV_mfma16_kernelI14__hip_bfloat16S0_LN4vllm18Fp8KVCacheDataTypeE0EhLi32ELi64ELi256ELb0ELi5EEvPKT_PKT0_S8_ifPKiSA_SA_iPKfiiiPfSD_PS3_PT2_iSC_SC_.numbered_sgpr, max(33, .L__assert_fail.numbered_sgpr)
	.set _Z39paged_attention_ll4mi_QKV_mfma16_kernelI14__hip_bfloat16S0_LN4vllm18Fp8KVCacheDataTypeE0EhLi32ELi64ELi256ELb0ELi5EEvPKT_PKT0_S8_ifPKiSA_SA_iPKfiiiPfSD_PS3_PT2_iSC_SC_.num_named_barrier, max(0, .L__assert_fail.num_named_barrier)
	.set _Z39paged_attention_ll4mi_QKV_mfma16_kernelI14__hip_bfloat16S0_LN4vllm18Fp8KVCacheDataTypeE0EhLi32ELi64ELi256ELb0ELi5EEvPKT_PKT0_S8_ifPKiSA_SA_iPKfiiiPfSD_PS3_PT2_iSC_SC_.private_seg_size, 0+max(.L__assert_fail.private_seg_size)
	.set _Z39paged_attention_ll4mi_QKV_mfma16_kernelI14__hip_bfloat16S0_LN4vllm18Fp8KVCacheDataTypeE0EhLi32ELi64ELi256ELb0ELi5EEvPKT_PKT0_S8_ifPKiSA_SA_iPKfiiiPfSD_PS3_PT2_iSC_SC_.uses_vcc, or(1, .L__assert_fail.uses_vcc)
	.set _Z39paged_attention_ll4mi_QKV_mfma16_kernelI14__hip_bfloat16S0_LN4vllm18Fp8KVCacheDataTypeE0EhLi32ELi64ELi256ELb0ELi5EEvPKT_PKT0_S8_ifPKiSA_SA_iPKfiiiPfSD_PS3_PT2_iSC_SC_.uses_flat_scratch, or(0, .L__assert_fail.uses_flat_scratch)
	.set _Z39paged_attention_ll4mi_QKV_mfma16_kernelI14__hip_bfloat16S0_LN4vllm18Fp8KVCacheDataTypeE0EhLi32ELi64ELi256ELb0ELi5EEvPKT_PKT0_S8_ifPKiSA_SA_iPKfiiiPfSD_PS3_PT2_iSC_SC_.has_dyn_sized_stack, or(0, .L__assert_fail.has_dyn_sized_stack)
	.set _Z39paged_attention_ll4mi_QKV_mfma16_kernelI14__hip_bfloat16S0_LN4vllm18Fp8KVCacheDataTypeE0EhLi32ELi64ELi256ELb0ELi5EEvPKT_PKT0_S8_ifPKiSA_SA_iPKfiiiPfSD_PS3_PT2_iSC_SC_.has_recursion, or(0, .L__assert_fail.has_recursion)
	.set _Z39paged_attention_ll4mi_QKV_mfma16_kernelI14__hip_bfloat16S0_LN4vllm18Fp8KVCacheDataTypeE0EhLi32ELi64ELi256ELb0ELi5EEvPKT_PKT0_S8_ifPKiSA_SA_iPKfiiiPfSD_PS3_PT2_iSC_SC_.has_indirect_call, or(0, .L__assert_fail.has_indirect_call)
	.section	.AMDGPU.csdata,"",@progbits
; Kernel info:
; codeLenInByte = 68
; TotalNumSgprs: 36
; NumVgprs: 51
; ScratchSize: 64
; MemoryBound: 0
; FloatMode: 240
; IeeeMode: 1
; LDSByteSize: 0 bytes/workgroup (compile time only)
; SGPRBlocks: 0
; VGPRBlocks: 3
; NumSGPRsForWavesPerEU: 36
; NumVGPRsForWavesPerEU: 51
; NamedBarCnt: 0
; Occupancy: 16
; WaveLimiterHint : 1
; COMPUTE_PGM_RSRC2:SCRATCH_EN: 1
; COMPUTE_PGM_RSRC2:USER_SGPR: 2
; COMPUTE_PGM_RSRC2:TRAP_HANDLER: 0
; COMPUTE_PGM_RSRC2:TGID_X_EN: 1
; COMPUTE_PGM_RSRC2:TGID_Y_EN: 0
; COMPUTE_PGM_RSRC2:TGID_Z_EN: 0
; COMPUTE_PGM_RSRC2:TIDIG_COMP_CNT: 0
	.section	.text._Z39paged_attention_ll4mi_QKV_mfma16_kernelI14__hip_bfloat16S0_LN4vllm18Fp8KVCacheDataTypeE0EhLi32ELi64ELi256ELb0ELi6EEvPKT_PKT0_S8_ifPKiSA_SA_iPKfiiiPfSD_PS3_PT2_iSC_SC_,"axG",@progbits,_Z39paged_attention_ll4mi_QKV_mfma16_kernelI14__hip_bfloat16S0_LN4vllm18Fp8KVCacheDataTypeE0EhLi32ELi64ELi256ELb0ELi6EEvPKT_PKT0_S8_ifPKiSA_SA_iPKfiiiPfSD_PS3_PT2_iSC_SC_,comdat
	.protected	_Z39paged_attention_ll4mi_QKV_mfma16_kernelI14__hip_bfloat16S0_LN4vllm18Fp8KVCacheDataTypeE0EhLi32ELi64ELi256ELb0ELi6EEvPKT_PKT0_S8_ifPKiSA_SA_iPKfiiiPfSD_PS3_PT2_iSC_SC_ ; -- Begin function _Z39paged_attention_ll4mi_QKV_mfma16_kernelI14__hip_bfloat16S0_LN4vllm18Fp8KVCacheDataTypeE0EhLi32ELi64ELi256ELb0ELi6EEvPKT_PKT0_S8_ifPKiSA_SA_iPKfiiiPfSD_PS3_PT2_iSC_SC_
	.globl	_Z39paged_attention_ll4mi_QKV_mfma16_kernelI14__hip_bfloat16S0_LN4vllm18Fp8KVCacheDataTypeE0EhLi32ELi64ELi256ELb0ELi6EEvPKT_PKT0_S8_ifPKiSA_SA_iPKfiiiPfSD_PS3_PT2_iSC_SC_
	.p2align	8
	.type	_Z39paged_attention_ll4mi_QKV_mfma16_kernelI14__hip_bfloat16S0_LN4vllm18Fp8KVCacheDataTypeE0EhLi32ELi64ELi256ELb0ELi6EEvPKT_PKT0_S8_ifPKiSA_SA_iPKfiiiPfSD_PS3_PT2_iSC_SC_,@function
_Z39paged_attention_ll4mi_QKV_mfma16_kernelI14__hip_bfloat16S0_LN4vllm18Fp8KVCacheDataTypeE0EhLi32ELi64ELi256ELb0ELi6EEvPKT_PKT0_S8_ifPKiSA_SA_iPKfiiiPfSD_PS3_PT2_iSC_SC_: ; @_Z39paged_attention_ll4mi_QKV_mfma16_kernelI14__hip_bfloat16S0_LN4vllm18Fp8KVCacheDataTypeE0EhLi32ELi64ELi256ELb0ELi6EEvPKT_PKT0_S8_ifPKiSA_SA_iPKfiiiPfSD_PS3_PT2_iSC_SC_
; %bb.0:
	s_get_pc_i64 s[2:3]
	s_add_nc_u64 s[2:3], s[2:3], __PRETTY_FUNCTION__._Z39paged_attention_ll4mi_QKV_mfma16_kernelI14__hip_bfloat16S0_LN4vllm18Fp8KVCacheDataTypeE0EhLi32ELi64ELi256ELb0ELi6EEvPKT_PKT0_S8_ifPKiSA_SA_iPKfiiiPfSD_PS3_PT2_iSC_SC_@rel64+4
	s_delay_alu instid0(SALU_CYCLE_1)
	v_dual_mov_b32 v0, 0xbb3 :: v_dual_mov_b32 v1, s2
	v_mov_b32_e32 v2, s3
	s_add_nc_u64 s[8:9], s[0:1], 0x90
	s_get_pc_i64 s[0:1]
	s_add_nc_u64 s[0:1], s[0:1], __assert_fail@rel64+4
	s_mov_b32 s32, 0
	s_swap_pc_i64 s[30:31], s[0:1]
	.section	.rodata,"a",@progbits
	.p2align	6, 0x0
	.amdhsa_kernel _Z39paged_attention_ll4mi_QKV_mfma16_kernelI14__hip_bfloat16S0_LN4vllm18Fp8KVCacheDataTypeE0EhLi32ELi64ELi256ELb0ELi6EEvPKT_PKT0_S8_ifPKiSA_SA_iPKfiiiPfSD_PS3_PT2_iSC_SC_
		.amdhsa_group_segment_fixed_size 0
		.amdhsa_private_segment_fixed_size 64
		.amdhsa_kernarg_size 400
		.amdhsa_user_sgpr_count 2
		.amdhsa_user_sgpr_dispatch_ptr 0
		.amdhsa_user_sgpr_queue_ptr 0
		.amdhsa_user_sgpr_kernarg_segment_ptr 1
		.amdhsa_user_sgpr_dispatch_id 0
		.amdhsa_user_sgpr_kernarg_preload_length 0
		.amdhsa_user_sgpr_kernarg_preload_offset 0
		.amdhsa_user_sgpr_private_segment_size 0
		.amdhsa_wavefront_size32 1
		.amdhsa_uses_dynamic_stack 0
		.amdhsa_enable_private_segment 1
		.amdhsa_system_sgpr_workgroup_id_x 1
		.amdhsa_system_sgpr_workgroup_id_y 0
		.amdhsa_system_sgpr_workgroup_id_z 0
		.amdhsa_system_sgpr_workgroup_info 0
		.amdhsa_system_vgpr_workitem_id 0
		.amdhsa_next_free_vgpr 51
		.amdhsa_next_free_sgpr 34
		.amdhsa_named_barrier_count 0
		.amdhsa_reserve_vcc 1
		.amdhsa_float_round_mode_32 0
		.amdhsa_float_round_mode_16_64 0
		.amdhsa_float_denorm_mode_32 3
		.amdhsa_float_denorm_mode_16_64 3
		.amdhsa_fp16_overflow 0
		.amdhsa_memory_ordered 1
		.amdhsa_forward_progress 1
		.amdhsa_inst_pref_size 1
		.amdhsa_round_robin_scheduling 0
		.amdhsa_exception_fp_ieee_invalid_op 0
		.amdhsa_exception_fp_denorm_src 0
		.amdhsa_exception_fp_ieee_div_zero 0
		.amdhsa_exception_fp_ieee_overflow 0
		.amdhsa_exception_fp_ieee_underflow 0
		.amdhsa_exception_fp_ieee_inexact 0
		.amdhsa_exception_int_div_zero 0
	.end_amdhsa_kernel
	.section	.text._Z39paged_attention_ll4mi_QKV_mfma16_kernelI14__hip_bfloat16S0_LN4vllm18Fp8KVCacheDataTypeE0EhLi32ELi64ELi256ELb0ELi6EEvPKT_PKT0_S8_ifPKiSA_SA_iPKfiiiPfSD_PS3_PT2_iSC_SC_,"axG",@progbits,_Z39paged_attention_ll4mi_QKV_mfma16_kernelI14__hip_bfloat16S0_LN4vllm18Fp8KVCacheDataTypeE0EhLi32ELi64ELi256ELb0ELi6EEvPKT_PKT0_S8_ifPKiSA_SA_iPKfiiiPfSD_PS3_PT2_iSC_SC_,comdat
.Lfunc_end523:
	.size	_Z39paged_attention_ll4mi_QKV_mfma16_kernelI14__hip_bfloat16S0_LN4vllm18Fp8KVCacheDataTypeE0EhLi32ELi64ELi256ELb0ELi6EEvPKT_PKT0_S8_ifPKiSA_SA_iPKfiiiPfSD_PS3_PT2_iSC_SC_, .Lfunc_end523-_Z39paged_attention_ll4mi_QKV_mfma16_kernelI14__hip_bfloat16S0_LN4vllm18Fp8KVCacheDataTypeE0EhLi32ELi64ELi256ELb0ELi6EEvPKT_PKT0_S8_ifPKiSA_SA_iPKfiiiPfSD_PS3_PT2_iSC_SC_
                                        ; -- End function
	.set _Z39paged_attention_ll4mi_QKV_mfma16_kernelI14__hip_bfloat16S0_LN4vllm18Fp8KVCacheDataTypeE0EhLi32ELi64ELi256ELb0ELi6EEvPKT_PKT0_S8_ifPKiSA_SA_iPKfiiiPfSD_PS3_PT2_iSC_SC_.num_vgpr, max(3, .L__assert_fail.num_vgpr)
	.set _Z39paged_attention_ll4mi_QKV_mfma16_kernelI14__hip_bfloat16S0_LN4vllm18Fp8KVCacheDataTypeE0EhLi32ELi64ELi256ELb0ELi6EEvPKT_PKT0_S8_ifPKiSA_SA_iPKfiiiPfSD_PS3_PT2_iSC_SC_.num_agpr, max(0, .L__assert_fail.num_agpr)
	.set _Z39paged_attention_ll4mi_QKV_mfma16_kernelI14__hip_bfloat16S0_LN4vllm18Fp8KVCacheDataTypeE0EhLi32ELi64ELi256ELb0ELi6EEvPKT_PKT0_S8_ifPKiSA_SA_iPKfiiiPfSD_PS3_PT2_iSC_SC_.numbered_sgpr, max(33, .L__assert_fail.numbered_sgpr)
	.set _Z39paged_attention_ll4mi_QKV_mfma16_kernelI14__hip_bfloat16S0_LN4vllm18Fp8KVCacheDataTypeE0EhLi32ELi64ELi256ELb0ELi6EEvPKT_PKT0_S8_ifPKiSA_SA_iPKfiiiPfSD_PS3_PT2_iSC_SC_.num_named_barrier, max(0, .L__assert_fail.num_named_barrier)
	.set _Z39paged_attention_ll4mi_QKV_mfma16_kernelI14__hip_bfloat16S0_LN4vllm18Fp8KVCacheDataTypeE0EhLi32ELi64ELi256ELb0ELi6EEvPKT_PKT0_S8_ifPKiSA_SA_iPKfiiiPfSD_PS3_PT2_iSC_SC_.private_seg_size, 0+max(.L__assert_fail.private_seg_size)
	.set _Z39paged_attention_ll4mi_QKV_mfma16_kernelI14__hip_bfloat16S0_LN4vllm18Fp8KVCacheDataTypeE0EhLi32ELi64ELi256ELb0ELi6EEvPKT_PKT0_S8_ifPKiSA_SA_iPKfiiiPfSD_PS3_PT2_iSC_SC_.uses_vcc, or(1, .L__assert_fail.uses_vcc)
	.set _Z39paged_attention_ll4mi_QKV_mfma16_kernelI14__hip_bfloat16S0_LN4vllm18Fp8KVCacheDataTypeE0EhLi32ELi64ELi256ELb0ELi6EEvPKT_PKT0_S8_ifPKiSA_SA_iPKfiiiPfSD_PS3_PT2_iSC_SC_.uses_flat_scratch, or(0, .L__assert_fail.uses_flat_scratch)
	.set _Z39paged_attention_ll4mi_QKV_mfma16_kernelI14__hip_bfloat16S0_LN4vllm18Fp8KVCacheDataTypeE0EhLi32ELi64ELi256ELb0ELi6EEvPKT_PKT0_S8_ifPKiSA_SA_iPKfiiiPfSD_PS3_PT2_iSC_SC_.has_dyn_sized_stack, or(0, .L__assert_fail.has_dyn_sized_stack)
	.set _Z39paged_attention_ll4mi_QKV_mfma16_kernelI14__hip_bfloat16S0_LN4vllm18Fp8KVCacheDataTypeE0EhLi32ELi64ELi256ELb0ELi6EEvPKT_PKT0_S8_ifPKiSA_SA_iPKfiiiPfSD_PS3_PT2_iSC_SC_.has_recursion, or(0, .L__assert_fail.has_recursion)
	.set _Z39paged_attention_ll4mi_QKV_mfma16_kernelI14__hip_bfloat16S0_LN4vllm18Fp8KVCacheDataTypeE0EhLi32ELi64ELi256ELb0ELi6EEvPKT_PKT0_S8_ifPKiSA_SA_iPKfiiiPfSD_PS3_PT2_iSC_SC_.has_indirect_call, or(0, .L__assert_fail.has_indirect_call)
	.section	.AMDGPU.csdata,"",@progbits
; Kernel info:
; codeLenInByte = 68
; TotalNumSgprs: 36
; NumVgprs: 51
; ScratchSize: 64
; MemoryBound: 0
; FloatMode: 240
; IeeeMode: 1
; LDSByteSize: 0 bytes/workgroup (compile time only)
; SGPRBlocks: 0
; VGPRBlocks: 3
; NumSGPRsForWavesPerEU: 36
; NumVGPRsForWavesPerEU: 51
; NamedBarCnt: 0
; Occupancy: 16
; WaveLimiterHint : 1
; COMPUTE_PGM_RSRC2:SCRATCH_EN: 1
; COMPUTE_PGM_RSRC2:USER_SGPR: 2
; COMPUTE_PGM_RSRC2:TRAP_HANDLER: 0
; COMPUTE_PGM_RSRC2:TGID_X_EN: 1
; COMPUTE_PGM_RSRC2:TGID_Y_EN: 0
; COMPUTE_PGM_RSRC2:TGID_Z_EN: 0
; COMPUTE_PGM_RSRC2:TIDIG_COMP_CNT: 0
	.section	.text._Z39paged_attention_ll4mi_QKV_mfma16_kernelI14__hip_bfloat16S0_LN4vllm18Fp8KVCacheDataTypeE0EhLi32ELi64ELi256ELb0ELi7EEvPKT_PKT0_S8_ifPKiSA_SA_iPKfiiiPfSD_PS3_PT2_iSC_SC_,"axG",@progbits,_Z39paged_attention_ll4mi_QKV_mfma16_kernelI14__hip_bfloat16S0_LN4vllm18Fp8KVCacheDataTypeE0EhLi32ELi64ELi256ELb0ELi7EEvPKT_PKT0_S8_ifPKiSA_SA_iPKfiiiPfSD_PS3_PT2_iSC_SC_,comdat
	.protected	_Z39paged_attention_ll4mi_QKV_mfma16_kernelI14__hip_bfloat16S0_LN4vllm18Fp8KVCacheDataTypeE0EhLi32ELi64ELi256ELb0ELi7EEvPKT_PKT0_S8_ifPKiSA_SA_iPKfiiiPfSD_PS3_PT2_iSC_SC_ ; -- Begin function _Z39paged_attention_ll4mi_QKV_mfma16_kernelI14__hip_bfloat16S0_LN4vllm18Fp8KVCacheDataTypeE0EhLi32ELi64ELi256ELb0ELi7EEvPKT_PKT0_S8_ifPKiSA_SA_iPKfiiiPfSD_PS3_PT2_iSC_SC_
	.globl	_Z39paged_attention_ll4mi_QKV_mfma16_kernelI14__hip_bfloat16S0_LN4vllm18Fp8KVCacheDataTypeE0EhLi32ELi64ELi256ELb0ELi7EEvPKT_PKT0_S8_ifPKiSA_SA_iPKfiiiPfSD_PS3_PT2_iSC_SC_
	.p2align	8
	.type	_Z39paged_attention_ll4mi_QKV_mfma16_kernelI14__hip_bfloat16S0_LN4vllm18Fp8KVCacheDataTypeE0EhLi32ELi64ELi256ELb0ELi7EEvPKT_PKT0_S8_ifPKiSA_SA_iPKfiiiPfSD_PS3_PT2_iSC_SC_,@function
_Z39paged_attention_ll4mi_QKV_mfma16_kernelI14__hip_bfloat16S0_LN4vllm18Fp8KVCacheDataTypeE0EhLi32ELi64ELi256ELb0ELi7EEvPKT_PKT0_S8_ifPKiSA_SA_iPKfiiiPfSD_PS3_PT2_iSC_SC_: ; @_Z39paged_attention_ll4mi_QKV_mfma16_kernelI14__hip_bfloat16S0_LN4vllm18Fp8KVCacheDataTypeE0EhLi32ELi64ELi256ELb0ELi7EEvPKT_PKT0_S8_ifPKiSA_SA_iPKfiiiPfSD_PS3_PT2_iSC_SC_
; %bb.0:
	s_get_pc_i64 s[2:3]
	s_add_nc_u64 s[2:3], s[2:3], __PRETTY_FUNCTION__._Z39paged_attention_ll4mi_QKV_mfma16_kernelI14__hip_bfloat16S0_LN4vllm18Fp8KVCacheDataTypeE0EhLi32ELi64ELi256ELb0ELi7EEvPKT_PKT0_S8_ifPKiSA_SA_iPKfiiiPfSD_PS3_PT2_iSC_SC_@rel64+4
	s_delay_alu instid0(SALU_CYCLE_1)
	v_dual_mov_b32 v0, 0xbb3 :: v_dual_mov_b32 v1, s2
	v_mov_b32_e32 v2, s3
	s_add_nc_u64 s[8:9], s[0:1], 0x90
	s_get_pc_i64 s[0:1]
	s_add_nc_u64 s[0:1], s[0:1], __assert_fail@rel64+4
	s_mov_b32 s32, 0
	s_swap_pc_i64 s[30:31], s[0:1]
	.section	.rodata,"a",@progbits
	.p2align	6, 0x0
	.amdhsa_kernel _Z39paged_attention_ll4mi_QKV_mfma16_kernelI14__hip_bfloat16S0_LN4vllm18Fp8KVCacheDataTypeE0EhLi32ELi64ELi256ELb0ELi7EEvPKT_PKT0_S8_ifPKiSA_SA_iPKfiiiPfSD_PS3_PT2_iSC_SC_
		.amdhsa_group_segment_fixed_size 0
		.amdhsa_private_segment_fixed_size 64
		.amdhsa_kernarg_size 400
		.amdhsa_user_sgpr_count 2
		.amdhsa_user_sgpr_dispatch_ptr 0
		.amdhsa_user_sgpr_queue_ptr 0
		.amdhsa_user_sgpr_kernarg_segment_ptr 1
		.amdhsa_user_sgpr_dispatch_id 0
		.amdhsa_user_sgpr_kernarg_preload_length 0
		.amdhsa_user_sgpr_kernarg_preload_offset 0
		.amdhsa_user_sgpr_private_segment_size 0
		.amdhsa_wavefront_size32 1
		.amdhsa_uses_dynamic_stack 0
		.amdhsa_enable_private_segment 1
		.amdhsa_system_sgpr_workgroup_id_x 1
		.amdhsa_system_sgpr_workgroup_id_y 0
		.amdhsa_system_sgpr_workgroup_id_z 0
		.amdhsa_system_sgpr_workgroup_info 0
		.amdhsa_system_vgpr_workitem_id 0
		.amdhsa_next_free_vgpr 51
		.amdhsa_next_free_sgpr 34
		.amdhsa_named_barrier_count 0
		.amdhsa_reserve_vcc 1
		.amdhsa_float_round_mode_32 0
		.amdhsa_float_round_mode_16_64 0
		.amdhsa_float_denorm_mode_32 3
		.amdhsa_float_denorm_mode_16_64 3
		.amdhsa_fp16_overflow 0
		.amdhsa_memory_ordered 1
		.amdhsa_forward_progress 1
		.amdhsa_inst_pref_size 1
		.amdhsa_round_robin_scheduling 0
		.amdhsa_exception_fp_ieee_invalid_op 0
		.amdhsa_exception_fp_denorm_src 0
		.amdhsa_exception_fp_ieee_div_zero 0
		.amdhsa_exception_fp_ieee_overflow 0
		.amdhsa_exception_fp_ieee_underflow 0
		.amdhsa_exception_fp_ieee_inexact 0
		.amdhsa_exception_int_div_zero 0
	.end_amdhsa_kernel
	.section	.text._Z39paged_attention_ll4mi_QKV_mfma16_kernelI14__hip_bfloat16S0_LN4vllm18Fp8KVCacheDataTypeE0EhLi32ELi64ELi256ELb0ELi7EEvPKT_PKT0_S8_ifPKiSA_SA_iPKfiiiPfSD_PS3_PT2_iSC_SC_,"axG",@progbits,_Z39paged_attention_ll4mi_QKV_mfma16_kernelI14__hip_bfloat16S0_LN4vllm18Fp8KVCacheDataTypeE0EhLi32ELi64ELi256ELb0ELi7EEvPKT_PKT0_S8_ifPKiSA_SA_iPKfiiiPfSD_PS3_PT2_iSC_SC_,comdat
.Lfunc_end524:
	.size	_Z39paged_attention_ll4mi_QKV_mfma16_kernelI14__hip_bfloat16S0_LN4vllm18Fp8KVCacheDataTypeE0EhLi32ELi64ELi256ELb0ELi7EEvPKT_PKT0_S8_ifPKiSA_SA_iPKfiiiPfSD_PS3_PT2_iSC_SC_, .Lfunc_end524-_Z39paged_attention_ll4mi_QKV_mfma16_kernelI14__hip_bfloat16S0_LN4vllm18Fp8KVCacheDataTypeE0EhLi32ELi64ELi256ELb0ELi7EEvPKT_PKT0_S8_ifPKiSA_SA_iPKfiiiPfSD_PS3_PT2_iSC_SC_
                                        ; -- End function
	.set _Z39paged_attention_ll4mi_QKV_mfma16_kernelI14__hip_bfloat16S0_LN4vllm18Fp8KVCacheDataTypeE0EhLi32ELi64ELi256ELb0ELi7EEvPKT_PKT0_S8_ifPKiSA_SA_iPKfiiiPfSD_PS3_PT2_iSC_SC_.num_vgpr, max(3, .L__assert_fail.num_vgpr)
	.set _Z39paged_attention_ll4mi_QKV_mfma16_kernelI14__hip_bfloat16S0_LN4vllm18Fp8KVCacheDataTypeE0EhLi32ELi64ELi256ELb0ELi7EEvPKT_PKT0_S8_ifPKiSA_SA_iPKfiiiPfSD_PS3_PT2_iSC_SC_.num_agpr, max(0, .L__assert_fail.num_agpr)
	.set _Z39paged_attention_ll4mi_QKV_mfma16_kernelI14__hip_bfloat16S0_LN4vllm18Fp8KVCacheDataTypeE0EhLi32ELi64ELi256ELb0ELi7EEvPKT_PKT0_S8_ifPKiSA_SA_iPKfiiiPfSD_PS3_PT2_iSC_SC_.numbered_sgpr, max(33, .L__assert_fail.numbered_sgpr)
	.set _Z39paged_attention_ll4mi_QKV_mfma16_kernelI14__hip_bfloat16S0_LN4vllm18Fp8KVCacheDataTypeE0EhLi32ELi64ELi256ELb0ELi7EEvPKT_PKT0_S8_ifPKiSA_SA_iPKfiiiPfSD_PS3_PT2_iSC_SC_.num_named_barrier, max(0, .L__assert_fail.num_named_barrier)
	.set _Z39paged_attention_ll4mi_QKV_mfma16_kernelI14__hip_bfloat16S0_LN4vllm18Fp8KVCacheDataTypeE0EhLi32ELi64ELi256ELb0ELi7EEvPKT_PKT0_S8_ifPKiSA_SA_iPKfiiiPfSD_PS3_PT2_iSC_SC_.private_seg_size, 0+max(.L__assert_fail.private_seg_size)
	.set _Z39paged_attention_ll4mi_QKV_mfma16_kernelI14__hip_bfloat16S0_LN4vllm18Fp8KVCacheDataTypeE0EhLi32ELi64ELi256ELb0ELi7EEvPKT_PKT0_S8_ifPKiSA_SA_iPKfiiiPfSD_PS3_PT2_iSC_SC_.uses_vcc, or(1, .L__assert_fail.uses_vcc)
	.set _Z39paged_attention_ll4mi_QKV_mfma16_kernelI14__hip_bfloat16S0_LN4vllm18Fp8KVCacheDataTypeE0EhLi32ELi64ELi256ELb0ELi7EEvPKT_PKT0_S8_ifPKiSA_SA_iPKfiiiPfSD_PS3_PT2_iSC_SC_.uses_flat_scratch, or(0, .L__assert_fail.uses_flat_scratch)
	.set _Z39paged_attention_ll4mi_QKV_mfma16_kernelI14__hip_bfloat16S0_LN4vllm18Fp8KVCacheDataTypeE0EhLi32ELi64ELi256ELb0ELi7EEvPKT_PKT0_S8_ifPKiSA_SA_iPKfiiiPfSD_PS3_PT2_iSC_SC_.has_dyn_sized_stack, or(0, .L__assert_fail.has_dyn_sized_stack)
	.set _Z39paged_attention_ll4mi_QKV_mfma16_kernelI14__hip_bfloat16S0_LN4vllm18Fp8KVCacheDataTypeE0EhLi32ELi64ELi256ELb0ELi7EEvPKT_PKT0_S8_ifPKiSA_SA_iPKfiiiPfSD_PS3_PT2_iSC_SC_.has_recursion, or(0, .L__assert_fail.has_recursion)
	.set _Z39paged_attention_ll4mi_QKV_mfma16_kernelI14__hip_bfloat16S0_LN4vllm18Fp8KVCacheDataTypeE0EhLi32ELi64ELi256ELb0ELi7EEvPKT_PKT0_S8_ifPKiSA_SA_iPKfiiiPfSD_PS3_PT2_iSC_SC_.has_indirect_call, or(0, .L__assert_fail.has_indirect_call)
	.section	.AMDGPU.csdata,"",@progbits
; Kernel info:
; codeLenInByte = 68
; TotalNumSgprs: 36
; NumVgprs: 51
; ScratchSize: 64
; MemoryBound: 0
; FloatMode: 240
; IeeeMode: 1
; LDSByteSize: 0 bytes/workgroup (compile time only)
; SGPRBlocks: 0
; VGPRBlocks: 3
; NumSGPRsForWavesPerEU: 36
; NumVGPRsForWavesPerEU: 51
; NamedBarCnt: 0
; Occupancy: 16
; WaveLimiterHint : 1
; COMPUTE_PGM_RSRC2:SCRATCH_EN: 1
; COMPUTE_PGM_RSRC2:USER_SGPR: 2
; COMPUTE_PGM_RSRC2:TRAP_HANDLER: 0
; COMPUTE_PGM_RSRC2:TGID_X_EN: 1
; COMPUTE_PGM_RSRC2:TGID_Y_EN: 0
; COMPUTE_PGM_RSRC2:TGID_Z_EN: 0
; COMPUTE_PGM_RSRC2:TIDIG_COMP_CNT: 0
	.section	.text._Z39paged_attention_ll4mi_QKV_mfma16_kernelI14__hip_bfloat16S0_LN4vllm18Fp8KVCacheDataTypeE0EhLi32ELi64ELi256ELb0ELi8EEvPKT_PKT0_S8_ifPKiSA_SA_iPKfiiiPfSD_PS3_PT2_iSC_SC_,"axG",@progbits,_Z39paged_attention_ll4mi_QKV_mfma16_kernelI14__hip_bfloat16S0_LN4vllm18Fp8KVCacheDataTypeE0EhLi32ELi64ELi256ELb0ELi8EEvPKT_PKT0_S8_ifPKiSA_SA_iPKfiiiPfSD_PS3_PT2_iSC_SC_,comdat
	.protected	_Z39paged_attention_ll4mi_QKV_mfma16_kernelI14__hip_bfloat16S0_LN4vllm18Fp8KVCacheDataTypeE0EhLi32ELi64ELi256ELb0ELi8EEvPKT_PKT0_S8_ifPKiSA_SA_iPKfiiiPfSD_PS3_PT2_iSC_SC_ ; -- Begin function _Z39paged_attention_ll4mi_QKV_mfma16_kernelI14__hip_bfloat16S0_LN4vllm18Fp8KVCacheDataTypeE0EhLi32ELi64ELi256ELb0ELi8EEvPKT_PKT0_S8_ifPKiSA_SA_iPKfiiiPfSD_PS3_PT2_iSC_SC_
	.globl	_Z39paged_attention_ll4mi_QKV_mfma16_kernelI14__hip_bfloat16S0_LN4vllm18Fp8KVCacheDataTypeE0EhLi32ELi64ELi256ELb0ELi8EEvPKT_PKT0_S8_ifPKiSA_SA_iPKfiiiPfSD_PS3_PT2_iSC_SC_
	.p2align	8
	.type	_Z39paged_attention_ll4mi_QKV_mfma16_kernelI14__hip_bfloat16S0_LN4vllm18Fp8KVCacheDataTypeE0EhLi32ELi64ELi256ELb0ELi8EEvPKT_PKT0_S8_ifPKiSA_SA_iPKfiiiPfSD_PS3_PT2_iSC_SC_,@function
_Z39paged_attention_ll4mi_QKV_mfma16_kernelI14__hip_bfloat16S0_LN4vllm18Fp8KVCacheDataTypeE0EhLi32ELi64ELi256ELb0ELi8EEvPKT_PKT0_S8_ifPKiSA_SA_iPKfiiiPfSD_PS3_PT2_iSC_SC_: ; @_Z39paged_attention_ll4mi_QKV_mfma16_kernelI14__hip_bfloat16S0_LN4vllm18Fp8KVCacheDataTypeE0EhLi32ELi64ELi256ELb0ELi8EEvPKT_PKT0_S8_ifPKiSA_SA_iPKfiiiPfSD_PS3_PT2_iSC_SC_
; %bb.0:
	s_get_pc_i64 s[2:3]
	s_add_nc_u64 s[2:3], s[2:3], __PRETTY_FUNCTION__._Z39paged_attention_ll4mi_QKV_mfma16_kernelI14__hip_bfloat16S0_LN4vllm18Fp8KVCacheDataTypeE0EhLi32ELi64ELi256ELb0ELi8EEvPKT_PKT0_S8_ifPKiSA_SA_iPKfiiiPfSD_PS3_PT2_iSC_SC_@rel64+4
	s_delay_alu instid0(SALU_CYCLE_1)
	v_dual_mov_b32 v0, 0xbb3 :: v_dual_mov_b32 v1, s2
	v_mov_b32_e32 v2, s3
	s_add_nc_u64 s[8:9], s[0:1], 0x90
	s_get_pc_i64 s[0:1]
	s_add_nc_u64 s[0:1], s[0:1], __assert_fail@rel64+4
	s_mov_b32 s32, 0
	s_swap_pc_i64 s[30:31], s[0:1]
	.section	.rodata,"a",@progbits
	.p2align	6, 0x0
	.amdhsa_kernel _Z39paged_attention_ll4mi_QKV_mfma16_kernelI14__hip_bfloat16S0_LN4vllm18Fp8KVCacheDataTypeE0EhLi32ELi64ELi256ELb0ELi8EEvPKT_PKT0_S8_ifPKiSA_SA_iPKfiiiPfSD_PS3_PT2_iSC_SC_
		.amdhsa_group_segment_fixed_size 0
		.amdhsa_private_segment_fixed_size 64
		.amdhsa_kernarg_size 400
		.amdhsa_user_sgpr_count 2
		.amdhsa_user_sgpr_dispatch_ptr 0
		.amdhsa_user_sgpr_queue_ptr 0
		.amdhsa_user_sgpr_kernarg_segment_ptr 1
		.amdhsa_user_sgpr_dispatch_id 0
		.amdhsa_user_sgpr_kernarg_preload_length 0
		.amdhsa_user_sgpr_kernarg_preload_offset 0
		.amdhsa_user_sgpr_private_segment_size 0
		.amdhsa_wavefront_size32 1
		.amdhsa_uses_dynamic_stack 0
		.amdhsa_enable_private_segment 1
		.amdhsa_system_sgpr_workgroup_id_x 1
		.amdhsa_system_sgpr_workgroup_id_y 0
		.amdhsa_system_sgpr_workgroup_id_z 0
		.amdhsa_system_sgpr_workgroup_info 0
		.amdhsa_system_vgpr_workitem_id 0
		.amdhsa_next_free_vgpr 51
		.amdhsa_next_free_sgpr 34
		.amdhsa_named_barrier_count 0
		.amdhsa_reserve_vcc 1
		.amdhsa_float_round_mode_32 0
		.amdhsa_float_round_mode_16_64 0
		.amdhsa_float_denorm_mode_32 3
		.amdhsa_float_denorm_mode_16_64 3
		.amdhsa_fp16_overflow 0
		.amdhsa_memory_ordered 1
		.amdhsa_forward_progress 1
		.amdhsa_inst_pref_size 1
		.amdhsa_round_robin_scheduling 0
		.amdhsa_exception_fp_ieee_invalid_op 0
		.amdhsa_exception_fp_denorm_src 0
		.amdhsa_exception_fp_ieee_div_zero 0
		.amdhsa_exception_fp_ieee_overflow 0
		.amdhsa_exception_fp_ieee_underflow 0
		.amdhsa_exception_fp_ieee_inexact 0
		.amdhsa_exception_int_div_zero 0
	.end_amdhsa_kernel
	.section	.text._Z39paged_attention_ll4mi_QKV_mfma16_kernelI14__hip_bfloat16S0_LN4vllm18Fp8KVCacheDataTypeE0EhLi32ELi64ELi256ELb0ELi8EEvPKT_PKT0_S8_ifPKiSA_SA_iPKfiiiPfSD_PS3_PT2_iSC_SC_,"axG",@progbits,_Z39paged_attention_ll4mi_QKV_mfma16_kernelI14__hip_bfloat16S0_LN4vllm18Fp8KVCacheDataTypeE0EhLi32ELi64ELi256ELb0ELi8EEvPKT_PKT0_S8_ifPKiSA_SA_iPKfiiiPfSD_PS3_PT2_iSC_SC_,comdat
.Lfunc_end525:
	.size	_Z39paged_attention_ll4mi_QKV_mfma16_kernelI14__hip_bfloat16S0_LN4vllm18Fp8KVCacheDataTypeE0EhLi32ELi64ELi256ELb0ELi8EEvPKT_PKT0_S8_ifPKiSA_SA_iPKfiiiPfSD_PS3_PT2_iSC_SC_, .Lfunc_end525-_Z39paged_attention_ll4mi_QKV_mfma16_kernelI14__hip_bfloat16S0_LN4vllm18Fp8KVCacheDataTypeE0EhLi32ELi64ELi256ELb0ELi8EEvPKT_PKT0_S8_ifPKiSA_SA_iPKfiiiPfSD_PS3_PT2_iSC_SC_
                                        ; -- End function
	.set _Z39paged_attention_ll4mi_QKV_mfma16_kernelI14__hip_bfloat16S0_LN4vllm18Fp8KVCacheDataTypeE0EhLi32ELi64ELi256ELb0ELi8EEvPKT_PKT0_S8_ifPKiSA_SA_iPKfiiiPfSD_PS3_PT2_iSC_SC_.num_vgpr, max(3, .L__assert_fail.num_vgpr)
	.set _Z39paged_attention_ll4mi_QKV_mfma16_kernelI14__hip_bfloat16S0_LN4vllm18Fp8KVCacheDataTypeE0EhLi32ELi64ELi256ELb0ELi8EEvPKT_PKT0_S8_ifPKiSA_SA_iPKfiiiPfSD_PS3_PT2_iSC_SC_.num_agpr, max(0, .L__assert_fail.num_agpr)
	.set _Z39paged_attention_ll4mi_QKV_mfma16_kernelI14__hip_bfloat16S0_LN4vllm18Fp8KVCacheDataTypeE0EhLi32ELi64ELi256ELb0ELi8EEvPKT_PKT0_S8_ifPKiSA_SA_iPKfiiiPfSD_PS3_PT2_iSC_SC_.numbered_sgpr, max(33, .L__assert_fail.numbered_sgpr)
	.set _Z39paged_attention_ll4mi_QKV_mfma16_kernelI14__hip_bfloat16S0_LN4vllm18Fp8KVCacheDataTypeE0EhLi32ELi64ELi256ELb0ELi8EEvPKT_PKT0_S8_ifPKiSA_SA_iPKfiiiPfSD_PS3_PT2_iSC_SC_.num_named_barrier, max(0, .L__assert_fail.num_named_barrier)
	.set _Z39paged_attention_ll4mi_QKV_mfma16_kernelI14__hip_bfloat16S0_LN4vllm18Fp8KVCacheDataTypeE0EhLi32ELi64ELi256ELb0ELi8EEvPKT_PKT0_S8_ifPKiSA_SA_iPKfiiiPfSD_PS3_PT2_iSC_SC_.private_seg_size, 0+max(.L__assert_fail.private_seg_size)
	.set _Z39paged_attention_ll4mi_QKV_mfma16_kernelI14__hip_bfloat16S0_LN4vllm18Fp8KVCacheDataTypeE0EhLi32ELi64ELi256ELb0ELi8EEvPKT_PKT0_S8_ifPKiSA_SA_iPKfiiiPfSD_PS3_PT2_iSC_SC_.uses_vcc, or(1, .L__assert_fail.uses_vcc)
	.set _Z39paged_attention_ll4mi_QKV_mfma16_kernelI14__hip_bfloat16S0_LN4vllm18Fp8KVCacheDataTypeE0EhLi32ELi64ELi256ELb0ELi8EEvPKT_PKT0_S8_ifPKiSA_SA_iPKfiiiPfSD_PS3_PT2_iSC_SC_.uses_flat_scratch, or(0, .L__assert_fail.uses_flat_scratch)
	.set _Z39paged_attention_ll4mi_QKV_mfma16_kernelI14__hip_bfloat16S0_LN4vllm18Fp8KVCacheDataTypeE0EhLi32ELi64ELi256ELb0ELi8EEvPKT_PKT0_S8_ifPKiSA_SA_iPKfiiiPfSD_PS3_PT2_iSC_SC_.has_dyn_sized_stack, or(0, .L__assert_fail.has_dyn_sized_stack)
	.set _Z39paged_attention_ll4mi_QKV_mfma16_kernelI14__hip_bfloat16S0_LN4vllm18Fp8KVCacheDataTypeE0EhLi32ELi64ELi256ELb0ELi8EEvPKT_PKT0_S8_ifPKiSA_SA_iPKfiiiPfSD_PS3_PT2_iSC_SC_.has_recursion, or(0, .L__assert_fail.has_recursion)
	.set _Z39paged_attention_ll4mi_QKV_mfma16_kernelI14__hip_bfloat16S0_LN4vllm18Fp8KVCacheDataTypeE0EhLi32ELi64ELi256ELb0ELi8EEvPKT_PKT0_S8_ifPKiSA_SA_iPKfiiiPfSD_PS3_PT2_iSC_SC_.has_indirect_call, or(0, .L__assert_fail.has_indirect_call)
	.section	.AMDGPU.csdata,"",@progbits
; Kernel info:
; codeLenInByte = 68
; TotalNumSgprs: 36
; NumVgprs: 51
; ScratchSize: 64
; MemoryBound: 0
; FloatMode: 240
; IeeeMode: 1
; LDSByteSize: 0 bytes/workgroup (compile time only)
; SGPRBlocks: 0
; VGPRBlocks: 3
; NumSGPRsForWavesPerEU: 36
; NumVGPRsForWavesPerEU: 51
; NamedBarCnt: 0
; Occupancy: 16
; WaveLimiterHint : 1
; COMPUTE_PGM_RSRC2:SCRATCH_EN: 1
; COMPUTE_PGM_RSRC2:USER_SGPR: 2
; COMPUTE_PGM_RSRC2:TRAP_HANDLER: 0
; COMPUTE_PGM_RSRC2:TGID_X_EN: 1
; COMPUTE_PGM_RSRC2:TGID_Y_EN: 0
; COMPUTE_PGM_RSRC2:TGID_Z_EN: 0
; COMPUTE_PGM_RSRC2:TIDIG_COMP_CNT: 0
	.section	.text._Z39paged_attention_ll4mi_QKV_mfma16_kernelI14__hip_bfloat16S0_LN4vllm18Fp8KVCacheDataTypeE0EhLi32ELi64ELi256ELb0ELi9EEvPKT_PKT0_S8_ifPKiSA_SA_iPKfiiiPfSD_PS3_PT2_iSC_SC_,"axG",@progbits,_Z39paged_attention_ll4mi_QKV_mfma16_kernelI14__hip_bfloat16S0_LN4vllm18Fp8KVCacheDataTypeE0EhLi32ELi64ELi256ELb0ELi9EEvPKT_PKT0_S8_ifPKiSA_SA_iPKfiiiPfSD_PS3_PT2_iSC_SC_,comdat
	.protected	_Z39paged_attention_ll4mi_QKV_mfma16_kernelI14__hip_bfloat16S0_LN4vllm18Fp8KVCacheDataTypeE0EhLi32ELi64ELi256ELb0ELi9EEvPKT_PKT0_S8_ifPKiSA_SA_iPKfiiiPfSD_PS3_PT2_iSC_SC_ ; -- Begin function _Z39paged_attention_ll4mi_QKV_mfma16_kernelI14__hip_bfloat16S0_LN4vllm18Fp8KVCacheDataTypeE0EhLi32ELi64ELi256ELb0ELi9EEvPKT_PKT0_S8_ifPKiSA_SA_iPKfiiiPfSD_PS3_PT2_iSC_SC_
	.globl	_Z39paged_attention_ll4mi_QKV_mfma16_kernelI14__hip_bfloat16S0_LN4vllm18Fp8KVCacheDataTypeE0EhLi32ELi64ELi256ELb0ELi9EEvPKT_PKT0_S8_ifPKiSA_SA_iPKfiiiPfSD_PS3_PT2_iSC_SC_
	.p2align	8
	.type	_Z39paged_attention_ll4mi_QKV_mfma16_kernelI14__hip_bfloat16S0_LN4vllm18Fp8KVCacheDataTypeE0EhLi32ELi64ELi256ELb0ELi9EEvPKT_PKT0_S8_ifPKiSA_SA_iPKfiiiPfSD_PS3_PT2_iSC_SC_,@function
_Z39paged_attention_ll4mi_QKV_mfma16_kernelI14__hip_bfloat16S0_LN4vllm18Fp8KVCacheDataTypeE0EhLi32ELi64ELi256ELb0ELi9EEvPKT_PKT0_S8_ifPKiSA_SA_iPKfiiiPfSD_PS3_PT2_iSC_SC_: ; @_Z39paged_attention_ll4mi_QKV_mfma16_kernelI14__hip_bfloat16S0_LN4vllm18Fp8KVCacheDataTypeE0EhLi32ELi64ELi256ELb0ELi9EEvPKT_PKT0_S8_ifPKiSA_SA_iPKfiiiPfSD_PS3_PT2_iSC_SC_
; %bb.0:
	s_get_pc_i64 s[2:3]
	s_add_nc_u64 s[2:3], s[2:3], __PRETTY_FUNCTION__._Z39paged_attention_ll4mi_QKV_mfma16_kernelI14__hip_bfloat16S0_LN4vllm18Fp8KVCacheDataTypeE0EhLi32ELi64ELi256ELb0ELi9EEvPKT_PKT0_S8_ifPKiSA_SA_iPKfiiiPfSD_PS3_PT2_iSC_SC_@rel64+4
	s_delay_alu instid0(SALU_CYCLE_1)
	v_dual_mov_b32 v0, 0xbb3 :: v_dual_mov_b32 v1, s2
	v_mov_b32_e32 v2, s3
	s_add_nc_u64 s[8:9], s[0:1], 0x90
	s_get_pc_i64 s[0:1]
	s_add_nc_u64 s[0:1], s[0:1], __assert_fail@rel64+4
	s_mov_b32 s32, 0
	s_swap_pc_i64 s[30:31], s[0:1]
	.section	.rodata,"a",@progbits
	.p2align	6, 0x0
	.amdhsa_kernel _Z39paged_attention_ll4mi_QKV_mfma16_kernelI14__hip_bfloat16S0_LN4vllm18Fp8KVCacheDataTypeE0EhLi32ELi64ELi256ELb0ELi9EEvPKT_PKT0_S8_ifPKiSA_SA_iPKfiiiPfSD_PS3_PT2_iSC_SC_
		.amdhsa_group_segment_fixed_size 0
		.amdhsa_private_segment_fixed_size 64
		.amdhsa_kernarg_size 400
		.amdhsa_user_sgpr_count 2
		.amdhsa_user_sgpr_dispatch_ptr 0
		.amdhsa_user_sgpr_queue_ptr 0
		.amdhsa_user_sgpr_kernarg_segment_ptr 1
		.amdhsa_user_sgpr_dispatch_id 0
		.amdhsa_user_sgpr_kernarg_preload_length 0
		.amdhsa_user_sgpr_kernarg_preload_offset 0
		.amdhsa_user_sgpr_private_segment_size 0
		.amdhsa_wavefront_size32 1
		.amdhsa_uses_dynamic_stack 0
		.amdhsa_enable_private_segment 1
		.amdhsa_system_sgpr_workgroup_id_x 1
		.amdhsa_system_sgpr_workgroup_id_y 0
		.amdhsa_system_sgpr_workgroup_id_z 0
		.amdhsa_system_sgpr_workgroup_info 0
		.amdhsa_system_vgpr_workitem_id 0
		.amdhsa_next_free_vgpr 51
		.amdhsa_next_free_sgpr 34
		.amdhsa_named_barrier_count 0
		.amdhsa_reserve_vcc 1
		.amdhsa_float_round_mode_32 0
		.amdhsa_float_round_mode_16_64 0
		.amdhsa_float_denorm_mode_32 3
		.amdhsa_float_denorm_mode_16_64 3
		.amdhsa_fp16_overflow 0
		.amdhsa_memory_ordered 1
		.amdhsa_forward_progress 1
		.amdhsa_inst_pref_size 1
		.amdhsa_round_robin_scheduling 0
		.amdhsa_exception_fp_ieee_invalid_op 0
		.amdhsa_exception_fp_denorm_src 0
		.amdhsa_exception_fp_ieee_div_zero 0
		.amdhsa_exception_fp_ieee_overflow 0
		.amdhsa_exception_fp_ieee_underflow 0
		.amdhsa_exception_fp_ieee_inexact 0
		.amdhsa_exception_int_div_zero 0
	.end_amdhsa_kernel
	.section	.text._Z39paged_attention_ll4mi_QKV_mfma16_kernelI14__hip_bfloat16S0_LN4vllm18Fp8KVCacheDataTypeE0EhLi32ELi64ELi256ELb0ELi9EEvPKT_PKT0_S8_ifPKiSA_SA_iPKfiiiPfSD_PS3_PT2_iSC_SC_,"axG",@progbits,_Z39paged_attention_ll4mi_QKV_mfma16_kernelI14__hip_bfloat16S0_LN4vllm18Fp8KVCacheDataTypeE0EhLi32ELi64ELi256ELb0ELi9EEvPKT_PKT0_S8_ifPKiSA_SA_iPKfiiiPfSD_PS3_PT2_iSC_SC_,comdat
.Lfunc_end526:
	.size	_Z39paged_attention_ll4mi_QKV_mfma16_kernelI14__hip_bfloat16S0_LN4vllm18Fp8KVCacheDataTypeE0EhLi32ELi64ELi256ELb0ELi9EEvPKT_PKT0_S8_ifPKiSA_SA_iPKfiiiPfSD_PS3_PT2_iSC_SC_, .Lfunc_end526-_Z39paged_attention_ll4mi_QKV_mfma16_kernelI14__hip_bfloat16S0_LN4vllm18Fp8KVCacheDataTypeE0EhLi32ELi64ELi256ELb0ELi9EEvPKT_PKT0_S8_ifPKiSA_SA_iPKfiiiPfSD_PS3_PT2_iSC_SC_
                                        ; -- End function
	.set _Z39paged_attention_ll4mi_QKV_mfma16_kernelI14__hip_bfloat16S0_LN4vllm18Fp8KVCacheDataTypeE0EhLi32ELi64ELi256ELb0ELi9EEvPKT_PKT0_S8_ifPKiSA_SA_iPKfiiiPfSD_PS3_PT2_iSC_SC_.num_vgpr, max(3, .L__assert_fail.num_vgpr)
	.set _Z39paged_attention_ll4mi_QKV_mfma16_kernelI14__hip_bfloat16S0_LN4vllm18Fp8KVCacheDataTypeE0EhLi32ELi64ELi256ELb0ELi9EEvPKT_PKT0_S8_ifPKiSA_SA_iPKfiiiPfSD_PS3_PT2_iSC_SC_.num_agpr, max(0, .L__assert_fail.num_agpr)
	.set _Z39paged_attention_ll4mi_QKV_mfma16_kernelI14__hip_bfloat16S0_LN4vllm18Fp8KVCacheDataTypeE0EhLi32ELi64ELi256ELb0ELi9EEvPKT_PKT0_S8_ifPKiSA_SA_iPKfiiiPfSD_PS3_PT2_iSC_SC_.numbered_sgpr, max(33, .L__assert_fail.numbered_sgpr)
	.set _Z39paged_attention_ll4mi_QKV_mfma16_kernelI14__hip_bfloat16S0_LN4vllm18Fp8KVCacheDataTypeE0EhLi32ELi64ELi256ELb0ELi9EEvPKT_PKT0_S8_ifPKiSA_SA_iPKfiiiPfSD_PS3_PT2_iSC_SC_.num_named_barrier, max(0, .L__assert_fail.num_named_barrier)
	.set _Z39paged_attention_ll4mi_QKV_mfma16_kernelI14__hip_bfloat16S0_LN4vllm18Fp8KVCacheDataTypeE0EhLi32ELi64ELi256ELb0ELi9EEvPKT_PKT0_S8_ifPKiSA_SA_iPKfiiiPfSD_PS3_PT2_iSC_SC_.private_seg_size, 0+max(.L__assert_fail.private_seg_size)
	.set _Z39paged_attention_ll4mi_QKV_mfma16_kernelI14__hip_bfloat16S0_LN4vllm18Fp8KVCacheDataTypeE0EhLi32ELi64ELi256ELb0ELi9EEvPKT_PKT0_S8_ifPKiSA_SA_iPKfiiiPfSD_PS3_PT2_iSC_SC_.uses_vcc, or(1, .L__assert_fail.uses_vcc)
	.set _Z39paged_attention_ll4mi_QKV_mfma16_kernelI14__hip_bfloat16S0_LN4vllm18Fp8KVCacheDataTypeE0EhLi32ELi64ELi256ELb0ELi9EEvPKT_PKT0_S8_ifPKiSA_SA_iPKfiiiPfSD_PS3_PT2_iSC_SC_.uses_flat_scratch, or(0, .L__assert_fail.uses_flat_scratch)
	.set _Z39paged_attention_ll4mi_QKV_mfma16_kernelI14__hip_bfloat16S0_LN4vllm18Fp8KVCacheDataTypeE0EhLi32ELi64ELi256ELb0ELi9EEvPKT_PKT0_S8_ifPKiSA_SA_iPKfiiiPfSD_PS3_PT2_iSC_SC_.has_dyn_sized_stack, or(0, .L__assert_fail.has_dyn_sized_stack)
	.set _Z39paged_attention_ll4mi_QKV_mfma16_kernelI14__hip_bfloat16S0_LN4vllm18Fp8KVCacheDataTypeE0EhLi32ELi64ELi256ELb0ELi9EEvPKT_PKT0_S8_ifPKiSA_SA_iPKfiiiPfSD_PS3_PT2_iSC_SC_.has_recursion, or(0, .L__assert_fail.has_recursion)
	.set _Z39paged_attention_ll4mi_QKV_mfma16_kernelI14__hip_bfloat16S0_LN4vllm18Fp8KVCacheDataTypeE0EhLi32ELi64ELi256ELb0ELi9EEvPKT_PKT0_S8_ifPKiSA_SA_iPKfiiiPfSD_PS3_PT2_iSC_SC_.has_indirect_call, or(0, .L__assert_fail.has_indirect_call)
	.section	.AMDGPU.csdata,"",@progbits
; Kernel info:
; codeLenInByte = 68
; TotalNumSgprs: 36
; NumVgprs: 51
; ScratchSize: 64
; MemoryBound: 0
; FloatMode: 240
; IeeeMode: 1
; LDSByteSize: 0 bytes/workgroup (compile time only)
; SGPRBlocks: 0
; VGPRBlocks: 3
; NumSGPRsForWavesPerEU: 36
; NumVGPRsForWavesPerEU: 51
; NamedBarCnt: 0
; Occupancy: 16
; WaveLimiterHint : 1
; COMPUTE_PGM_RSRC2:SCRATCH_EN: 1
; COMPUTE_PGM_RSRC2:USER_SGPR: 2
; COMPUTE_PGM_RSRC2:TRAP_HANDLER: 0
; COMPUTE_PGM_RSRC2:TGID_X_EN: 1
; COMPUTE_PGM_RSRC2:TGID_Y_EN: 0
; COMPUTE_PGM_RSRC2:TGID_Z_EN: 0
; COMPUTE_PGM_RSRC2:TIDIG_COMP_CNT: 0
	.section	.text._Z39paged_attention_ll4mi_QKV_mfma16_kernelI14__hip_bfloat16S0_LN4vllm18Fp8KVCacheDataTypeE0EhLi32ELi64ELi256ELb0ELi10EEvPKT_PKT0_S8_ifPKiSA_SA_iPKfiiiPfSD_PS3_PT2_iSC_SC_,"axG",@progbits,_Z39paged_attention_ll4mi_QKV_mfma16_kernelI14__hip_bfloat16S0_LN4vllm18Fp8KVCacheDataTypeE0EhLi32ELi64ELi256ELb0ELi10EEvPKT_PKT0_S8_ifPKiSA_SA_iPKfiiiPfSD_PS3_PT2_iSC_SC_,comdat
	.protected	_Z39paged_attention_ll4mi_QKV_mfma16_kernelI14__hip_bfloat16S0_LN4vllm18Fp8KVCacheDataTypeE0EhLi32ELi64ELi256ELb0ELi10EEvPKT_PKT0_S8_ifPKiSA_SA_iPKfiiiPfSD_PS3_PT2_iSC_SC_ ; -- Begin function _Z39paged_attention_ll4mi_QKV_mfma16_kernelI14__hip_bfloat16S0_LN4vllm18Fp8KVCacheDataTypeE0EhLi32ELi64ELi256ELb0ELi10EEvPKT_PKT0_S8_ifPKiSA_SA_iPKfiiiPfSD_PS3_PT2_iSC_SC_
	.globl	_Z39paged_attention_ll4mi_QKV_mfma16_kernelI14__hip_bfloat16S0_LN4vllm18Fp8KVCacheDataTypeE0EhLi32ELi64ELi256ELb0ELi10EEvPKT_PKT0_S8_ifPKiSA_SA_iPKfiiiPfSD_PS3_PT2_iSC_SC_
	.p2align	8
	.type	_Z39paged_attention_ll4mi_QKV_mfma16_kernelI14__hip_bfloat16S0_LN4vllm18Fp8KVCacheDataTypeE0EhLi32ELi64ELi256ELb0ELi10EEvPKT_PKT0_S8_ifPKiSA_SA_iPKfiiiPfSD_PS3_PT2_iSC_SC_,@function
_Z39paged_attention_ll4mi_QKV_mfma16_kernelI14__hip_bfloat16S0_LN4vllm18Fp8KVCacheDataTypeE0EhLi32ELi64ELi256ELb0ELi10EEvPKT_PKT0_S8_ifPKiSA_SA_iPKfiiiPfSD_PS3_PT2_iSC_SC_: ; @_Z39paged_attention_ll4mi_QKV_mfma16_kernelI14__hip_bfloat16S0_LN4vllm18Fp8KVCacheDataTypeE0EhLi32ELi64ELi256ELb0ELi10EEvPKT_PKT0_S8_ifPKiSA_SA_iPKfiiiPfSD_PS3_PT2_iSC_SC_
; %bb.0:
	s_get_pc_i64 s[2:3]
	s_add_nc_u64 s[2:3], s[2:3], __PRETTY_FUNCTION__._Z39paged_attention_ll4mi_QKV_mfma16_kernelI14__hip_bfloat16S0_LN4vllm18Fp8KVCacheDataTypeE0EhLi32ELi64ELi256ELb0ELi10EEvPKT_PKT0_S8_ifPKiSA_SA_iPKfiiiPfSD_PS3_PT2_iSC_SC_@rel64+4
	s_delay_alu instid0(SALU_CYCLE_1)
	v_dual_mov_b32 v0, 0xbb3 :: v_dual_mov_b32 v1, s2
	v_mov_b32_e32 v2, s3
	s_add_nc_u64 s[8:9], s[0:1], 0x90
	s_get_pc_i64 s[0:1]
	s_add_nc_u64 s[0:1], s[0:1], __assert_fail@rel64+4
	s_mov_b32 s32, 0
	s_swap_pc_i64 s[30:31], s[0:1]
	.section	.rodata,"a",@progbits
	.p2align	6, 0x0
	.amdhsa_kernel _Z39paged_attention_ll4mi_QKV_mfma16_kernelI14__hip_bfloat16S0_LN4vllm18Fp8KVCacheDataTypeE0EhLi32ELi64ELi256ELb0ELi10EEvPKT_PKT0_S8_ifPKiSA_SA_iPKfiiiPfSD_PS3_PT2_iSC_SC_
		.amdhsa_group_segment_fixed_size 0
		.amdhsa_private_segment_fixed_size 64
		.amdhsa_kernarg_size 400
		.amdhsa_user_sgpr_count 2
		.amdhsa_user_sgpr_dispatch_ptr 0
		.amdhsa_user_sgpr_queue_ptr 0
		.amdhsa_user_sgpr_kernarg_segment_ptr 1
		.amdhsa_user_sgpr_dispatch_id 0
		.amdhsa_user_sgpr_kernarg_preload_length 0
		.amdhsa_user_sgpr_kernarg_preload_offset 0
		.amdhsa_user_sgpr_private_segment_size 0
		.amdhsa_wavefront_size32 1
		.amdhsa_uses_dynamic_stack 0
		.amdhsa_enable_private_segment 1
		.amdhsa_system_sgpr_workgroup_id_x 1
		.amdhsa_system_sgpr_workgroup_id_y 0
		.amdhsa_system_sgpr_workgroup_id_z 0
		.amdhsa_system_sgpr_workgroup_info 0
		.amdhsa_system_vgpr_workitem_id 0
		.amdhsa_next_free_vgpr 51
		.amdhsa_next_free_sgpr 34
		.amdhsa_named_barrier_count 0
		.amdhsa_reserve_vcc 1
		.amdhsa_float_round_mode_32 0
		.amdhsa_float_round_mode_16_64 0
		.amdhsa_float_denorm_mode_32 3
		.amdhsa_float_denorm_mode_16_64 3
		.amdhsa_fp16_overflow 0
		.amdhsa_memory_ordered 1
		.amdhsa_forward_progress 1
		.amdhsa_inst_pref_size 1
		.amdhsa_round_robin_scheduling 0
		.amdhsa_exception_fp_ieee_invalid_op 0
		.amdhsa_exception_fp_denorm_src 0
		.amdhsa_exception_fp_ieee_div_zero 0
		.amdhsa_exception_fp_ieee_overflow 0
		.amdhsa_exception_fp_ieee_underflow 0
		.amdhsa_exception_fp_ieee_inexact 0
		.amdhsa_exception_int_div_zero 0
	.end_amdhsa_kernel
	.section	.text._Z39paged_attention_ll4mi_QKV_mfma16_kernelI14__hip_bfloat16S0_LN4vllm18Fp8KVCacheDataTypeE0EhLi32ELi64ELi256ELb0ELi10EEvPKT_PKT0_S8_ifPKiSA_SA_iPKfiiiPfSD_PS3_PT2_iSC_SC_,"axG",@progbits,_Z39paged_attention_ll4mi_QKV_mfma16_kernelI14__hip_bfloat16S0_LN4vllm18Fp8KVCacheDataTypeE0EhLi32ELi64ELi256ELb0ELi10EEvPKT_PKT0_S8_ifPKiSA_SA_iPKfiiiPfSD_PS3_PT2_iSC_SC_,comdat
.Lfunc_end527:
	.size	_Z39paged_attention_ll4mi_QKV_mfma16_kernelI14__hip_bfloat16S0_LN4vllm18Fp8KVCacheDataTypeE0EhLi32ELi64ELi256ELb0ELi10EEvPKT_PKT0_S8_ifPKiSA_SA_iPKfiiiPfSD_PS3_PT2_iSC_SC_, .Lfunc_end527-_Z39paged_attention_ll4mi_QKV_mfma16_kernelI14__hip_bfloat16S0_LN4vllm18Fp8KVCacheDataTypeE0EhLi32ELi64ELi256ELb0ELi10EEvPKT_PKT0_S8_ifPKiSA_SA_iPKfiiiPfSD_PS3_PT2_iSC_SC_
                                        ; -- End function
	.set _Z39paged_attention_ll4mi_QKV_mfma16_kernelI14__hip_bfloat16S0_LN4vllm18Fp8KVCacheDataTypeE0EhLi32ELi64ELi256ELb0ELi10EEvPKT_PKT0_S8_ifPKiSA_SA_iPKfiiiPfSD_PS3_PT2_iSC_SC_.num_vgpr, max(3, .L__assert_fail.num_vgpr)
	.set _Z39paged_attention_ll4mi_QKV_mfma16_kernelI14__hip_bfloat16S0_LN4vllm18Fp8KVCacheDataTypeE0EhLi32ELi64ELi256ELb0ELi10EEvPKT_PKT0_S8_ifPKiSA_SA_iPKfiiiPfSD_PS3_PT2_iSC_SC_.num_agpr, max(0, .L__assert_fail.num_agpr)
	.set _Z39paged_attention_ll4mi_QKV_mfma16_kernelI14__hip_bfloat16S0_LN4vllm18Fp8KVCacheDataTypeE0EhLi32ELi64ELi256ELb0ELi10EEvPKT_PKT0_S8_ifPKiSA_SA_iPKfiiiPfSD_PS3_PT2_iSC_SC_.numbered_sgpr, max(33, .L__assert_fail.numbered_sgpr)
	.set _Z39paged_attention_ll4mi_QKV_mfma16_kernelI14__hip_bfloat16S0_LN4vllm18Fp8KVCacheDataTypeE0EhLi32ELi64ELi256ELb0ELi10EEvPKT_PKT0_S8_ifPKiSA_SA_iPKfiiiPfSD_PS3_PT2_iSC_SC_.num_named_barrier, max(0, .L__assert_fail.num_named_barrier)
	.set _Z39paged_attention_ll4mi_QKV_mfma16_kernelI14__hip_bfloat16S0_LN4vllm18Fp8KVCacheDataTypeE0EhLi32ELi64ELi256ELb0ELi10EEvPKT_PKT0_S8_ifPKiSA_SA_iPKfiiiPfSD_PS3_PT2_iSC_SC_.private_seg_size, 0+max(.L__assert_fail.private_seg_size)
	.set _Z39paged_attention_ll4mi_QKV_mfma16_kernelI14__hip_bfloat16S0_LN4vllm18Fp8KVCacheDataTypeE0EhLi32ELi64ELi256ELb0ELi10EEvPKT_PKT0_S8_ifPKiSA_SA_iPKfiiiPfSD_PS3_PT2_iSC_SC_.uses_vcc, or(1, .L__assert_fail.uses_vcc)
	.set _Z39paged_attention_ll4mi_QKV_mfma16_kernelI14__hip_bfloat16S0_LN4vllm18Fp8KVCacheDataTypeE0EhLi32ELi64ELi256ELb0ELi10EEvPKT_PKT0_S8_ifPKiSA_SA_iPKfiiiPfSD_PS3_PT2_iSC_SC_.uses_flat_scratch, or(0, .L__assert_fail.uses_flat_scratch)
	.set _Z39paged_attention_ll4mi_QKV_mfma16_kernelI14__hip_bfloat16S0_LN4vllm18Fp8KVCacheDataTypeE0EhLi32ELi64ELi256ELb0ELi10EEvPKT_PKT0_S8_ifPKiSA_SA_iPKfiiiPfSD_PS3_PT2_iSC_SC_.has_dyn_sized_stack, or(0, .L__assert_fail.has_dyn_sized_stack)
	.set _Z39paged_attention_ll4mi_QKV_mfma16_kernelI14__hip_bfloat16S0_LN4vllm18Fp8KVCacheDataTypeE0EhLi32ELi64ELi256ELb0ELi10EEvPKT_PKT0_S8_ifPKiSA_SA_iPKfiiiPfSD_PS3_PT2_iSC_SC_.has_recursion, or(0, .L__assert_fail.has_recursion)
	.set _Z39paged_attention_ll4mi_QKV_mfma16_kernelI14__hip_bfloat16S0_LN4vllm18Fp8KVCacheDataTypeE0EhLi32ELi64ELi256ELb0ELi10EEvPKT_PKT0_S8_ifPKiSA_SA_iPKfiiiPfSD_PS3_PT2_iSC_SC_.has_indirect_call, or(0, .L__assert_fail.has_indirect_call)
	.section	.AMDGPU.csdata,"",@progbits
; Kernel info:
; codeLenInByte = 68
; TotalNumSgprs: 36
; NumVgprs: 51
; ScratchSize: 64
; MemoryBound: 0
; FloatMode: 240
; IeeeMode: 1
; LDSByteSize: 0 bytes/workgroup (compile time only)
; SGPRBlocks: 0
; VGPRBlocks: 3
; NumSGPRsForWavesPerEU: 36
; NumVGPRsForWavesPerEU: 51
; NamedBarCnt: 0
; Occupancy: 16
; WaveLimiterHint : 1
; COMPUTE_PGM_RSRC2:SCRATCH_EN: 1
; COMPUTE_PGM_RSRC2:USER_SGPR: 2
; COMPUTE_PGM_RSRC2:TRAP_HANDLER: 0
; COMPUTE_PGM_RSRC2:TGID_X_EN: 1
; COMPUTE_PGM_RSRC2:TGID_Y_EN: 0
; COMPUTE_PGM_RSRC2:TGID_Z_EN: 0
; COMPUTE_PGM_RSRC2:TIDIG_COMP_CNT: 0
	.section	.text._Z39paged_attention_ll4mi_QKV_mfma16_kernelI14__hip_bfloat16S0_LN4vllm18Fp8KVCacheDataTypeE0EhLi32ELi64ELi256ELb0ELi11EEvPKT_PKT0_S8_ifPKiSA_SA_iPKfiiiPfSD_PS3_PT2_iSC_SC_,"axG",@progbits,_Z39paged_attention_ll4mi_QKV_mfma16_kernelI14__hip_bfloat16S0_LN4vllm18Fp8KVCacheDataTypeE0EhLi32ELi64ELi256ELb0ELi11EEvPKT_PKT0_S8_ifPKiSA_SA_iPKfiiiPfSD_PS3_PT2_iSC_SC_,comdat
	.protected	_Z39paged_attention_ll4mi_QKV_mfma16_kernelI14__hip_bfloat16S0_LN4vllm18Fp8KVCacheDataTypeE0EhLi32ELi64ELi256ELb0ELi11EEvPKT_PKT0_S8_ifPKiSA_SA_iPKfiiiPfSD_PS3_PT2_iSC_SC_ ; -- Begin function _Z39paged_attention_ll4mi_QKV_mfma16_kernelI14__hip_bfloat16S0_LN4vllm18Fp8KVCacheDataTypeE0EhLi32ELi64ELi256ELb0ELi11EEvPKT_PKT0_S8_ifPKiSA_SA_iPKfiiiPfSD_PS3_PT2_iSC_SC_
	.globl	_Z39paged_attention_ll4mi_QKV_mfma16_kernelI14__hip_bfloat16S0_LN4vllm18Fp8KVCacheDataTypeE0EhLi32ELi64ELi256ELb0ELi11EEvPKT_PKT0_S8_ifPKiSA_SA_iPKfiiiPfSD_PS3_PT2_iSC_SC_
	.p2align	8
	.type	_Z39paged_attention_ll4mi_QKV_mfma16_kernelI14__hip_bfloat16S0_LN4vllm18Fp8KVCacheDataTypeE0EhLi32ELi64ELi256ELb0ELi11EEvPKT_PKT0_S8_ifPKiSA_SA_iPKfiiiPfSD_PS3_PT2_iSC_SC_,@function
_Z39paged_attention_ll4mi_QKV_mfma16_kernelI14__hip_bfloat16S0_LN4vllm18Fp8KVCacheDataTypeE0EhLi32ELi64ELi256ELb0ELi11EEvPKT_PKT0_S8_ifPKiSA_SA_iPKfiiiPfSD_PS3_PT2_iSC_SC_: ; @_Z39paged_attention_ll4mi_QKV_mfma16_kernelI14__hip_bfloat16S0_LN4vllm18Fp8KVCacheDataTypeE0EhLi32ELi64ELi256ELb0ELi11EEvPKT_PKT0_S8_ifPKiSA_SA_iPKfiiiPfSD_PS3_PT2_iSC_SC_
; %bb.0:
	s_get_pc_i64 s[2:3]
	s_add_nc_u64 s[2:3], s[2:3], __PRETTY_FUNCTION__._Z39paged_attention_ll4mi_QKV_mfma16_kernelI14__hip_bfloat16S0_LN4vllm18Fp8KVCacheDataTypeE0EhLi32ELi64ELi256ELb0ELi11EEvPKT_PKT0_S8_ifPKiSA_SA_iPKfiiiPfSD_PS3_PT2_iSC_SC_@rel64+4
	s_delay_alu instid0(SALU_CYCLE_1)
	v_dual_mov_b32 v0, 0xbb3 :: v_dual_mov_b32 v1, s2
	v_mov_b32_e32 v2, s3
	s_add_nc_u64 s[8:9], s[0:1], 0x90
	s_get_pc_i64 s[0:1]
	s_add_nc_u64 s[0:1], s[0:1], __assert_fail@rel64+4
	s_mov_b32 s32, 0
	s_swap_pc_i64 s[30:31], s[0:1]
	.section	.rodata,"a",@progbits
	.p2align	6, 0x0
	.amdhsa_kernel _Z39paged_attention_ll4mi_QKV_mfma16_kernelI14__hip_bfloat16S0_LN4vllm18Fp8KVCacheDataTypeE0EhLi32ELi64ELi256ELb0ELi11EEvPKT_PKT0_S8_ifPKiSA_SA_iPKfiiiPfSD_PS3_PT2_iSC_SC_
		.amdhsa_group_segment_fixed_size 0
		.amdhsa_private_segment_fixed_size 64
		.amdhsa_kernarg_size 400
		.amdhsa_user_sgpr_count 2
		.amdhsa_user_sgpr_dispatch_ptr 0
		.amdhsa_user_sgpr_queue_ptr 0
		.amdhsa_user_sgpr_kernarg_segment_ptr 1
		.amdhsa_user_sgpr_dispatch_id 0
		.amdhsa_user_sgpr_kernarg_preload_length 0
		.amdhsa_user_sgpr_kernarg_preload_offset 0
		.amdhsa_user_sgpr_private_segment_size 0
		.amdhsa_wavefront_size32 1
		.amdhsa_uses_dynamic_stack 0
		.amdhsa_enable_private_segment 1
		.amdhsa_system_sgpr_workgroup_id_x 1
		.amdhsa_system_sgpr_workgroup_id_y 0
		.amdhsa_system_sgpr_workgroup_id_z 0
		.amdhsa_system_sgpr_workgroup_info 0
		.amdhsa_system_vgpr_workitem_id 0
		.amdhsa_next_free_vgpr 51
		.amdhsa_next_free_sgpr 34
		.amdhsa_named_barrier_count 0
		.amdhsa_reserve_vcc 1
		.amdhsa_float_round_mode_32 0
		.amdhsa_float_round_mode_16_64 0
		.amdhsa_float_denorm_mode_32 3
		.amdhsa_float_denorm_mode_16_64 3
		.amdhsa_fp16_overflow 0
		.amdhsa_memory_ordered 1
		.amdhsa_forward_progress 1
		.amdhsa_inst_pref_size 1
		.amdhsa_round_robin_scheduling 0
		.amdhsa_exception_fp_ieee_invalid_op 0
		.amdhsa_exception_fp_denorm_src 0
		.amdhsa_exception_fp_ieee_div_zero 0
		.amdhsa_exception_fp_ieee_overflow 0
		.amdhsa_exception_fp_ieee_underflow 0
		.amdhsa_exception_fp_ieee_inexact 0
		.amdhsa_exception_int_div_zero 0
	.end_amdhsa_kernel
	.section	.text._Z39paged_attention_ll4mi_QKV_mfma16_kernelI14__hip_bfloat16S0_LN4vllm18Fp8KVCacheDataTypeE0EhLi32ELi64ELi256ELb0ELi11EEvPKT_PKT0_S8_ifPKiSA_SA_iPKfiiiPfSD_PS3_PT2_iSC_SC_,"axG",@progbits,_Z39paged_attention_ll4mi_QKV_mfma16_kernelI14__hip_bfloat16S0_LN4vllm18Fp8KVCacheDataTypeE0EhLi32ELi64ELi256ELb0ELi11EEvPKT_PKT0_S8_ifPKiSA_SA_iPKfiiiPfSD_PS3_PT2_iSC_SC_,comdat
.Lfunc_end528:
	.size	_Z39paged_attention_ll4mi_QKV_mfma16_kernelI14__hip_bfloat16S0_LN4vllm18Fp8KVCacheDataTypeE0EhLi32ELi64ELi256ELb0ELi11EEvPKT_PKT0_S8_ifPKiSA_SA_iPKfiiiPfSD_PS3_PT2_iSC_SC_, .Lfunc_end528-_Z39paged_attention_ll4mi_QKV_mfma16_kernelI14__hip_bfloat16S0_LN4vllm18Fp8KVCacheDataTypeE0EhLi32ELi64ELi256ELb0ELi11EEvPKT_PKT0_S8_ifPKiSA_SA_iPKfiiiPfSD_PS3_PT2_iSC_SC_
                                        ; -- End function
	.set _Z39paged_attention_ll4mi_QKV_mfma16_kernelI14__hip_bfloat16S0_LN4vllm18Fp8KVCacheDataTypeE0EhLi32ELi64ELi256ELb0ELi11EEvPKT_PKT0_S8_ifPKiSA_SA_iPKfiiiPfSD_PS3_PT2_iSC_SC_.num_vgpr, max(3, .L__assert_fail.num_vgpr)
	.set _Z39paged_attention_ll4mi_QKV_mfma16_kernelI14__hip_bfloat16S0_LN4vllm18Fp8KVCacheDataTypeE0EhLi32ELi64ELi256ELb0ELi11EEvPKT_PKT0_S8_ifPKiSA_SA_iPKfiiiPfSD_PS3_PT2_iSC_SC_.num_agpr, max(0, .L__assert_fail.num_agpr)
	.set _Z39paged_attention_ll4mi_QKV_mfma16_kernelI14__hip_bfloat16S0_LN4vllm18Fp8KVCacheDataTypeE0EhLi32ELi64ELi256ELb0ELi11EEvPKT_PKT0_S8_ifPKiSA_SA_iPKfiiiPfSD_PS3_PT2_iSC_SC_.numbered_sgpr, max(33, .L__assert_fail.numbered_sgpr)
	.set _Z39paged_attention_ll4mi_QKV_mfma16_kernelI14__hip_bfloat16S0_LN4vllm18Fp8KVCacheDataTypeE0EhLi32ELi64ELi256ELb0ELi11EEvPKT_PKT0_S8_ifPKiSA_SA_iPKfiiiPfSD_PS3_PT2_iSC_SC_.num_named_barrier, max(0, .L__assert_fail.num_named_barrier)
	.set _Z39paged_attention_ll4mi_QKV_mfma16_kernelI14__hip_bfloat16S0_LN4vllm18Fp8KVCacheDataTypeE0EhLi32ELi64ELi256ELb0ELi11EEvPKT_PKT0_S8_ifPKiSA_SA_iPKfiiiPfSD_PS3_PT2_iSC_SC_.private_seg_size, 0+max(.L__assert_fail.private_seg_size)
	.set _Z39paged_attention_ll4mi_QKV_mfma16_kernelI14__hip_bfloat16S0_LN4vllm18Fp8KVCacheDataTypeE0EhLi32ELi64ELi256ELb0ELi11EEvPKT_PKT0_S8_ifPKiSA_SA_iPKfiiiPfSD_PS3_PT2_iSC_SC_.uses_vcc, or(1, .L__assert_fail.uses_vcc)
	.set _Z39paged_attention_ll4mi_QKV_mfma16_kernelI14__hip_bfloat16S0_LN4vllm18Fp8KVCacheDataTypeE0EhLi32ELi64ELi256ELb0ELi11EEvPKT_PKT0_S8_ifPKiSA_SA_iPKfiiiPfSD_PS3_PT2_iSC_SC_.uses_flat_scratch, or(0, .L__assert_fail.uses_flat_scratch)
	.set _Z39paged_attention_ll4mi_QKV_mfma16_kernelI14__hip_bfloat16S0_LN4vllm18Fp8KVCacheDataTypeE0EhLi32ELi64ELi256ELb0ELi11EEvPKT_PKT0_S8_ifPKiSA_SA_iPKfiiiPfSD_PS3_PT2_iSC_SC_.has_dyn_sized_stack, or(0, .L__assert_fail.has_dyn_sized_stack)
	.set _Z39paged_attention_ll4mi_QKV_mfma16_kernelI14__hip_bfloat16S0_LN4vllm18Fp8KVCacheDataTypeE0EhLi32ELi64ELi256ELb0ELi11EEvPKT_PKT0_S8_ifPKiSA_SA_iPKfiiiPfSD_PS3_PT2_iSC_SC_.has_recursion, or(0, .L__assert_fail.has_recursion)
	.set _Z39paged_attention_ll4mi_QKV_mfma16_kernelI14__hip_bfloat16S0_LN4vllm18Fp8KVCacheDataTypeE0EhLi32ELi64ELi256ELb0ELi11EEvPKT_PKT0_S8_ifPKiSA_SA_iPKfiiiPfSD_PS3_PT2_iSC_SC_.has_indirect_call, or(0, .L__assert_fail.has_indirect_call)
	.section	.AMDGPU.csdata,"",@progbits
; Kernel info:
; codeLenInByte = 68
; TotalNumSgprs: 36
; NumVgprs: 51
; ScratchSize: 64
; MemoryBound: 0
; FloatMode: 240
; IeeeMode: 1
; LDSByteSize: 0 bytes/workgroup (compile time only)
; SGPRBlocks: 0
; VGPRBlocks: 3
; NumSGPRsForWavesPerEU: 36
; NumVGPRsForWavesPerEU: 51
; NamedBarCnt: 0
; Occupancy: 16
; WaveLimiterHint : 1
; COMPUTE_PGM_RSRC2:SCRATCH_EN: 1
; COMPUTE_PGM_RSRC2:USER_SGPR: 2
; COMPUTE_PGM_RSRC2:TRAP_HANDLER: 0
; COMPUTE_PGM_RSRC2:TGID_X_EN: 1
; COMPUTE_PGM_RSRC2:TGID_Y_EN: 0
; COMPUTE_PGM_RSRC2:TGID_Z_EN: 0
; COMPUTE_PGM_RSRC2:TIDIG_COMP_CNT: 0
	.section	.text._Z39paged_attention_ll4mi_QKV_mfma16_kernelI14__hip_bfloat16S0_LN4vllm18Fp8KVCacheDataTypeE0EhLi32ELi64ELi256ELb0ELi12EEvPKT_PKT0_S8_ifPKiSA_SA_iPKfiiiPfSD_PS3_PT2_iSC_SC_,"axG",@progbits,_Z39paged_attention_ll4mi_QKV_mfma16_kernelI14__hip_bfloat16S0_LN4vllm18Fp8KVCacheDataTypeE0EhLi32ELi64ELi256ELb0ELi12EEvPKT_PKT0_S8_ifPKiSA_SA_iPKfiiiPfSD_PS3_PT2_iSC_SC_,comdat
	.protected	_Z39paged_attention_ll4mi_QKV_mfma16_kernelI14__hip_bfloat16S0_LN4vllm18Fp8KVCacheDataTypeE0EhLi32ELi64ELi256ELb0ELi12EEvPKT_PKT0_S8_ifPKiSA_SA_iPKfiiiPfSD_PS3_PT2_iSC_SC_ ; -- Begin function _Z39paged_attention_ll4mi_QKV_mfma16_kernelI14__hip_bfloat16S0_LN4vllm18Fp8KVCacheDataTypeE0EhLi32ELi64ELi256ELb0ELi12EEvPKT_PKT0_S8_ifPKiSA_SA_iPKfiiiPfSD_PS3_PT2_iSC_SC_
	.globl	_Z39paged_attention_ll4mi_QKV_mfma16_kernelI14__hip_bfloat16S0_LN4vllm18Fp8KVCacheDataTypeE0EhLi32ELi64ELi256ELb0ELi12EEvPKT_PKT0_S8_ifPKiSA_SA_iPKfiiiPfSD_PS3_PT2_iSC_SC_
	.p2align	8
	.type	_Z39paged_attention_ll4mi_QKV_mfma16_kernelI14__hip_bfloat16S0_LN4vllm18Fp8KVCacheDataTypeE0EhLi32ELi64ELi256ELb0ELi12EEvPKT_PKT0_S8_ifPKiSA_SA_iPKfiiiPfSD_PS3_PT2_iSC_SC_,@function
_Z39paged_attention_ll4mi_QKV_mfma16_kernelI14__hip_bfloat16S0_LN4vllm18Fp8KVCacheDataTypeE0EhLi32ELi64ELi256ELb0ELi12EEvPKT_PKT0_S8_ifPKiSA_SA_iPKfiiiPfSD_PS3_PT2_iSC_SC_: ; @_Z39paged_attention_ll4mi_QKV_mfma16_kernelI14__hip_bfloat16S0_LN4vllm18Fp8KVCacheDataTypeE0EhLi32ELi64ELi256ELb0ELi12EEvPKT_PKT0_S8_ifPKiSA_SA_iPKfiiiPfSD_PS3_PT2_iSC_SC_
; %bb.0:
	s_get_pc_i64 s[2:3]
	s_add_nc_u64 s[2:3], s[2:3], __PRETTY_FUNCTION__._Z39paged_attention_ll4mi_QKV_mfma16_kernelI14__hip_bfloat16S0_LN4vllm18Fp8KVCacheDataTypeE0EhLi32ELi64ELi256ELb0ELi12EEvPKT_PKT0_S8_ifPKiSA_SA_iPKfiiiPfSD_PS3_PT2_iSC_SC_@rel64+4
	s_delay_alu instid0(SALU_CYCLE_1)
	v_dual_mov_b32 v0, 0xbb3 :: v_dual_mov_b32 v1, s2
	v_mov_b32_e32 v2, s3
	s_add_nc_u64 s[8:9], s[0:1], 0x90
	s_get_pc_i64 s[0:1]
	s_add_nc_u64 s[0:1], s[0:1], __assert_fail@rel64+4
	s_mov_b32 s32, 0
	s_swap_pc_i64 s[30:31], s[0:1]
	.section	.rodata,"a",@progbits
	.p2align	6, 0x0
	.amdhsa_kernel _Z39paged_attention_ll4mi_QKV_mfma16_kernelI14__hip_bfloat16S0_LN4vllm18Fp8KVCacheDataTypeE0EhLi32ELi64ELi256ELb0ELi12EEvPKT_PKT0_S8_ifPKiSA_SA_iPKfiiiPfSD_PS3_PT2_iSC_SC_
		.amdhsa_group_segment_fixed_size 0
		.amdhsa_private_segment_fixed_size 64
		.amdhsa_kernarg_size 400
		.amdhsa_user_sgpr_count 2
		.amdhsa_user_sgpr_dispatch_ptr 0
		.amdhsa_user_sgpr_queue_ptr 0
		.amdhsa_user_sgpr_kernarg_segment_ptr 1
		.amdhsa_user_sgpr_dispatch_id 0
		.amdhsa_user_sgpr_kernarg_preload_length 0
		.amdhsa_user_sgpr_kernarg_preload_offset 0
		.amdhsa_user_sgpr_private_segment_size 0
		.amdhsa_wavefront_size32 1
		.amdhsa_uses_dynamic_stack 0
		.amdhsa_enable_private_segment 1
		.amdhsa_system_sgpr_workgroup_id_x 1
		.amdhsa_system_sgpr_workgroup_id_y 0
		.amdhsa_system_sgpr_workgroup_id_z 0
		.amdhsa_system_sgpr_workgroup_info 0
		.amdhsa_system_vgpr_workitem_id 0
		.amdhsa_next_free_vgpr 51
		.amdhsa_next_free_sgpr 34
		.amdhsa_named_barrier_count 0
		.amdhsa_reserve_vcc 1
		.amdhsa_float_round_mode_32 0
		.amdhsa_float_round_mode_16_64 0
		.amdhsa_float_denorm_mode_32 3
		.amdhsa_float_denorm_mode_16_64 3
		.amdhsa_fp16_overflow 0
		.amdhsa_memory_ordered 1
		.amdhsa_forward_progress 1
		.amdhsa_inst_pref_size 1
		.amdhsa_round_robin_scheduling 0
		.amdhsa_exception_fp_ieee_invalid_op 0
		.amdhsa_exception_fp_denorm_src 0
		.amdhsa_exception_fp_ieee_div_zero 0
		.amdhsa_exception_fp_ieee_overflow 0
		.amdhsa_exception_fp_ieee_underflow 0
		.amdhsa_exception_fp_ieee_inexact 0
		.amdhsa_exception_int_div_zero 0
	.end_amdhsa_kernel
	.section	.text._Z39paged_attention_ll4mi_QKV_mfma16_kernelI14__hip_bfloat16S0_LN4vllm18Fp8KVCacheDataTypeE0EhLi32ELi64ELi256ELb0ELi12EEvPKT_PKT0_S8_ifPKiSA_SA_iPKfiiiPfSD_PS3_PT2_iSC_SC_,"axG",@progbits,_Z39paged_attention_ll4mi_QKV_mfma16_kernelI14__hip_bfloat16S0_LN4vllm18Fp8KVCacheDataTypeE0EhLi32ELi64ELi256ELb0ELi12EEvPKT_PKT0_S8_ifPKiSA_SA_iPKfiiiPfSD_PS3_PT2_iSC_SC_,comdat
.Lfunc_end529:
	.size	_Z39paged_attention_ll4mi_QKV_mfma16_kernelI14__hip_bfloat16S0_LN4vllm18Fp8KVCacheDataTypeE0EhLi32ELi64ELi256ELb0ELi12EEvPKT_PKT0_S8_ifPKiSA_SA_iPKfiiiPfSD_PS3_PT2_iSC_SC_, .Lfunc_end529-_Z39paged_attention_ll4mi_QKV_mfma16_kernelI14__hip_bfloat16S0_LN4vllm18Fp8KVCacheDataTypeE0EhLi32ELi64ELi256ELb0ELi12EEvPKT_PKT0_S8_ifPKiSA_SA_iPKfiiiPfSD_PS3_PT2_iSC_SC_
                                        ; -- End function
	.set _Z39paged_attention_ll4mi_QKV_mfma16_kernelI14__hip_bfloat16S0_LN4vllm18Fp8KVCacheDataTypeE0EhLi32ELi64ELi256ELb0ELi12EEvPKT_PKT0_S8_ifPKiSA_SA_iPKfiiiPfSD_PS3_PT2_iSC_SC_.num_vgpr, max(3, .L__assert_fail.num_vgpr)
	.set _Z39paged_attention_ll4mi_QKV_mfma16_kernelI14__hip_bfloat16S0_LN4vllm18Fp8KVCacheDataTypeE0EhLi32ELi64ELi256ELb0ELi12EEvPKT_PKT0_S8_ifPKiSA_SA_iPKfiiiPfSD_PS3_PT2_iSC_SC_.num_agpr, max(0, .L__assert_fail.num_agpr)
	.set _Z39paged_attention_ll4mi_QKV_mfma16_kernelI14__hip_bfloat16S0_LN4vllm18Fp8KVCacheDataTypeE0EhLi32ELi64ELi256ELb0ELi12EEvPKT_PKT0_S8_ifPKiSA_SA_iPKfiiiPfSD_PS3_PT2_iSC_SC_.numbered_sgpr, max(33, .L__assert_fail.numbered_sgpr)
	.set _Z39paged_attention_ll4mi_QKV_mfma16_kernelI14__hip_bfloat16S0_LN4vllm18Fp8KVCacheDataTypeE0EhLi32ELi64ELi256ELb0ELi12EEvPKT_PKT0_S8_ifPKiSA_SA_iPKfiiiPfSD_PS3_PT2_iSC_SC_.num_named_barrier, max(0, .L__assert_fail.num_named_barrier)
	.set _Z39paged_attention_ll4mi_QKV_mfma16_kernelI14__hip_bfloat16S0_LN4vllm18Fp8KVCacheDataTypeE0EhLi32ELi64ELi256ELb0ELi12EEvPKT_PKT0_S8_ifPKiSA_SA_iPKfiiiPfSD_PS3_PT2_iSC_SC_.private_seg_size, 0+max(.L__assert_fail.private_seg_size)
	.set _Z39paged_attention_ll4mi_QKV_mfma16_kernelI14__hip_bfloat16S0_LN4vllm18Fp8KVCacheDataTypeE0EhLi32ELi64ELi256ELb0ELi12EEvPKT_PKT0_S8_ifPKiSA_SA_iPKfiiiPfSD_PS3_PT2_iSC_SC_.uses_vcc, or(1, .L__assert_fail.uses_vcc)
	.set _Z39paged_attention_ll4mi_QKV_mfma16_kernelI14__hip_bfloat16S0_LN4vllm18Fp8KVCacheDataTypeE0EhLi32ELi64ELi256ELb0ELi12EEvPKT_PKT0_S8_ifPKiSA_SA_iPKfiiiPfSD_PS3_PT2_iSC_SC_.uses_flat_scratch, or(0, .L__assert_fail.uses_flat_scratch)
	.set _Z39paged_attention_ll4mi_QKV_mfma16_kernelI14__hip_bfloat16S0_LN4vllm18Fp8KVCacheDataTypeE0EhLi32ELi64ELi256ELb0ELi12EEvPKT_PKT0_S8_ifPKiSA_SA_iPKfiiiPfSD_PS3_PT2_iSC_SC_.has_dyn_sized_stack, or(0, .L__assert_fail.has_dyn_sized_stack)
	.set _Z39paged_attention_ll4mi_QKV_mfma16_kernelI14__hip_bfloat16S0_LN4vllm18Fp8KVCacheDataTypeE0EhLi32ELi64ELi256ELb0ELi12EEvPKT_PKT0_S8_ifPKiSA_SA_iPKfiiiPfSD_PS3_PT2_iSC_SC_.has_recursion, or(0, .L__assert_fail.has_recursion)
	.set _Z39paged_attention_ll4mi_QKV_mfma16_kernelI14__hip_bfloat16S0_LN4vllm18Fp8KVCacheDataTypeE0EhLi32ELi64ELi256ELb0ELi12EEvPKT_PKT0_S8_ifPKiSA_SA_iPKfiiiPfSD_PS3_PT2_iSC_SC_.has_indirect_call, or(0, .L__assert_fail.has_indirect_call)
	.section	.AMDGPU.csdata,"",@progbits
; Kernel info:
; codeLenInByte = 68
; TotalNumSgprs: 36
; NumVgprs: 51
; ScratchSize: 64
; MemoryBound: 0
; FloatMode: 240
; IeeeMode: 1
; LDSByteSize: 0 bytes/workgroup (compile time only)
; SGPRBlocks: 0
; VGPRBlocks: 3
; NumSGPRsForWavesPerEU: 36
; NumVGPRsForWavesPerEU: 51
; NamedBarCnt: 0
; Occupancy: 16
; WaveLimiterHint : 1
; COMPUTE_PGM_RSRC2:SCRATCH_EN: 1
; COMPUTE_PGM_RSRC2:USER_SGPR: 2
; COMPUTE_PGM_RSRC2:TRAP_HANDLER: 0
; COMPUTE_PGM_RSRC2:TGID_X_EN: 1
; COMPUTE_PGM_RSRC2:TGID_Y_EN: 0
; COMPUTE_PGM_RSRC2:TGID_Z_EN: 0
; COMPUTE_PGM_RSRC2:TIDIG_COMP_CNT: 0
	.section	.text._Z39paged_attention_ll4mi_QKV_mfma16_kernelI14__hip_bfloat16S0_LN4vllm18Fp8KVCacheDataTypeE0EhLi32ELi64ELi256ELb0ELi13EEvPKT_PKT0_S8_ifPKiSA_SA_iPKfiiiPfSD_PS3_PT2_iSC_SC_,"axG",@progbits,_Z39paged_attention_ll4mi_QKV_mfma16_kernelI14__hip_bfloat16S0_LN4vllm18Fp8KVCacheDataTypeE0EhLi32ELi64ELi256ELb0ELi13EEvPKT_PKT0_S8_ifPKiSA_SA_iPKfiiiPfSD_PS3_PT2_iSC_SC_,comdat
	.protected	_Z39paged_attention_ll4mi_QKV_mfma16_kernelI14__hip_bfloat16S0_LN4vllm18Fp8KVCacheDataTypeE0EhLi32ELi64ELi256ELb0ELi13EEvPKT_PKT0_S8_ifPKiSA_SA_iPKfiiiPfSD_PS3_PT2_iSC_SC_ ; -- Begin function _Z39paged_attention_ll4mi_QKV_mfma16_kernelI14__hip_bfloat16S0_LN4vllm18Fp8KVCacheDataTypeE0EhLi32ELi64ELi256ELb0ELi13EEvPKT_PKT0_S8_ifPKiSA_SA_iPKfiiiPfSD_PS3_PT2_iSC_SC_
	.globl	_Z39paged_attention_ll4mi_QKV_mfma16_kernelI14__hip_bfloat16S0_LN4vllm18Fp8KVCacheDataTypeE0EhLi32ELi64ELi256ELb0ELi13EEvPKT_PKT0_S8_ifPKiSA_SA_iPKfiiiPfSD_PS3_PT2_iSC_SC_
	.p2align	8
	.type	_Z39paged_attention_ll4mi_QKV_mfma16_kernelI14__hip_bfloat16S0_LN4vllm18Fp8KVCacheDataTypeE0EhLi32ELi64ELi256ELb0ELi13EEvPKT_PKT0_S8_ifPKiSA_SA_iPKfiiiPfSD_PS3_PT2_iSC_SC_,@function
_Z39paged_attention_ll4mi_QKV_mfma16_kernelI14__hip_bfloat16S0_LN4vllm18Fp8KVCacheDataTypeE0EhLi32ELi64ELi256ELb0ELi13EEvPKT_PKT0_S8_ifPKiSA_SA_iPKfiiiPfSD_PS3_PT2_iSC_SC_: ; @_Z39paged_attention_ll4mi_QKV_mfma16_kernelI14__hip_bfloat16S0_LN4vllm18Fp8KVCacheDataTypeE0EhLi32ELi64ELi256ELb0ELi13EEvPKT_PKT0_S8_ifPKiSA_SA_iPKfiiiPfSD_PS3_PT2_iSC_SC_
; %bb.0:
	s_get_pc_i64 s[2:3]
	s_add_nc_u64 s[2:3], s[2:3], __PRETTY_FUNCTION__._Z39paged_attention_ll4mi_QKV_mfma16_kernelI14__hip_bfloat16S0_LN4vllm18Fp8KVCacheDataTypeE0EhLi32ELi64ELi256ELb0ELi13EEvPKT_PKT0_S8_ifPKiSA_SA_iPKfiiiPfSD_PS3_PT2_iSC_SC_@rel64+4
	s_delay_alu instid0(SALU_CYCLE_1)
	v_dual_mov_b32 v0, 0xbb3 :: v_dual_mov_b32 v1, s2
	v_mov_b32_e32 v2, s3
	s_add_nc_u64 s[8:9], s[0:1], 0x90
	s_get_pc_i64 s[0:1]
	s_add_nc_u64 s[0:1], s[0:1], __assert_fail@rel64+4
	s_mov_b32 s32, 0
	s_swap_pc_i64 s[30:31], s[0:1]
	.section	.rodata,"a",@progbits
	.p2align	6, 0x0
	.amdhsa_kernel _Z39paged_attention_ll4mi_QKV_mfma16_kernelI14__hip_bfloat16S0_LN4vllm18Fp8KVCacheDataTypeE0EhLi32ELi64ELi256ELb0ELi13EEvPKT_PKT0_S8_ifPKiSA_SA_iPKfiiiPfSD_PS3_PT2_iSC_SC_
		.amdhsa_group_segment_fixed_size 0
		.amdhsa_private_segment_fixed_size 64
		.amdhsa_kernarg_size 400
		.amdhsa_user_sgpr_count 2
		.amdhsa_user_sgpr_dispatch_ptr 0
		.amdhsa_user_sgpr_queue_ptr 0
		.amdhsa_user_sgpr_kernarg_segment_ptr 1
		.amdhsa_user_sgpr_dispatch_id 0
		.amdhsa_user_sgpr_kernarg_preload_length 0
		.amdhsa_user_sgpr_kernarg_preload_offset 0
		.amdhsa_user_sgpr_private_segment_size 0
		.amdhsa_wavefront_size32 1
		.amdhsa_uses_dynamic_stack 0
		.amdhsa_enable_private_segment 1
		.amdhsa_system_sgpr_workgroup_id_x 1
		.amdhsa_system_sgpr_workgroup_id_y 0
		.amdhsa_system_sgpr_workgroup_id_z 0
		.amdhsa_system_sgpr_workgroup_info 0
		.amdhsa_system_vgpr_workitem_id 0
		.amdhsa_next_free_vgpr 51
		.amdhsa_next_free_sgpr 34
		.amdhsa_named_barrier_count 0
		.amdhsa_reserve_vcc 1
		.amdhsa_float_round_mode_32 0
		.amdhsa_float_round_mode_16_64 0
		.amdhsa_float_denorm_mode_32 3
		.amdhsa_float_denorm_mode_16_64 3
		.amdhsa_fp16_overflow 0
		.amdhsa_memory_ordered 1
		.amdhsa_forward_progress 1
		.amdhsa_inst_pref_size 1
		.amdhsa_round_robin_scheduling 0
		.amdhsa_exception_fp_ieee_invalid_op 0
		.amdhsa_exception_fp_denorm_src 0
		.amdhsa_exception_fp_ieee_div_zero 0
		.amdhsa_exception_fp_ieee_overflow 0
		.amdhsa_exception_fp_ieee_underflow 0
		.amdhsa_exception_fp_ieee_inexact 0
		.amdhsa_exception_int_div_zero 0
	.end_amdhsa_kernel
	.section	.text._Z39paged_attention_ll4mi_QKV_mfma16_kernelI14__hip_bfloat16S0_LN4vllm18Fp8KVCacheDataTypeE0EhLi32ELi64ELi256ELb0ELi13EEvPKT_PKT0_S8_ifPKiSA_SA_iPKfiiiPfSD_PS3_PT2_iSC_SC_,"axG",@progbits,_Z39paged_attention_ll4mi_QKV_mfma16_kernelI14__hip_bfloat16S0_LN4vllm18Fp8KVCacheDataTypeE0EhLi32ELi64ELi256ELb0ELi13EEvPKT_PKT0_S8_ifPKiSA_SA_iPKfiiiPfSD_PS3_PT2_iSC_SC_,comdat
.Lfunc_end530:
	.size	_Z39paged_attention_ll4mi_QKV_mfma16_kernelI14__hip_bfloat16S0_LN4vllm18Fp8KVCacheDataTypeE0EhLi32ELi64ELi256ELb0ELi13EEvPKT_PKT0_S8_ifPKiSA_SA_iPKfiiiPfSD_PS3_PT2_iSC_SC_, .Lfunc_end530-_Z39paged_attention_ll4mi_QKV_mfma16_kernelI14__hip_bfloat16S0_LN4vllm18Fp8KVCacheDataTypeE0EhLi32ELi64ELi256ELb0ELi13EEvPKT_PKT0_S8_ifPKiSA_SA_iPKfiiiPfSD_PS3_PT2_iSC_SC_
                                        ; -- End function
	.set _Z39paged_attention_ll4mi_QKV_mfma16_kernelI14__hip_bfloat16S0_LN4vllm18Fp8KVCacheDataTypeE0EhLi32ELi64ELi256ELb0ELi13EEvPKT_PKT0_S8_ifPKiSA_SA_iPKfiiiPfSD_PS3_PT2_iSC_SC_.num_vgpr, max(3, .L__assert_fail.num_vgpr)
	.set _Z39paged_attention_ll4mi_QKV_mfma16_kernelI14__hip_bfloat16S0_LN4vllm18Fp8KVCacheDataTypeE0EhLi32ELi64ELi256ELb0ELi13EEvPKT_PKT0_S8_ifPKiSA_SA_iPKfiiiPfSD_PS3_PT2_iSC_SC_.num_agpr, max(0, .L__assert_fail.num_agpr)
	.set _Z39paged_attention_ll4mi_QKV_mfma16_kernelI14__hip_bfloat16S0_LN4vllm18Fp8KVCacheDataTypeE0EhLi32ELi64ELi256ELb0ELi13EEvPKT_PKT0_S8_ifPKiSA_SA_iPKfiiiPfSD_PS3_PT2_iSC_SC_.numbered_sgpr, max(33, .L__assert_fail.numbered_sgpr)
	.set _Z39paged_attention_ll4mi_QKV_mfma16_kernelI14__hip_bfloat16S0_LN4vllm18Fp8KVCacheDataTypeE0EhLi32ELi64ELi256ELb0ELi13EEvPKT_PKT0_S8_ifPKiSA_SA_iPKfiiiPfSD_PS3_PT2_iSC_SC_.num_named_barrier, max(0, .L__assert_fail.num_named_barrier)
	.set _Z39paged_attention_ll4mi_QKV_mfma16_kernelI14__hip_bfloat16S0_LN4vllm18Fp8KVCacheDataTypeE0EhLi32ELi64ELi256ELb0ELi13EEvPKT_PKT0_S8_ifPKiSA_SA_iPKfiiiPfSD_PS3_PT2_iSC_SC_.private_seg_size, 0+max(.L__assert_fail.private_seg_size)
	.set _Z39paged_attention_ll4mi_QKV_mfma16_kernelI14__hip_bfloat16S0_LN4vllm18Fp8KVCacheDataTypeE0EhLi32ELi64ELi256ELb0ELi13EEvPKT_PKT0_S8_ifPKiSA_SA_iPKfiiiPfSD_PS3_PT2_iSC_SC_.uses_vcc, or(1, .L__assert_fail.uses_vcc)
	.set _Z39paged_attention_ll4mi_QKV_mfma16_kernelI14__hip_bfloat16S0_LN4vllm18Fp8KVCacheDataTypeE0EhLi32ELi64ELi256ELb0ELi13EEvPKT_PKT0_S8_ifPKiSA_SA_iPKfiiiPfSD_PS3_PT2_iSC_SC_.uses_flat_scratch, or(0, .L__assert_fail.uses_flat_scratch)
	.set _Z39paged_attention_ll4mi_QKV_mfma16_kernelI14__hip_bfloat16S0_LN4vllm18Fp8KVCacheDataTypeE0EhLi32ELi64ELi256ELb0ELi13EEvPKT_PKT0_S8_ifPKiSA_SA_iPKfiiiPfSD_PS3_PT2_iSC_SC_.has_dyn_sized_stack, or(0, .L__assert_fail.has_dyn_sized_stack)
	.set _Z39paged_attention_ll4mi_QKV_mfma16_kernelI14__hip_bfloat16S0_LN4vllm18Fp8KVCacheDataTypeE0EhLi32ELi64ELi256ELb0ELi13EEvPKT_PKT0_S8_ifPKiSA_SA_iPKfiiiPfSD_PS3_PT2_iSC_SC_.has_recursion, or(0, .L__assert_fail.has_recursion)
	.set _Z39paged_attention_ll4mi_QKV_mfma16_kernelI14__hip_bfloat16S0_LN4vllm18Fp8KVCacheDataTypeE0EhLi32ELi64ELi256ELb0ELi13EEvPKT_PKT0_S8_ifPKiSA_SA_iPKfiiiPfSD_PS3_PT2_iSC_SC_.has_indirect_call, or(0, .L__assert_fail.has_indirect_call)
	.section	.AMDGPU.csdata,"",@progbits
; Kernel info:
; codeLenInByte = 68
; TotalNumSgprs: 36
; NumVgprs: 51
; ScratchSize: 64
; MemoryBound: 0
; FloatMode: 240
; IeeeMode: 1
; LDSByteSize: 0 bytes/workgroup (compile time only)
; SGPRBlocks: 0
; VGPRBlocks: 3
; NumSGPRsForWavesPerEU: 36
; NumVGPRsForWavesPerEU: 51
; NamedBarCnt: 0
; Occupancy: 16
; WaveLimiterHint : 1
; COMPUTE_PGM_RSRC2:SCRATCH_EN: 1
; COMPUTE_PGM_RSRC2:USER_SGPR: 2
; COMPUTE_PGM_RSRC2:TRAP_HANDLER: 0
; COMPUTE_PGM_RSRC2:TGID_X_EN: 1
; COMPUTE_PGM_RSRC2:TGID_Y_EN: 0
; COMPUTE_PGM_RSRC2:TGID_Z_EN: 0
; COMPUTE_PGM_RSRC2:TIDIG_COMP_CNT: 0
	.section	.text._Z39paged_attention_ll4mi_QKV_mfma16_kernelI14__hip_bfloat16S0_LN4vllm18Fp8KVCacheDataTypeE0EhLi32ELi64ELi256ELb0ELi14EEvPKT_PKT0_S8_ifPKiSA_SA_iPKfiiiPfSD_PS3_PT2_iSC_SC_,"axG",@progbits,_Z39paged_attention_ll4mi_QKV_mfma16_kernelI14__hip_bfloat16S0_LN4vllm18Fp8KVCacheDataTypeE0EhLi32ELi64ELi256ELb0ELi14EEvPKT_PKT0_S8_ifPKiSA_SA_iPKfiiiPfSD_PS3_PT2_iSC_SC_,comdat
	.protected	_Z39paged_attention_ll4mi_QKV_mfma16_kernelI14__hip_bfloat16S0_LN4vllm18Fp8KVCacheDataTypeE0EhLi32ELi64ELi256ELb0ELi14EEvPKT_PKT0_S8_ifPKiSA_SA_iPKfiiiPfSD_PS3_PT2_iSC_SC_ ; -- Begin function _Z39paged_attention_ll4mi_QKV_mfma16_kernelI14__hip_bfloat16S0_LN4vllm18Fp8KVCacheDataTypeE0EhLi32ELi64ELi256ELb0ELi14EEvPKT_PKT0_S8_ifPKiSA_SA_iPKfiiiPfSD_PS3_PT2_iSC_SC_
	.globl	_Z39paged_attention_ll4mi_QKV_mfma16_kernelI14__hip_bfloat16S0_LN4vllm18Fp8KVCacheDataTypeE0EhLi32ELi64ELi256ELb0ELi14EEvPKT_PKT0_S8_ifPKiSA_SA_iPKfiiiPfSD_PS3_PT2_iSC_SC_
	.p2align	8
	.type	_Z39paged_attention_ll4mi_QKV_mfma16_kernelI14__hip_bfloat16S0_LN4vllm18Fp8KVCacheDataTypeE0EhLi32ELi64ELi256ELb0ELi14EEvPKT_PKT0_S8_ifPKiSA_SA_iPKfiiiPfSD_PS3_PT2_iSC_SC_,@function
_Z39paged_attention_ll4mi_QKV_mfma16_kernelI14__hip_bfloat16S0_LN4vllm18Fp8KVCacheDataTypeE0EhLi32ELi64ELi256ELb0ELi14EEvPKT_PKT0_S8_ifPKiSA_SA_iPKfiiiPfSD_PS3_PT2_iSC_SC_: ; @_Z39paged_attention_ll4mi_QKV_mfma16_kernelI14__hip_bfloat16S0_LN4vllm18Fp8KVCacheDataTypeE0EhLi32ELi64ELi256ELb0ELi14EEvPKT_PKT0_S8_ifPKiSA_SA_iPKfiiiPfSD_PS3_PT2_iSC_SC_
; %bb.0:
	s_get_pc_i64 s[2:3]
	s_add_nc_u64 s[2:3], s[2:3], __PRETTY_FUNCTION__._Z39paged_attention_ll4mi_QKV_mfma16_kernelI14__hip_bfloat16S0_LN4vllm18Fp8KVCacheDataTypeE0EhLi32ELi64ELi256ELb0ELi14EEvPKT_PKT0_S8_ifPKiSA_SA_iPKfiiiPfSD_PS3_PT2_iSC_SC_@rel64+4
	s_delay_alu instid0(SALU_CYCLE_1)
	v_dual_mov_b32 v0, 0xbb3 :: v_dual_mov_b32 v1, s2
	v_mov_b32_e32 v2, s3
	s_add_nc_u64 s[8:9], s[0:1], 0x90
	s_get_pc_i64 s[0:1]
	s_add_nc_u64 s[0:1], s[0:1], __assert_fail@rel64+4
	s_mov_b32 s32, 0
	s_swap_pc_i64 s[30:31], s[0:1]
	.section	.rodata,"a",@progbits
	.p2align	6, 0x0
	.amdhsa_kernel _Z39paged_attention_ll4mi_QKV_mfma16_kernelI14__hip_bfloat16S0_LN4vllm18Fp8KVCacheDataTypeE0EhLi32ELi64ELi256ELb0ELi14EEvPKT_PKT0_S8_ifPKiSA_SA_iPKfiiiPfSD_PS3_PT2_iSC_SC_
		.amdhsa_group_segment_fixed_size 0
		.amdhsa_private_segment_fixed_size 64
		.amdhsa_kernarg_size 400
		.amdhsa_user_sgpr_count 2
		.amdhsa_user_sgpr_dispatch_ptr 0
		.amdhsa_user_sgpr_queue_ptr 0
		.amdhsa_user_sgpr_kernarg_segment_ptr 1
		.amdhsa_user_sgpr_dispatch_id 0
		.amdhsa_user_sgpr_kernarg_preload_length 0
		.amdhsa_user_sgpr_kernarg_preload_offset 0
		.amdhsa_user_sgpr_private_segment_size 0
		.amdhsa_wavefront_size32 1
		.amdhsa_uses_dynamic_stack 0
		.amdhsa_enable_private_segment 1
		.amdhsa_system_sgpr_workgroup_id_x 1
		.amdhsa_system_sgpr_workgroup_id_y 0
		.amdhsa_system_sgpr_workgroup_id_z 0
		.amdhsa_system_sgpr_workgroup_info 0
		.amdhsa_system_vgpr_workitem_id 0
		.amdhsa_next_free_vgpr 51
		.amdhsa_next_free_sgpr 34
		.amdhsa_named_barrier_count 0
		.amdhsa_reserve_vcc 1
		.amdhsa_float_round_mode_32 0
		.amdhsa_float_round_mode_16_64 0
		.amdhsa_float_denorm_mode_32 3
		.amdhsa_float_denorm_mode_16_64 3
		.amdhsa_fp16_overflow 0
		.amdhsa_memory_ordered 1
		.amdhsa_forward_progress 1
		.amdhsa_inst_pref_size 1
		.amdhsa_round_robin_scheduling 0
		.amdhsa_exception_fp_ieee_invalid_op 0
		.amdhsa_exception_fp_denorm_src 0
		.amdhsa_exception_fp_ieee_div_zero 0
		.amdhsa_exception_fp_ieee_overflow 0
		.amdhsa_exception_fp_ieee_underflow 0
		.amdhsa_exception_fp_ieee_inexact 0
		.amdhsa_exception_int_div_zero 0
	.end_amdhsa_kernel
	.section	.text._Z39paged_attention_ll4mi_QKV_mfma16_kernelI14__hip_bfloat16S0_LN4vllm18Fp8KVCacheDataTypeE0EhLi32ELi64ELi256ELb0ELi14EEvPKT_PKT0_S8_ifPKiSA_SA_iPKfiiiPfSD_PS3_PT2_iSC_SC_,"axG",@progbits,_Z39paged_attention_ll4mi_QKV_mfma16_kernelI14__hip_bfloat16S0_LN4vllm18Fp8KVCacheDataTypeE0EhLi32ELi64ELi256ELb0ELi14EEvPKT_PKT0_S8_ifPKiSA_SA_iPKfiiiPfSD_PS3_PT2_iSC_SC_,comdat
.Lfunc_end531:
	.size	_Z39paged_attention_ll4mi_QKV_mfma16_kernelI14__hip_bfloat16S0_LN4vllm18Fp8KVCacheDataTypeE0EhLi32ELi64ELi256ELb0ELi14EEvPKT_PKT0_S8_ifPKiSA_SA_iPKfiiiPfSD_PS3_PT2_iSC_SC_, .Lfunc_end531-_Z39paged_attention_ll4mi_QKV_mfma16_kernelI14__hip_bfloat16S0_LN4vllm18Fp8KVCacheDataTypeE0EhLi32ELi64ELi256ELb0ELi14EEvPKT_PKT0_S8_ifPKiSA_SA_iPKfiiiPfSD_PS3_PT2_iSC_SC_
                                        ; -- End function
	.set _Z39paged_attention_ll4mi_QKV_mfma16_kernelI14__hip_bfloat16S0_LN4vllm18Fp8KVCacheDataTypeE0EhLi32ELi64ELi256ELb0ELi14EEvPKT_PKT0_S8_ifPKiSA_SA_iPKfiiiPfSD_PS3_PT2_iSC_SC_.num_vgpr, max(3, .L__assert_fail.num_vgpr)
	.set _Z39paged_attention_ll4mi_QKV_mfma16_kernelI14__hip_bfloat16S0_LN4vllm18Fp8KVCacheDataTypeE0EhLi32ELi64ELi256ELb0ELi14EEvPKT_PKT0_S8_ifPKiSA_SA_iPKfiiiPfSD_PS3_PT2_iSC_SC_.num_agpr, max(0, .L__assert_fail.num_agpr)
	.set _Z39paged_attention_ll4mi_QKV_mfma16_kernelI14__hip_bfloat16S0_LN4vllm18Fp8KVCacheDataTypeE0EhLi32ELi64ELi256ELb0ELi14EEvPKT_PKT0_S8_ifPKiSA_SA_iPKfiiiPfSD_PS3_PT2_iSC_SC_.numbered_sgpr, max(33, .L__assert_fail.numbered_sgpr)
	.set _Z39paged_attention_ll4mi_QKV_mfma16_kernelI14__hip_bfloat16S0_LN4vllm18Fp8KVCacheDataTypeE0EhLi32ELi64ELi256ELb0ELi14EEvPKT_PKT0_S8_ifPKiSA_SA_iPKfiiiPfSD_PS3_PT2_iSC_SC_.num_named_barrier, max(0, .L__assert_fail.num_named_barrier)
	.set _Z39paged_attention_ll4mi_QKV_mfma16_kernelI14__hip_bfloat16S0_LN4vllm18Fp8KVCacheDataTypeE0EhLi32ELi64ELi256ELb0ELi14EEvPKT_PKT0_S8_ifPKiSA_SA_iPKfiiiPfSD_PS3_PT2_iSC_SC_.private_seg_size, 0+max(.L__assert_fail.private_seg_size)
	.set _Z39paged_attention_ll4mi_QKV_mfma16_kernelI14__hip_bfloat16S0_LN4vllm18Fp8KVCacheDataTypeE0EhLi32ELi64ELi256ELb0ELi14EEvPKT_PKT0_S8_ifPKiSA_SA_iPKfiiiPfSD_PS3_PT2_iSC_SC_.uses_vcc, or(1, .L__assert_fail.uses_vcc)
	.set _Z39paged_attention_ll4mi_QKV_mfma16_kernelI14__hip_bfloat16S0_LN4vllm18Fp8KVCacheDataTypeE0EhLi32ELi64ELi256ELb0ELi14EEvPKT_PKT0_S8_ifPKiSA_SA_iPKfiiiPfSD_PS3_PT2_iSC_SC_.uses_flat_scratch, or(0, .L__assert_fail.uses_flat_scratch)
	.set _Z39paged_attention_ll4mi_QKV_mfma16_kernelI14__hip_bfloat16S0_LN4vllm18Fp8KVCacheDataTypeE0EhLi32ELi64ELi256ELb0ELi14EEvPKT_PKT0_S8_ifPKiSA_SA_iPKfiiiPfSD_PS3_PT2_iSC_SC_.has_dyn_sized_stack, or(0, .L__assert_fail.has_dyn_sized_stack)
	.set _Z39paged_attention_ll4mi_QKV_mfma16_kernelI14__hip_bfloat16S0_LN4vllm18Fp8KVCacheDataTypeE0EhLi32ELi64ELi256ELb0ELi14EEvPKT_PKT0_S8_ifPKiSA_SA_iPKfiiiPfSD_PS3_PT2_iSC_SC_.has_recursion, or(0, .L__assert_fail.has_recursion)
	.set _Z39paged_attention_ll4mi_QKV_mfma16_kernelI14__hip_bfloat16S0_LN4vllm18Fp8KVCacheDataTypeE0EhLi32ELi64ELi256ELb0ELi14EEvPKT_PKT0_S8_ifPKiSA_SA_iPKfiiiPfSD_PS3_PT2_iSC_SC_.has_indirect_call, or(0, .L__assert_fail.has_indirect_call)
	.section	.AMDGPU.csdata,"",@progbits
; Kernel info:
; codeLenInByte = 68
; TotalNumSgprs: 36
; NumVgprs: 51
; ScratchSize: 64
; MemoryBound: 0
; FloatMode: 240
; IeeeMode: 1
; LDSByteSize: 0 bytes/workgroup (compile time only)
; SGPRBlocks: 0
; VGPRBlocks: 3
; NumSGPRsForWavesPerEU: 36
; NumVGPRsForWavesPerEU: 51
; NamedBarCnt: 0
; Occupancy: 16
; WaveLimiterHint : 1
; COMPUTE_PGM_RSRC2:SCRATCH_EN: 1
; COMPUTE_PGM_RSRC2:USER_SGPR: 2
; COMPUTE_PGM_RSRC2:TRAP_HANDLER: 0
; COMPUTE_PGM_RSRC2:TGID_X_EN: 1
; COMPUTE_PGM_RSRC2:TGID_Y_EN: 0
; COMPUTE_PGM_RSRC2:TGID_Z_EN: 0
; COMPUTE_PGM_RSRC2:TIDIG_COMP_CNT: 0
	.section	.text._Z39paged_attention_ll4mi_QKV_mfma16_kernelI14__hip_bfloat16S0_LN4vllm18Fp8KVCacheDataTypeE0EhLi32ELi64ELi256ELb0ELi15EEvPKT_PKT0_S8_ifPKiSA_SA_iPKfiiiPfSD_PS3_PT2_iSC_SC_,"axG",@progbits,_Z39paged_attention_ll4mi_QKV_mfma16_kernelI14__hip_bfloat16S0_LN4vllm18Fp8KVCacheDataTypeE0EhLi32ELi64ELi256ELb0ELi15EEvPKT_PKT0_S8_ifPKiSA_SA_iPKfiiiPfSD_PS3_PT2_iSC_SC_,comdat
	.protected	_Z39paged_attention_ll4mi_QKV_mfma16_kernelI14__hip_bfloat16S0_LN4vllm18Fp8KVCacheDataTypeE0EhLi32ELi64ELi256ELb0ELi15EEvPKT_PKT0_S8_ifPKiSA_SA_iPKfiiiPfSD_PS3_PT2_iSC_SC_ ; -- Begin function _Z39paged_attention_ll4mi_QKV_mfma16_kernelI14__hip_bfloat16S0_LN4vllm18Fp8KVCacheDataTypeE0EhLi32ELi64ELi256ELb0ELi15EEvPKT_PKT0_S8_ifPKiSA_SA_iPKfiiiPfSD_PS3_PT2_iSC_SC_
	.globl	_Z39paged_attention_ll4mi_QKV_mfma16_kernelI14__hip_bfloat16S0_LN4vllm18Fp8KVCacheDataTypeE0EhLi32ELi64ELi256ELb0ELi15EEvPKT_PKT0_S8_ifPKiSA_SA_iPKfiiiPfSD_PS3_PT2_iSC_SC_
	.p2align	8
	.type	_Z39paged_attention_ll4mi_QKV_mfma16_kernelI14__hip_bfloat16S0_LN4vllm18Fp8KVCacheDataTypeE0EhLi32ELi64ELi256ELb0ELi15EEvPKT_PKT0_S8_ifPKiSA_SA_iPKfiiiPfSD_PS3_PT2_iSC_SC_,@function
_Z39paged_attention_ll4mi_QKV_mfma16_kernelI14__hip_bfloat16S0_LN4vllm18Fp8KVCacheDataTypeE0EhLi32ELi64ELi256ELb0ELi15EEvPKT_PKT0_S8_ifPKiSA_SA_iPKfiiiPfSD_PS3_PT2_iSC_SC_: ; @_Z39paged_attention_ll4mi_QKV_mfma16_kernelI14__hip_bfloat16S0_LN4vllm18Fp8KVCacheDataTypeE0EhLi32ELi64ELi256ELb0ELi15EEvPKT_PKT0_S8_ifPKiSA_SA_iPKfiiiPfSD_PS3_PT2_iSC_SC_
; %bb.0:
	s_get_pc_i64 s[2:3]
	s_add_nc_u64 s[2:3], s[2:3], __PRETTY_FUNCTION__._Z39paged_attention_ll4mi_QKV_mfma16_kernelI14__hip_bfloat16S0_LN4vllm18Fp8KVCacheDataTypeE0EhLi32ELi64ELi256ELb0ELi15EEvPKT_PKT0_S8_ifPKiSA_SA_iPKfiiiPfSD_PS3_PT2_iSC_SC_@rel64+4
	s_delay_alu instid0(SALU_CYCLE_1)
	v_dual_mov_b32 v0, 0xbb3 :: v_dual_mov_b32 v1, s2
	v_mov_b32_e32 v2, s3
	s_add_nc_u64 s[8:9], s[0:1], 0x90
	s_get_pc_i64 s[0:1]
	s_add_nc_u64 s[0:1], s[0:1], __assert_fail@rel64+4
	s_mov_b32 s32, 0
	s_swap_pc_i64 s[30:31], s[0:1]
	.section	.rodata,"a",@progbits
	.p2align	6, 0x0
	.amdhsa_kernel _Z39paged_attention_ll4mi_QKV_mfma16_kernelI14__hip_bfloat16S0_LN4vllm18Fp8KVCacheDataTypeE0EhLi32ELi64ELi256ELb0ELi15EEvPKT_PKT0_S8_ifPKiSA_SA_iPKfiiiPfSD_PS3_PT2_iSC_SC_
		.amdhsa_group_segment_fixed_size 0
		.amdhsa_private_segment_fixed_size 64
		.amdhsa_kernarg_size 400
		.amdhsa_user_sgpr_count 2
		.amdhsa_user_sgpr_dispatch_ptr 0
		.amdhsa_user_sgpr_queue_ptr 0
		.amdhsa_user_sgpr_kernarg_segment_ptr 1
		.amdhsa_user_sgpr_dispatch_id 0
		.amdhsa_user_sgpr_kernarg_preload_length 0
		.amdhsa_user_sgpr_kernarg_preload_offset 0
		.amdhsa_user_sgpr_private_segment_size 0
		.amdhsa_wavefront_size32 1
		.amdhsa_uses_dynamic_stack 0
		.amdhsa_enable_private_segment 1
		.amdhsa_system_sgpr_workgroup_id_x 1
		.amdhsa_system_sgpr_workgroup_id_y 0
		.amdhsa_system_sgpr_workgroup_id_z 0
		.amdhsa_system_sgpr_workgroup_info 0
		.amdhsa_system_vgpr_workitem_id 0
		.amdhsa_next_free_vgpr 51
		.amdhsa_next_free_sgpr 34
		.amdhsa_named_barrier_count 0
		.amdhsa_reserve_vcc 1
		.amdhsa_float_round_mode_32 0
		.amdhsa_float_round_mode_16_64 0
		.amdhsa_float_denorm_mode_32 3
		.amdhsa_float_denorm_mode_16_64 3
		.amdhsa_fp16_overflow 0
		.amdhsa_memory_ordered 1
		.amdhsa_forward_progress 1
		.amdhsa_inst_pref_size 1
		.amdhsa_round_robin_scheduling 0
		.amdhsa_exception_fp_ieee_invalid_op 0
		.amdhsa_exception_fp_denorm_src 0
		.amdhsa_exception_fp_ieee_div_zero 0
		.amdhsa_exception_fp_ieee_overflow 0
		.amdhsa_exception_fp_ieee_underflow 0
		.amdhsa_exception_fp_ieee_inexact 0
		.amdhsa_exception_int_div_zero 0
	.end_amdhsa_kernel
	.section	.text._Z39paged_attention_ll4mi_QKV_mfma16_kernelI14__hip_bfloat16S0_LN4vllm18Fp8KVCacheDataTypeE0EhLi32ELi64ELi256ELb0ELi15EEvPKT_PKT0_S8_ifPKiSA_SA_iPKfiiiPfSD_PS3_PT2_iSC_SC_,"axG",@progbits,_Z39paged_attention_ll4mi_QKV_mfma16_kernelI14__hip_bfloat16S0_LN4vllm18Fp8KVCacheDataTypeE0EhLi32ELi64ELi256ELb0ELi15EEvPKT_PKT0_S8_ifPKiSA_SA_iPKfiiiPfSD_PS3_PT2_iSC_SC_,comdat
.Lfunc_end532:
	.size	_Z39paged_attention_ll4mi_QKV_mfma16_kernelI14__hip_bfloat16S0_LN4vllm18Fp8KVCacheDataTypeE0EhLi32ELi64ELi256ELb0ELi15EEvPKT_PKT0_S8_ifPKiSA_SA_iPKfiiiPfSD_PS3_PT2_iSC_SC_, .Lfunc_end532-_Z39paged_attention_ll4mi_QKV_mfma16_kernelI14__hip_bfloat16S0_LN4vllm18Fp8KVCacheDataTypeE0EhLi32ELi64ELi256ELb0ELi15EEvPKT_PKT0_S8_ifPKiSA_SA_iPKfiiiPfSD_PS3_PT2_iSC_SC_
                                        ; -- End function
	.set _Z39paged_attention_ll4mi_QKV_mfma16_kernelI14__hip_bfloat16S0_LN4vllm18Fp8KVCacheDataTypeE0EhLi32ELi64ELi256ELb0ELi15EEvPKT_PKT0_S8_ifPKiSA_SA_iPKfiiiPfSD_PS3_PT2_iSC_SC_.num_vgpr, max(3, .L__assert_fail.num_vgpr)
	.set _Z39paged_attention_ll4mi_QKV_mfma16_kernelI14__hip_bfloat16S0_LN4vllm18Fp8KVCacheDataTypeE0EhLi32ELi64ELi256ELb0ELi15EEvPKT_PKT0_S8_ifPKiSA_SA_iPKfiiiPfSD_PS3_PT2_iSC_SC_.num_agpr, max(0, .L__assert_fail.num_agpr)
	.set _Z39paged_attention_ll4mi_QKV_mfma16_kernelI14__hip_bfloat16S0_LN4vllm18Fp8KVCacheDataTypeE0EhLi32ELi64ELi256ELb0ELi15EEvPKT_PKT0_S8_ifPKiSA_SA_iPKfiiiPfSD_PS3_PT2_iSC_SC_.numbered_sgpr, max(33, .L__assert_fail.numbered_sgpr)
	.set _Z39paged_attention_ll4mi_QKV_mfma16_kernelI14__hip_bfloat16S0_LN4vllm18Fp8KVCacheDataTypeE0EhLi32ELi64ELi256ELb0ELi15EEvPKT_PKT0_S8_ifPKiSA_SA_iPKfiiiPfSD_PS3_PT2_iSC_SC_.num_named_barrier, max(0, .L__assert_fail.num_named_barrier)
	.set _Z39paged_attention_ll4mi_QKV_mfma16_kernelI14__hip_bfloat16S0_LN4vllm18Fp8KVCacheDataTypeE0EhLi32ELi64ELi256ELb0ELi15EEvPKT_PKT0_S8_ifPKiSA_SA_iPKfiiiPfSD_PS3_PT2_iSC_SC_.private_seg_size, 0+max(.L__assert_fail.private_seg_size)
	.set _Z39paged_attention_ll4mi_QKV_mfma16_kernelI14__hip_bfloat16S0_LN4vllm18Fp8KVCacheDataTypeE0EhLi32ELi64ELi256ELb0ELi15EEvPKT_PKT0_S8_ifPKiSA_SA_iPKfiiiPfSD_PS3_PT2_iSC_SC_.uses_vcc, or(1, .L__assert_fail.uses_vcc)
	.set _Z39paged_attention_ll4mi_QKV_mfma16_kernelI14__hip_bfloat16S0_LN4vllm18Fp8KVCacheDataTypeE0EhLi32ELi64ELi256ELb0ELi15EEvPKT_PKT0_S8_ifPKiSA_SA_iPKfiiiPfSD_PS3_PT2_iSC_SC_.uses_flat_scratch, or(0, .L__assert_fail.uses_flat_scratch)
	.set _Z39paged_attention_ll4mi_QKV_mfma16_kernelI14__hip_bfloat16S0_LN4vllm18Fp8KVCacheDataTypeE0EhLi32ELi64ELi256ELb0ELi15EEvPKT_PKT0_S8_ifPKiSA_SA_iPKfiiiPfSD_PS3_PT2_iSC_SC_.has_dyn_sized_stack, or(0, .L__assert_fail.has_dyn_sized_stack)
	.set _Z39paged_attention_ll4mi_QKV_mfma16_kernelI14__hip_bfloat16S0_LN4vllm18Fp8KVCacheDataTypeE0EhLi32ELi64ELi256ELb0ELi15EEvPKT_PKT0_S8_ifPKiSA_SA_iPKfiiiPfSD_PS3_PT2_iSC_SC_.has_recursion, or(0, .L__assert_fail.has_recursion)
	.set _Z39paged_attention_ll4mi_QKV_mfma16_kernelI14__hip_bfloat16S0_LN4vllm18Fp8KVCacheDataTypeE0EhLi32ELi64ELi256ELb0ELi15EEvPKT_PKT0_S8_ifPKiSA_SA_iPKfiiiPfSD_PS3_PT2_iSC_SC_.has_indirect_call, or(0, .L__assert_fail.has_indirect_call)
	.section	.AMDGPU.csdata,"",@progbits
; Kernel info:
; codeLenInByte = 68
; TotalNumSgprs: 36
; NumVgprs: 51
; ScratchSize: 64
; MemoryBound: 0
; FloatMode: 240
; IeeeMode: 1
; LDSByteSize: 0 bytes/workgroup (compile time only)
; SGPRBlocks: 0
; VGPRBlocks: 3
; NumSGPRsForWavesPerEU: 36
; NumVGPRsForWavesPerEU: 51
; NamedBarCnt: 0
; Occupancy: 16
; WaveLimiterHint : 1
; COMPUTE_PGM_RSRC2:SCRATCH_EN: 1
; COMPUTE_PGM_RSRC2:USER_SGPR: 2
; COMPUTE_PGM_RSRC2:TRAP_HANDLER: 0
; COMPUTE_PGM_RSRC2:TGID_X_EN: 1
; COMPUTE_PGM_RSRC2:TGID_Y_EN: 0
; COMPUTE_PGM_RSRC2:TGID_Z_EN: 0
; COMPUTE_PGM_RSRC2:TIDIG_COMP_CNT: 0
	.section	.text._Z39paged_attention_ll4mi_QKV_mfma16_kernelI14__hip_bfloat16S0_LN4vllm18Fp8KVCacheDataTypeE0EhLi32ELi64ELi256ELb0ELi16EEvPKT_PKT0_S8_ifPKiSA_SA_iPKfiiiPfSD_PS3_PT2_iSC_SC_,"axG",@progbits,_Z39paged_attention_ll4mi_QKV_mfma16_kernelI14__hip_bfloat16S0_LN4vllm18Fp8KVCacheDataTypeE0EhLi32ELi64ELi256ELb0ELi16EEvPKT_PKT0_S8_ifPKiSA_SA_iPKfiiiPfSD_PS3_PT2_iSC_SC_,comdat
	.protected	_Z39paged_attention_ll4mi_QKV_mfma16_kernelI14__hip_bfloat16S0_LN4vllm18Fp8KVCacheDataTypeE0EhLi32ELi64ELi256ELb0ELi16EEvPKT_PKT0_S8_ifPKiSA_SA_iPKfiiiPfSD_PS3_PT2_iSC_SC_ ; -- Begin function _Z39paged_attention_ll4mi_QKV_mfma16_kernelI14__hip_bfloat16S0_LN4vllm18Fp8KVCacheDataTypeE0EhLi32ELi64ELi256ELb0ELi16EEvPKT_PKT0_S8_ifPKiSA_SA_iPKfiiiPfSD_PS3_PT2_iSC_SC_
	.globl	_Z39paged_attention_ll4mi_QKV_mfma16_kernelI14__hip_bfloat16S0_LN4vllm18Fp8KVCacheDataTypeE0EhLi32ELi64ELi256ELb0ELi16EEvPKT_PKT0_S8_ifPKiSA_SA_iPKfiiiPfSD_PS3_PT2_iSC_SC_
	.p2align	8
	.type	_Z39paged_attention_ll4mi_QKV_mfma16_kernelI14__hip_bfloat16S0_LN4vllm18Fp8KVCacheDataTypeE0EhLi32ELi64ELi256ELb0ELi16EEvPKT_PKT0_S8_ifPKiSA_SA_iPKfiiiPfSD_PS3_PT2_iSC_SC_,@function
_Z39paged_attention_ll4mi_QKV_mfma16_kernelI14__hip_bfloat16S0_LN4vllm18Fp8KVCacheDataTypeE0EhLi32ELi64ELi256ELb0ELi16EEvPKT_PKT0_S8_ifPKiSA_SA_iPKfiiiPfSD_PS3_PT2_iSC_SC_: ; @_Z39paged_attention_ll4mi_QKV_mfma16_kernelI14__hip_bfloat16S0_LN4vllm18Fp8KVCacheDataTypeE0EhLi32ELi64ELi256ELb0ELi16EEvPKT_PKT0_S8_ifPKiSA_SA_iPKfiiiPfSD_PS3_PT2_iSC_SC_
; %bb.0:
	s_get_pc_i64 s[2:3]
	s_add_nc_u64 s[2:3], s[2:3], __PRETTY_FUNCTION__._Z39paged_attention_ll4mi_QKV_mfma16_kernelI14__hip_bfloat16S0_LN4vllm18Fp8KVCacheDataTypeE0EhLi32ELi64ELi256ELb0ELi16EEvPKT_PKT0_S8_ifPKiSA_SA_iPKfiiiPfSD_PS3_PT2_iSC_SC_@rel64+4
	s_delay_alu instid0(SALU_CYCLE_1)
	v_dual_mov_b32 v0, 0xbb3 :: v_dual_mov_b32 v1, s2
	v_mov_b32_e32 v2, s3
	s_add_nc_u64 s[8:9], s[0:1], 0x90
	s_get_pc_i64 s[0:1]
	s_add_nc_u64 s[0:1], s[0:1], __assert_fail@rel64+4
	s_mov_b32 s32, 0
	s_swap_pc_i64 s[30:31], s[0:1]
	.section	.rodata,"a",@progbits
	.p2align	6, 0x0
	.amdhsa_kernel _Z39paged_attention_ll4mi_QKV_mfma16_kernelI14__hip_bfloat16S0_LN4vllm18Fp8KVCacheDataTypeE0EhLi32ELi64ELi256ELb0ELi16EEvPKT_PKT0_S8_ifPKiSA_SA_iPKfiiiPfSD_PS3_PT2_iSC_SC_
		.amdhsa_group_segment_fixed_size 0
		.amdhsa_private_segment_fixed_size 64
		.amdhsa_kernarg_size 400
		.amdhsa_user_sgpr_count 2
		.amdhsa_user_sgpr_dispatch_ptr 0
		.amdhsa_user_sgpr_queue_ptr 0
		.amdhsa_user_sgpr_kernarg_segment_ptr 1
		.amdhsa_user_sgpr_dispatch_id 0
		.amdhsa_user_sgpr_kernarg_preload_length 0
		.amdhsa_user_sgpr_kernarg_preload_offset 0
		.amdhsa_user_sgpr_private_segment_size 0
		.amdhsa_wavefront_size32 1
		.amdhsa_uses_dynamic_stack 0
		.amdhsa_enable_private_segment 1
		.amdhsa_system_sgpr_workgroup_id_x 1
		.amdhsa_system_sgpr_workgroup_id_y 0
		.amdhsa_system_sgpr_workgroup_id_z 0
		.amdhsa_system_sgpr_workgroup_info 0
		.amdhsa_system_vgpr_workitem_id 0
		.amdhsa_next_free_vgpr 51
		.amdhsa_next_free_sgpr 34
		.amdhsa_named_barrier_count 0
		.amdhsa_reserve_vcc 1
		.amdhsa_float_round_mode_32 0
		.amdhsa_float_round_mode_16_64 0
		.amdhsa_float_denorm_mode_32 3
		.amdhsa_float_denorm_mode_16_64 3
		.amdhsa_fp16_overflow 0
		.amdhsa_memory_ordered 1
		.amdhsa_forward_progress 1
		.amdhsa_inst_pref_size 1
		.amdhsa_round_robin_scheduling 0
		.amdhsa_exception_fp_ieee_invalid_op 0
		.amdhsa_exception_fp_denorm_src 0
		.amdhsa_exception_fp_ieee_div_zero 0
		.amdhsa_exception_fp_ieee_overflow 0
		.amdhsa_exception_fp_ieee_underflow 0
		.amdhsa_exception_fp_ieee_inexact 0
		.amdhsa_exception_int_div_zero 0
	.end_amdhsa_kernel
	.section	.text._Z39paged_attention_ll4mi_QKV_mfma16_kernelI14__hip_bfloat16S0_LN4vllm18Fp8KVCacheDataTypeE0EhLi32ELi64ELi256ELb0ELi16EEvPKT_PKT0_S8_ifPKiSA_SA_iPKfiiiPfSD_PS3_PT2_iSC_SC_,"axG",@progbits,_Z39paged_attention_ll4mi_QKV_mfma16_kernelI14__hip_bfloat16S0_LN4vllm18Fp8KVCacheDataTypeE0EhLi32ELi64ELi256ELb0ELi16EEvPKT_PKT0_S8_ifPKiSA_SA_iPKfiiiPfSD_PS3_PT2_iSC_SC_,comdat
.Lfunc_end533:
	.size	_Z39paged_attention_ll4mi_QKV_mfma16_kernelI14__hip_bfloat16S0_LN4vllm18Fp8KVCacheDataTypeE0EhLi32ELi64ELi256ELb0ELi16EEvPKT_PKT0_S8_ifPKiSA_SA_iPKfiiiPfSD_PS3_PT2_iSC_SC_, .Lfunc_end533-_Z39paged_attention_ll4mi_QKV_mfma16_kernelI14__hip_bfloat16S0_LN4vllm18Fp8KVCacheDataTypeE0EhLi32ELi64ELi256ELb0ELi16EEvPKT_PKT0_S8_ifPKiSA_SA_iPKfiiiPfSD_PS3_PT2_iSC_SC_
                                        ; -- End function
	.set _Z39paged_attention_ll4mi_QKV_mfma16_kernelI14__hip_bfloat16S0_LN4vllm18Fp8KVCacheDataTypeE0EhLi32ELi64ELi256ELb0ELi16EEvPKT_PKT0_S8_ifPKiSA_SA_iPKfiiiPfSD_PS3_PT2_iSC_SC_.num_vgpr, max(3, .L__assert_fail.num_vgpr)
	.set _Z39paged_attention_ll4mi_QKV_mfma16_kernelI14__hip_bfloat16S0_LN4vllm18Fp8KVCacheDataTypeE0EhLi32ELi64ELi256ELb0ELi16EEvPKT_PKT0_S8_ifPKiSA_SA_iPKfiiiPfSD_PS3_PT2_iSC_SC_.num_agpr, max(0, .L__assert_fail.num_agpr)
	.set _Z39paged_attention_ll4mi_QKV_mfma16_kernelI14__hip_bfloat16S0_LN4vllm18Fp8KVCacheDataTypeE0EhLi32ELi64ELi256ELb0ELi16EEvPKT_PKT0_S8_ifPKiSA_SA_iPKfiiiPfSD_PS3_PT2_iSC_SC_.numbered_sgpr, max(33, .L__assert_fail.numbered_sgpr)
	.set _Z39paged_attention_ll4mi_QKV_mfma16_kernelI14__hip_bfloat16S0_LN4vllm18Fp8KVCacheDataTypeE0EhLi32ELi64ELi256ELb0ELi16EEvPKT_PKT0_S8_ifPKiSA_SA_iPKfiiiPfSD_PS3_PT2_iSC_SC_.num_named_barrier, max(0, .L__assert_fail.num_named_barrier)
	.set _Z39paged_attention_ll4mi_QKV_mfma16_kernelI14__hip_bfloat16S0_LN4vllm18Fp8KVCacheDataTypeE0EhLi32ELi64ELi256ELb0ELi16EEvPKT_PKT0_S8_ifPKiSA_SA_iPKfiiiPfSD_PS3_PT2_iSC_SC_.private_seg_size, 0+max(.L__assert_fail.private_seg_size)
	.set _Z39paged_attention_ll4mi_QKV_mfma16_kernelI14__hip_bfloat16S0_LN4vllm18Fp8KVCacheDataTypeE0EhLi32ELi64ELi256ELb0ELi16EEvPKT_PKT0_S8_ifPKiSA_SA_iPKfiiiPfSD_PS3_PT2_iSC_SC_.uses_vcc, or(1, .L__assert_fail.uses_vcc)
	.set _Z39paged_attention_ll4mi_QKV_mfma16_kernelI14__hip_bfloat16S0_LN4vllm18Fp8KVCacheDataTypeE0EhLi32ELi64ELi256ELb0ELi16EEvPKT_PKT0_S8_ifPKiSA_SA_iPKfiiiPfSD_PS3_PT2_iSC_SC_.uses_flat_scratch, or(0, .L__assert_fail.uses_flat_scratch)
	.set _Z39paged_attention_ll4mi_QKV_mfma16_kernelI14__hip_bfloat16S0_LN4vllm18Fp8KVCacheDataTypeE0EhLi32ELi64ELi256ELb0ELi16EEvPKT_PKT0_S8_ifPKiSA_SA_iPKfiiiPfSD_PS3_PT2_iSC_SC_.has_dyn_sized_stack, or(0, .L__assert_fail.has_dyn_sized_stack)
	.set _Z39paged_attention_ll4mi_QKV_mfma16_kernelI14__hip_bfloat16S0_LN4vllm18Fp8KVCacheDataTypeE0EhLi32ELi64ELi256ELb0ELi16EEvPKT_PKT0_S8_ifPKiSA_SA_iPKfiiiPfSD_PS3_PT2_iSC_SC_.has_recursion, or(0, .L__assert_fail.has_recursion)
	.set _Z39paged_attention_ll4mi_QKV_mfma16_kernelI14__hip_bfloat16S0_LN4vllm18Fp8KVCacheDataTypeE0EhLi32ELi64ELi256ELb0ELi16EEvPKT_PKT0_S8_ifPKiSA_SA_iPKfiiiPfSD_PS3_PT2_iSC_SC_.has_indirect_call, or(0, .L__assert_fail.has_indirect_call)
	.section	.AMDGPU.csdata,"",@progbits
; Kernel info:
; codeLenInByte = 68
; TotalNumSgprs: 36
; NumVgprs: 51
; ScratchSize: 64
; MemoryBound: 0
; FloatMode: 240
; IeeeMode: 1
; LDSByteSize: 0 bytes/workgroup (compile time only)
; SGPRBlocks: 0
; VGPRBlocks: 3
; NumSGPRsForWavesPerEU: 36
; NumVGPRsForWavesPerEU: 51
; NamedBarCnt: 0
; Occupancy: 16
; WaveLimiterHint : 1
; COMPUTE_PGM_RSRC2:SCRATCH_EN: 1
; COMPUTE_PGM_RSRC2:USER_SGPR: 2
; COMPUTE_PGM_RSRC2:TRAP_HANDLER: 0
; COMPUTE_PGM_RSRC2:TGID_X_EN: 1
; COMPUTE_PGM_RSRC2:TGID_Y_EN: 0
; COMPUTE_PGM_RSRC2:TGID_Z_EN: 0
; COMPUTE_PGM_RSRC2:TIDIG_COMP_CNT: 0
	.section	.text._Z39paged_attention_ll4mi_QKV_mfma16_kernelI14__hip_bfloat16S0_LN4vllm18Fp8KVCacheDataTypeE0EhLi32ELi64ELi256ELb0ELi1EEvPKT_PKT0_S8_ifPKiSA_SA_iPKfiiiPfSD_PS3_PT2_iSC_SC_,"axG",@progbits,_Z39paged_attention_ll4mi_QKV_mfma16_kernelI14__hip_bfloat16S0_LN4vllm18Fp8KVCacheDataTypeE0EhLi32ELi64ELi256ELb0ELi1EEvPKT_PKT0_S8_ifPKiSA_SA_iPKfiiiPfSD_PS3_PT2_iSC_SC_,comdat
	.protected	_Z39paged_attention_ll4mi_QKV_mfma16_kernelI14__hip_bfloat16S0_LN4vllm18Fp8KVCacheDataTypeE0EhLi32ELi64ELi256ELb0ELi1EEvPKT_PKT0_S8_ifPKiSA_SA_iPKfiiiPfSD_PS3_PT2_iSC_SC_ ; -- Begin function _Z39paged_attention_ll4mi_QKV_mfma16_kernelI14__hip_bfloat16S0_LN4vllm18Fp8KVCacheDataTypeE0EhLi32ELi64ELi256ELb0ELi1EEvPKT_PKT0_S8_ifPKiSA_SA_iPKfiiiPfSD_PS3_PT2_iSC_SC_
	.globl	_Z39paged_attention_ll4mi_QKV_mfma16_kernelI14__hip_bfloat16S0_LN4vllm18Fp8KVCacheDataTypeE0EhLi32ELi64ELi256ELb0ELi1EEvPKT_PKT0_S8_ifPKiSA_SA_iPKfiiiPfSD_PS3_PT2_iSC_SC_
	.p2align	8
	.type	_Z39paged_attention_ll4mi_QKV_mfma16_kernelI14__hip_bfloat16S0_LN4vllm18Fp8KVCacheDataTypeE0EhLi32ELi64ELi256ELb0ELi1EEvPKT_PKT0_S8_ifPKiSA_SA_iPKfiiiPfSD_PS3_PT2_iSC_SC_,@function
_Z39paged_attention_ll4mi_QKV_mfma16_kernelI14__hip_bfloat16S0_LN4vllm18Fp8KVCacheDataTypeE0EhLi32ELi64ELi256ELb0ELi1EEvPKT_PKT0_S8_ifPKiSA_SA_iPKfiiiPfSD_PS3_PT2_iSC_SC_: ; @_Z39paged_attention_ll4mi_QKV_mfma16_kernelI14__hip_bfloat16S0_LN4vllm18Fp8KVCacheDataTypeE0EhLi32ELi64ELi256ELb0ELi1EEvPKT_PKT0_S8_ifPKiSA_SA_iPKfiiiPfSD_PS3_PT2_iSC_SC_
; %bb.0:
	s_get_pc_i64 s[2:3]
	s_add_nc_u64 s[2:3], s[2:3], __PRETTY_FUNCTION__._Z39paged_attention_ll4mi_QKV_mfma16_kernelI14__hip_bfloat16S0_LN4vllm18Fp8KVCacheDataTypeE0EhLi32ELi64ELi256ELb0ELi1EEvPKT_PKT0_S8_ifPKiSA_SA_iPKfiiiPfSD_PS3_PT2_iSC_SC_@rel64+4
	s_delay_alu instid0(SALU_CYCLE_1)
	v_dual_mov_b32 v0, 0xbb3 :: v_dual_mov_b32 v1, s2
	v_mov_b32_e32 v2, s3
	s_add_nc_u64 s[8:9], s[0:1], 0x90
	s_get_pc_i64 s[0:1]
	s_add_nc_u64 s[0:1], s[0:1], __assert_fail@rel64+4
	s_mov_b32 s32, 0
	s_swap_pc_i64 s[30:31], s[0:1]
	.section	.rodata,"a",@progbits
	.p2align	6, 0x0
	.amdhsa_kernel _Z39paged_attention_ll4mi_QKV_mfma16_kernelI14__hip_bfloat16S0_LN4vllm18Fp8KVCacheDataTypeE0EhLi32ELi64ELi256ELb0ELi1EEvPKT_PKT0_S8_ifPKiSA_SA_iPKfiiiPfSD_PS3_PT2_iSC_SC_
		.amdhsa_group_segment_fixed_size 0
		.amdhsa_private_segment_fixed_size 64
		.amdhsa_kernarg_size 400
		.amdhsa_user_sgpr_count 2
		.amdhsa_user_sgpr_dispatch_ptr 0
		.amdhsa_user_sgpr_queue_ptr 0
		.amdhsa_user_sgpr_kernarg_segment_ptr 1
		.amdhsa_user_sgpr_dispatch_id 0
		.amdhsa_user_sgpr_kernarg_preload_length 0
		.amdhsa_user_sgpr_kernarg_preload_offset 0
		.amdhsa_user_sgpr_private_segment_size 0
		.amdhsa_wavefront_size32 1
		.amdhsa_uses_dynamic_stack 0
		.amdhsa_enable_private_segment 1
		.amdhsa_system_sgpr_workgroup_id_x 1
		.amdhsa_system_sgpr_workgroup_id_y 0
		.amdhsa_system_sgpr_workgroup_id_z 0
		.amdhsa_system_sgpr_workgroup_info 0
		.amdhsa_system_vgpr_workitem_id 0
		.amdhsa_next_free_vgpr 51
		.amdhsa_next_free_sgpr 34
		.amdhsa_named_barrier_count 0
		.amdhsa_reserve_vcc 1
		.amdhsa_float_round_mode_32 0
		.amdhsa_float_round_mode_16_64 0
		.amdhsa_float_denorm_mode_32 3
		.amdhsa_float_denorm_mode_16_64 3
		.amdhsa_fp16_overflow 0
		.amdhsa_memory_ordered 1
		.amdhsa_forward_progress 1
		.amdhsa_inst_pref_size 1
		.amdhsa_round_robin_scheduling 0
		.amdhsa_exception_fp_ieee_invalid_op 0
		.amdhsa_exception_fp_denorm_src 0
		.amdhsa_exception_fp_ieee_div_zero 0
		.amdhsa_exception_fp_ieee_overflow 0
		.amdhsa_exception_fp_ieee_underflow 0
		.amdhsa_exception_fp_ieee_inexact 0
		.amdhsa_exception_int_div_zero 0
	.end_amdhsa_kernel
	.section	.text._Z39paged_attention_ll4mi_QKV_mfma16_kernelI14__hip_bfloat16S0_LN4vllm18Fp8KVCacheDataTypeE0EhLi32ELi64ELi256ELb0ELi1EEvPKT_PKT0_S8_ifPKiSA_SA_iPKfiiiPfSD_PS3_PT2_iSC_SC_,"axG",@progbits,_Z39paged_attention_ll4mi_QKV_mfma16_kernelI14__hip_bfloat16S0_LN4vllm18Fp8KVCacheDataTypeE0EhLi32ELi64ELi256ELb0ELi1EEvPKT_PKT0_S8_ifPKiSA_SA_iPKfiiiPfSD_PS3_PT2_iSC_SC_,comdat
.Lfunc_end534:
	.size	_Z39paged_attention_ll4mi_QKV_mfma16_kernelI14__hip_bfloat16S0_LN4vllm18Fp8KVCacheDataTypeE0EhLi32ELi64ELi256ELb0ELi1EEvPKT_PKT0_S8_ifPKiSA_SA_iPKfiiiPfSD_PS3_PT2_iSC_SC_, .Lfunc_end534-_Z39paged_attention_ll4mi_QKV_mfma16_kernelI14__hip_bfloat16S0_LN4vllm18Fp8KVCacheDataTypeE0EhLi32ELi64ELi256ELb0ELi1EEvPKT_PKT0_S8_ifPKiSA_SA_iPKfiiiPfSD_PS3_PT2_iSC_SC_
                                        ; -- End function
	.set _Z39paged_attention_ll4mi_QKV_mfma16_kernelI14__hip_bfloat16S0_LN4vllm18Fp8KVCacheDataTypeE0EhLi32ELi64ELi256ELb0ELi1EEvPKT_PKT0_S8_ifPKiSA_SA_iPKfiiiPfSD_PS3_PT2_iSC_SC_.num_vgpr, max(3, .L__assert_fail.num_vgpr)
	.set _Z39paged_attention_ll4mi_QKV_mfma16_kernelI14__hip_bfloat16S0_LN4vllm18Fp8KVCacheDataTypeE0EhLi32ELi64ELi256ELb0ELi1EEvPKT_PKT0_S8_ifPKiSA_SA_iPKfiiiPfSD_PS3_PT2_iSC_SC_.num_agpr, max(0, .L__assert_fail.num_agpr)
	.set _Z39paged_attention_ll4mi_QKV_mfma16_kernelI14__hip_bfloat16S0_LN4vllm18Fp8KVCacheDataTypeE0EhLi32ELi64ELi256ELb0ELi1EEvPKT_PKT0_S8_ifPKiSA_SA_iPKfiiiPfSD_PS3_PT2_iSC_SC_.numbered_sgpr, max(33, .L__assert_fail.numbered_sgpr)
	.set _Z39paged_attention_ll4mi_QKV_mfma16_kernelI14__hip_bfloat16S0_LN4vllm18Fp8KVCacheDataTypeE0EhLi32ELi64ELi256ELb0ELi1EEvPKT_PKT0_S8_ifPKiSA_SA_iPKfiiiPfSD_PS3_PT2_iSC_SC_.num_named_barrier, max(0, .L__assert_fail.num_named_barrier)
	.set _Z39paged_attention_ll4mi_QKV_mfma16_kernelI14__hip_bfloat16S0_LN4vllm18Fp8KVCacheDataTypeE0EhLi32ELi64ELi256ELb0ELi1EEvPKT_PKT0_S8_ifPKiSA_SA_iPKfiiiPfSD_PS3_PT2_iSC_SC_.private_seg_size, 0+max(.L__assert_fail.private_seg_size)
	.set _Z39paged_attention_ll4mi_QKV_mfma16_kernelI14__hip_bfloat16S0_LN4vllm18Fp8KVCacheDataTypeE0EhLi32ELi64ELi256ELb0ELi1EEvPKT_PKT0_S8_ifPKiSA_SA_iPKfiiiPfSD_PS3_PT2_iSC_SC_.uses_vcc, or(1, .L__assert_fail.uses_vcc)
	.set _Z39paged_attention_ll4mi_QKV_mfma16_kernelI14__hip_bfloat16S0_LN4vllm18Fp8KVCacheDataTypeE0EhLi32ELi64ELi256ELb0ELi1EEvPKT_PKT0_S8_ifPKiSA_SA_iPKfiiiPfSD_PS3_PT2_iSC_SC_.uses_flat_scratch, or(0, .L__assert_fail.uses_flat_scratch)
	.set _Z39paged_attention_ll4mi_QKV_mfma16_kernelI14__hip_bfloat16S0_LN4vllm18Fp8KVCacheDataTypeE0EhLi32ELi64ELi256ELb0ELi1EEvPKT_PKT0_S8_ifPKiSA_SA_iPKfiiiPfSD_PS3_PT2_iSC_SC_.has_dyn_sized_stack, or(0, .L__assert_fail.has_dyn_sized_stack)
	.set _Z39paged_attention_ll4mi_QKV_mfma16_kernelI14__hip_bfloat16S0_LN4vllm18Fp8KVCacheDataTypeE0EhLi32ELi64ELi256ELb0ELi1EEvPKT_PKT0_S8_ifPKiSA_SA_iPKfiiiPfSD_PS3_PT2_iSC_SC_.has_recursion, or(0, .L__assert_fail.has_recursion)
	.set _Z39paged_attention_ll4mi_QKV_mfma16_kernelI14__hip_bfloat16S0_LN4vllm18Fp8KVCacheDataTypeE0EhLi32ELi64ELi256ELb0ELi1EEvPKT_PKT0_S8_ifPKiSA_SA_iPKfiiiPfSD_PS3_PT2_iSC_SC_.has_indirect_call, or(0, .L__assert_fail.has_indirect_call)
	.section	.AMDGPU.csdata,"",@progbits
; Kernel info:
; codeLenInByte = 68
; TotalNumSgprs: 36
; NumVgprs: 51
; ScratchSize: 64
; MemoryBound: 0
; FloatMode: 240
; IeeeMode: 1
; LDSByteSize: 0 bytes/workgroup (compile time only)
; SGPRBlocks: 0
; VGPRBlocks: 3
; NumSGPRsForWavesPerEU: 36
; NumVGPRsForWavesPerEU: 51
; NamedBarCnt: 0
; Occupancy: 16
; WaveLimiterHint : 1
; COMPUTE_PGM_RSRC2:SCRATCH_EN: 1
; COMPUTE_PGM_RSRC2:USER_SGPR: 2
; COMPUTE_PGM_RSRC2:TRAP_HANDLER: 0
; COMPUTE_PGM_RSRC2:TGID_X_EN: 1
; COMPUTE_PGM_RSRC2:TGID_Y_EN: 0
; COMPUTE_PGM_RSRC2:TGID_Z_EN: 0
; COMPUTE_PGM_RSRC2:TIDIG_COMP_CNT: 0
	.section	.text._Z39paged_attention_ll4mi_QKV_mfma16_kernelI14__hip_bfloat16S0_LN4vllm18Fp8KVCacheDataTypeE0EhLi32ELi64ELi256ELb0ELi2EEvPKT_PKT0_S8_ifPKiSA_SA_iPKfiiiPfSD_PS3_PT2_iSC_SC_,"axG",@progbits,_Z39paged_attention_ll4mi_QKV_mfma16_kernelI14__hip_bfloat16S0_LN4vllm18Fp8KVCacheDataTypeE0EhLi32ELi64ELi256ELb0ELi2EEvPKT_PKT0_S8_ifPKiSA_SA_iPKfiiiPfSD_PS3_PT2_iSC_SC_,comdat
	.protected	_Z39paged_attention_ll4mi_QKV_mfma16_kernelI14__hip_bfloat16S0_LN4vllm18Fp8KVCacheDataTypeE0EhLi32ELi64ELi256ELb0ELi2EEvPKT_PKT0_S8_ifPKiSA_SA_iPKfiiiPfSD_PS3_PT2_iSC_SC_ ; -- Begin function _Z39paged_attention_ll4mi_QKV_mfma16_kernelI14__hip_bfloat16S0_LN4vllm18Fp8KVCacheDataTypeE0EhLi32ELi64ELi256ELb0ELi2EEvPKT_PKT0_S8_ifPKiSA_SA_iPKfiiiPfSD_PS3_PT2_iSC_SC_
	.globl	_Z39paged_attention_ll4mi_QKV_mfma16_kernelI14__hip_bfloat16S0_LN4vllm18Fp8KVCacheDataTypeE0EhLi32ELi64ELi256ELb0ELi2EEvPKT_PKT0_S8_ifPKiSA_SA_iPKfiiiPfSD_PS3_PT2_iSC_SC_
	.p2align	8
	.type	_Z39paged_attention_ll4mi_QKV_mfma16_kernelI14__hip_bfloat16S0_LN4vllm18Fp8KVCacheDataTypeE0EhLi32ELi64ELi256ELb0ELi2EEvPKT_PKT0_S8_ifPKiSA_SA_iPKfiiiPfSD_PS3_PT2_iSC_SC_,@function
_Z39paged_attention_ll4mi_QKV_mfma16_kernelI14__hip_bfloat16S0_LN4vllm18Fp8KVCacheDataTypeE0EhLi32ELi64ELi256ELb0ELi2EEvPKT_PKT0_S8_ifPKiSA_SA_iPKfiiiPfSD_PS3_PT2_iSC_SC_: ; @_Z39paged_attention_ll4mi_QKV_mfma16_kernelI14__hip_bfloat16S0_LN4vllm18Fp8KVCacheDataTypeE0EhLi32ELi64ELi256ELb0ELi2EEvPKT_PKT0_S8_ifPKiSA_SA_iPKfiiiPfSD_PS3_PT2_iSC_SC_
; %bb.0:
	s_get_pc_i64 s[2:3]
	s_add_nc_u64 s[2:3], s[2:3], __PRETTY_FUNCTION__._Z39paged_attention_ll4mi_QKV_mfma16_kernelI14__hip_bfloat16S0_LN4vllm18Fp8KVCacheDataTypeE0EhLi32ELi64ELi256ELb0ELi2EEvPKT_PKT0_S8_ifPKiSA_SA_iPKfiiiPfSD_PS3_PT2_iSC_SC_@rel64+4
	s_delay_alu instid0(SALU_CYCLE_1)
	v_dual_mov_b32 v0, 0xbb3 :: v_dual_mov_b32 v1, s2
	v_mov_b32_e32 v2, s3
	s_add_nc_u64 s[8:9], s[0:1], 0x90
	s_get_pc_i64 s[0:1]
	s_add_nc_u64 s[0:1], s[0:1], __assert_fail@rel64+4
	s_mov_b32 s32, 0
	s_swap_pc_i64 s[30:31], s[0:1]
	.section	.rodata,"a",@progbits
	.p2align	6, 0x0
	.amdhsa_kernel _Z39paged_attention_ll4mi_QKV_mfma16_kernelI14__hip_bfloat16S0_LN4vllm18Fp8KVCacheDataTypeE0EhLi32ELi64ELi256ELb0ELi2EEvPKT_PKT0_S8_ifPKiSA_SA_iPKfiiiPfSD_PS3_PT2_iSC_SC_
		.amdhsa_group_segment_fixed_size 0
		.amdhsa_private_segment_fixed_size 64
		.amdhsa_kernarg_size 400
		.amdhsa_user_sgpr_count 2
		.amdhsa_user_sgpr_dispatch_ptr 0
		.amdhsa_user_sgpr_queue_ptr 0
		.amdhsa_user_sgpr_kernarg_segment_ptr 1
		.amdhsa_user_sgpr_dispatch_id 0
		.amdhsa_user_sgpr_kernarg_preload_length 0
		.amdhsa_user_sgpr_kernarg_preload_offset 0
		.amdhsa_user_sgpr_private_segment_size 0
		.amdhsa_wavefront_size32 1
		.amdhsa_uses_dynamic_stack 0
		.amdhsa_enable_private_segment 1
		.amdhsa_system_sgpr_workgroup_id_x 1
		.amdhsa_system_sgpr_workgroup_id_y 0
		.amdhsa_system_sgpr_workgroup_id_z 0
		.amdhsa_system_sgpr_workgroup_info 0
		.amdhsa_system_vgpr_workitem_id 0
		.amdhsa_next_free_vgpr 51
		.amdhsa_next_free_sgpr 34
		.amdhsa_named_barrier_count 0
		.amdhsa_reserve_vcc 1
		.amdhsa_float_round_mode_32 0
		.amdhsa_float_round_mode_16_64 0
		.amdhsa_float_denorm_mode_32 3
		.amdhsa_float_denorm_mode_16_64 3
		.amdhsa_fp16_overflow 0
		.amdhsa_memory_ordered 1
		.amdhsa_forward_progress 1
		.amdhsa_inst_pref_size 1
		.amdhsa_round_robin_scheduling 0
		.amdhsa_exception_fp_ieee_invalid_op 0
		.amdhsa_exception_fp_denorm_src 0
		.amdhsa_exception_fp_ieee_div_zero 0
		.amdhsa_exception_fp_ieee_overflow 0
		.amdhsa_exception_fp_ieee_underflow 0
		.amdhsa_exception_fp_ieee_inexact 0
		.amdhsa_exception_int_div_zero 0
	.end_amdhsa_kernel
	.section	.text._Z39paged_attention_ll4mi_QKV_mfma16_kernelI14__hip_bfloat16S0_LN4vllm18Fp8KVCacheDataTypeE0EhLi32ELi64ELi256ELb0ELi2EEvPKT_PKT0_S8_ifPKiSA_SA_iPKfiiiPfSD_PS3_PT2_iSC_SC_,"axG",@progbits,_Z39paged_attention_ll4mi_QKV_mfma16_kernelI14__hip_bfloat16S0_LN4vllm18Fp8KVCacheDataTypeE0EhLi32ELi64ELi256ELb0ELi2EEvPKT_PKT0_S8_ifPKiSA_SA_iPKfiiiPfSD_PS3_PT2_iSC_SC_,comdat
.Lfunc_end535:
	.size	_Z39paged_attention_ll4mi_QKV_mfma16_kernelI14__hip_bfloat16S0_LN4vllm18Fp8KVCacheDataTypeE0EhLi32ELi64ELi256ELb0ELi2EEvPKT_PKT0_S8_ifPKiSA_SA_iPKfiiiPfSD_PS3_PT2_iSC_SC_, .Lfunc_end535-_Z39paged_attention_ll4mi_QKV_mfma16_kernelI14__hip_bfloat16S0_LN4vllm18Fp8KVCacheDataTypeE0EhLi32ELi64ELi256ELb0ELi2EEvPKT_PKT0_S8_ifPKiSA_SA_iPKfiiiPfSD_PS3_PT2_iSC_SC_
                                        ; -- End function
	.set _Z39paged_attention_ll4mi_QKV_mfma16_kernelI14__hip_bfloat16S0_LN4vllm18Fp8KVCacheDataTypeE0EhLi32ELi64ELi256ELb0ELi2EEvPKT_PKT0_S8_ifPKiSA_SA_iPKfiiiPfSD_PS3_PT2_iSC_SC_.num_vgpr, max(3, .L__assert_fail.num_vgpr)
	.set _Z39paged_attention_ll4mi_QKV_mfma16_kernelI14__hip_bfloat16S0_LN4vllm18Fp8KVCacheDataTypeE0EhLi32ELi64ELi256ELb0ELi2EEvPKT_PKT0_S8_ifPKiSA_SA_iPKfiiiPfSD_PS3_PT2_iSC_SC_.num_agpr, max(0, .L__assert_fail.num_agpr)
	.set _Z39paged_attention_ll4mi_QKV_mfma16_kernelI14__hip_bfloat16S0_LN4vllm18Fp8KVCacheDataTypeE0EhLi32ELi64ELi256ELb0ELi2EEvPKT_PKT0_S8_ifPKiSA_SA_iPKfiiiPfSD_PS3_PT2_iSC_SC_.numbered_sgpr, max(33, .L__assert_fail.numbered_sgpr)
	.set _Z39paged_attention_ll4mi_QKV_mfma16_kernelI14__hip_bfloat16S0_LN4vllm18Fp8KVCacheDataTypeE0EhLi32ELi64ELi256ELb0ELi2EEvPKT_PKT0_S8_ifPKiSA_SA_iPKfiiiPfSD_PS3_PT2_iSC_SC_.num_named_barrier, max(0, .L__assert_fail.num_named_barrier)
	.set _Z39paged_attention_ll4mi_QKV_mfma16_kernelI14__hip_bfloat16S0_LN4vllm18Fp8KVCacheDataTypeE0EhLi32ELi64ELi256ELb0ELi2EEvPKT_PKT0_S8_ifPKiSA_SA_iPKfiiiPfSD_PS3_PT2_iSC_SC_.private_seg_size, 0+max(.L__assert_fail.private_seg_size)
	.set _Z39paged_attention_ll4mi_QKV_mfma16_kernelI14__hip_bfloat16S0_LN4vllm18Fp8KVCacheDataTypeE0EhLi32ELi64ELi256ELb0ELi2EEvPKT_PKT0_S8_ifPKiSA_SA_iPKfiiiPfSD_PS3_PT2_iSC_SC_.uses_vcc, or(1, .L__assert_fail.uses_vcc)
	.set _Z39paged_attention_ll4mi_QKV_mfma16_kernelI14__hip_bfloat16S0_LN4vllm18Fp8KVCacheDataTypeE0EhLi32ELi64ELi256ELb0ELi2EEvPKT_PKT0_S8_ifPKiSA_SA_iPKfiiiPfSD_PS3_PT2_iSC_SC_.uses_flat_scratch, or(0, .L__assert_fail.uses_flat_scratch)
	.set _Z39paged_attention_ll4mi_QKV_mfma16_kernelI14__hip_bfloat16S0_LN4vllm18Fp8KVCacheDataTypeE0EhLi32ELi64ELi256ELb0ELi2EEvPKT_PKT0_S8_ifPKiSA_SA_iPKfiiiPfSD_PS3_PT2_iSC_SC_.has_dyn_sized_stack, or(0, .L__assert_fail.has_dyn_sized_stack)
	.set _Z39paged_attention_ll4mi_QKV_mfma16_kernelI14__hip_bfloat16S0_LN4vllm18Fp8KVCacheDataTypeE0EhLi32ELi64ELi256ELb0ELi2EEvPKT_PKT0_S8_ifPKiSA_SA_iPKfiiiPfSD_PS3_PT2_iSC_SC_.has_recursion, or(0, .L__assert_fail.has_recursion)
	.set _Z39paged_attention_ll4mi_QKV_mfma16_kernelI14__hip_bfloat16S0_LN4vllm18Fp8KVCacheDataTypeE0EhLi32ELi64ELi256ELb0ELi2EEvPKT_PKT0_S8_ifPKiSA_SA_iPKfiiiPfSD_PS3_PT2_iSC_SC_.has_indirect_call, or(0, .L__assert_fail.has_indirect_call)
	.section	.AMDGPU.csdata,"",@progbits
; Kernel info:
; codeLenInByte = 68
; TotalNumSgprs: 36
; NumVgprs: 51
; ScratchSize: 64
; MemoryBound: 0
; FloatMode: 240
; IeeeMode: 1
; LDSByteSize: 0 bytes/workgroup (compile time only)
; SGPRBlocks: 0
; VGPRBlocks: 3
; NumSGPRsForWavesPerEU: 36
; NumVGPRsForWavesPerEU: 51
; NamedBarCnt: 0
; Occupancy: 16
; WaveLimiterHint : 1
; COMPUTE_PGM_RSRC2:SCRATCH_EN: 1
; COMPUTE_PGM_RSRC2:USER_SGPR: 2
; COMPUTE_PGM_RSRC2:TRAP_HANDLER: 0
; COMPUTE_PGM_RSRC2:TGID_X_EN: 1
; COMPUTE_PGM_RSRC2:TGID_Y_EN: 0
; COMPUTE_PGM_RSRC2:TGID_Z_EN: 0
; COMPUTE_PGM_RSRC2:TIDIG_COMP_CNT: 0
	.section	.text._Z39paged_attention_ll4mi_QKV_mfma16_kernelI14__hip_bfloat16S0_LN4vllm18Fp8KVCacheDataTypeE0EhLi32ELi64ELi256ELb0ELi3EEvPKT_PKT0_S8_ifPKiSA_SA_iPKfiiiPfSD_PS3_PT2_iSC_SC_,"axG",@progbits,_Z39paged_attention_ll4mi_QKV_mfma16_kernelI14__hip_bfloat16S0_LN4vllm18Fp8KVCacheDataTypeE0EhLi32ELi64ELi256ELb0ELi3EEvPKT_PKT0_S8_ifPKiSA_SA_iPKfiiiPfSD_PS3_PT2_iSC_SC_,comdat
	.protected	_Z39paged_attention_ll4mi_QKV_mfma16_kernelI14__hip_bfloat16S0_LN4vllm18Fp8KVCacheDataTypeE0EhLi32ELi64ELi256ELb0ELi3EEvPKT_PKT0_S8_ifPKiSA_SA_iPKfiiiPfSD_PS3_PT2_iSC_SC_ ; -- Begin function _Z39paged_attention_ll4mi_QKV_mfma16_kernelI14__hip_bfloat16S0_LN4vllm18Fp8KVCacheDataTypeE0EhLi32ELi64ELi256ELb0ELi3EEvPKT_PKT0_S8_ifPKiSA_SA_iPKfiiiPfSD_PS3_PT2_iSC_SC_
	.globl	_Z39paged_attention_ll4mi_QKV_mfma16_kernelI14__hip_bfloat16S0_LN4vllm18Fp8KVCacheDataTypeE0EhLi32ELi64ELi256ELb0ELi3EEvPKT_PKT0_S8_ifPKiSA_SA_iPKfiiiPfSD_PS3_PT2_iSC_SC_
	.p2align	8
	.type	_Z39paged_attention_ll4mi_QKV_mfma16_kernelI14__hip_bfloat16S0_LN4vllm18Fp8KVCacheDataTypeE0EhLi32ELi64ELi256ELb0ELi3EEvPKT_PKT0_S8_ifPKiSA_SA_iPKfiiiPfSD_PS3_PT2_iSC_SC_,@function
_Z39paged_attention_ll4mi_QKV_mfma16_kernelI14__hip_bfloat16S0_LN4vllm18Fp8KVCacheDataTypeE0EhLi32ELi64ELi256ELb0ELi3EEvPKT_PKT0_S8_ifPKiSA_SA_iPKfiiiPfSD_PS3_PT2_iSC_SC_: ; @_Z39paged_attention_ll4mi_QKV_mfma16_kernelI14__hip_bfloat16S0_LN4vllm18Fp8KVCacheDataTypeE0EhLi32ELi64ELi256ELb0ELi3EEvPKT_PKT0_S8_ifPKiSA_SA_iPKfiiiPfSD_PS3_PT2_iSC_SC_
; %bb.0:
	s_get_pc_i64 s[2:3]
	s_add_nc_u64 s[2:3], s[2:3], __PRETTY_FUNCTION__._Z39paged_attention_ll4mi_QKV_mfma16_kernelI14__hip_bfloat16S0_LN4vllm18Fp8KVCacheDataTypeE0EhLi32ELi64ELi256ELb0ELi3EEvPKT_PKT0_S8_ifPKiSA_SA_iPKfiiiPfSD_PS3_PT2_iSC_SC_@rel64+4
	s_delay_alu instid0(SALU_CYCLE_1)
	v_dual_mov_b32 v0, 0xbb3 :: v_dual_mov_b32 v1, s2
	v_mov_b32_e32 v2, s3
	s_add_nc_u64 s[8:9], s[0:1], 0x90
	s_get_pc_i64 s[0:1]
	s_add_nc_u64 s[0:1], s[0:1], __assert_fail@rel64+4
	s_mov_b32 s32, 0
	s_swap_pc_i64 s[30:31], s[0:1]
	.section	.rodata,"a",@progbits
	.p2align	6, 0x0
	.amdhsa_kernel _Z39paged_attention_ll4mi_QKV_mfma16_kernelI14__hip_bfloat16S0_LN4vllm18Fp8KVCacheDataTypeE0EhLi32ELi64ELi256ELb0ELi3EEvPKT_PKT0_S8_ifPKiSA_SA_iPKfiiiPfSD_PS3_PT2_iSC_SC_
		.amdhsa_group_segment_fixed_size 0
		.amdhsa_private_segment_fixed_size 64
		.amdhsa_kernarg_size 400
		.amdhsa_user_sgpr_count 2
		.amdhsa_user_sgpr_dispatch_ptr 0
		.amdhsa_user_sgpr_queue_ptr 0
		.amdhsa_user_sgpr_kernarg_segment_ptr 1
		.amdhsa_user_sgpr_dispatch_id 0
		.amdhsa_user_sgpr_kernarg_preload_length 0
		.amdhsa_user_sgpr_kernarg_preload_offset 0
		.amdhsa_user_sgpr_private_segment_size 0
		.amdhsa_wavefront_size32 1
		.amdhsa_uses_dynamic_stack 0
		.amdhsa_enable_private_segment 1
		.amdhsa_system_sgpr_workgroup_id_x 1
		.amdhsa_system_sgpr_workgroup_id_y 0
		.amdhsa_system_sgpr_workgroup_id_z 0
		.amdhsa_system_sgpr_workgroup_info 0
		.amdhsa_system_vgpr_workitem_id 0
		.amdhsa_next_free_vgpr 51
		.amdhsa_next_free_sgpr 34
		.amdhsa_named_barrier_count 0
		.amdhsa_reserve_vcc 1
		.amdhsa_float_round_mode_32 0
		.amdhsa_float_round_mode_16_64 0
		.amdhsa_float_denorm_mode_32 3
		.amdhsa_float_denorm_mode_16_64 3
		.amdhsa_fp16_overflow 0
		.amdhsa_memory_ordered 1
		.amdhsa_forward_progress 1
		.amdhsa_inst_pref_size 1
		.amdhsa_round_robin_scheduling 0
		.amdhsa_exception_fp_ieee_invalid_op 0
		.amdhsa_exception_fp_denorm_src 0
		.amdhsa_exception_fp_ieee_div_zero 0
		.amdhsa_exception_fp_ieee_overflow 0
		.amdhsa_exception_fp_ieee_underflow 0
		.amdhsa_exception_fp_ieee_inexact 0
		.amdhsa_exception_int_div_zero 0
	.end_amdhsa_kernel
	.section	.text._Z39paged_attention_ll4mi_QKV_mfma16_kernelI14__hip_bfloat16S0_LN4vllm18Fp8KVCacheDataTypeE0EhLi32ELi64ELi256ELb0ELi3EEvPKT_PKT0_S8_ifPKiSA_SA_iPKfiiiPfSD_PS3_PT2_iSC_SC_,"axG",@progbits,_Z39paged_attention_ll4mi_QKV_mfma16_kernelI14__hip_bfloat16S0_LN4vllm18Fp8KVCacheDataTypeE0EhLi32ELi64ELi256ELb0ELi3EEvPKT_PKT0_S8_ifPKiSA_SA_iPKfiiiPfSD_PS3_PT2_iSC_SC_,comdat
.Lfunc_end536:
	.size	_Z39paged_attention_ll4mi_QKV_mfma16_kernelI14__hip_bfloat16S0_LN4vllm18Fp8KVCacheDataTypeE0EhLi32ELi64ELi256ELb0ELi3EEvPKT_PKT0_S8_ifPKiSA_SA_iPKfiiiPfSD_PS3_PT2_iSC_SC_, .Lfunc_end536-_Z39paged_attention_ll4mi_QKV_mfma16_kernelI14__hip_bfloat16S0_LN4vllm18Fp8KVCacheDataTypeE0EhLi32ELi64ELi256ELb0ELi3EEvPKT_PKT0_S8_ifPKiSA_SA_iPKfiiiPfSD_PS3_PT2_iSC_SC_
                                        ; -- End function
	.set _Z39paged_attention_ll4mi_QKV_mfma16_kernelI14__hip_bfloat16S0_LN4vllm18Fp8KVCacheDataTypeE0EhLi32ELi64ELi256ELb0ELi3EEvPKT_PKT0_S8_ifPKiSA_SA_iPKfiiiPfSD_PS3_PT2_iSC_SC_.num_vgpr, max(3, .L__assert_fail.num_vgpr)
	.set _Z39paged_attention_ll4mi_QKV_mfma16_kernelI14__hip_bfloat16S0_LN4vllm18Fp8KVCacheDataTypeE0EhLi32ELi64ELi256ELb0ELi3EEvPKT_PKT0_S8_ifPKiSA_SA_iPKfiiiPfSD_PS3_PT2_iSC_SC_.num_agpr, max(0, .L__assert_fail.num_agpr)
	.set _Z39paged_attention_ll4mi_QKV_mfma16_kernelI14__hip_bfloat16S0_LN4vllm18Fp8KVCacheDataTypeE0EhLi32ELi64ELi256ELb0ELi3EEvPKT_PKT0_S8_ifPKiSA_SA_iPKfiiiPfSD_PS3_PT2_iSC_SC_.numbered_sgpr, max(33, .L__assert_fail.numbered_sgpr)
	.set _Z39paged_attention_ll4mi_QKV_mfma16_kernelI14__hip_bfloat16S0_LN4vllm18Fp8KVCacheDataTypeE0EhLi32ELi64ELi256ELb0ELi3EEvPKT_PKT0_S8_ifPKiSA_SA_iPKfiiiPfSD_PS3_PT2_iSC_SC_.num_named_barrier, max(0, .L__assert_fail.num_named_barrier)
	.set _Z39paged_attention_ll4mi_QKV_mfma16_kernelI14__hip_bfloat16S0_LN4vllm18Fp8KVCacheDataTypeE0EhLi32ELi64ELi256ELb0ELi3EEvPKT_PKT0_S8_ifPKiSA_SA_iPKfiiiPfSD_PS3_PT2_iSC_SC_.private_seg_size, 0+max(.L__assert_fail.private_seg_size)
	.set _Z39paged_attention_ll4mi_QKV_mfma16_kernelI14__hip_bfloat16S0_LN4vllm18Fp8KVCacheDataTypeE0EhLi32ELi64ELi256ELb0ELi3EEvPKT_PKT0_S8_ifPKiSA_SA_iPKfiiiPfSD_PS3_PT2_iSC_SC_.uses_vcc, or(1, .L__assert_fail.uses_vcc)
	.set _Z39paged_attention_ll4mi_QKV_mfma16_kernelI14__hip_bfloat16S0_LN4vllm18Fp8KVCacheDataTypeE0EhLi32ELi64ELi256ELb0ELi3EEvPKT_PKT0_S8_ifPKiSA_SA_iPKfiiiPfSD_PS3_PT2_iSC_SC_.uses_flat_scratch, or(0, .L__assert_fail.uses_flat_scratch)
	.set _Z39paged_attention_ll4mi_QKV_mfma16_kernelI14__hip_bfloat16S0_LN4vllm18Fp8KVCacheDataTypeE0EhLi32ELi64ELi256ELb0ELi3EEvPKT_PKT0_S8_ifPKiSA_SA_iPKfiiiPfSD_PS3_PT2_iSC_SC_.has_dyn_sized_stack, or(0, .L__assert_fail.has_dyn_sized_stack)
	.set _Z39paged_attention_ll4mi_QKV_mfma16_kernelI14__hip_bfloat16S0_LN4vllm18Fp8KVCacheDataTypeE0EhLi32ELi64ELi256ELb0ELi3EEvPKT_PKT0_S8_ifPKiSA_SA_iPKfiiiPfSD_PS3_PT2_iSC_SC_.has_recursion, or(0, .L__assert_fail.has_recursion)
	.set _Z39paged_attention_ll4mi_QKV_mfma16_kernelI14__hip_bfloat16S0_LN4vllm18Fp8KVCacheDataTypeE0EhLi32ELi64ELi256ELb0ELi3EEvPKT_PKT0_S8_ifPKiSA_SA_iPKfiiiPfSD_PS3_PT2_iSC_SC_.has_indirect_call, or(0, .L__assert_fail.has_indirect_call)
	.section	.AMDGPU.csdata,"",@progbits
; Kernel info:
; codeLenInByte = 68
; TotalNumSgprs: 36
; NumVgprs: 51
; ScratchSize: 64
; MemoryBound: 0
; FloatMode: 240
; IeeeMode: 1
; LDSByteSize: 0 bytes/workgroup (compile time only)
; SGPRBlocks: 0
; VGPRBlocks: 3
; NumSGPRsForWavesPerEU: 36
; NumVGPRsForWavesPerEU: 51
; NamedBarCnt: 0
; Occupancy: 16
; WaveLimiterHint : 1
; COMPUTE_PGM_RSRC2:SCRATCH_EN: 1
; COMPUTE_PGM_RSRC2:USER_SGPR: 2
; COMPUTE_PGM_RSRC2:TRAP_HANDLER: 0
; COMPUTE_PGM_RSRC2:TGID_X_EN: 1
; COMPUTE_PGM_RSRC2:TGID_Y_EN: 0
; COMPUTE_PGM_RSRC2:TGID_Z_EN: 0
; COMPUTE_PGM_RSRC2:TIDIG_COMP_CNT: 0
	.section	.text._Z39paged_attention_ll4mi_QKV_mfma16_kernelI14__hip_bfloat16S0_LN4vllm18Fp8KVCacheDataTypeE0EhLi32ELi64ELi256ELb0ELi4EEvPKT_PKT0_S8_ifPKiSA_SA_iPKfiiiPfSD_PS3_PT2_iSC_SC_,"axG",@progbits,_Z39paged_attention_ll4mi_QKV_mfma16_kernelI14__hip_bfloat16S0_LN4vllm18Fp8KVCacheDataTypeE0EhLi32ELi64ELi256ELb0ELi4EEvPKT_PKT0_S8_ifPKiSA_SA_iPKfiiiPfSD_PS3_PT2_iSC_SC_,comdat
	.protected	_Z39paged_attention_ll4mi_QKV_mfma16_kernelI14__hip_bfloat16S0_LN4vllm18Fp8KVCacheDataTypeE0EhLi32ELi64ELi256ELb0ELi4EEvPKT_PKT0_S8_ifPKiSA_SA_iPKfiiiPfSD_PS3_PT2_iSC_SC_ ; -- Begin function _Z39paged_attention_ll4mi_QKV_mfma16_kernelI14__hip_bfloat16S0_LN4vllm18Fp8KVCacheDataTypeE0EhLi32ELi64ELi256ELb0ELi4EEvPKT_PKT0_S8_ifPKiSA_SA_iPKfiiiPfSD_PS3_PT2_iSC_SC_
	.globl	_Z39paged_attention_ll4mi_QKV_mfma16_kernelI14__hip_bfloat16S0_LN4vllm18Fp8KVCacheDataTypeE0EhLi32ELi64ELi256ELb0ELi4EEvPKT_PKT0_S8_ifPKiSA_SA_iPKfiiiPfSD_PS3_PT2_iSC_SC_
	.p2align	8
	.type	_Z39paged_attention_ll4mi_QKV_mfma16_kernelI14__hip_bfloat16S0_LN4vllm18Fp8KVCacheDataTypeE0EhLi32ELi64ELi256ELb0ELi4EEvPKT_PKT0_S8_ifPKiSA_SA_iPKfiiiPfSD_PS3_PT2_iSC_SC_,@function
_Z39paged_attention_ll4mi_QKV_mfma16_kernelI14__hip_bfloat16S0_LN4vllm18Fp8KVCacheDataTypeE0EhLi32ELi64ELi256ELb0ELi4EEvPKT_PKT0_S8_ifPKiSA_SA_iPKfiiiPfSD_PS3_PT2_iSC_SC_: ; @_Z39paged_attention_ll4mi_QKV_mfma16_kernelI14__hip_bfloat16S0_LN4vllm18Fp8KVCacheDataTypeE0EhLi32ELi64ELi256ELb0ELi4EEvPKT_PKT0_S8_ifPKiSA_SA_iPKfiiiPfSD_PS3_PT2_iSC_SC_
; %bb.0:
	s_get_pc_i64 s[2:3]
	s_add_nc_u64 s[2:3], s[2:3], __PRETTY_FUNCTION__._Z39paged_attention_ll4mi_QKV_mfma16_kernelI14__hip_bfloat16S0_LN4vllm18Fp8KVCacheDataTypeE0EhLi32ELi64ELi256ELb0ELi4EEvPKT_PKT0_S8_ifPKiSA_SA_iPKfiiiPfSD_PS3_PT2_iSC_SC_@rel64+4
	s_delay_alu instid0(SALU_CYCLE_1)
	v_dual_mov_b32 v0, 0xbb3 :: v_dual_mov_b32 v1, s2
	v_mov_b32_e32 v2, s3
	s_add_nc_u64 s[8:9], s[0:1], 0x90
	s_get_pc_i64 s[0:1]
	s_add_nc_u64 s[0:1], s[0:1], __assert_fail@rel64+4
	s_mov_b32 s32, 0
	s_swap_pc_i64 s[30:31], s[0:1]
	.section	.rodata,"a",@progbits
	.p2align	6, 0x0
	.amdhsa_kernel _Z39paged_attention_ll4mi_QKV_mfma16_kernelI14__hip_bfloat16S0_LN4vllm18Fp8KVCacheDataTypeE0EhLi32ELi64ELi256ELb0ELi4EEvPKT_PKT0_S8_ifPKiSA_SA_iPKfiiiPfSD_PS3_PT2_iSC_SC_
		.amdhsa_group_segment_fixed_size 0
		.amdhsa_private_segment_fixed_size 64
		.amdhsa_kernarg_size 400
		.amdhsa_user_sgpr_count 2
		.amdhsa_user_sgpr_dispatch_ptr 0
		.amdhsa_user_sgpr_queue_ptr 0
		.amdhsa_user_sgpr_kernarg_segment_ptr 1
		.amdhsa_user_sgpr_dispatch_id 0
		.amdhsa_user_sgpr_kernarg_preload_length 0
		.amdhsa_user_sgpr_kernarg_preload_offset 0
		.amdhsa_user_sgpr_private_segment_size 0
		.amdhsa_wavefront_size32 1
		.amdhsa_uses_dynamic_stack 0
		.amdhsa_enable_private_segment 1
		.amdhsa_system_sgpr_workgroup_id_x 1
		.amdhsa_system_sgpr_workgroup_id_y 0
		.amdhsa_system_sgpr_workgroup_id_z 0
		.amdhsa_system_sgpr_workgroup_info 0
		.amdhsa_system_vgpr_workitem_id 0
		.amdhsa_next_free_vgpr 51
		.amdhsa_next_free_sgpr 34
		.amdhsa_named_barrier_count 0
		.amdhsa_reserve_vcc 1
		.amdhsa_float_round_mode_32 0
		.amdhsa_float_round_mode_16_64 0
		.amdhsa_float_denorm_mode_32 3
		.amdhsa_float_denorm_mode_16_64 3
		.amdhsa_fp16_overflow 0
		.amdhsa_memory_ordered 1
		.amdhsa_forward_progress 1
		.amdhsa_inst_pref_size 1
		.amdhsa_round_robin_scheduling 0
		.amdhsa_exception_fp_ieee_invalid_op 0
		.amdhsa_exception_fp_denorm_src 0
		.amdhsa_exception_fp_ieee_div_zero 0
		.amdhsa_exception_fp_ieee_overflow 0
		.amdhsa_exception_fp_ieee_underflow 0
		.amdhsa_exception_fp_ieee_inexact 0
		.amdhsa_exception_int_div_zero 0
	.end_amdhsa_kernel
	.section	.text._Z39paged_attention_ll4mi_QKV_mfma16_kernelI14__hip_bfloat16S0_LN4vllm18Fp8KVCacheDataTypeE0EhLi32ELi64ELi256ELb0ELi4EEvPKT_PKT0_S8_ifPKiSA_SA_iPKfiiiPfSD_PS3_PT2_iSC_SC_,"axG",@progbits,_Z39paged_attention_ll4mi_QKV_mfma16_kernelI14__hip_bfloat16S0_LN4vllm18Fp8KVCacheDataTypeE0EhLi32ELi64ELi256ELb0ELi4EEvPKT_PKT0_S8_ifPKiSA_SA_iPKfiiiPfSD_PS3_PT2_iSC_SC_,comdat
.Lfunc_end537:
	.size	_Z39paged_attention_ll4mi_QKV_mfma16_kernelI14__hip_bfloat16S0_LN4vllm18Fp8KVCacheDataTypeE0EhLi32ELi64ELi256ELb0ELi4EEvPKT_PKT0_S8_ifPKiSA_SA_iPKfiiiPfSD_PS3_PT2_iSC_SC_, .Lfunc_end537-_Z39paged_attention_ll4mi_QKV_mfma16_kernelI14__hip_bfloat16S0_LN4vllm18Fp8KVCacheDataTypeE0EhLi32ELi64ELi256ELb0ELi4EEvPKT_PKT0_S8_ifPKiSA_SA_iPKfiiiPfSD_PS3_PT2_iSC_SC_
                                        ; -- End function
	.set _Z39paged_attention_ll4mi_QKV_mfma16_kernelI14__hip_bfloat16S0_LN4vllm18Fp8KVCacheDataTypeE0EhLi32ELi64ELi256ELb0ELi4EEvPKT_PKT0_S8_ifPKiSA_SA_iPKfiiiPfSD_PS3_PT2_iSC_SC_.num_vgpr, max(3, .L__assert_fail.num_vgpr)
	.set _Z39paged_attention_ll4mi_QKV_mfma16_kernelI14__hip_bfloat16S0_LN4vllm18Fp8KVCacheDataTypeE0EhLi32ELi64ELi256ELb0ELi4EEvPKT_PKT0_S8_ifPKiSA_SA_iPKfiiiPfSD_PS3_PT2_iSC_SC_.num_agpr, max(0, .L__assert_fail.num_agpr)
	.set _Z39paged_attention_ll4mi_QKV_mfma16_kernelI14__hip_bfloat16S0_LN4vllm18Fp8KVCacheDataTypeE0EhLi32ELi64ELi256ELb0ELi4EEvPKT_PKT0_S8_ifPKiSA_SA_iPKfiiiPfSD_PS3_PT2_iSC_SC_.numbered_sgpr, max(33, .L__assert_fail.numbered_sgpr)
	.set _Z39paged_attention_ll4mi_QKV_mfma16_kernelI14__hip_bfloat16S0_LN4vllm18Fp8KVCacheDataTypeE0EhLi32ELi64ELi256ELb0ELi4EEvPKT_PKT0_S8_ifPKiSA_SA_iPKfiiiPfSD_PS3_PT2_iSC_SC_.num_named_barrier, max(0, .L__assert_fail.num_named_barrier)
	.set _Z39paged_attention_ll4mi_QKV_mfma16_kernelI14__hip_bfloat16S0_LN4vllm18Fp8KVCacheDataTypeE0EhLi32ELi64ELi256ELb0ELi4EEvPKT_PKT0_S8_ifPKiSA_SA_iPKfiiiPfSD_PS3_PT2_iSC_SC_.private_seg_size, 0+max(.L__assert_fail.private_seg_size)
	.set _Z39paged_attention_ll4mi_QKV_mfma16_kernelI14__hip_bfloat16S0_LN4vllm18Fp8KVCacheDataTypeE0EhLi32ELi64ELi256ELb0ELi4EEvPKT_PKT0_S8_ifPKiSA_SA_iPKfiiiPfSD_PS3_PT2_iSC_SC_.uses_vcc, or(1, .L__assert_fail.uses_vcc)
	.set _Z39paged_attention_ll4mi_QKV_mfma16_kernelI14__hip_bfloat16S0_LN4vllm18Fp8KVCacheDataTypeE0EhLi32ELi64ELi256ELb0ELi4EEvPKT_PKT0_S8_ifPKiSA_SA_iPKfiiiPfSD_PS3_PT2_iSC_SC_.uses_flat_scratch, or(0, .L__assert_fail.uses_flat_scratch)
	.set _Z39paged_attention_ll4mi_QKV_mfma16_kernelI14__hip_bfloat16S0_LN4vllm18Fp8KVCacheDataTypeE0EhLi32ELi64ELi256ELb0ELi4EEvPKT_PKT0_S8_ifPKiSA_SA_iPKfiiiPfSD_PS3_PT2_iSC_SC_.has_dyn_sized_stack, or(0, .L__assert_fail.has_dyn_sized_stack)
	.set _Z39paged_attention_ll4mi_QKV_mfma16_kernelI14__hip_bfloat16S0_LN4vllm18Fp8KVCacheDataTypeE0EhLi32ELi64ELi256ELb0ELi4EEvPKT_PKT0_S8_ifPKiSA_SA_iPKfiiiPfSD_PS3_PT2_iSC_SC_.has_recursion, or(0, .L__assert_fail.has_recursion)
	.set _Z39paged_attention_ll4mi_QKV_mfma16_kernelI14__hip_bfloat16S0_LN4vllm18Fp8KVCacheDataTypeE0EhLi32ELi64ELi256ELb0ELi4EEvPKT_PKT0_S8_ifPKiSA_SA_iPKfiiiPfSD_PS3_PT2_iSC_SC_.has_indirect_call, or(0, .L__assert_fail.has_indirect_call)
	.section	.AMDGPU.csdata,"",@progbits
; Kernel info:
; codeLenInByte = 68
; TotalNumSgprs: 36
; NumVgprs: 51
; ScratchSize: 64
; MemoryBound: 0
; FloatMode: 240
; IeeeMode: 1
; LDSByteSize: 0 bytes/workgroup (compile time only)
; SGPRBlocks: 0
; VGPRBlocks: 3
; NumSGPRsForWavesPerEU: 36
; NumVGPRsForWavesPerEU: 51
; NamedBarCnt: 0
; Occupancy: 16
; WaveLimiterHint : 1
; COMPUTE_PGM_RSRC2:SCRATCH_EN: 1
; COMPUTE_PGM_RSRC2:USER_SGPR: 2
; COMPUTE_PGM_RSRC2:TRAP_HANDLER: 0
; COMPUTE_PGM_RSRC2:TGID_X_EN: 1
; COMPUTE_PGM_RSRC2:TGID_Y_EN: 0
; COMPUTE_PGM_RSRC2:TGID_Z_EN: 0
; COMPUTE_PGM_RSRC2:TIDIG_COMP_CNT: 0
	.section	.text._Z38paged_attention_ll4mi_QKV_mfma4_kernelI14__hip_bfloat16S0_LN4vllm18Fp8KVCacheDataTypeE0ES0_Li32ELi64ELi256ELb1ELi1EEvPKT_PKT0_S8_ifPKiSA_SA_iPKfiiiPfSD_PS3_PT2_iSC_SC_,"axG",@progbits,_Z38paged_attention_ll4mi_QKV_mfma4_kernelI14__hip_bfloat16S0_LN4vllm18Fp8KVCacheDataTypeE0ES0_Li32ELi64ELi256ELb1ELi1EEvPKT_PKT0_S8_ifPKiSA_SA_iPKfiiiPfSD_PS3_PT2_iSC_SC_,comdat
	.protected	_Z38paged_attention_ll4mi_QKV_mfma4_kernelI14__hip_bfloat16S0_LN4vllm18Fp8KVCacheDataTypeE0ES0_Li32ELi64ELi256ELb1ELi1EEvPKT_PKT0_S8_ifPKiSA_SA_iPKfiiiPfSD_PS3_PT2_iSC_SC_ ; -- Begin function _Z38paged_attention_ll4mi_QKV_mfma4_kernelI14__hip_bfloat16S0_LN4vllm18Fp8KVCacheDataTypeE0ES0_Li32ELi64ELi256ELb1ELi1EEvPKT_PKT0_S8_ifPKiSA_SA_iPKfiiiPfSD_PS3_PT2_iSC_SC_
	.globl	_Z38paged_attention_ll4mi_QKV_mfma4_kernelI14__hip_bfloat16S0_LN4vllm18Fp8KVCacheDataTypeE0ES0_Li32ELi64ELi256ELb1ELi1EEvPKT_PKT0_S8_ifPKiSA_SA_iPKfiiiPfSD_PS3_PT2_iSC_SC_
	.p2align	8
	.type	_Z38paged_attention_ll4mi_QKV_mfma4_kernelI14__hip_bfloat16S0_LN4vllm18Fp8KVCacheDataTypeE0ES0_Li32ELi64ELi256ELb1ELi1EEvPKT_PKT0_S8_ifPKiSA_SA_iPKfiiiPfSD_PS3_PT2_iSC_SC_,@function
_Z38paged_attention_ll4mi_QKV_mfma4_kernelI14__hip_bfloat16S0_LN4vllm18Fp8KVCacheDataTypeE0ES0_Li32ELi64ELi256ELb1ELi1EEvPKT_PKT0_S8_ifPKiSA_SA_iPKfiiiPfSD_PS3_PT2_iSC_SC_: ; @_Z38paged_attention_ll4mi_QKV_mfma4_kernelI14__hip_bfloat16S0_LN4vllm18Fp8KVCacheDataTypeE0ES0_Li32ELi64ELi256ELb1ELi1EEvPKT_PKT0_S8_ifPKiSA_SA_iPKfiiiPfSD_PS3_PT2_iSC_SC_
; %bb.0:
	s_get_pc_i64 s[2:3]
	s_add_nc_u64 s[2:3], s[2:3], __PRETTY_FUNCTION__._Z38paged_attention_ll4mi_QKV_mfma4_kernelI14__hip_bfloat16S0_LN4vllm18Fp8KVCacheDataTypeE0ES0_Li32ELi64ELi256ELb1ELi1EEvPKT_PKT0_S8_ifPKiSA_SA_iPKfiiiPfSD_PS3_PT2_iSC_SC_@rel64+4
	s_delay_alu instid0(SALU_CYCLE_1)
	v_dual_mov_b32 v0, 0xbce :: v_dual_mov_b32 v1, s2
	v_mov_b32_e32 v2, s3
	s_add_nc_u64 s[8:9], s[0:1], 0x90
	s_get_pc_i64 s[0:1]
	s_add_nc_u64 s[0:1], s[0:1], __assert_fail@rel64+4
	s_mov_b32 s32, 0
	s_swap_pc_i64 s[30:31], s[0:1]
	.section	.rodata,"a",@progbits
	.p2align	6, 0x0
	.amdhsa_kernel _Z38paged_attention_ll4mi_QKV_mfma4_kernelI14__hip_bfloat16S0_LN4vllm18Fp8KVCacheDataTypeE0ES0_Li32ELi64ELi256ELb1ELi1EEvPKT_PKT0_S8_ifPKiSA_SA_iPKfiiiPfSD_PS3_PT2_iSC_SC_
		.amdhsa_group_segment_fixed_size 0
		.amdhsa_private_segment_fixed_size 64
		.amdhsa_kernarg_size 400
		.amdhsa_user_sgpr_count 2
		.amdhsa_user_sgpr_dispatch_ptr 0
		.amdhsa_user_sgpr_queue_ptr 0
		.amdhsa_user_sgpr_kernarg_segment_ptr 1
		.amdhsa_user_sgpr_dispatch_id 0
		.amdhsa_user_sgpr_kernarg_preload_length 0
		.amdhsa_user_sgpr_kernarg_preload_offset 0
		.amdhsa_user_sgpr_private_segment_size 0
		.amdhsa_wavefront_size32 1
		.amdhsa_uses_dynamic_stack 0
		.amdhsa_enable_private_segment 1
		.amdhsa_system_sgpr_workgroup_id_x 1
		.amdhsa_system_sgpr_workgroup_id_y 0
		.amdhsa_system_sgpr_workgroup_id_z 0
		.amdhsa_system_sgpr_workgroup_info 0
		.amdhsa_system_vgpr_workitem_id 0
		.amdhsa_next_free_vgpr 51
		.amdhsa_next_free_sgpr 34
		.amdhsa_named_barrier_count 0
		.amdhsa_reserve_vcc 1
		.amdhsa_float_round_mode_32 0
		.amdhsa_float_round_mode_16_64 0
		.amdhsa_float_denorm_mode_32 3
		.amdhsa_float_denorm_mode_16_64 3
		.amdhsa_fp16_overflow 0
		.amdhsa_memory_ordered 1
		.amdhsa_forward_progress 1
		.amdhsa_inst_pref_size 1
		.amdhsa_round_robin_scheduling 0
		.amdhsa_exception_fp_ieee_invalid_op 0
		.amdhsa_exception_fp_denorm_src 0
		.amdhsa_exception_fp_ieee_div_zero 0
		.amdhsa_exception_fp_ieee_overflow 0
		.amdhsa_exception_fp_ieee_underflow 0
		.amdhsa_exception_fp_ieee_inexact 0
		.amdhsa_exception_int_div_zero 0
	.end_amdhsa_kernel
	.section	.text._Z38paged_attention_ll4mi_QKV_mfma4_kernelI14__hip_bfloat16S0_LN4vllm18Fp8KVCacheDataTypeE0ES0_Li32ELi64ELi256ELb1ELi1EEvPKT_PKT0_S8_ifPKiSA_SA_iPKfiiiPfSD_PS3_PT2_iSC_SC_,"axG",@progbits,_Z38paged_attention_ll4mi_QKV_mfma4_kernelI14__hip_bfloat16S0_LN4vllm18Fp8KVCacheDataTypeE0ES0_Li32ELi64ELi256ELb1ELi1EEvPKT_PKT0_S8_ifPKiSA_SA_iPKfiiiPfSD_PS3_PT2_iSC_SC_,comdat
.Lfunc_end538:
	.size	_Z38paged_attention_ll4mi_QKV_mfma4_kernelI14__hip_bfloat16S0_LN4vllm18Fp8KVCacheDataTypeE0ES0_Li32ELi64ELi256ELb1ELi1EEvPKT_PKT0_S8_ifPKiSA_SA_iPKfiiiPfSD_PS3_PT2_iSC_SC_, .Lfunc_end538-_Z38paged_attention_ll4mi_QKV_mfma4_kernelI14__hip_bfloat16S0_LN4vllm18Fp8KVCacheDataTypeE0ES0_Li32ELi64ELi256ELb1ELi1EEvPKT_PKT0_S8_ifPKiSA_SA_iPKfiiiPfSD_PS3_PT2_iSC_SC_
                                        ; -- End function
	.set _Z38paged_attention_ll4mi_QKV_mfma4_kernelI14__hip_bfloat16S0_LN4vllm18Fp8KVCacheDataTypeE0ES0_Li32ELi64ELi256ELb1ELi1EEvPKT_PKT0_S8_ifPKiSA_SA_iPKfiiiPfSD_PS3_PT2_iSC_SC_.num_vgpr, max(3, .L__assert_fail.num_vgpr)
	.set _Z38paged_attention_ll4mi_QKV_mfma4_kernelI14__hip_bfloat16S0_LN4vllm18Fp8KVCacheDataTypeE0ES0_Li32ELi64ELi256ELb1ELi1EEvPKT_PKT0_S8_ifPKiSA_SA_iPKfiiiPfSD_PS3_PT2_iSC_SC_.num_agpr, max(0, .L__assert_fail.num_agpr)
	.set _Z38paged_attention_ll4mi_QKV_mfma4_kernelI14__hip_bfloat16S0_LN4vllm18Fp8KVCacheDataTypeE0ES0_Li32ELi64ELi256ELb1ELi1EEvPKT_PKT0_S8_ifPKiSA_SA_iPKfiiiPfSD_PS3_PT2_iSC_SC_.numbered_sgpr, max(33, .L__assert_fail.numbered_sgpr)
	.set _Z38paged_attention_ll4mi_QKV_mfma4_kernelI14__hip_bfloat16S0_LN4vllm18Fp8KVCacheDataTypeE0ES0_Li32ELi64ELi256ELb1ELi1EEvPKT_PKT0_S8_ifPKiSA_SA_iPKfiiiPfSD_PS3_PT2_iSC_SC_.num_named_barrier, max(0, .L__assert_fail.num_named_barrier)
	.set _Z38paged_attention_ll4mi_QKV_mfma4_kernelI14__hip_bfloat16S0_LN4vllm18Fp8KVCacheDataTypeE0ES0_Li32ELi64ELi256ELb1ELi1EEvPKT_PKT0_S8_ifPKiSA_SA_iPKfiiiPfSD_PS3_PT2_iSC_SC_.private_seg_size, 0+max(.L__assert_fail.private_seg_size)
	.set _Z38paged_attention_ll4mi_QKV_mfma4_kernelI14__hip_bfloat16S0_LN4vllm18Fp8KVCacheDataTypeE0ES0_Li32ELi64ELi256ELb1ELi1EEvPKT_PKT0_S8_ifPKiSA_SA_iPKfiiiPfSD_PS3_PT2_iSC_SC_.uses_vcc, or(1, .L__assert_fail.uses_vcc)
	.set _Z38paged_attention_ll4mi_QKV_mfma4_kernelI14__hip_bfloat16S0_LN4vllm18Fp8KVCacheDataTypeE0ES0_Li32ELi64ELi256ELb1ELi1EEvPKT_PKT0_S8_ifPKiSA_SA_iPKfiiiPfSD_PS3_PT2_iSC_SC_.uses_flat_scratch, or(0, .L__assert_fail.uses_flat_scratch)
	.set _Z38paged_attention_ll4mi_QKV_mfma4_kernelI14__hip_bfloat16S0_LN4vllm18Fp8KVCacheDataTypeE0ES0_Li32ELi64ELi256ELb1ELi1EEvPKT_PKT0_S8_ifPKiSA_SA_iPKfiiiPfSD_PS3_PT2_iSC_SC_.has_dyn_sized_stack, or(0, .L__assert_fail.has_dyn_sized_stack)
	.set _Z38paged_attention_ll4mi_QKV_mfma4_kernelI14__hip_bfloat16S0_LN4vllm18Fp8KVCacheDataTypeE0ES0_Li32ELi64ELi256ELb1ELi1EEvPKT_PKT0_S8_ifPKiSA_SA_iPKfiiiPfSD_PS3_PT2_iSC_SC_.has_recursion, or(0, .L__assert_fail.has_recursion)
	.set _Z38paged_attention_ll4mi_QKV_mfma4_kernelI14__hip_bfloat16S0_LN4vllm18Fp8KVCacheDataTypeE0ES0_Li32ELi64ELi256ELb1ELi1EEvPKT_PKT0_S8_ifPKiSA_SA_iPKfiiiPfSD_PS3_PT2_iSC_SC_.has_indirect_call, or(0, .L__assert_fail.has_indirect_call)
	.section	.AMDGPU.csdata,"",@progbits
; Kernel info:
; codeLenInByte = 68
; TotalNumSgprs: 36
; NumVgprs: 51
; ScratchSize: 64
; MemoryBound: 0
; FloatMode: 240
; IeeeMode: 1
; LDSByteSize: 0 bytes/workgroup (compile time only)
; SGPRBlocks: 0
; VGPRBlocks: 3
; NumSGPRsForWavesPerEU: 36
; NumVGPRsForWavesPerEU: 51
; NamedBarCnt: 0
; Occupancy: 16
; WaveLimiterHint : 1
; COMPUTE_PGM_RSRC2:SCRATCH_EN: 1
; COMPUTE_PGM_RSRC2:USER_SGPR: 2
; COMPUTE_PGM_RSRC2:TRAP_HANDLER: 0
; COMPUTE_PGM_RSRC2:TGID_X_EN: 1
; COMPUTE_PGM_RSRC2:TGID_Y_EN: 0
; COMPUTE_PGM_RSRC2:TGID_Z_EN: 0
; COMPUTE_PGM_RSRC2:TIDIG_COMP_CNT: 0
	.section	.text._Z38paged_attention_ll4mi_QKV_mfma4_kernelI14__hip_bfloat16S0_LN4vllm18Fp8KVCacheDataTypeE0ES0_Li32ELi64ELi256ELb1ELi2EEvPKT_PKT0_S8_ifPKiSA_SA_iPKfiiiPfSD_PS3_PT2_iSC_SC_,"axG",@progbits,_Z38paged_attention_ll4mi_QKV_mfma4_kernelI14__hip_bfloat16S0_LN4vllm18Fp8KVCacheDataTypeE0ES0_Li32ELi64ELi256ELb1ELi2EEvPKT_PKT0_S8_ifPKiSA_SA_iPKfiiiPfSD_PS3_PT2_iSC_SC_,comdat
	.protected	_Z38paged_attention_ll4mi_QKV_mfma4_kernelI14__hip_bfloat16S0_LN4vllm18Fp8KVCacheDataTypeE0ES0_Li32ELi64ELi256ELb1ELi2EEvPKT_PKT0_S8_ifPKiSA_SA_iPKfiiiPfSD_PS3_PT2_iSC_SC_ ; -- Begin function _Z38paged_attention_ll4mi_QKV_mfma4_kernelI14__hip_bfloat16S0_LN4vllm18Fp8KVCacheDataTypeE0ES0_Li32ELi64ELi256ELb1ELi2EEvPKT_PKT0_S8_ifPKiSA_SA_iPKfiiiPfSD_PS3_PT2_iSC_SC_
	.globl	_Z38paged_attention_ll4mi_QKV_mfma4_kernelI14__hip_bfloat16S0_LN4vllm18Fp8KVCacheDataTypeE0ES0_Li32ELi64ELi256ELb1ELi2EEvPKT_PKT0_S8_ifPKiSA_SA_iPKfiiiPfSD_PS3_PT2_iSC_SC_
	.p2align	8
	.type	_Z38paged_attention_ll4mi_QKV_mfma4_kernelI14__hip_bfloat16S0_LN4vllm18Fp8KVCacheDataTypeE0ES0_Li32ELi64ELi256ELb1ELi2EEvPKT_PKT0_S8_ifPKiSA_SA_iPKfiiiPfSD_PS3_PT2_iSC_SC_,@function
_Z38paged_attention_ll4mi_QKV_mfma4_kernelI14__hip_bfloat16S0_LN4vllm18Fp8KVCacheDataTypeE0ES0_Li32ELi64ELi256ELb1ELi2EEvPKT_PKT0_S8_ifPKiSA_SA_iPKfiiiPfSD_PS3_PT2_iSC_SC_: ; @_Z38paged_attention_ll4mi_QKV_mfma4_kernelI14__hip_bfloat16S0_LN4vllm18Fp8KVCacheDataTypeE0ES0_Li32ELi64ELi256ELb1ELi2EEvPKT_PKT0_S8_ifPKiSA_SA_iPKfiiiPfSD_PS3_PT2_iSC_SC_
; %bb.0:
	s_get_pc_i64 s[2:3]
	s_add_nc_u64 s[2:3], s[2:3], __PRETTY_FUNCTION__._Z38paged_attention_ll4mi_QKV_mfma4_kernelI14__hip_bfloat16S0_LN4vllm18Fp8KVCacheDataTypeE0ES0_Li32ELi64ELi256ELb1ELi2EEvPKT_PKT0_S8_ifPKiSA_SA_iPKfiiiPfSD_PS3_PT2_iSC_SC_@rel64+4
	s_delay_alu instid0(SALU_CYCLE_1)
	v_dual_mov_b32 v0, 0xbce :: v_dual_mov_b32 v1, s2
	v_mov_b32_e32 v2, s3
	s_add_nc_u64 s[8:9], s[0:1], 0x90
	s_get_pc_i64 s[0:1]
	s_add_nc_u64 s[0:1], s[0:1], __assert_fail@rel64+4
	s_mov_b32 s32, 0
	s_swap_pc_i64 s[30:31], s[0:1]
	.section	.rodata,"a",@progbits
	.p2align	6, 0x0
	.amdhsa_kernel _Z38paged_attention_ll4mi_QKV_mfma4_kernelI14__hip_bfloat16S0_LN4vllm18Fp8KVCacheDataTypeE0ES0_Li32ELi64ELi256ELb1ELi2EEvPKT_PKT0_S8_ifPKiSA_SA_iPKfiiiPfSD_PS3_PT2_iSC_SC_
		.amdhsa_group_segment_fixed_size 0
		.amdhsa_private_segment_fixed_size 64
		.amdhsa_kernarg_size 400
		.amdhsa_user_sgpr_count 2
		.amdhsa_user_sgpr_dispatch_ptr 0
		.amdhsa_user_sgpr_queue_ptr 0
		.amdhsa_user_sgpr_kernarg_segment_ptr 1
		.amdhsa_user_sgpr_dispatch_id 0
		.amdhsa_user_sgpr_kernarg_preload_length 0
		.amdhsa_user_sgpr_kernarg_preload_offset 0
		.amdhsa_user_sgpr_private_segment_size 0
		.amdhsa_wavefront_size32 1
		.amdhsa_uses_dynamic_stack 0
		.amdhsa_enable_private_segment 1
		.amdhsa_system_sgpr_workgroup_id_x 1
		.amdhsa_system_sgpr_workgroup_id_y 0
		.amdhsa_system_sgpr_workgroup_id_z 0
		.amdhsa_system_sgpr_workgroup_info 0
		.amdhsa_system_vgpr_workitem_id 0
		.amdhsa_next_free_vgpr 51
		.amdhsa_next_free_sgpr 34
		.amdhsa_named_barrier_count 0
		.amdhsa_reserve_vcc 1
		.amdhsa_float_round_mode_32 0
		.amdhsa_float_round_mode_16_64 0
		.amdhsa_float_denorm_mode_32 3
		.amdhsa_float_denorm_mode_16_64 3
		.amdhsa_fp16_overflow 0
		.amdhsa_memory_ordered 1
		.amdhsa_forward_progress 1
		.amdhsa_inst_pref_size 1
		.amdhsa_round_robin_scheduling 0
		.amdhsa_exception_fp_ieee_invalid_op 0
		.amdhsa_exception_fp_denorm_src 0
		.amdhsa_exception_fp_ieee_div_zero 0
		.amdhsa_exception_fp_ieee_overflow 0
		.amdhsa_exception_fp_ieee_underflow 0
		.amdhsa_exception_fp_ieee_inexact 0
		.amdhsa_exception_int_div_zero 0
	.end_amdhsa_kernel
	.section	.text._Z38paged_attention_ll4mi_QKV_mfma4_kernelI14__hip_bfloat16S0_LN4vllm18Fp8KVCacheDataTypeE0ES0_Li32ELi64ELi256ELb1ELi2EEvPKT_PKT0_S8_ifPKiSA_SA_iPKfiiiPfSD_PS3_PT2_iSC_SC_,"axG",@progbits,_Z38paged_attention_ll4mi_QKV_mfma4_kernelI14__hip_bfloat16S0_LN4vllm18Fp8KVCacheDataTypeE0ES0_Li32ELi64ELi256ELb1ELi2EEvPKT_PKT0_S8_ifPKiSA_SA_iPKfiiiPfSD_PS3_PT2_iSC_SC_,comdat
.Lfunc_end539:
	.size	_Z38paged_attention_ll4mi_QKV_mfma4_kernelI14__hip_bfloat16S0_LN4vllm18Fp8KVCacheDataTypeE0ES0_Li32ELi64ELi256ELb1ELi2EEvPKT_PKT0_S8_ifPKiSA_SA_iPKfiiiPfSD_PS3_PT2_iSC_SC_, .Lfunc_end539-_Z38paged_attention_ll4mi_QKV_mfma4_kernelI14__hip_bfloat16S0_LN4vllm18Fp8KVCacheDataTypeE0ES0_Li32ELi64ELi256ELb1ELi2EEvPKT_PKT0_S8_ifPKiSA_SA_iPKfiiiPfSD_PS3_PT2_iSC_SC_
                                        ; -- End function
	.set _Z38paged_attention_ll4mi_QKV_mfma4_kernelI14__hip_bfloat16S0_LN4vllm18Fp8KVCacheDataTypeE0ES0_Li32ELi64ELi256ELb1ELi2EEvPKT_PKT0_S8_ifPKiSA_SA_iPKfiiiPfSD_PS3_PT2_iSC_SC_.num_vgpr, max(3, .L__assert_fail.num_vgpr)
	.set _Z38paged_attention_ll4mi_QKV_mfma4_kernelI14__hip_bfloat16S0_LN4vllm18Fp8KVCacheDataTypeE0ES0_Li32ELi64ELi256ELb1ELi2EEvPKT_PKT0_S8_ifPKiSA_SA_iPKfiiiPfSD_PS3_PT2_iSC_SC_.num_agpr, max(0, .L__assert_fail.num_agpr)
	.set _Z38paged_attention_ll4mi_QKV_mfma4_kernelI14__hip_bfloat16S0_LN4vllm18Fp8KVCacheDataTypeE0ES0_Li32ELi64ELi256ELb1ELi2EEvPKT_PKT0_S8_ifPKiSA_SA_iPKfiiiPfSD_PS3_PT2_iSC_SC_.numbered_sgpr, max(33, .L__assert_fail.numbered_sgpr)
	.set _Z38paged_attention_ll4mi_QKV_mfma4_kernelI14__hip_bfloat16S0_LN4vllm18Fp8KVCacheDataTypeE0ES0_Li32ELi64ELi256ELb1ELi2EEvPKT_PKT0_S8_ifPKiSA_SA_iPKfiiiPfSD_PS3_PT2_iSC_SC_.num_named_barrier, max(0, .L__assert_fail.num_named_barrier)
	.set _Z38paged_attention_ll4mi_QKV_mfma4_kernelI14__hip_bfloat16S0_LN4vllm18Fp8KVCacheDataTypeE0ES0_Li32ELi64ELi256ELb1ELi2EEvPKT_PKT0_S8_ifPKiSA_SA_iPKfiiiPfSD_PS3_PT2_iSC_SC_.private_seg_size, 0+max(.L__assert_fail.private_seg_size)
	.set _Z38paged_attention_ll4mi_QKV_mfma4_kernelI14__hip_bfloat16S0_LN4vllm18Fp8KVCacheDataTypeE0ES0_Li32ELi64ELi256ELb1ELi2EEvPKT_PKT0_S8_ifPKiSA_SA_iPKfiiiPfSD_PS3_PT2_iSC_SC_.uses_vcc, or(1, .L__assert_fail.uses_vcc)
	.set _Z38paged_attention_ll4mi_QKV_mfma4_kernelI14__hip_bfloat16S0_LN4vllm18Fp8KVCacheDataTypeE0ES0_Li32ELi64ELi256ELb1ELi2EEvPKT_PKT0_S8_ifPKiSA_SA_iPKfiiiPfSD_PS3_PT2_iSC_SC_.uses_flat_scratch, or(0, .L__assert_fail.uses_flat_scratch)
	.set _Z38paged_attention_ll4mi_QKV_mfma4_kernelI14__hip_bfloat16S0_LN4vllm18Fp8KVCacheDataTypeE0ES0_Li32ELi64ELi256ELb1ELi2EEvPKT_PKT0_S8_ifPKiSA_SA_iPKfiiiPfSD_PS3_PT2_iSC_SC_.has_dyn_sized_stack, or(0, .L__assert_fail.has_dyn_sized_stack)
	.set _Z38paged_attention_ll4mi_QKV_mfma4_kernelI14__hip_bfloat16S0_LN4vllm18Fp8KVCacheDataTypeE0ES0_Li32ELi64ELi256ELb1ELi2EEvPKT_PKT0_S8_ifPKiSA_SA_iPKfiiiPfSD_PS3_PT2_iSC_SC_.has_recursion, or(0, .L__assert_fail.has_recursion)
	.set _Z38paged_attention_ll4mi_QKV_mfma4_kernelI14__hip_bfloat16S0_LN4vllm18Fp8KVCacheDataTypeE0ES0_Li32ELi64ELi256ELb1ELi2EEvPKT_PKT0_S8_ifPKiSA_SA_iPKfiiiPfSD_PS3_PT2_iSC_SC_.has_indirect_call, or(0, .L__assert_fail.has_indirect_call)
	.section	.AMDGPU.csdata,"",@progbits
; Kernel info:
; codeLenInByte = 68
; TotalNumSgprs: 36
; NumVgprs: 51
; ScratchSize: 64
; MemoryBound: 0
; FloatMode: 240
; IeeeMode: 1
; LDSByteSize: 0 bytes/workgroup (compile time only)
; SGPRBlocks: 0
; VGPRBlocks: 3
; NumSGPRsForWavesPerEU: 36
; NumVGPRsForWavesPerEU: 51
; NamedBarCnt: 0
; Occupancy: 16
; WaveLimiterHint : 1
; COMPUTE_PGM_RSRC2:SCRATCH_EN: 1
; COMPUTE_PGM_RSRC2:USER_SGPR: 2
; COMPUTE_PGM_RSRC2:TRAP_HANDLER: 0
; COMPUTE_PGM_RSRC2:TGID_X_EN: 1
; COMPUTE_PGM_RSRC2:TGID_Y_EN: 0
; COMPUTE_PGM_RSRC2:TGID_Z_EN: 0
; COMPUTE_PGM_RSRC2:TIDIG_COMP_CNT: 0
	.section	.text._Z38paged_attention_ll4mi_QKV_mfma4_kernelI14__hip_bfloat16S0_LN4vllm18Fp8KVCacheDataTypeE0ES0_Li32ELi64ELi256ELb1ELi3EEvPKT_PKT0_S8_ifPKiSA_SA_iPKfiiiPfSD_PS3_PT2_iSC_SC_,"axG",@progbits,_Z38paged_attention_ll4mi_QKV_mfma4_kernelI14__hip_bfloat16S0_LN4vllm18Fp8KVCacheDataTypeE0ES0_Li32ELi64ELi256ELb1ELi3EEvPKT_PKT0_S8_ifPKiSA_SA_iPKfiiiPfSD_PS3_PT2_iSC_SC_,comdat
	.protected	_Z38paged_attention_ll4mi_QKV_mfma4_kernelI14__hip_bfloat16S0_LN4vllm18Fp8KVCacheDataTypeE0ES0_Li32ELi64ELi256ELb1ELi3EEvPKT_PKT0_S8_ifPKiSA_SA_iPKfiiiPfSD_PS3_PT2_iSC_SC_ ; -- Begin function _Z38paged_attention_ll4mi_QKV_mfma4_kernelI14__hip_bfloat16S0_LN4vllm18Fp8KVCacheDataTypeE0ES0_Li32ELi64ELi256ELb1ELi3EEvPKT_PKT0_S8_ifPKiSA_SA_iPKfiiiPfSD_PS3_PT2_iSC_SC_
	.globl	_Z38paged_attention_ll4mi_QKV_mfma4_kernelI14__hip_bfloat16S0_LN4vllm18Fp8KVCacheDataTypeE0ES0_Li32ELi64ELi256ELb1ELi3EEvPKT_PKT0_S8_ifPKiSA_SA_iPKfiiiPfSD_PS3_PT2_iSC_SC_
	.p2align	8
	.type	_Z38paged_attention_ll4mi_QKV_mfma4_kernelI14__hip_bfloat16S0_LN4vllm18Fp8KVCacheDataTypeE0ES0_Li32ELi64ELi256ELb1ELi3EEvPKT_PKT0_S8_ifPKiSA_SA_iPKfiiiPfSD_PS3_PT2_iSC_SC_,@function
_Z38paged_attention_ll4mi_QKV_mfma4_kernelI14__hip_bfloat16S0_LN4vllm18Fp8KVCacheDataTypeE0ES0_Li32ELi64ELi256ELb1ELi3EEvPKT_PKT0_S8_ifPKiSA_SA_iPKfiiiPfSD_PS3_PT2_iSC_SC_: ; @_Z38paged_attention_ll4mi_QKV_mfma4_kernelI14__hip_bfloat16S0_LN4vllm18Fp8KVCacheDataTypeE0ES0_Li32ELi64ELi256ELb1ELi3EEvPKT_PKT0_S8_ifPKiSA_SA_iPKfiiiPfSD_PS3_PT2_iSC_SC_
; %bb.0:
	s_get_pc_i64 s[2:3]
	s_add_nc_u64 s[2:3], s[2:3], __PRETTY_FUNCTION__._Z38paged_attention_ll4mi_QKV_mfma4_kernelI14__hip_bfloat16S0_LN4vllm18Fp8KVCacheDataTypeE0ES0_Li32ELi64ELi256ELb1ELi3EEvPKT_PKT0_S8_ifPKiSA_SA_iPKfiiiPfSD_PS3_PT2_iSC_SC_@rel64+4
	s_delay_alu instid0(SALU_CYCLE_1)
	v_dual_mov_b32 v0, 0xbce :: v_dual_mov_b32 v1, s2
	v_mov_b32_e32 v2, s3
	s_add_nc_u64 s[8:9], s[0:1], 0x90
	s_get_pc_i64 s[0:1]
	s_add_nc_u64 s[0:1], s[0:1], __assert_fail@rel64+4
	s_mov_b32 s32, 0
	s_swap_pc_i64 s[30:31], s[0:1]
	.section	.rodata,"a",@progbits
	.p2align	6, 0x0
	.amdhsa_kernel _Z38paged_attention_ll4mi_QKV_mfma4_kernelI14__hip_bfloat16S0_LN4vllm18Fp8KVCacheDataTypeE0ES0_Li32ELi64ELi256ELb1ELi3EEvPKT_PKT0_S8_ifPKiSA_SA_iPKfiiiPfSD_PS3_PT2_iSC_SC_
		.amdhsa_group_segment_fixed_size 0
		.amdhsa_private_segment_fixed_size 64
		.amdhsa_kernarg_size 400
		.amdhsa_user_sgpr_count 2
		.amdhsa_user_sgpr_dispatch_ptr 0
		.amdhsa_user_sgpr_queue_ptr 0
		.amdhsa_user_sgpr_kernarg_segment_ptr 1
		.amdhsa_user_sgpr_dispatch_id 0
		.amdhsa_user_sgpr_kernarg_preload_length 0
		.amdhsa_user_sgpr_kernarg_preload_offset 0
		.amdhsa_user_sgpr_private_segment_size 0
		.amdhsa_wavefront_size32 1
		.amdhsa_uses_dynamic_stack 0
		.amdhsa_enable_private_segment 1
		.amdhsa_system_sgpr_workgroup_id_x 1
		.amdhsa_system_sgpr_workgroup_id_y 0
		.amdhsa_system_sgpr_workgroup_id_z 0
		.amdhsa_system_sgpr_workgroup_info 0
		.amdhsa_system_vgpr_workitem_id 0
		.amdhsa_next_free_vgpr 51
		.amdhsa_next_free_sgpr 34
		.amdhsa_named_barrier_count 0
		.amdhsa_reserve_vcc 1
		.amdhsa_float_round_mode_32 0
		.amdhsa_float_round_mode_16_64 0
		.amdhsa_float_denorm_mode_32 3
		.amdhsa_float_denorm_mode_16_64 3
		.amdhsa_fp16_overflow 0
		.amdhsa_memory_ordered 1
		.amdhsa_forward_progress 1
		.amdhsa_inst_pref_size 1
		.amdhsa_round_robin_scheduling 0
		.amdhsa_exception_fp_ieee_invalid_op 0
		.amdhsa_exception_fp_denorm_src 0
		.amdhsa_exception_fp_ieee_div_zero 0
		.amdhsa_exception_fp_ieee_overflow 0
		.amdhsa_exception_fp_ieee_underflow 0
		.amdhsa_exception_fp_ieee_inexact 0
		.amdhsa_exception_int_div_zero 0
	.end_amdhsa_kernel
	.section	.text._Z38paged_attention_ll4mi_QKV_mfma4_kernelI14__hip_bfloat16S0_LN4vllm18Fp8KVCacheDataTypeE0ES0_Li32ELi64ELi256ELb1ELi3EEvPKT_PKT0_S8_ifPKiSA_SA_iPKfiiiPfSD_PS3_PT2_iSC_SC_,"axG",@progbits,_Z38paged_attention_ll4mi_QKV_mfma4_kernelI14__hip_bfloat16S0_LN4vllm18Fp8KVCacheDataTypeE0ES0_Li32ELi64ELi256ELb1ELi3EEvPKT_PKT0_S8_ifPKiSA_SA_iPKfiiiPfSD_PS3_PT2_iSC_SC_,comdat
.Lfunc_end540:
	.size	_Z38paged_attention_ll4mi_QKV_mfma4_kernelI14__hip_bfloat16S0_LN4vllm18Fp8KVCacheDataTypeE0ES0_Li32ELi64ELi256ELb1ELi3EEvPKT_PKT0_S8_ifPKiSA_SA_iPKfiiiPfSD_PS3_PT2_iSC_SC_, .Lfunc_end540-_Z38paged_attention_ll4mi_QKV_mfma4_kernelI14__hip_bfloat16S0_LN4vllm18Fp8KVCacheDataTypeE0ES0_Li32ELi64ELi256ELb1ELi3EEvPKT_PKT0_S8_ifPKiSA_SA_iPKfiiiPfSD_PS3_PT2_iSC_SC_
                                        ; -- End function
	.set _Z38paged_attention_ll4mi_QKV_mfma4_kernelI14__hip_bfloat16S0_LN4vllm18Fp8KVCacheDataTypeE0ES0_Li32ELi64ELi256ELb1ELi3EEvPKT_PKT0_S8_ifPKiSA_SA_iPKfiiiPfSD_PS3_PT2_iSC_SC_.num_vgpr, max(3, .L__assert_fail.num_vgpr)
	.set _Z38paged_attention_ll4mi_QKV_mfma4_kernelI14__hip_bfloat16S0_LN4vllm18Fp8KVCacheDataTypeE0ES0_Li32ELi64ELi256ELb1ELi3EEvPKT_PKT0_S8_ifPKiSA_SA_iPKfiiiPfSD_PS3_PT2_iSC_SC_.num_agpr, max(0, .L__assert_fail.num_agpr)
	.set _Z38paged_attention_ll4mi_QKV_mfma4_kernelI14__hip_bfloat16S0_LN4vllm18Fp8KVCacheDataTypeE0ES0_Li32ELi64ELi256ELb1ELi3EEvPKT_PKT0_S8_ifPKiSA_SA_iPKfiiiPfSD_PS3_PT2_iSC_SC_.numbered_sgpr, max(33, .L__assert_fail.numbered_sgpr)
	.set _Z38paged_attention_ll4mi_QKV_mfma4_kernelI14__hip_bfloat16S0_LN4vllm18Fp8KVCacheDataTypeE0ES0_Li32ELi64ELi256ELb1ELi3EEvPKT_PKT0_S8_ifPKiSA_SA_iPKfiiiPfSD_PS3_PT2_iSC_SC_.num_named_barrier, max(0, .L__assert_fail.num_named_barrier)
	.set _Z38paged_attention_ll4mi_QKV_mfma4_kernelI14__hip_bfloat16S0_LN4vllm18Fp8KVCacheDataTypeE0ES0_Li32ELi64ELi256ELb1ELi3EEvPKT_PKT0_S8_ifPKiSA_SA_iPKfiiiPfSD_PS3_PT2_iSC_SC_.private_seg_size, 0+max(.L__assert_fail.private_seg_size)
	.set _Z38paged_attention_ll4mi_QKV_mfma4_kernelI14__hip_bfloat16S0_LN4vllm18Fp8KVCacheDataTypeE0ES0_Li32ELi64ELi256ELb1ELi3EEvPKT_PKT0_S8_ifPKiSA_SA_iPKfiiiPfSD_PS3_PT2_iSC_SC_.uses_vcc, or(1, .L__assert_fail.uses_vcc)
	.set _Z38paged_attention_ll4mi_QKV_mfma4_kernelI14__hip_bfloat16S0_LN4vllm18Fp8KVCacheDataTypeE0ES0_Li32ELi64ELi256ELb1ELi3EEvPKT_PKT0_S8_ifPKiSA_SA_iPKfiiiPfSD_PS3_PT2_iSC_SC_.uses_flat_scratch, or(0, .L__assert_fail.uses_flat_scratch)
	.set _Z38paged_attention_ll4mi_QKV_mfma4_kernelI14__hip_bfloat16S0_LN4vllm18Fp8KVCacheDataTypeE0ES0_Li32ELi64ELi256ELb1ELi3EEvPKT_PKT0_S8_ifPKiSA_SA_iPKfiiiPfSD_PS3_PT2_iSC_SC_.has_dyn_sized_stack, or(0, .L__assert_fail.has_dyn_sized_stack)
	.set _Z38paged_attention_ll4mi_QKV_mfma4_kernelI14__hip_bfloat16S0_LN4vllm18Fp8KVCacheDataTypeE0ES0_Li32ELi64ELi256ELb1ELi3EEvPKT_PKT0_S8_ifPKiSA_SA_iPKfiiiPfSD_PS3_PT2_iSC_SC_.has_recursion, or(0, .L__assert_fail.has_recursion)
	.set _Z38paged_attention_ll4mi_QKV_mfma4_kernelI14__hip_bfloat16S0_LN4vllm18Fp8KVCacheDataTypeE0ES0_Li32ELi64ELi256ELb1ELi3EEvPKT_PKT0_S8_ifPKiSA_SA_iPKfiiiPfSD_PS3_PT2_iSC_SC_.has_indirect_call, or(0, .L__assert_fail.has_indirect_call)
	.section	.AMDGPU.csdata,"",@progbits
; Kernel info:
; codeLenInByte = 68
; TotalNumSgprs: 36
; NumVgprs: 51
; ScratchSize: 64
; MemoryBound: 0
; FloatMode: 240
; IeeeMode: 1
; LDSByteSize: 0 bytes/workgroup (compile time only)
; SGPRBlocks: 0
; VGPRBlocks: 3
; NumSGPRsForWavesPerEU: 36
; NumVGPRsForWavesPerEU: 51
; NamedBarCnt: 0
; Occupancy: 16
; WaveLimiterHint : 1
; COMPUTE_PGM_RSRC2:SCRATCH_EN: 1
; COMPUTE_PGM_RSRC2:USER_SGPR: 2
; COMPUTE_PGM_RSRC2:TRAP_HANDLER: 0
; COMPUTE_PGM_RSRC2:TGID_X_EN: 1
; COMPUTE_PGM_RSRC2:TGID_Y_EN: 0
; COMPUTE_PGM_RSRC2:TGID_Z_EN: 0
; COMPUTE_PGM_RSRC2:TIDIG_COMP_CNT: 0
	.section	.text._Z38paged_attention_ll4mi_QKV_mfma4_kernelI14__hip_bfloat16S0_LN4vllm18Fp8KVCacheDataTypeE0ES0_Li32ELi64ELi256ELb1ELi4EEvPKT_PKT0_S8_ifPKiSA_SA_iPKfiiiPfSD_PS3_PT2_iSC_SC_,"axG",@progbits,_Z38paged_attention_ll4mi_QKV_mfma4_kernelI14__hip_bfloat16S0_LN4vllm18Fp8KVCacheDataTypeE0ES0_Li32ELi64ELi256ELb1ELi4EEvPKT_PKT0_S8_ifPKiSA_SA_iPKfiiiPfSD_PS3_PT2_iSC_SC_,comdat
	.protected	_Z38paged_attention_ll4mi_QKV_mfma4_kernelI14__hip_bfloat16S0_LN4vllm18Fp8KVCacheDataTypeE0ES0_Li32ELi64ELi256ELb1ELi4EEvPKT_PKT0_S8_ifPKiSA_SA_iPKfiiiPfSD_PS3_PT2_iSC_SC_ ; -- Begin function _Z38paged_attention_ll4mi_QKV_mfma4_kernelI14__hip_bfloat16S0_LN4vllm18Fp8KVCacheDataTypeE0ES0_Li32ELi64ELi256ELb1ELi4EEvPKT_PKT0_S8_ifPKiSA_SA_iPKfiiiPfSD_PS3_PT2_iSC_SC_
	.globl	_Z38paged_attention_ll4mi_QKV_mfma4_kernelI14__hip_bfloat16S0_LN4vllm18Fp8KVCacheDataTypeE0ES0_Li32ELi64ELi256ELb1ELi4EEvPKT_PKT0_S8_ifPKiSA_SA_iPKfiiiPfSD_PS3_PT2_iSC_SC_
	.p2align	8
	.type	_Z38paged_attention_ll4mi_QKV_mfma4_kernelI14__hip_bfloat16S0_LN4vllm18Fp8KVCacheDataTypeE0ES0_Li32ELi64ELi256ELb1ELi4EEvPKT_PKT0_S8_ifPKiSA_SA_iPKfiiiPfSD_PS3_PT2_iSC_SC_,@function
_Z38paged_attention_ll4mi_QKV_mfma4_kernelI14__hip_bfloat16S0_LN4vllm18Fp8KVCacheDataTypeE0ES0_Li32ELi64ELi256ELb1ELi4EEvPKT_PKT0_S8_ifPKiSA_SA_iPKfiiiPfSD_PS3_PT2_iSC_SC_: ; @_Z38paged_attention_ll4mi_QKV_mfma4_kernelI14__hip_bfloat16S0_LN4vllm18Fp8KVCacheDataTypeE0ES0_Li32ELi64ELi256ELb1ELi4EEvPKT_PKT0_S8_ifPKiSA_SA_iPKfiiiPfSD_PS3_PT2_iSC_SC_
; %bb.0:
	s_get_pc_i64 s[2:3]
	s_add_nc_u64 s[2:3], s[2:3], __PRETTY_FUNCTION__._Z38paged_attention_ll4mi_QKV_mfma4_kernelI14__hip_bfloat16S0_LN4vllm18Fp8KVCacheDataTypeE0ES0_Li32ELi64ELi256ELb1ELi4EEvPKT_PKT0_S8_ifPKiSA_SA_iPKfiiiPfSD_PS3_PT2_iSC_SC_@rel64+4
	s_delay_alu instid0(SALU_CYCLE_1)
	v_dual_mov_b32 v0, 0xbce :: v_dual_mov_b32 v1, s2
	v_mov_b32_e32 v2, s3
	s_add_nc_u64 s[8:9], s[0:1], 0x90
	s_get_pc_i64 s[0:1]
	s_add_nc_u64 s[0:1], s[0:1], __assert_fail@rel64+4
	s_mov_b32 s32, 0
	s_swap_pc_i64 s[30:31], s[0:1]
	.section	.rodata,"a",@progbits
	.p2align	6, 0x0
	.amdhsa_kernel _Z38paged_attention_ll4mi_QKV_mfma4_kernelI14__hip_bfloat16S0_LN4vllm18Fp8KVCacheDataTypeE0ES0_Li32ELi64ELi256ELb1ELi4EEvPKT_PKT0_S8_ifPKiSA_SA_iPKfiiiPfSD_PS3_PT2_iSC_SC_
		.amdhsa_group_segment_fixed_size 0
		.amdhsa_private_segment_fixed_size 64
		.amdhsa_kernarg_size 400
		.amdhsa_user_sgpr_count 2
		.amdhsa_user_sgpr_dispatch_ptr 0
		.amdhsa_user_sgpr_queue_ptr 0
		.amdhsa_user_sgpr_kernarg_segment_ptr 1
		.amdhsa_user_sgpr_dispatch_id 0
		.amdhsa_user_sgpr_kernarg_preload_length 0
		.amdhsa_user_sgpr_kernarg_preload_offset 0
		.amdhsa_user_sgpr_private_segment_size 0
		.amdhsa_wavefront_size32 1
		.amdhsa_uses_dynamic_stack 0
		.amdhsa_enable_private_segment 1
		.amdhsa_system_sgpr_workgroup_id_x 1
		.amdhsa_system_sgpr_workgroup_id_y 0
		.amdhsa_system_sgpr_workgroup_id_z 0
		.amdhsa_system_sgpr_workgroup_info 0
		.amdhsa_system_vgpr_workitem_id 0
		.amdhsa_next_free_vgpr 51
		.amdhsa_next_free_sgpr 34
		.amdhsa_named_barrier_count 0
		.amdhsa_reserve_vcc 1
		.amdhsa_float_round_mode_32 0
		.amdhsa_float_round_mode_16_64 0
		.amdhsa_float_denorm_mode_32 3
		.amdhsa_float_denorm_mode_16_64 3
		.amdhsa_fp16_overflow 0
		.amdhsa_memory_ordered 1
		.amdhsa_forward_progress 1
		.amdhsa_inst_pref_size 1
		.amdhsa_round_robin_scheduling 0
		.amdhsa_exception_fp_ieee_invalid_op 0
		.amdhsa_exception_fp_denorm_src 0
		.amdhsa_exception_fp_ieee_div_zero 0
		.amdhsa_exception_fp_ieee_overflow 0
		.amdhsa_exception_fp_ieee_underflow 0
		.amdhsa_exception_fp_ieee_inexact 0
		.amdhsa_exception_int_div_zero 0
	.end_amdhsa_kernel
	.section	.text._Z38paged_attention_ll4mi_QKV_mfma4_kernelI14__hip_bfloat16S0_LN4vllm18Fp8KVCacheDataTypeE0ES0_Li32ELi64ELi256ELb1ELi4EEvPKT_PKT0_S8_ifPKiSA_SA_iPKfiiiPfSD_PS3_PT2_iSC_SC_,"axG",@progbits,_Z38paged_attention_ll4mi_QKV_mfma4_kernelI14__hip_bfloat16S0_LN4vllm18Fp8KVCacheDataTypeE0ES0_Li32ELi64ELi256ELb1ELi4EEvPKT_PKT0_S8_ifPKiSA_SA_iPKfiiiPfSD_PS3_PT2_iSC_SC_,comdat
.Lfunc_end541:
	.size	_Z38paged_attention_ll4mi_QKV_mfma4_kernelI14__hip_bfloat16S0_LN4vllm18Fp8KVCacheDataTypeE0ES0_Li32ELi64ELi256ELb1ELi4EEvPKT_PKT0_S8_ifPKiSA_SA_iPKfiiiPfSD_PS3_PT2_iSC_SC_, .Lfunc_end541-_Z38paged_attention_ll4mi_QKV_mfma4_kernelI14__hip_bfloat16S0_LN4vllm18Fp8KVCacheDataTypeE0ES0_Li32ELi64ELi256ELb1ELi4EEvPKT_PKT0_S8_ifPKiSA_SA_iPKfiiiPfSD_PS3_PT2_iSC_SC_
                                        ; -- End function
	.set _Z38paged_attention_ll4mi_QKV_mfma4_kernelI14__hip_bfloat16S0_LN4vllm18Fp8KVCacheDataTypeE0ES0_Li32ELi64ELi256ELb1ELi4EEvPKT_PKT0_S8_ifPKiSA_SA_iPKfiiiPfSD_PS3_PT2_iSC_SC_.num_vgpr, max(3, .L__assert_fail.num_vgpr)
	.set _Z38paged_attention_ll4mi_QKV_mfma4_kernelI14__hip_bfloat16S0_LN4vllm18Fp8KVCacheDataTypeE0ES0_Li32ELi64ELi256ELb1ELi4EEvPKT_PKT0_S8_ifPKiSA_SA_iPKfiiiPfSD_PS3_PT2_iSC_SC_.num_agpr, max(0, .L__assert_fail.num_agpr)
	.set _Z38paged_attention_ll4mi_QKV_mfma4_kernelI14__hip_bfloat16S0_LN4vllm18Fp8KVCacheDataTypeE0ES0_Li32ELi64ELi256ELb1ELi4EEvPKT_PKT0_S8_ifPKiSA_SA_iPKfiiiPfSD_PS3_PT2_iSC_SC_.numbered_sgpr, max(33, .L__assert_fail.numbered_sgpr)
	.set _Z38paged_attention_ll4mi_QKV_mfma4_kernelI14__hip_bfloat16S0_LN4vllm18Fp8KVCacheDataTypeE0ES0_Li32ELi64ELi256ELb1ELi4EEvPKT_PKT0_S8_ifPKiSA_SA_iPKfiiiPfSD_PS3_PT2_iSC_SC_.num_named_barrier, max(0, .L__assert_fail.num_named_barrier)
	.set _Z38paged_attention_ll4mi_QKV_mfma4_kernelI14__hip_bfloat16S0_LN4vllm18Fp8KVCacheDataTypeE0ES0_Li32ELi64ELi256ELb1ELi4EEvPKT_PKT0_S8_ifPKiSA_SA_iPKfiiiPfSD_PS3_PT2_iSC_SC_.private_seg_size, 0+max(.L__assert_fail.private_seg_size)
	.set _Z38paged_attention_ll4mi_QKV_mfma4_kernelI14__hip_bfloat16S0_LN4vllm18Fp8KVCacheDataTypeE0ES0_Li32ELi64ELi256ELb1ELi4EEvPKT_PKT0_S8_ifPKiSA_SA_iPKfiiiPfSD_PS3_PT2_iSC_SC_.uses_vcc, or(1, .L__assert_fail.uses_vcc)
	.set _Z38paged_attention_ll4mi_QKV_mfma4_kernelI14__hip_bfloat16S0_LN4vllm18Fp8KVCacheDataTypeE0ES0_Li32ELi64ELi256ELb1ELi4EEvPKT_PKT0_S8_ifPKiSA_SA_iPKfiiiPfSD_PS3_PT2_iSC_SC_.uses_flat_scratch, or(0, .L__assert_fail.uses_flat_scratch)
	.set _Z38paged_attention_ll4mi_QKV_mfma4_kernelI14__hip_bfloat16S0_LN4vllm18Fp8KVCacheDataTypeE0ES0_Li32ELi64ELi256ELb1ELi4EEvPKT_PKT0_S8_ifPKiSA_SA_iPKfiiiPfSD_PS3_PT2_iSC_SC_.has_dyn_sized_stack, or(0, .L__assert_fail.has_dyn_sized_stack)
	.set _Z38paged_attention_ll4mi_QKV_mfma4_kernelI14__hip_bfloat16S0_LN4vllm18Fp8KVCacheDataTypeE0ES0_Li32ELi64ELi256ELb1ELi4EEvPKT_PKT0_S8_ifPKiSA_SA_iPKfiiiPfSD_PS3_PT2_iSC_SC_.has_recursion, or(0, .L__assert_fail.has_recursion)
	.set _Z38paged_attention_ll4mi_QKV_mfma4_kernelI14__hip_bfloat16S0_LN4vllm18Fp8KVCacheDataTypeE0ES0_Li32ELi64ELi256ELb1ELi4EEvPKT_PKT0_S8_ifPKiSA_SA_iPKfiiiPfSD_PS3_PT2_iSC_SC_.has_indirect_call, or(0, .L__assert_fail.has_indirect_call)
	.section	.AMDGPU.csdata,"",@progbits
; Kernel info:
; codeLenInByte = 68
; TotalNumSgprs: 36
; NumVgprs: 51
; ScratchSize: 64
; MemoryBound: 0
; FloatMode: 240
; IeeeMode: 1
; LDSByteSize: 0 bytes/workgroup (compile time only)
; SGPRBlocks: 0
; VGPRBlocks: 3
; NumSGPRsForWavesPerEU: 36
; NumVGPRsForWavesPerEU: 51
; NamedBarCnt: 0
; Occupancy: 16
; WaveLimiterHint : 1
; COMPUTE_PGM_RSRC2:SCRATCH_EN: 1
; COMPUTE_PGM_RSRC2:USER_SGPR: 2
; COMPUTE_PGM_RSRC2:TRAP_HANDLER: 0
; COMPUTE_PGM_RSRC2:TGID_X_EN: 1
; COMPUTE_PGM_RSRC2:TGID_Y_EN: 0
; COMPUTE_PGM_RSRC2:TGID_Z_EN: 0
; COMPUTE_PGM_RSRC2:TIDIG_COMP_CNT: 0
	.section	.text._Z39paged_attention_ll4mi_QKV_mfma16_kernelI14__hip_bfloat16S0_LN4vllm18Fp8KVCacheDataTypeE0ES0_Li32ELi64ELi256ELb1ELi5EEvPKT_PKT0_S8_ifPKiSA_SA_iPKfiiiPfSD_PS3_PT2_iSC_SC_,"axG",@progbits,_Z39paged_attention_ll4mi_QKV_mfma16_kernelI14__hip_bfloat16S0_LN4vllm18Fp8KVCacheDataTypeE0ES0_Li32ELi64ELi256ELb1ELi5EEvPKT_PKT0_S8_ifPKiSA_SA_iPKfiiiPfSD_PS3_PT2_iSC_SC_,comdat
	.protected	_Z39paged_attention_ll4mi_QKV_mfma16_kernelI14__hip_bfloat16S0_LN4vllm18Fp8KVCacheDataTypeE0ES0_Li32ELi64ELi256ELb1ELi5EEvPKT_PKT0_S8_ifPKiSA_SA_iPKfiiiPfSD_PS3_PT2_iSC_SC_ ; -- Begin function _Z39paged_attention_ll4mi_QKV_mfma16_kernelI14__hip_bfloat16S0_LN4vllm18Fp8KVCacheDataTypeE0ES0_Li32ELi64ELi256ELb1ELi5EEvPKT_PKT0_S8_ifPKiSA_SA_iPKfiiiPfSD_PS3_PT2_iSC_SC_
	.globl	_Z39paged_attention_ll4mi_QKV_mfma16_kernelI14__hip_bfloat16S0_LN4vllm18Fp8KVCacheDataTypeE0ES0_Li32ELi64ELi256ELb1ELi5EEvPKT_PKT0_S8_ifPKiSA_SA_iPKfiiiPfSD_PS3_PT2_iSC_SC_
	.p2align	8
	.type	_Z39paged_attention_ll4mi_QKV_mfma16_kernelI14__hip_bfloat16S0_LN4vllm18Fp8KVCacheDataTypeE0ES0_Li32ELi64ELi256ELb1ELi5EEvPKT_PKT0_S8_ifPKiSA_SA_iPKfiiiPfSD_PS3_PT2_iSC_SC_,@function
_Z39paged_attention_ll4mi_QKV_mfma16_kernelI14__hip_bfloat16S0_LN4vllm18Fp8KVCacheDataTypeE0ES0_Li32ELi64ELi256ELb1ELi5EEvPKT_PKT0_S8_ifPKiSA_SA_iPKfiiiPfSD_PS3_PT2_iSC_SC_: ; @_Z39paged_attention_ll4mi_QKV_mfma16_kernelI14__hip_bfloat16S0_LN4vllm18Fp8KVCacheDataTypeE0ES0_Li32ELi64ELi256ELb1ELi5EEvPKT_PKT0_S8_ifPKiSA_SA_iPKfiiiPfSD_PS3_PT2_iSC_SC_
; %bb.0:
	s_get_pc_i64 s[2:3]
	s_add_nc_u64 s[2:3], s[2:3], __PRETTY_FUNCTION__._Z39paged_attention_ll4mi_QKV_mfma16_kernelI14__hip_bfloat16S0_LN4vllm18Fp8KVCacheDataTypeE0ES0_Li32ELi64ELi256ELb1ELi5EEvPKT_PKT0_S8_ifPKiSA_SA_iPKfiiiPfSD_PS3_PT2_iSC_SC_@rel64+4
	s_delay_alu instid0(SALU_CYCLE_1)
	v_dual_mov_b32 v0, 0xbb3 :: v_dual_mov_b32 v1, s2
	v_mov_b32_e32 v2, s3
	s_add_nc_u64 s[8:9], s[0:1], 0x90
	s_get_pc_i64 s[0:1]
	s_add_nc_u64 s[0:1], s[0:1], __assert_fail@rel64+4
	s_mov_b32 s32, 0
	s_swap_pc_i64 s[30:31], s[0:1]
	.section	.rodata,"a",@progbits
	.p2align	6, 0x0
	.amdhsa_kernel _Z39paged_attention_ll4mi_QKV_mfma16_kernelI14__hip_bfloat16S0_LN4vllm18Fp8KVCacheDataTypeE0ES0_Li32ELi64ELi256ELb1ELi5EEvPKT_PKT0_S8_ifPKiSA_SA_iPKfiiiPfSD_PS3_PT2_iSC_SC_
		.amdhsa_group_segment_fixed_size 0
		.amdhsa_private_segment_fixed_size 64
		.amdhsa_kernarg_size 400
		.amdhsa_user_sgpr_count 2
		.amdhsa_user_sgpr_dispatch_ptr 0
		.amdhsa_user_sgpr_queue_ptr 0
		.amdhsa_user_sgpr_kernarg_segment_ptr 1
		.amdhsa_user_sgpr_dispatch_id 0
		.amdhsa_user_sgpr_kernarg_preload_length 0
		.amdhsa_user_sgpr_kernarg_preload_offset 0
		.amdhsa_user_sgpr_private_segment_size 0
		.amdhsa_wavefront_size32 1
		.amdhsa_uses_dynamic_stack 0
		.amdhsa_enable_private_segment 1
		.amdhsa_system_sgpr_workgroup_id_x 1
		.amdhsa_system_sgpr_workgroup_id_y 0
		.amdhsa_system_sgpr_workgroup_id_z 0
		.amdhsa_system_sgpr_workgroup_info 0
		.amdhsa_system_vgpr_workitem_id 0
		.amdhsa_next_free_vgpr 51
		.amdhsa_next_free_sgpr 34
		.amdhsa_named_barrier_count 0
		.amdhsa_reserve_vcc 1
		.amdhsa_float_round_mode_32 0
		.amdhsa_float_round_mode_16_64 0
		.amdhsa_float_denorm_mode_32 3
		.amdhsa_float_denorm_mode_16_64 3
		.amdhsa_fp16_overflow 0
		.amdhsa_memory_ordered 1
		.amdhsa_forward_progress 1
		.amdhsa_inst_pref_size 1
		.amdhsa_round_robin_scheduling 0
		.amdhsa_exception_fp_ieee_invalid_op 0
		.amdhsa_exception_fp_denorm_src 0
		.amdhsa_exception_fp_ieee_div_zero 0
		.amdhsa_exception_fp_ieee_overflow 0
		.amdhsa_exception_fp_ieee_underflow 0
		.amdhsa_exception_fp_ieee_inexact 0
		.amdhsa_exception_int_div_zero 0
	.end_amdhsa_kernel
	.section	.text._Z39paged_attention_ll4mi_QKV_mfma16_kernelI14__hip_bfloat16S0_LN4vllm18Fp8KVCacheDataTypeE0ES0_Li32ELi64ELi256ELb1ELi5EEvPKT_PKT0_S8_ifPKiSA_SA_iPKfiiiPfSD_PS3_PT2_iSC_SC_,"axG",@progbits,_Z39paged_attention_ll4mi_QKV_mfma16_kernelI14__hip_bfloat16S0_LN4vllm18Fp8KVCacheDataTypeE0ES0_Li32ELi64ELi256ELb1ELi5EEvPKT_PKT0_S8_ifPKiSA_SA_iPKfiiiPfSD_PS3_PT2_iSC_SC_,comdat
.Lfunc_end542:
	.size	_Z39paged_attention_ll4mi_QKV_mfma16_kernelI14__hip_bfloat16S0_LN4vllm18Fp8KVCacheDataTypeE0ES0_Li32ELi64ELi256ELb1ELi5EEvPKT_PKT0_S8_ifPKiSA_SA_iPKfiiiPfSD_PS3_PT2_iSC_SC_, .Lfunc_end542-_Z39paged_attention_ll4mi_QKV_mfma16_kernelI14__hip_bfloat16S0_LN4vllm18Fp8KVCacheDataTypeE0ES0_Li32ELi64ELi256ELb1ELi5EEvPKT_PKT0_S8_ifPKiSA_SA_iPKfiiiPfSD_PS3_PT2_iSC_SC_
                                        ; -- End function
	.set _Z39paged_attention_ll4mi_QKV_mfma16_kernelI14__hip_bfloat16S0_LN4vllm18Fp8KVCacheDataTypeE0ES0_Li32ELi64ELi256ELb1ELi5EEvPKT_PKT0_S8_ifPKiSA_SA_iPKfiiiPfSD_PS3_PT2_iSC_SC_.num_vgpr, max(3, .L__assert_fail.num_vgpr)
	.set _Z39paged_attention_ll4mi_QKV_mfma16_kernelI14__hip_bfloat16S0_LN4vllm18Fp8KVCacheDataTypeE0ES0_Li32ELi64ELi256ELb1ELi5EEvPKT_PKT0_S8_ifPKiSA_SA_iPKfiiiPfSD_PS3_PT2_iSC_SC_.num_agpr, max(0, .L__assert_fail.num_agpr)
	.set _Z39paged_attention_ll4mi_QKV_mfma16_kernelI14__hip_bfloat16S0_LN4vllm18Fp8KVCacheDataTypeE0ES0_Li32ELi64ELi256ELb1ELi5EEvPKT_PKT0_S8_ifPKiSA_SA_iPKfiiiPfSD_PS3_PT2_iSC_SC_.numbered_sgpr, max(33, .L__assert_fail.numbered_sgpr)
	.set _Z39paged_attention_ll4mi_QKV_mfma16_kernelI14__hip_bfloat16S0_LN4vllm18Fp8KVCacheDataTypeE0ES0_Li32ELi64ELi256ELb1ELi5EEvPKT_PKT0_S8_ifPKiSA_SA_iPKfiiiPfSD_PS3_PT2_iSC_SC_.num_named_barrier, max(0, .L__assert_fail.num_named_barrier)
	.set _Z39paged_attention_ll4mi_QKV_mfma16_kernelI14__hip_bfloat16S0_LN4vllm18Fp8KVCacheDataTypeE0ES0_Li32ELi64ELi256ELb1ELi5EEvPKT_PKT0_S8_ifPKiSA_SA_iPKfiiiPfSD_PS3_PT2_iSC_SC_.private_seg_size, 0+max(.L__assert_fail.private_seg_size)
	.set _Z39paged_attention_ll4mi_QKV_mfma16_kernelI14__hip_bfloat16S0_LN4vllm18Fp8KVCacheDataTypeE0ES0_Li32ELi64ELi256ELb1ELi5EEvPKT_PKT0_S8_ifPKiSA_SA_iPKfiiiPfSD_PS3_PT2_iSC_SC_.uses_vcc, or(1, .L__assert_fail.uses_vcc)
	.set _Z39paged_attention_ll4mi_QKV_mfma16_kernelI14__hip_bfloat16S0_LN4vllm18Fp8KVCacheDataTypeE0ES0_Li32ELi64ELi256ELb1ELi5EEvPKT_PKT0_S8_ifPKiSA_SA_iPKfiiiPfSD_PS3_PT2_iSC_SC_.uses_flat_scratch, or(0, .L__assert_fail.uses_flat_scratch)
	.set _Z39paged_attention_ll4mi_QKV_mfma16_kernelI14__hip_bfloat16S0_LN4vllm18Fp8KVCacheDataTypeE0ES0_Li32ELi64ELi256ELb1ELi5EEvPKT_PKT0_S8_ifPKiSA_SA_iPKfiiiPfSD_PS3_PT2_iSC_SC_.has_dyn_sized_stack, or(0, .L__assert_fail.has_dyn_sized_stack)
	.set _Z39paged_attention_ll4mi_QKV_mfma16_kernelI14__hip_bfloat16S0_LN4vllm18Fp8KVCacheDataTypeE0ES0_Li32ELi64ELi256ELb1ELi5EEvPKT_PKT0_S8_ifPKiSA_SA_iPKfiiiPfSD_PS3_PT2_iSC_SC_.has_recursion, or(0, .L__assert_fail.has_recursion)
	.set _Z39paged_attention_ll4mi_QKV_mfma16_kernelI14__hip_bfloat16S0_LN4vllm18Fp8KVCacheDataTypeE0ES0_Li32ELi64ELi256ELb1ELi5EEvPKT_PKT0_S8_ifPKiSA_SA_iPKfiiiPfSD_PS3_PT2_iSC_SC_.has_indirect_call, or(0, .L__assert_fail.has_indirect_call)
	.section	.AMDGPU.csdata,"",@progbits
; Kernel info:
; codeLenInByte = 68
; TotalNumSgprs: 36
; NumVgprs: 51
; ScratchSize: 64
; MemoryBound: 0
; FloatMode: 240
; IeeeMode: 1
; LDSByteSize: 0 bytes/workgroup (compile time only)
; SGPRBlocks: 0
; VGPRBlocks: 3
; NumSGPRsForWavesPerEU: 36
; NumVGPRsForWavesPerEU: 51
; NamedBarCnt: 0
; Occupancy: 16
; WaveLimiterHint : 1
; COMPUTE_PGM_RSRC2:SCRATCH_EN: 1
; COMPUTE_PGM_RSRC2:USER_SGPR: 2
; COMPUTE_PGM_RSRC2:TRAP_HANDLER: 0
; COMPUTE_PGM_RSRC2:TGID_X_EN: 1
; COMPUTE_PGM_RSRC2:TGID_Y_EN: 0
; COMPUTE_PGM_RSRC2:TGID_Z_EN: 0
; COMPUTE_PGM_RSRC2:TIDIG_COMP_CNT: 0
	.section	.text._Z39paged_attention_ll4mi_QKV_mfma16_kernelI14__hip_bfloat16S0_LN4vllm18Fp8KVCacheDataTypeE0ES0_Li32ELi64ELi256ELb1ELi6EEvPKT_PKT0_S8_ifPKiSA_SA_iPKfiiiPfSD_PS3_PT2_iSC_SC_,"axG",@progbits,_Z39paged_attention_ll4mi_QKV_mfma16_kernelI14__hip_bfloat16S0_LN4vllm18Fp8KVCacheDataTypeE0ES0_Li32ELi64ELi256ELb1ELi6EEvPKT_PKT0_S8_ifPKiSA_SA_iPKfiiiPfSD_PS3_PT2_iSC_SC_,comdat
	.protected	_Z39paged_attention_ll4mi_QKV_mfma16_kernelI14__hip_bfloat16S0_LN4vllm18Fp8KVCacheDataTypeE0ES0_Li32ELi64ELi256ELb1ELi6EEvPKT_PKT0_S8_ifPKiSA_SA_iPKfiiiPfSD_PS3_PT2_iSC_SC_ ; -- Begin function _Z39paged_attention_ll4mi_QKV_mfma16_kernelI14__hip_bfloat16S0_LN4vllm18Fp8KVCacheDataTypeE0ES0_Li32ELi64ELi256ELb1ELi6EEvPKT_PKT0_S8_ifPKiSA_SA_iPKfiiiPfSD_PS3_PT2_iSC_SC_
	.globl	_Z39paged_attention_ll4mi_QKV_mfma16_kernelI14__hip_bfloat16S0_LN4vllm18Fp8KVCacheDataTypeE0ES0_Li32ELi64ELi256ELb1ELi6EEvPKT_PKT0_S8_ifPKiSA_SA_iPKfiiiPfSD_PS3_PT2_iSC_SC_
	.p2align	8
	.type	_Z39paged_attention_ll4mi_QKV_mfma16_kernelI14__hip_bfloat16S0_LN4vllm18Fp8KVCacheDataTypeE0ES0_Li32ELi64ELi256ELb1ELi6EEvPKT_PKT0_S8_ifPKiSA_SA_iPKfiiiPfSD_PS3_PT2_iSC_SC_,@function
_Z39paged_attention_ll4mi_QKV_mfma16_kernelI14__hip_bfloat16S0_LN4vllm18Fp8KVCacheDataTypeE0ES0_Li32ELi64ELi256ELb1ELi6EEvPKT_PKT0_S8_ifPKiSA_SA_iPKfiiiPfSD_PS3_PT2_iSC_SC_: ; @_Z39paged_attention_ll4mi_QKV_mfma16_kernelI14__hip_bfloat16S0_LN4vllm18Fp8KVCacheDataTypeE0ES0_Li32ELi64ELi256ELb1ELi6EEvPKT_PKT0_S8_ifPKiSA_SA_iPKfiiiPfSD_PS3_PT2_iSC_SC_
; %bb.0:
	s_get_pc_i64 s[2:3]
	s_add_nc_u64 s[2:3], s[2:3], __PRETTY_FUNCTION__._Z39paged_attention_ll4mi_QKV_mfma16_kernelI14__hip_bfloat16S0_LN4vllm18Fp8KVCacheDataTypeE0ES0_Li32ELi64ELi256ELb1ELi6EEvPKT_PKT0_S8_ifPKiSA_SA_iPKfiiiPfSD_PS3_PT2_iSC_SC_@rel64+4
	s_delay_alu instid0(SALU_CYCLE_1)
	v_dual_mov_b32 v0, 0xbb3 :: v_dual_mov_b32 v1, s2
	v_mov_b32_e32 v2, s3
	s_add_nc_u64 s[8:9], s[0:1], 0x90
	s_get_pc_i64 s[0:1]
	s_add_nc_u64 s[0:1], s[0:1], __assert_fail@rel64+4
	s_mov_b32 s32, 0
	s_swap_pc_i64 s[30:31], s[0:1]
	.section	.rodata,"a",@progbits
	.p2align	6, 0x0
	.amdhsa_kernel _Z39paged_attention_ll4mi_QKV_mfma16_kernelI14__hip_bfloat16S0_LN4vllm18Fp8KVCacheDataTypeE0ES0_Li32ELi64ELi256ELb1ELi6EEvPKT_PKT0_S8_ifPKiSA_SA_iPKfiiiPfSD_PS3_PT2_iSC_SC_
		.amdhsa_group_segment_fixed_size 0
		.amdhsa_private_segment_fixed_size 64
		.amdhsa_kernarg_size 400
		.amdhsa_user_sgpr_count 2
		.amdhsa_user_sgpr_dispatch_ptr 0
		.amdhsa_user_sgpr_queue_ptr 0
		.amdhsa_user_sgpr_kernarg_segment_ptr 1
		.amdhsa_user_sgpr_dispatch_id 0
		.amdhsa_user_sgpr_kernarg_preload_length 0
		.amdhsa_user_sgpr_kernarg_preload_offset 0
		.amdhsa_user_sgpr_private_segment_size 0
		.amdhsa_wavefront_size32 1
		.amdhsa_uses_dynamic_stack 0
		.amdhsa_enable_private_segment 1
		.amdhsa_system_sgpr_workgroup_id_x 1
		.amdhsa_system_sgpr_workgroup_id_y 0
		.amdhsa_system_sgpr_workgroup_id_z 0
		.amdhsa_system_sgpr_workgroup_info 0
		.amdhsa_system_vgpr_workitem_id 0
		.amdhsa_next_free_vgpr 51
		.amdhsa_next_free_sgpr 34
		.amdhsa_named_barrier_count 0
		.amdhsa_reserve_vcc 1
		.amdhsa_float_round_mode_32 0
		.amdhsa_float_round_mode_16_64 0
		.amdhsa_float_denorm_mode_32 3
		.amdhsa_float_denorm_mode_16_64 3
		.amdhsa_fp16_overflow 0
		.amdhsa_memory_ordered 1
		.amdhsa_forward_progress 1
		.amdhsa_inst_pref_size 1
		.amdhsa_round_robin_scheduling 0
		.amdhsa_exception_fp_ieee_invalid_op 0
		.amdhsa_exception_fp_denorm_src 0
		.amdhsa_exception_fp_ieee_div_zero 0
		.amdhsa_exception_fp_ieee_overflow 0
		.amdhsa_exception_fp_ieee_underflow 0
		.amdhsa_exception_fp_ieee_inexact 0
		.amdhsa_exception_int_div_zero 0
	.end_amdhsa_kernel
	.section	.text._Z39paged_attention_ll4mi_QKV_mfma16_kernelI14__hip_bfloat16S0_LN4vllm18Fp8KVCacheDataTypeE0ES0_Li32ELi64ELi256ELb1ELi6EEvPKT_PKT0_S8_ifPKiSA_SA_iPKfiiiPfSD_PS3_PT2_iSC_SC_,"axG",@progbits,_Z39paged_attention_ll4mi_QKV_mfma16_kernelI14__hip_bfloat16S0_LN4vllm18Fp8KVCacheDataTypeE0ES0_Li32ELi64ELi256ELb1ELi6EEvPKT_PKT0_S8_ifPKiSA_SA_iPKfiiiPfSD_PS3_PT2_iSC_SC_,comdat
.Lfunc_end543:
	.size	_Z39paged_attention_ll4mi_QKV_mfma16_kernelI14__hip_bfloat16S0_LN4vllm18Fp8KVCacheDataTypeE0ES0_Li32ELi64ELi256ELb1ELi6EEvPKT_PKT0_S8_ifPKiSA_SA_iPKfiiiPfSD_PS3_PT2_iSC_SC_, .Lfunc_end543-_Z39paged_attention_ll4mi_QKV_mfma16_kernelI14__hip_bfloat16S0_LN4vllm18Fp8KVCacheDataTypeE0ES0_Li32ELi64ELi256ELb1ELi6EEvPKT_PKT0_S8_ifPKiSA_SA_iPKfiiiPfSD_PS3_PT2_iSC_SC_
                                        ; -- End function
	.set _Z39paged_attention_ll4mi_QKV_mfma16_kernelI14__hip_bfloat16S0_LN4vllm18Fp8KVCacheDataTypeE0ES0_Li32ELi64ELi256ELb1ELi6EEvPKT_PKT0_S8_ifPKiSA_SA_iPKfiiiPfSD_PS3_PT2_iSC_SC_.num_vgpr, max(3, .L__assert_fail.num_vgpr)
	.set _Z39paged_attention_ll4mi_QKV_mfma16_kernelI14__hip_bfloat16S0_LN4vllm18Fp8KVCacheDataTypeE0ES0_Li32ELi64ELi256ELb1ELi6EEvPKT_PKT0_S8_ifPKiSA_SA_iPKfiiiPfSD_PS3_PT2_iSC_SC_.num_agpr, max(0, .L__assert_fail.num_agpr)
	.set _Z39paged_attention_ll4mi_QKV_mfma16_kernelI14__hip_bfloat16S0_LN4vllm18Fp8KVCacheDataTypeE0ES0_Li32ELi64ELi256ELb1ELi6EEvPKT_PKT0_S8_ifPKiSA_SA_iPKfiiiPfSD_PS3_PT2_iSC_SC_.numbered_sgpr, max(33, .L__assert_fail.numbered_sgpr)
	.set _Z39paged_attention_ll4mi_QKV_mfma16_kernelI14__hip_bfloat16S0_LN4vllm18Fp8KVCacheDataTypeE0ES0_Li32ELi64ELi256ELb1ELi6EEvPKT_PKT0_S8_ifPKiSA_SA_iPKfiiiPfSD_PS3_PT2_iSC_SC_.num_named_barrier, max(0, .L__assert_fail.num_named_barrier)
	.set _Z39paged_attention_ll4mi_QKV_mfma16_kernelI14__hip_bfloat16S0_LN4vllm18Fp8KVCacheDataTypeE0ES0_Li32ELi64ELi256ELb1ELi6EEvPKT_PKT0_S8_ifPKiSA_SA_iPKfiiiPfSD_PS3_PT2_iSC_SC_.private_seg_size, 0+max(.L__assert_fail.private_seg_size)
	.set _Z39paged_attention_ll4mi_QKV_mfma16_kernelI14__hip_bfloat16S0_LN4vllm18Fp8KVCacheDataTypeE0ES0_Li32ELi64ELi256ELb1ELi6EEvPKT_PKT0_S8_ifPKiSA_SA_iPKfiiiPfSD_PS3_PT2_iSC_SC_.uses_vcc, or(1, .L__assert_fail.uses_vcc)
	.set _Z39paged_attention_ll4mi_QKV_mfma16_kernelI14__hip_bfloat16S0_LN4vllm18Fp8KVCacheDataTypeE0ES0_Li32ELi64ELi256ELb1ELi6EEvPKT_PKT0_S8_ifPKiSA_SA_iPKfiiiPfSD_PS3_PT2_iSC_SC_.uses_flat_scratch, or(0, .L__assert_fail.uses_flat_scratch)
	.set _Z39paged_attention_ll4mi_QKV_mfma16_kernelI14__hip_bfloat16S0_LN4vllm18Fp8KVCacheDataTypeE0ES0_Li32ELi64ELi256ELb1ELi6EEvPKT_PKT0_S8_ifPKiSA_SA_iPKfiiiPfSD_PS3_PT2_iSC_SC_.has_dyn_sized_stack, or(0, .L__assert_fail.has_dyn_sized_stack)
	.set _Z39paged_attention_ll4mi_QKV_mfma16_kernelI14__hip_bfloat16S0_LN4vllm18Fp8KVCacheDataTypeE0ES0_Li32ELi64ELi256ELb1ELi6EEvPKT_PKT0_S8_ifPKiSA_SA_iPKfiiiPfSD_PS3_PT2_iSC_SC_.has_recursion, or(0, .L__assert_fail.has_recursion)
	.set _Z39paged_attention_ll4mi_QKV_mfma16_kernelI14__hip_bfloat16S0_LN4vllm18Fp8KVCacheDataTypeE0ES0_Li32ELi64ELi256ELb1ELi6EEvPKT_PKT0_S8_ifPKiSA_SA_iPKfiiiPfSD_PS3_PT2_iSC_SC_.has_indirect_call, or(0, .L__assert_fail.has_indirect_call)
	.section	.AMDGPU.csdata,"",@progbits
; Kernel info:
; codeLenInByte = 68
; TotalNumSgprs: 36
; NumVgprs: 51
; ScratchSize: 64
; MemoryBound: 0
; FloatMode: 240
; IeeeMode: 1
; LDSByteSize: 0 bytes/workgroup (compile time only)
; SGPRBlocks: 0
; VGPRBlocks: 3
; NumSGPRsForWavesPerEU: 36
; NumVGPRsForWavesPerEU: 51
; NamedBarCnt: 0
; Occupancy: 16
; WaveLimiterHint : 1
; COMPUTE_PGM_RSRC2:SCRATCH_EN: 1
; COMPUTE_PGM_RSRC2:USER_SGPR: 2
; COMPUTE_PGM_RSRC2:TRAP_HANDLER: 0
; COMPUTE_PGM_RSRC2:TGID_X_EN: 1
; COMPUTE_PGM_RSRC2:TGID_Y_EN: 0
; COMPUTE_PGM_RSRC2:TGID_Z_EN: 0
; COMPUTE_PGM_RSRC2:TIDIG_COMP_CNT: 0
	.section	.text._Z39paged_attention_ll4mi_QKV_mfma16_kernelI14__hip_bfloat16S0_LN4vllm18Fp8KVCacheDataTypeE0ES0_Li32ELi64ELi256ELb1ELi7EEvPKT_PKT0_S8_ifPKiSA_SA_iPKfiiiPfSD_PS3_PT2_iSC_SC_,"axG",@progbits,_Z39paged_attention_ll4mi_QKV_mfma16_kernelI14__hip_bfloat16S0_LN4vllm18Fp8KVCacheDataTypeE0ES0_Li32ELi64ELi256ELb1ELi7EEvPKT_PKT0_S8_ifPKiSA_SA_iPKfiiiPfSD_PS3_PT2_iSC_SC_,comdat
	.protected	_Z39paged_attention_ll4mi_QKV_mfma16_kernelI14__hip_bfloat16S0_LN4vllm18Fp8KVCacheDataTypeE0ES0_Li32ELi64ELi256ELb1ELi7EEvPKT_PKT0_S8_ifPKiSA_SA_iPKfiiiPfSD_PS3_PT2_iSC_SC_ ; -- Begin function _Z39paged_attention_ll4mi_QKV_mfma16_kernelI14__hip_bfloat16S0_LN4vllm18Fp8KVCacheDataTypeE0ES0_Li32ELi64ELi256ELb1ELi7EEvPKT_PKT0_S8_ifPKiSA_SA_iPKfiiiPfSD_PS3_PT2_iSC_SC_
	.globl	_Z39paged_attention_ll4mi_QKV_mfma16_kernelI14__hip_bfloat16S0_LN4vllm18Fp8KVCacheDataTypeE0ES0_Li32ELi64ELi256ELb1ELi7EEvPKT_PKT0_S8_ifPKiSA_SA_iPKfiiiPfSD_PS3_PT2_iSC_SC_
	.p2align	8
	.type	_Z39paged_attention_ll4mi_QKV_mfma16_kernelI14__hip_bfloat16S0_LN4vllm18Fp8KVCacheDataTypeE0ES0_Li32ELi64ELi256ELb1ELi7EEvPKT_PKT0_S8_ifPKiSA_SA_iPKfiiiPfSD_PS3_PT2_iSC_SC_,@function
_Z39paged_attention_ll4mi_QKV_mfma16_kernelI14__hip_bfloat16S0_LN4vllm18Fp8KVCacheDataTypeE0ES0_Li32ELi64ELi256ELb1ELi7EEvPKT_PKT0_S8_ifPKiSA_SA_iPKfiiiPfSD_PS3_PT2_iSC_SC_: ; @_Z39paged_attention_ll4mi_QKV_mfma16_kernelI14__hip_bfloat16S0_LN4vllm18Fp8KVCacheDataTypeE0ES0_Li32ELi64ELi256ELb1ELi7EEvPKT_PKT0_S8_ifPKiSA_SA_iPKfiiiPfSD_PS3_PT2_iSC_SC_
; %bb.0:
	s_get_pc_i64 s[2:3]
	s_add_nc_u64 s[2:3], s[2:3], __PRETTY_FUNCTION__._Z39paged_attention_ll4mi_QKV_mfma16_kernelI14__hip_bfloat16S0_LN4vllm18Fp8KVCacheDataTypeE0ES0_Li32ELi64ELi256ELb1ELi7EEvPKT_PKT0_S8_ifPKiSA_SA_iPKfiiiPfSD_PS3_PT2_iSC_SC_@rel64+4
	s_delay_alu instid0(SALU_CYCLE_1)
	v_dual_mov_b32 v0, 0xbb3 :: v_dual_mov_b32 v1, s2
	v_mov_b32_e32 v2, s3
	s_add_nc_u64 s[8:9], s[0:1], 0x90
	s_get_pc_i64 s[0:1]
	s_add_nc_u64 s[0:1], s[0:1], __assert_fail@rel64+4
	s_mov_b32 s32, 0
	s_swap_pc_i64 s[30:31], s[0:1]
	.section	.rodata,"a",@progbits
	.p2align	6, 0x0
	.amdhsa_kernel _Z39paged_attention_ll4mi_QKV_mfma16_kernelI14__hip_bfloat16S0_LN4vllm18Fp8KVCacheDataTypeE0ES0_Li32ELi64ELi256ELb1ELi7EEvPKT_PKT0_S8_ifPKiSA_SA_iPKfiiiPfSD_PS3_PT2_iSC_SC_
		.amdhsa_group_segment_fixed_size 0
		.amdhsa_private_segment_fixed_size 64
		.amdhsa_kernarg_size 400
		.amdhsa_user_sgpr_count 2
		.amdhsa_user_sgpr_dispatch_ptr 0
		.amdhsa_user_sgpr_queue_ptr 0
		.amdhsa_user_sgpr_kernarg_segment_ptr 1
		.amdhsa_user_sgpr_dispatch_id 0
		.amdhsa_user_sgpr_kernarg_preload_length 0
		.amdhsa_user_sgpr_kernarg_preload_offset 0
		.amdhsa_user_sgpr_private_segment_size 0
		.amdhsa_wavefront_size32 1
		.amdhsa_uses_dynamic_stack 0
		.amdhsa_enable_private_segment 1
		.amdhsa_system_sgpr_workgroup_id_x 1
		.amdhsa_system_sgpr_workgroup_id_y 0
		.amdhsa_system_sgpr_workgroup_id_z 0
		.amdhsa_system_sgpr_workgroup_info 0
		.amdhsa_system_vgpr_workitem_id 0
		.amdhsa_next_free_vgpr 51
		.amdhsa_next_free_sgpr 34
		.amdhsa_named_barrier_count 0
		.amdhsa_reserve_vcc 1
		.amdhsa_float_round_mode_32 0
		.amdhsa_float_round_mode_16_64 0
		.amdhsa_float_denorm_mode_32 3
		.amdhsa_float_denorm_mode_16_64 3
		.amdhsa_fp16_overflow 0
		.amdhsa_memory_ordered 1
		.amdhsa_forward_progress 1
		.amdhsa_inst_pref_size 1
		.amdhsa_round_robin_scheduling 0
		.amdhsa_exception_fp_ieee_invalid_op 0
		.amdhsa_exception_fp_denorm_src 0
		.amdhsa_exception_fp_ieee_div_zero 0
		.amdhsa_exception_fp_ieee_overflow 0
		.amdhsa_exception_fp_ieee_underflow 0
		.amdhsa_exception_fp_ieee_inexact 0
		.amdhsa_exception_int_div_zero 0
	.end_amdhsa_kernel
	.section	.text._Z39paged_attention_ll4mi_QKV_mfma16_kernelI14__hip_bfloat16S0_LN4vllm18Fp8KVCacheDataTypeE0ES0_Li32ELi64ELi256ELb1ELi7EEvPKT_PKT0_S8_ifPKiSA_SA_iPKfiiiPfSD_PS3_PT2_iSC_SC_,"axG",@progbits,_Z39paged_attention_ll4mi_QKV_mfma16_kernelI14__hip_bfloat16S0_LN4vllm18Fp8KVCacheDataTypeE0ES0_Li32ELi64ELi256ELb1ELi7EEvPKT_PKT0_S8_ifPKiSA_SA_iPKfiiiPfSD_PS3_PT2_iSC_SC_,comdat
.Lfunc_end544:
	.size	_Z39paged_attention_ll4mi_QKV_mfma16_kernelI14__hip_bfloat16S0_LN4vllm18Fp8KVCacheDataTypeE0ES0_Li32ELi64ELi256ELb1ELi7EEvPKT_PKT0_S8_ifPKiSA_SA_iPKfiiiPfSD_PS3_PT2_iSC_SC_, .Lfunc_end544-_Z39paged_attention_ll4mi_QKV_mfma16_kernelI14__hip_bfloat16S0_LN4vllm18Fp8KVCacheDataTypeE0ES0_Li32ELi64ELi256ELb1ELi7EEvPKT_PKT0_S8_ifPKiSA_SA_iPKfiiiPfSD_PS3_PT2_iSC_SC_
                                        ; -- End function
	.set _Z39paged_attention_ll4mi_QKV_mfma16_kernelI14__hip_bfloat16S0_LN4vllm18Fp8KVCacheDataTypeE0ES0_Li32ELi64ELi256ELb1ELi7EEvPKT_PKT0_S8_ifPKiSA_SA_iPKfiiiPfSD_PS3_PT2_iSC_SC_.num_vgpr, max(3, .L__assert_fail.num_vgpr)
	.set _Z39paged_attention_ll4mi_QKV_mfma16_kernelI14__hip_bfloat16S0_LN4vllm18Fp8KVCacheDataTypeE0ES0_Li32ELi64ELi256ELb1ELi7EEvPKT_PKT0_S8_ifPKiSA_SA_iPKfiiiPfSD_PS3_PT2_iSC_SC_.num_agpr, max(0, .L__assert_fail.num_agpr)
	.set _Z39paged_attention_ll4mi_QKV_mfma16_kernelI14__hip_bfloat16S0_LN4vllm18Fp8KVCacheDataTypeE0ES0_Li32ELi64ELi256ELb1ELi7EEvPKT_PKT0_S8_ifPKiSA_SA_iPKfiiiPfSD_PS3_PT2_iSC_SC_.numbered_sgpr, max(33, .L__assert_fail.numbered_sgpr)
	.set _Z39paged_attention_ll4mi_QKV_mfma16_kernelI14__hip_bfloat16S0_LN4vllm18Fp8KVCacheDataTypeE0ES0_Li32ELi64ELi256ELb1ELi7EEvPKT_PKT0_S8_ifPKiSA_SA_iPKfiiiPfSD_PS3_PT2_iSC_SC_.num_named_barrier, max(0, .L__assert_fail.num_named_barrier)
	.set _Z39paged_attention_ll4mi_QKV_mfma16_kernelI14__hip_bfloat16S0_LN4vllm18Fp8KVCacheDataTypeE0ES0_Li32ELi64ELi256ELb1ELi7EEvPKT_PKT0_S8_ifPKiSA_SA_iPKfiiiPfSD_PS3_PT2_iSC_SC_.private_seg_size, 0+max(.L__assert_fail.private_seg_size)
	.set _Z39paged_attention_ll4mi_QKV_mfma16_kernelI14__hip_bfloat16S0_LN4vllm18Fp8KVCacheDataTypeE0ES0_Li32ELi64ELi256ELb1ELi7EEvPKT_PKT0_S8_ifPKiSA_SA_iPKfiiiPfSD_PS3_PT2_iSC_SC_.uses_vcc, or(1, .L__assert_fail.uses_vcc)
	.set _Z39paged_attention_ll4mi_QKV_mfma16_kernelI14__hip_bfloat16S0_LN4vllm18Fp8KVCacheDataTypeE0ES0_Li32ELi64ELi256ELb1ELi7EEvPKT_PKT0_S8_ifPKiSA_SA_iPKfiiiPfSD_PS3_PT2_iSC_SC_.uses_flat_scratch, or(0, .L__assert_fail.uses_flat_scratch)
	.set _Z39paged_attention_ll4mi_QKV_mfma16_kernelI14__hip_bfloat16S0_LN4vllm18Fp8KVCacheDataTypeE0ES0_Li32ELi64ELi256ELb1ELi7EEvPKT_PKT0_S8_ifPKiSA_SA_iPKfiiiPfSD_PS3_PT2_iSC_SC_.has_dyn_sized_stack, or(0, .L__assert_fail.has_dyn_sized_stack)
	.set _Z39paged_attention_ll4mi_QKV_mfma16_kernelI14__hip_bfloat16S0_LN4vllm18Fp8KVCacheDataTypeE0ES0_Li32ELi64ELi256ELb1ELi7EEvPKT_PKT0_S8_ifPKiSA_SA_iPKfiiiPfSD_PS3_PT2_iSC_SC_.has_recursion, or(0, .L__assert_fail.has_recursion)
	.set _Z39paged_attention_ll4mi_QKV_mfma16_kernelI14__hip_bfloat16S0_LN4vllm18Fp8KVCacheDataTypeE0ES0_Li32ELi64ELi256ELb1ELi7EEvPKT_PKT0_S8_ifPKiSA_SA_iPKfiiiPfSD_PS3_PT2_iSC_SC_.has_indirect_call, or(0, .L__assert_fail.has_indirect_call)
	.section	.AMDGPU.csdata,"",@progbits
; Kernel info:
; codeLenInByte = 68
; TotalNumSgprs: 36
; NumVgprs: 51
; ScratchSize: 64
; MemoryBound: 0
; FloatMode: 240
; IeeeMode: 1
; LDSByteSize: 0 bytes/workgroup (compile time only)
; SGPRBlocks: 0
; VGPRBlocks: 3
; NumSGPRsForWavesPerEU: 36
; NumVGPRsForWavesPerEU: 51
; NamedBarCnt: 0
; Occupancy: 16
; WaveLimiterHint : 1
; COMPUTE_PGM_RSRC2:SCRATCH_EN: 1
; COMPUTE_PGM_RSRC2:USER_SGPR: 2
; COMPUTE_PGM_RSRC2:TRAP_HANDLER: 0
; COMPUTE_PGM_RSRC2:TGID_X_EN: 1
; COMPUTE_PGM_RSRC2:TGID_Y_EN: 0
; COMPUTE_PGM_RSRC2:TGID_Z_EN: 0
; COMPUTE_PGM_RSRC2:TIDIG_COMP_CNT: 0
	.section	.text._Z39paged_attention_ll4mi_QKV_mfma16_kernelI14__hip_bfloat16S0_LN4vllm18Fp8KVCacheDataTypeE0ES0_Li32ELi64ELi256ELb1ELi8EEvPKT_PKT0_S8_ifPKiSA_SA_iPKfiiiPfSD_PS3_PT2_iSC_SC_,"axG",@progbits,_Z39paged_attention_ll4mi_QKV_mfma16_kernelI14__hip_bfloat16S0_LN4vllm18Fp8KVCacheDataTypeE0ES0_Li32ELi64ELi256ELb1ELi8EEvPKT_PKT0_S8_ifPKiSA_SA_iPKfiiiPfSD_PS3_PT2_iSC_SC_,comdat
	.protected	_Z39paged_attention_ll4mi_QKV_mfma16_kernelI14__hip_bfloat16S0_LN4vllm18Fp8KVCacheDataTypeE0ES0_Li32ELi64ELi256ELb1ELi8EEvPKT_PKT0_S8_ifPKiSA_SA_iPKfiiiPfSD_PS3_PT2_iSC_SC_ ; -- Begin function _Z39paged_attention_ll4mi_QKV_mfma16_kernelI14__hip_bfloat16S0_LN4vllm18Fp8KVCacheDataTypeE0ES0_Li32ELi64ELi256ELb1ELi8EEvPKT_PKT0_S8_ifPKiSA_SA_iPKfiiiPfSD_PS3_PT2_iSC_SC_
	.globl	_Z39paged_attention_ll4mi_QKV_mfma16_kernelI14__hip_bfloat16S0_LN4vllm18Fp8KVCacheDataTypeE0ES0_Li32ELi64ELi256ELb1ELi8EEvPKT_PKT0_S8_ifPKiSA_SA_iPKfiiiPfSD_PS3_PT2_iSC_SC_
	.p2align	8
	.type	_Z39paged_attention_ll4mi_QKV_mfma16_kernelI14__hip_bfloat16S0_LN4vllm18Fp8KVCacheDataTypeE0ES0_Li32ELi64ELi256ELb1ELi8EEvPKT_PKT0_S8_ifPKiSA_SA_iPKfiiiPfSD_PS3_PT2_iSC_SC_,@function
_Z39paged_attention_ll4mi_QKV_mfma16_kernelI14__hip_bfloat16S0_LN4vllm18Fp8KVCacheDataTypeE0ES0_Li32ELi64ELi256ELb1ELi8EEvPKT_PKT0_S8_ifPKiSA_SA_iPKfiiiPfSD_PS3_PT2_iSC_SC_: ; @_Z39paged_attention_ll4mi_QKV_mfma16_kernelI14__hip_bfloat16S0_LN4vllm18Fp8KVCacheDataTypeE0ES0_Li32ELi64ELi256ELb1ELi8EEvPKT_PKT0_S8_ifPKiSA_SA_iPKfiiiPfSD_PS3_PT2_iSC_SC_
; %bb.0:
	s_get_pc_i64 s[2:3]
	s_add_nc_u64 s[2:3], s[2:3], __PRETTY_FUNCTION__._Z39paged_attention_ll4mi_QKV_mfma16_kernelI14__hip_bfloat16S0_LN4vllm18Fp8KVCacheDataTypeE0ES0_Li32ELi64ELi256ELb1ELi8EEvPKT_PKT0_S8_ifPKiSA_SA_iPKfiiiPfSD_PS3_PT2_iSC_SC_@rel64+4
	s_delay_alu instid0(SALU_CYCLE_1)
	v_dual_mov_b32 v0, 0xbb3 :: v_dual_mov_b32 v1, s2
	v_mov_b32_e32 v2, s3
	s_add_nc_u64 s[8:9], s[0:1], 0x90
	s_get_pc_i64 s[0:1]
	s_add_nc_u64 s[0:1], s[0:1], __assert_fail@rel64+4
	s_mov_b32 s32, 0
	s_swap_pc_i64 s[30:31], s[0:1]
	.section	.rodata,"a",@progbits
	.p2align	6, 0x0
	.amdhsa_kernel _Z39paged_attention_ll4mi_QKV_mfma16_kernelI14__hip_bfloat16S0_LN4vllm18Fp8KVCacheDataTypeE0ES0_Li32ELi64ELi256ELb1ELi8EEvPKT_PKT0_S8_ifPKiSA_SA_iPKfiiiPfSD_PS3_PT2_iSC_SC_
		.amdhsa_group_segment_fixed_size 0
		.amdhsa_private_segment_fixed_size 64
		.amdhsa_kernarg_size 400
		.amdhsa_user_sgpr_count 2
		.amdhsa_user_sgpr_dispatch_ptr 0
		.amdhsa_user_sgpr_queue_ptr 0
		.amdhsa_user_sgpr_kernarg_segment_ptr 1
		.amdhsa_user_sgpr_dispatch_id 0
		.amdhsa_user_sgpr_kernarg_preload_length 0
		.amdhsa_user_sgpr_kernarg_preload_offset 0
		.amdhsa_user_sgpr_private_segment_size 0
		.amdhsa_wavefront_size32 1
		.amdhsa_uses_dynamic_stack 0
		.amdhsa_enable_private_segment 1
		.amdhsa_system_sgpr_workgroup_id_x 1
		.amdhsa_system_sgpr_workgroup_id_y 0
		.amdhsa_system_sgpr_workgroup_id_z 0
		.amdhsa_system_sgpr_workgroup_info 0
		.amdhsa_system_vgpr_workitem_id 0
		.amdhsa_next_free_vgpr 51
		.amdhsa_next_free_sgpr 34
		.amdhsa_named_barrier_count 0
		.amdhsa_reserve_vcc 1
		.amdhsa_float_round_mode_32 0
		.amdhsa_float_round_mode_16_64 0
		.amdhsa_float_denorm_mode_32 3
		.amdhsa_float_denorm_mode_16_64 3
		.amdhsa_fp16_overflow 0
		.amdhsa_memory_ordered 1
		.amdhsa_forward_progress 1
		.amdhsa_inst_pref_size 1
		.amdhsa_round_robin_scheduling 0
		.amdhsa_exception_fp_ieee_invalid_op 0
		.amdhsa_exception_fp_denorm_src 0
		.amdhsa_exception_fp_ieee_div_zero 0
		.amdhsa_exception_fp_ieee_overflow 0
		.amdhsa_exception_fp_ieee_underflow 0
		.amdhsa_exception_fp_ieee_inexact 0
		.amdhsa_exception_int_div_zero 0
	.end_amdhsa_kernel
	.section	.text._Z39paged_attention_ll4mi_QKV_mfma16_kernelI14__hip_bfloat16S0_LN4vllm18Fp8KVCacheDataTypeE0ES0_Li32ELi64ELi256ELb1ELi8EEvPKT_PKT0_S8_ifPKiSA_SA_iPKfiiiPfSD_PS3_PT2_iSC_SC_,"axG",@progbits,_Z39paged_attention_ll4mi_QKV_mfma16_kernelI14__hip_bfloat16S0_LN4vllm18Fp8KVCacheDataTypeE0ES0_Li32ELi64ELi256ELb1ELi8EEvPKT_PKT0_S8_ifPKiSA_SA_iPKfiiiPfSD_PS3_PT2_iSC_SC_,comdat
.Lfunc_end545:
	.size	_Z39paged_attention_ll4mi_QKV_mfma16_kernelI14__hip_bfloat16S0_LN4vllm18Fp8KVCacheDataTypeE0ES0_Li32ELi64ELi256ELb1ELi8EEvPKT_PKT0_S8_ifPKiSA_SA_iPKfiiiPfSD_PS3_PT2_iSC_SC_, .Lfunc_end545-_Z39paged_attention_ll4mi_QKV_mfma16_kernelI14__hip_bfloat16S0_LN4vllm18Fp8KVCacheDataTypeE0ES0_Li32ELi64ELi256ELb1ELi8EEvPKT_PKT0_S8_ifPKiSA_SA_iPKfiiiPfSD_PS3_PT2_iSC_SC_
                                        ; -- End function
	.set _Z39paged_attention_ll4mi_QKV_mfma16_kernelI14__hip_bfloat16S0_LN4vllm18Fp8KVCacheDataTypeE0ES0_Li32ELi64ELi256ELb1ELi8EEvPKT_PKT0_S8_ifPKiSA_SA_iPKfiiiPfSD_PS3_PT2_iSC_SC_.num_vgpr, max(3, .L__assert_fail.num_vgpr)
	.set _Z39paged_attention_ll4mi_QKV_mfma16_kernelI14__hip_bfloat16S0_LN4vllm18Fp8KVCacheDataTypeE0ES0_Li32ELi64ELi256ELb1ELi8EEvPKT_PKT0_S8_ifPKiSA_SA_iPKfiiiPfSD_PS3_PT2_iSC_SC_.num_agpr, max(0, .L__assert_fail.num_agpr)
	.set _Z39paged_attention_ll4mi_QKV_mfma16_kernelI14__hip_bfloat16S0_LN4vllm18Fp8KVCacheDataTypeE0ES0_Li32ELi64ELi256ELb1ELi8EEvPKT_PKT0_S8_ifPKiSA_SA_iPKfiiiPfSD_PS3_PT2_iSC_SC_.numbered_sgpr, max(33, .L__assert_fail.numbered_sgpr)
	.set _Z39paged_attention_ll4mi_QKV_mfma16_kernelI14__hip_bfloat16S0_LN4vllm18Fp8KVCacheDataTypeE0ES0_Li32ELi64ELi256ELb1ELi8EEvPKT_PKT0_S8_ifPKiSA_SA_iPKfiiiPfSD_PS3_PT2_iSC_SC_.num_named_barrier, max(0, .L__assert_fail.num_named_barrier)
	.set _Z39paged_attention_ll4mi_QKV_mfma16_kernelI14__hip_bfloat16S0_LN4vllm18Fp8KVCacheDataTypeE0ES0_Li32ELi64ELi256ELb1ELi8EEvPKT_PKT0_S8_ifPKiSA_SA_iPKfiiiPfSD_PS3_PT2_iSC_SC_.private_seg_size, 0+max(.L__assert_fail.private_seg_size)
	.set _Z39paged_attention_ll4mi_QKV_mfma16_kernelI14__hip_bfloat16S0_LN4vllm18Fp8KVCacheDataTypeE0ES0_Li32ELi64ELi256ELb1ELi8EEvPKT_PKT0_S8_ifPKiSA_SA_iPKfiiiPfSD_PS3_PT2_iSC_SC_.uses_vcc, or(1, .L__assert_fail.uses_vcc)
	.set _Z39paged_attention_ll4mi_QKV_mfma16_kernelI14__hip_bfloat16S0_LN4vllm18Fp8KVCacheDataTypeE0ES0_Li32ELi64ELi256ELb1ELi8EEvPKT_PKT0_S8_ifPKiSA_SA_iPKfiiiPfSD_PS3_PT2_iSC_SC_.uses_flat_scratch, or(0, .L__assert_fail.uses_flat_scratch)
	.set _Z39paged_attention_ll4mi_QKV_mfma16_kernelI14__hip_bfloat16S0_LN4vllm18Fp8KVCacheDataTypeE0ES0_Li32ELi64ELi256ELb1ELi8EEvPKT_PKT0_S8_ifPKiSA_SA_iPKfiiiPfSD_PS3_PT2_iSC_SC_.has_dyn_sized_stack, or(0, .L__assert_fail.has_dyn_sized_stack)
	.set _Z39paged_attention_ll4mi_QKV_mfma16_kernelI14__hip_bfloat16S0_LN4vllm18Fp8KVCacheDataTypeE0ES0_Li32ELi64ELi256ELb1ELi8EEvPKT_PKT0_S8_ifPKiSA_SA_iPKfiiiPfSD_PS3_PT2_iSC_SC_.has_recursion, or(0, .L__assert_fail.has_recursion)
	.set _Z39paged_attention_ll4mi_QKV_mfma16_kernelI14__hip_bfloat16S0_LN4vllm18Fp8KVCacheDataTypeE0ES0_Li32ELi64ELi256ELb1ELi8EEvPKT_PKT0_S8_ifPKiSA_SA_iPKfiiiPfSD_PS3_PT2_iSC_SC_.has_indirect_call, or(0, .L__assert_fail.has_indirect_call)
	.section	.AMDGPU.csdata,"",@progbits
; Kernel info:
; codeLenInByte = 68
; TotalNumSgprs: 36
; NumVgprs: 51
; ScratchSize: 64
; MemoryBound: 0
; FloatMode: 240
; IeeeMode: 1
; LDSByteSize: 0 bytes/workgroup (compile time only)
; SGPRBlocks: 0
; VGPRBlocks: 3
; NumSGPRsForWavesPerEU: 36
; NumVGPRsForWavesPerEU: 51
; NamedBarCnt: 0
; Occupancy: 16
; WaveLimiterHint : 1
; COMPUTE_PGM_RSRC2:SCRATCH_EN: 1
; COMPUTE_PGM_RSRC2:USER_SGPR: 2
; COMPUTE_PGM_RSRC2:TRAP_HANDLER: 0
; COMPUTE_PGM_RSRC2:TGID_X_EN: 1
; COMPUTE_PGM_RSRC2:TGID_Y_EN: 0
; COMPUTE_PGM_RSRC2:TGID_Z_EN: 0
; COMPUTE_PGM_RSRC2:TIDIG_COMP_CNT: 0
	.section	.text._Z39paged_attention_ll4mi_QKV_mfma16_kernelI14__hip_bfloat16S0_LN4vllm18Fp8KVCacheDataTypeE0ES0_Li32ELi64ELi256ELb1ELi9EEvPKT_PKT0_S8_ifPKiSA_SA_iPKfiiiPfSD_PS3_PT2_iSC_SC_,"axG",@progbits,_Z39paged_attention_ll4mi_QKV_mfma16_kernelI14__hip_bfloat16S0_LN4vllm18Fp8KVCacheDataTypeE0ES0_Li32ELi64ELi256ELb1ELi9EEvPKT_PKT0_S8_ifPKiSA_SA_iPKfiiiPfSD_PS3_PT2_iSC_SC_,comdat
	.protected	_Z39paged_attention_ll4mi_QKV_mfma16_kernelI14__hip_bfloat16S0_LN4vllm18Fp8KVCacheDataTypeE0ES0_Li32ELi64ELi256ELb1ELi9EEvPKT_PKT0_S8_ifPKiSA_SA_iPKfiiiPfSD_PS3_PT2_iSC_SC_ ; -- Begin function _Z39paged_attention_ll4mi_QKV_mfma16_kernelI14__hip_bfloat16S0_LN4vllm18Fp8KVCacheDataTypeE0ES0_Li32ELi64ELi256ELb1ELi9EEvPKT_PKT0_S8_ifPKiSA_SA_iPKfiiiPfSD_PS3_PT2_iSC_SC_
	.globl	_Z39paged_attention_ll4mi_QKV_mfma16_kernelI14__hip_bfloat16S0_LN4vllm18Fp8KVCacheDataTypeE0ES0_Li32ELi64ELi256ELb1ELi9EEvPKT_PKT0_S8_ifPKiSA_SA_iPKfiiiPfSD_PS3_PT2_iSC_SC_
	.p2align	8
	.type	_Z39paged_attention_ll4mi_QKV_mfma16_kernelI14__hip_bfloat16S0_LN4vllm18Fp8KVCacheDataTypeE0ES0_Li32ELi64ELi256ELb1ELi9EEvPKT_PKT0_S8_ifPKiSA_SA_iPKfiiiPfSD_PS3_PT2_iSC_SC_,@function
_Z39paged_attention_ll4mi_QKV_mfma16_kernelI14__hip_bfloat16S0_LN4vllm18Fp8KVCacheDataTypeE0ES0_Li32ELi64ELi256ELb1ELi9EEvPKT_PKT0_S8_ifPKiSA_SA_iPKfiiiPfSD_PS3_PT2_iSC_SC_: ; @_Z39paged_attention_ll4mi_QKV_mfma16_kernelI14__hip_bfloat16S0_LN4vllm18Fp8KVCacheDataTypeE0ES0_Li32ELi64ELi256ELb1ELi9EEvPKT_PKT0_S8_ifPKiSA_SA_iPKfiiiPfSD_PS3_PT2_iSC_SC_
; %bb.0:
	s_get_pc_i64 s[2:3]
	s_add_nc_u64 s[2:3], s[2:3], __PRETTY_FUNCTION__._Z39paged_attention_ll4mi_QKV_mfma16_kernelI14__hip_bfloat16S0_LN4vllm18Fp8KVCacheDataTypeE0ES0_Li32ELi64ELi256ELb1ELi9EEvPKT_PKT0_S8_ifPKiSA_SA_iPKfiiiPfSD_PS3_PT2_iSC_SC_@rel64+4
	s_delay_alu instid0(SALU_CYCLE_1)
	v_dual_mov_b32 v0, 0xbb3 :: v_dual_mov_b32 v1, s2
	v_mov_b32_e32 v2, s3
	s_add_nc_u64 s[8:9], s[0:1], 0x90
	s_get_pc_i64 s[0:1]
	s_add_nc_u64 s[0:1], s[0:1], __assert_fail@rel64+4
	s_mov_b32 s32, 0
	s_swap_pc_i64 s[30:31], s[0:1]
	.section	.rodata,"a",@progbits
	.p2align	6, 0x0
	.amdhsa_kernel _Z39paged_attention_ll4mi_QKV_mfma16_kernelI14__hip_bfloat16S0_LN4vllm18Fp8KVCacheDataTypeE0ES0_Li32ELi64ELi256ELb1ELi9EEvPKT_PKT0_S8_ifPKiSA_SA_iPKfiiiPfSD_PS3_PT2_iSC_SC_
		.amdhsa_group_segment_fixed_size 0
		.amdhsa_private_segment_fixed_size 64
		.amdhsa_kernarg_size 400
		.amdhsa_user_sgpr_count 2
		.amdhsa_user_sgpr_dispatch_ptr 0
		.amdhsa_user_sgpr_queue_ptr 0
		.amdhsa_user_sgpr_kernarg_segment_ptr 1
		.amdhsa_user_sgpr_dispatch_id 0
		.amdhsa_user_sgpr_kernarg_preload_length 0
		.amdhsa_user_sgpr_kernarg_preload_offset 0
		.amdhsa_user_sgpr_private_segment_size 0
		.amdhsa_wavefront_size32 1
		.amdhsa_uses_dynamic_stack 0
		.amdhsa_enable_private_segment 1
		.amdhsa_system_sgpr_workgroup_id_x 1
		.amdhsa_system_sgpr_workgroup_id_y 0
		.amdhsa_system_sgpr_workgroup_id_z 0
		.amdhsa_system_sgpr_workgroup_info 0
		.amdhsa_system_vgpr_workitem_id 0
		.amdhsa_next_free_vgpr 51
		.amdhsa_next_free_sgpr 34
		.amdhsa_named_barrier_count 0
		.amdhsa_reserve_vcc 1
		.amdhsa_float_round_mode_32 0
		.amdhsa_float_round_mode_16_64 0
		.amdhsa_float_denorm_mode_32 3
		.amdhsa_float_denorm_mode_16_64 3
		.amdhsa_fp16_overflow 0
		.amdhsa_memory_ordered 1
		.amdhsa_forward_progress 1
		.amdhsa_inst_pref_size 1
		.amdhsa_round_robin_scheduling 0
		.amdhsa_exception_fp_ieee_invalid_op 0
		.amdhsa_exception_fp_denorm_src 0
		.amdhsa_exception_fp_ieee_div_zero 0
		.amdhsa_exception_fp_ieee_overflow 0
		.amdhsa_exception_fp_ieee_underflow 0
		.amdhsa_exception_fp_ieee_inexact 0
		.amdhsa_exception_int_div_zero 0
	.end_amdhsa_kernel
	.section	.text._Z39paged_attention_ll4mi_QKV_mfma16_kernelI14__hip_bfloat16S0_LN4vllm18Fp8KVCacheDataTypeE0ES0_Li32ELi64ELi256ELb1ELi9EEvPKT_PKT0_S8_ifPKiSA_SA_iPKfiiiPfSD_PS3_PT2_iSC_SC_,"axG",@progbits,_Z39paged_attention_ll4mi_QKV_mfma16_kernelI14__hip_bfloat16S0_LN4vllm18Fp8KVCacheDataTypeE0ES0_Li32ELi64ELi256ELb1ELi9EEvPKT_PKT0_S8_ifPKiSA_SA_iPKfiiiPfSD_PS3_PT2_iSC_SC_,comdat
.Lfunc_end546:
	.size	_Z39paged_attention_ll4mi_QKV_mfma16_kernelI14__hip_bfloat16S0_LN4vllm18Fp8KVCacheDataTypeE0ES0_Li32ELi64ELi256ELb1ELi9EEvPKT_PKT0_S8_ifPKiSA_SA_iPKfiiiPfSD_PS3_PT2_iSC_SC_, .Lfunc_end546-_Z39paged_attention_ll4mi_QKV_mfma16_kernelI14__hip_bfloat16S0_LN4vllm18Fp8KVCacheDataTypeE0ES0_Li32ELi64ELi256ELb1ELi9EEvPKT_PKT0_S8_ifPKiSA_SA_iPKfiiiPfSD_PS3_PT2_iSC_SC_
                                        ; -- End function
	.set _Z39paged_attention_ll4mi_QKV_mfma16_kernelI14__hip_bfloat16S0_LN4vllm18Fp8KVCacheDataTypeE0ES0_Li32ELi64ELi256ELb1ELi9EEvPKT_PKT0_S8_ifPKiSA_SA_iPKfiiiPfSD_PS3_PT2_iSC_SC_.num_vgpr, max(3, .L__assert_fail.num_vgpr)
	.set _Z39paged_attention_ll4mi_QKV_mfma16_kernelI14__hip_bfloat16S0_LN4vllm18Fp8KVCacheDataTypeE0ES0_Li32ELi64ELi256ELb1ELi9EEvPKT_PKT0_S8_ifPKiSA_SA_iPKfiiiPfSD_PS3_PT2_iSC_SC_.num_agpr, max(0, .L__assert_fail.num_agpr)
	.set _Z39paged_attention_ll4mi_QKV_mfma16_kernelI14__hip_bfloat16S0_LN4vllm18Fp8KVCacheDataTypeE0ES0_Li32ELi64ELi256ELb1ELi9EEvPKT_PKT0_S8_ifPKiSA_SA_iPKfiiiPfSD_PS3_PT2_iSC_SC_.numbered_sgpr, max(33, .L__assert_fail.numbered_sgpr)
	.set _Z39paged_attention_ll4mi_QKV_mfma16_kernelI14__hip_bfloat16S0_LN4vllm18Fp8KVCacheDataTypeE0ES0_Li32ELi64ELi256ELb1ELi9EEvPKT_PKT0_S8_ifPKiSA_SA_iPKfiiiPfSD_PS3_PT2_iSC_SC_.num_named_barrier, max(0, .L__assert_fail.num_named_barrier)
	.set _Z39paged_attention_ll4mi_QKV_mfma16_kernelI14__hip_bfloat16S0_LN4vllm18Fp8KVCacheDataTypeE0ES0_Li32ELi64ELi256ELb1ELi9EEvPKT_PKT0_S8_ifPKiSA_SA_iPKfiiiPfSD_PS3_PT2_iSC_SC_.private_seg_size, 0+max(.L__assert_fail.private_seg_size)
	.set _Z39paged_attention_ll4mi_QKV_mfma16_kernelI14__hip_bfloat16S0_LN4vllm18Fp8KVCacheDataTypeE0ES0_Li32ELi64ELi256ELb1ELi9EEvPKT_PKT0_S8_ifPKiSA_SA_iPKfiiiPfSD_PS3_PT2_iSC_SC_.uses_vcc, or(1, .L__assert_fail.uses_vcc)
	.set _Z39paged_attention_ll4mi_QKV_mfma16_kernelI14__hip_bfloat16S0_LN4vllm18Fp8KVCacheDataTypeE0ES0_Li32ELi64ELi256ELb1ELi9EEvPKT_PKT0_S8_ifPKiSA_SA_iPKfiiiPfSD_PS3_PT2_iSC_SC_.uses_flat_scratch, or(0, .L__assert_fail.uses_flat_scratch)
	.set _Z39paged_attention_ll4mi_QKV_mfma16_kernelI14__hip_bfloat16S0_LN4vllm18Fp8KVCacheDataTypeE0ES0_Li32ELi64ELi256ELb1ELi9EEvPKT_PKT0_S8_ifPKiSA_SA_iPKfiiiPfSD_PS3_PT2_iSC_SC_.has_dyn_sized_stack, or(0, .L__assert_fail.has_dyn_sized_stack)
	.set _Z39paged_attention_ll4mi_QKV_mfma16_kernelI14__hip_bfloat16S0_LN4vllm18Fp8KVCacheDataTypeE0ES0_Li32ELi64ELi256ELb1ELi9EEvPKT_PKT0_S8_ifPKiSA_SA_iPKfiiiPfSD_PS3_PT2_iSC_SC_.has_recursion, or(0, .L__assert_fail.has_recursion)
	.set _Z39paged_attention_ll4mi_QKV_mfma16_kernelI14__hip_bfloat16S0_LN4vllm18Fp8KVCacheDataTypeE0ES0_Li32ELi64ELi256ELb1ELi9EEvPKT_PKT0_S8_ifPKiSA_SA_iPKfiiiPfSD_PS3_PT2_iSC_SC_.has_indirect_call, or(0, .L__assert_fail.has_indirect_call)
	.section	.AMDGPU.csdata,"",@progbits
; Kernel info:
; codeLenInByte = 68
; TotalNumSgprs: 36
; NumVgprs: 51
; ScratchSize: 64
; MemoryBound: 0
; FloatMode: 240
; IeeeMode: 1
; LDSByteSize: 0 bytes/workgroup (compile time only)
; SGPRBlocks: 0
; VGPRBlocks: 3
; NumSGPRsForWavesPerEU: 36
; NumVGPRsForWavesPerEU: 51
; NamedBarCnt: 0
; Occupancy: 16
; WaveLimiterHint : 1
; COMPUTE_PGM_RSRC2:SCRATCH_EN: 1
; COMPUTE_PGM_RSRC2:USER_SGPR: 2
; COMPUTE_PGM_RSRC2:TRAP_HANDLER: 0
; COMPUTE_PGM_RSRC2:TGID_X_EN: 1
; COMPUTE_PGM_RSRC2:TGID_Y_EN: 0
; COMPUTE_PGM_RSRC2:TGID_Z_EN: 0
; COMPUTE_PGM_RSRC2:TIDIG_COMP_CNT: 0
	.section	.text._Z39paged_attention_ll4mi_QKV_mfma16_kernelI14__hip_bfloat16S0_LN4vllm18Fp8KVCacheDataTypeE0ES0_Li32ELi64ELi256ELb1ELi10EEvPKT_PKT0_S8_ifPKiSA_SA_iPKfiiiPfSD_PS3_PT2_iSC_SC_,"axG",@progbits,_Z39paged_attention_ll4mi_QKV_mfma16_kernelI14__hip_bfloat16S0_LN4vllm18Fp8KVCacheDataTypeE0ES0_Li32ELi64ELi256ELb1ELi10EEvPKT_PKT0_S8_ifPKiSA_SA_iPKfiiiPfSD_PS3_PT2_iSC_SC_,comdat
	.protected	_Z39paged_attention_ll4mi_QKV_mfma16_kernelI14__hip_bfloat16S0_LN4vllm18Fp8KVCacheDataTypeE0ES0_Li32ELi64ELi256ELb1ELi10EEvPKT_PKT0_S8_ifPKiSA_SA_iPKfiiiPfSD_PS3_PT2_iSC_SC_ ; -- Begin function _Z39paged_attention_ll4mi_QKV_mfma16_kernelI14__hip_bfloat16S0_LN4vllm18Fp8KVCacheDataTypeE0ES0_Li32ELi64ELi256ELb1ELi10EEvPKT_PKT0_S8_ifPKiSA_SA_iPKfiiiPfSD_PS3_PT2_iSC_SC_
	.globl	_Z39paged_attention_ll4mi_QKV_mfma16_kernelI14__hip_bfloat16S0_LN4vllm18Fp8KVCacheDataTypeE0ES0_Li32ELi64ELi256ELb1ELi10EEvPKT_PKT0_S8_ifPKiSA_SA_iPKfiiiPfSD_PS3_PT2_iSC_SC_
	.p2align	8
	.type	_Z39paged_attention_ll4mi_QKV_mfma16_kernelI14__hip_bfloat16S0_LN4vllm18Fp8KVCacheDataTypeE0ES0_Li32ELi64ELi256ELb1ELi10EEvPKT_PKT0_S8_ifPKiSA_SA_iPKfiiiPfSD_PS3_PT2_iSC_SC_,@function
_Z39paged_attention_ll4mi_QKV_mfma16_kernelI14__hip_bfloat16S0_LN4vllm18Fp8KVCacheDataTypeE0ES0_Li32ELi64ELi256ELb1ELi10EEvPKT_PKT0_S8_ifPKiSA_SA_iPKfiiiPfSD_PS3_PT2_iSC_SC_: ; @_Z39paged_attention_ll4mi_QKV_mfma16_kernelI14__hip_bfloat16S0_LN4vllm18Fp8KVCacheDataTypeE0ES0_Li32ELi64ELi256ELb1ELi10EEvPKT_PKT0_S8_ifPKiSA_SA_iPKfiiiPfSD_PS3_PT2_iSC_SC_
; %bb.0:
	s_get_pc_i64 s[2:3]
	s_add_nc_u64 s[2:3], s[2:3], __PRETTY_FUNCTION__._Z39paged_attention_ll4mi_QKV_mfma16_kernelI14__hip_bfloat16S0_LN4vllm18Fp8KVCacheDataTypeE0ES0_Li32ELi64ELi256ELb1ELi10EEvPKT_PKT0_S8_ifPKiSA_SA_iPKfiiiPfSD_PS3_PT2_iSC_SC_@rel64+4
	s_delay_alu instid0(SALU_CYCLE_1)
	v_dual_mov_b32 v0, 0xbb3 :: v_dual_mov_b32 v1, s2
	v_mov_b32_e32 v2, s3
	s_add_nc_u64 s[8:9], s[0:1], 0x90
	s_get_pc_i64 s[0:1]
	s_add_nc_u64 s[0:1], s[0:1], __assert_fail@rel64+4
	s_mov_b32 s32, 0
	s_swap_pc_i64 s[30:31], s[0:1]
	.section	.rodata,"a",@progbits
	.p2align	6, 0x0
	.amdhsa_kernel _Z39paged_attention_ll4mi_QKV_mfma16_kernelI14__hip_bfloat16S0_LN4vllm18Fp8KVCacheDataTypeE0ES0_Li32ELi64ELi256ELb1ELi10EEvPKT_PKT0_S8_ifPKiSA_SA_iPKfiiiPfSD_PS3_PT2_iSC_SC_
		.amdhsa_group_segment_fixed_size 0
		.amdhsa_private_segment_fixed_size 64
		.amdhsa_kernarg_size 400
		.amdhsa_user_sgpr_count 2
		.amdhsa_user_sgpr_dispatch_ptr 0
		.amdhsa_user_sgpr_queue_ptr 0
		.amdhsa_user_sgpr_kernarg_segment_ptr 1
		.amdhsa_user_sgpr_dispatch_id 0
		.amdhsa_user_sgpr_kernarg_preload_length 0
		.amdhsa_user_sgpr_kernarg_preload_offset 0
		.amdhsa_user_sgpr_private_segment_size 0
		.amdhsa_wavefront_size32 1
		.amdhsa_uses_dynamic_stack 0
		.amdhsa_enable_private_segment 1
		.amdhsa_system_sgpr_workgroup_id_x 1
		.amdhsa_system_sgpr_workgroup_id_y 0
		.amdhsa_system_sgpr_workgroup_id_z 0
		.amdhsa_system_sgpr_workgroup_info 0
		.amdhsa_system_vgpr_workitem_id 0
		.amdhsa_next_free_vgpr 51
		.amdhsa_next_free_sgpr 34
		.amdhsa_named_barrier_count 0
		.amdhsa_reserve_vcc 1
		.amdhsa_float_round_mode_32 0
		.amdhsa_float_round_mode_16_64 0
		.amdhsa_float_denorm_mode_32 3
		.amdhsa_float_denorm_mode_16_64 3
		.amdhsa_fp16_overflow 0
		.amdhsa_memory_ordered 1
		.amdhsa_forward_progress 1
		.amdhsa_inst_pref_size 1
		.amdhsa_round_robin_scheduling 0
		.amdhsa_exception_fp_ieee_invalid_op 0
		.amdhsa_exception_fp_denorm_src 0
		.amdhsa_exception_fp_ieee_div_zero 0
		.amdhsa_exception_fp_ieee_overflow 0
		.amdhsa_exception_fp_ieee_underflow 0
		.amdhsa_exception_fp_ieee_inexact 0
		.amdhsa_exception_int_div_zero 0
	.end_amdhsa_kernel
	.section	.text._Z39paged_attention_ll4mi_QKV_mfma16_kernelI14__hip_bfloat16S0_LN4vllm18Fp8KVCacheDataTypeE0ES0_Li32ELi64ELi256ELb1ELi10EEvPKT_PKT0_S8_ifPKiSA_SA_iPKfiiiPfSD_PS3_PT2_iSC_SC_,"axG",@progbits,_Z39paged_attention_ll4mi_QKV_mfma16_kernelI14__hip_bfloat16S0_LN4vllm18Fp8KVCacheDataTypeE0ES0_Li32ELi64ELi256ELb1ELi10EEvPKT_PKT0_S8_ifPKiSA_SA_iPKfiiiPfSD_PS3_PT2_iSC_SC_,comdat
.Lfunc_end547:
	.size	_Z39paged_attention_ll4mi_QKV_mfma16_kernelI14__hip_bfloat16S0_LN4vllm18Fp8KVCacheDataTypeE0ES0_Li32ELi64ELi256ELb1ELi10EEvPKT_PKT0_S8_ifPKiSA_SA_iPKfiiiPfSD_PS3_PT2_iSC_SC_, .Lfunc_end547-_Z39paged_attention_ll4mi_QKV_mfma16_kernelI14__hip_bfloat16S0_LN4vllm18Fp8KVCacheDataTypeE0ES0_Li32ELi64ELi256ELb1ELi10EEvPKT_PKT0_S8_ifPKiSA_SA_iPKfiiiPfSD_PS3_PT2_iSC_SC_
                                        ; -- End function
	.set _Z39paged_attention_ll4mi_QKV_mfma16_kernelI14__hip_bfloat16S0_LN4vllm18Fp8KVCacheDataTypeE0ES0_Li32ELi64ELi256ELb1ELi10EEvPKT_PKT0_S8_ifPKiSA_SA_iPKfiiiPfSD_PS3_PT2_iSC_SC_.num_vgpr, max(3, .L__assert_fail.num_vgpr)
	.set _Z39paged_attention_ll4mi_QKV_mfma16_kernelI14__hip_bfloat16S0_LN4vllm18Fp8KVCacheDataTypeE0ES0_Li32ELi64ELi256ELb1ELi10EEvPKT_PKT0_S8_ifPKiSA_SA_iPKfiiiPfSD_PS3_PT2_iSC_SC_.num_agpr, max(0, .L__assert_fail.num_agpr)
	.set _Z39paged_attention_ll4mi_QKV_mfma16_kernelI14__hip_bfloat16S0_LN4vllm18Fp8KVCacheDataTypeE0ES0_Li32ELi64ELi256ELb1ELi10EEvPKT_PKT0_S8_ifPKiSA_SA_iPKfiiiPfSD_PS3_PT2_iSC_SC_.numbered_sgpr, max(33, .L__assert_fail.numbered_sgpr)
	.set _Z39paged_attention_ll4mi_QKV_mfma16_kernelI14__hip_bfloat16S0_LN4vllm18Fp8KVCacheDataTypeE0ES0_Li32ELi64ELi256ELb1ELi10EEvPKT_PKT0_S8_ifPKiSA_SA_iPKfiiiPfSD_PS3_PT2_iSC_SC_.num_named_barrier, max(0, .L__assert_fail.num_named_barrier)
	.set _Z39paged_attention_ll4mi_QKV_mfma16_kernelI14__hip_bfloat16S0_LN4vllm18Fp8KVCacheDataTypeE0ES0_Li32ELi64ELi256ELb1ELi10EEvPKT_PKT0_S8_ifPKiSA_SA_iPKfiiiPfSD_PS3_PT2_iSC_SC_.private_seg_size, 0+max(.L__assert_fail.private_seg_size)
	.set _Z39paged_attention_ll4mi_QKV_mfma16_kernelI14__hip_bfloat16S0_LN4vllm18Fp8KVCacheDataTypeE0ES0_Li32ELi64ELi256ELb1ELi10EEvPKT_PKT0_S8_ifPKiSA_SA_iPKfiiiPfSD_PS3_PT2_iSC_SC_.uses_vcc, or(1, .L__assert_fail.uses_vcc)
	.set _Z39paged_attention_ll4mi_QKV_mfma16_kernelI14__hip_bfloat16S0_LN4vllm18Fp8KVCacheDataTypeE0ES0_Li32ELi64ELi256ELb1ELi10EEvPKT_PKT0_S8_ifPKiSA_SA_iPKfiiiPfSD_PS3_PT2_iSC_SC_.uses_flat_scratch, or(0, .L__assert_fail.uses_flat_scratch)
	.set _Z39paged_attention_ll4mi_QKV_mfma16_kernelI14__hip_bfloat16S0_LN4vllm18Fp8KVCacheDataTypeE0ES0_Li32ELi64ELi256ELb1ELi10EEvPKT_PKT0_S8_ifPKiSA_SA_iPKfiiiPfSD_PS3_PT2_iSC_SC_.has_dyn_sized_stack, or(0, .L__assert_fail.has_dyn_sized_stack)
	.set _Z39paged_attention_ll4mi_QKV_mfma16_kernelI14__hip_bfloat16S0_LN4vllm18Fp8KVCacheDataTypeE0ES0_Li32ELi64ELi256ELb1ELi10EEvPKT_PKT0_S8_ifPKiSA_SA_iPKfiiiPfSD_PS3_PT2_iSC_SC_.has_recursion, or(0, .L__assert_fail.has_recursion)
	.set _Z39paged_attention_ll4mi_QKV_mfma16_kernelI14__hip_bfloat16S0_LN4vllm18Fp8KVCacheDataTypeE0ES0_Li32ELi64ELi256ELb1ELi10EEvPKT_PKT0_S8_ifPKiSA_SA_iPKfiiiPfSD_PS3_PT2_iSC_SC_.has_indirect_call, or(0, .L__assert_fail.has_indirect_call)
	.section	.AMDGPU.csdata,"",@progbits
; Kernel info:
; codeLenInByte = 68
; TotalNumSgprs: 36
; NumVgprs: 51
; ScratchSize: 64
; MemoryBound: 0
; FloatMode: 240
; IeeeMode: 1
; LDSByteSize: 0 bytes/workgroup (compile time only)
; SGPRBlocks: 0
; VGPRBlocks: 3
; NumSGPRsForWavesPerEU: 36
; NumVGPRsForWavesPerEU: 51
; NamedBarCnt: 0
; Occupancy: 16
; WaveLimiterHint : 1
; COMPUTE_PGM_RSRC2:SCRATCH_EN: 1
; COMPUTE_PGM_RSRC2:USER_SGPR: 2
; COMPUTE_PGM_RSRC2:TRAP_HANDLER: 0
; COMPUTE_PGM_RSRC2:TGID_X_EN: 1
; COMPUTE_PGM_RSRC2:TGID_Y_EN: 0
; COMPUTE_PGM_RSRC2:TGID_Z_EN: 0
; COMPUTE_PGM_RSRC2:TIDIG_COMP_CNT: 0
	.section	.text._Z39paged_attention_ll4mi_QKV_mfma16_kernelI14__hip_bfloat16S0_LN4vllm18Fp8KVCacheDataTypeE0ES0_Li32ELi64ELi256ELb1ELi11EEvPKT_PKT0_S8_ifPKiSA_SA_iPKfiiiPfSD_PS3_PT2_iSC_SC_,"axG",@progbits,_Z39paged_attention_ll4mi_QKV_mfma16_kernelI14__hip_bfloat16S0_LN4vllm18Fp8KVCacheDataTypeE0ES0_Li32ELi64ELi256ELb1ELi11EEvPKT_PKT0_S8_ifPKiSA_SA_iPKfiiiPfSD_PS3_PT2_iSC_SC_,comdat
	.protected	_Z39paged_attention_ll4mi_QKV_mfma16_kernelI14__hip_bfloat16S0_LN4vllm18Fp8KVCacheDataTypeE0ES0_Li32ELi64ELi256ELb1ELi11EEvPKT_PKT0_S8_ifPKiSA_SA_iPKfiiiPfSD_PS3_PT2_iSC_SC_ ; -- Begin function _Z39paged_attention_ll4mi_QKV_mfma16_kernelI14__hip_bfloat16S0_LN4vllm18Fp8KVCacheDataTypeE0ES0_Li32ELi64ELi256ELb1ELi11EEvPKT_PKT0_S8_ifPKiSA_SA_iPKfiiiPfSD_PS3_PT2_iSC_SC_
	.globl	_Z39paged_attention_ll4mi_QKV_mfma16_kernelI14__hip_bfloat16S0_LN4vllm18Fp8KVCacheDataTypeE0ES0_Li32ELi64ELi256ELb1ELi11EEvPKT_PKT0_S8_ifPKiSA_SA_iPKfiiiPfSD_PS3_PT2_iSC_SC_
	.p2align	8
	.type	_Z39paged_attention_ll4mi_QKV_mfma16_kernelI14__hip_bfloat16S0_LN4vllm18Fp8KVCacheDataTypeE0ES0_Li32ELi64ELi256ELb1ELi11EEvPKT_PKT0_S8_ifPKiSA_SA_iPKfiiiPfSD_PS3_PT2_iSC_SC_,@function
_Z39paged_attention_ll4mi_QKV_mfma16_kernelI14__hip_bfloat16S0_LN4vllm18Fp8KVCacheDataTypeE0ES0_Li32ELi64ELi256ELb1ELi11EEvPKT_PKT0_S8_ifPKiSA_SA_iPKfiiiPfSD_PS3_PT2_iSC_SC_: ; @_Z39paged_attention_ll4mi_QKV_mfma16_kernelI14__hip_bfloat16S0_LN4vllm18Fp8KVCacheDataTypeE0ES0_Li32ELi64ELi256ELb1ELi11EEvPKT_PKT0_S8_ifPKiSA_SA_iPKfiiiPfSD_PS3_PT2_iSC_SC_
; %bb.0:
	s_get_pc_i64 s[2:3]
	s_add_nc_u64 s[2:3], s[2:3], __PRETTY_FUNCTION__._Z39paged_attention_ll4mi_QKV_mfma16_kernelI14__hip_bfloat16S0_LN4vllm18Fp8KVCacheDataTypeE0ES0_Li32ELi64ELi256ELb1ELi11EEvPKT_PKT0_S8_ifPKiSA_SA_iPKfiiiPfSD_PS3_PT2_iSC_SC_@rel64+4
	s_delay_alu instid0(SALU_CYCLE_1)
	v_dual_mov_b32 v0, 0xbb3 :: v_dual_mov_b32 v1, s2
	v_mov_b32_e32 v2, s3
	s_add_nc_u64 s[8:9], s[0:1], 0x90
	s_get_pc_i64 s[0:1]
	s_add_nc_u64 s[0:1], s[0:1], __assert_fail@rel64+4
	s_mov_b32 s32, 0
	s_swap_pc_i64 s[30:31], s[0:1]
	.section	.rodata,"a",@progbits
	.p2align	6, 0x0
	.amdhsa_kernel _Z39paged_attention_ll4mi_QKV_mfma16_kernelI14__hip_bfloat16S0_LN4vllm18Fp8KVCacheDataTypeE0ES0_Li32ELi64ELi256ELb1ELi11EEvPKT_PKT0_S8_ifPKiSA_SA_iPKfiiiPfSD_PS3_PT2_iSC_SC_
		.amdhsa_group_segment_fixed_size 0
		.amdhsa_private_segment_fixed_size 64
		.amdhsa_kernarg_size 400
		.amdhsa_user_sgpr_count 2
		.amdhsa_user_sgpr_dispatch_ptr 0
		.amdhsa_user_sgpr_queue_ptr 0
		.amdhsa_user_sgpr_kernarg_segment_ptr 1
		.amdhsa_user_sgpr_dispatch_id 0
		.amdhsa_user_sgpr_kernarg_preload_length 0
		.amdhsa_user_sgpr_kernarg_preload_offset 0
		.amdhsa_user_sgpr_private_segment_size 0
		.amdhsa_wavefront_size32 1
		.amdhsa_uses_dynamic_stack 0
		.amdhsa_enable_private_segment 1
		.amdhsa_system_sgpr_workgroup_id_x 1
		.amdhsa_system_sgpr_workgroup_id_y 0
		.amdhsa_system_sgpr_workgroup_id_z 0
		.amdhsa_system_sgpr_workgroup_info 0
		.amdhsa_system_vgpr_workitem_id 0
		.amdhsa_next_free_vgpr 51
		.amdhsa_next_free_sgpr 34
		.amdhsa_named_barrier_count 0
		.amdhsa_reserve_vcc 1
		.amdhsa_float_round_mode_32 0
		.amdhsa_float_round_mode_16_64 0
		.amdhsa_float_denorm_mode_32 3
		.amdhsa_float_denorm_mode_16_64 3
		.amdhsa_fp16_overflow 0
		.amdhsa_memory_ordered 1
		.amdhsa_forward_progress 1
		.amdhsa_inst_pref_size 1
		.amdhsa_round_robin_scheduling 0
		.amdhsa_exception_fp_ieee_invalid_op 0
		.amdhsa_exception_fp_denorm_src 0
		.amdhsa_exception_fp_ieee_div_zero 0
		.amdhsa_exception_fp_ieee_overflow 0
		.amdhsa_exception_fp_ieee_underflow 0
		.amdhsa_exception_fp_ieee_inexact 0
		.amdhsa_exception_int_div_zero 0
	.end_amdhsa_kernel
	.section	.text._Z39paged_attention_ll4mi_QKV_mfma16_kernelI14__hip_bfloat16S0_LN4vllm18Fp8KVCacheDataTypeE0ES0_Li32ELi64ELi256ELb1ELi11EEvPKT_PKT0_S8_ifPKiSA_SA_iPKfiiiPfSD_PS3_PT2_iSC_SC_,"axG",@progbits,_Z39paged_attention_ll4mi_QKV_mfma16_kernelI14__hip_bfloat16S0_LN4vllm18Fp8KVCacheDataTypeE0ES0_Li32ELi64ELi256ELb1ELi11EEvPKT_PKT0_S8_ifPKiSA_SA_iPKfiiiPfSD_PS3_PT2_iSC_SC_,comdat
.Lfunc_end548:
	.size	_Z39paged_attention_ll4mi_QKV_mfma16_kernelI14__hip_bfloat16S0_LN4vllm18Fp8KVCacheDataTypeE0ES0_Li32ELi64ELi256ELb1ELi11EEvPKT_PKT0_S8_ifPKiSA_SA_iPKfiiiPfSD_PS3_PT2_iSC_SC_, .Lfunc_end548-_Z39paged_attention_ll4mi_QKV_mfma16_kernelI14__hip_bfloat16S0_LN4vllm18Fp8KVCacheDataTypeE0ES0_Li32ELi64ELi256ELb1ELi11EEvPKT_PKT0_S8_ifPKiSA_SA_iPKfiiiPfSD_PS3_PT2_iSC_SC_
                                        ; -- End function
	.set _Z39paged_attention_ll4mi_QKV_mfma16_kernelI14__hip_bfloat16S0_LN4vllm18Fp8KVCacheDataTypeE0ES0_Li32ELi64ELi256ELb1ELi11EEvPKT_PKT0_S8_ifPKiSA_SA_iPKfiiiPfSD_PS3_PT2_iSC_SC_.num_vgpr, max(3, .L__assert_fail.num_vgpr)
	.set _Z39paged_attention_ll4mi_QKV_mfma16_kernelI14__hip_bfloat16S0_LN4vllm18Fp8KVCacheDataTypeE0ES0_Li32ELi64ELi256ELb1ELi11EEvPKT_PKT0_S8_ifPKiSA_SA_iPKfiiiPfSD_PS3_PT2_iSC_SC_.num_agpr, max(0, .L__assert_fail.num_agpr)
	.set _Z39paged_attention_ll4mi_QKV_mfma16_kernelI14__hip_bfloat16S0_LN4vllm18Fp8KVCacheDataTypeE0ES0_Li32ELi64ELi256ELb1ELi11EEvPKT_PKT0_S8_ifPKiSA_SA_iPKfiiiPfSD_PS3_PT2_iSC_SC_.numbered_sgpr, max(33, .L__assert_fail.numbered_sgpr)
	.set _Z39paged_attention_ll4mi_QKV_mfma16_kernelI14__hip_bfloat16S0_LN4vllm18Fp8KVCacheDataTypeE0ES0_Li32ELi64ELi256ELb1ELi11EEvPKT_PKT0_S8_ifPKiSA_SA_iPKfiiiPfSD_PS3_PT2_iSC_SC_.num_named_barrier, max(0, .L__assert_fail.num_named_barrier)
	.set _Z39paged_attention_ll4mi_QKV_mfma16_kernelI14__hip_bfloat16S0_LN4vllm18Fp8KVCacheDataTypeE0ES0_Li32ELi64ELi256ELb1ELi11EEvPKT_PKT0_S8_ifPKiSA_SA_iPKfiiiPfSD_PS3_PT2_iSC_SC_.private_seg_size, 0+max(.L__assert_fail.private_seg_size)
	.set _Z39paged_attention_ll4mi_QKV_mfma16_kernelI14__hip_bfloat16S0_LN4vllm18Fp8KVCacheDataTypeE0ES0_Li32ELi64ELi256ELb1ELi11EEvPKT_PKT0_S8_ifPKiSA_SA_iPKfiiiPfSD_PS3_PT2_iSC_SC_.uses_vcc, or(1, .L__assert_fail.uses_vcc)
	.set _Z39paged_attention_ll4mi_QKV_mfma16_kernelI14__hip_bfloat16S0_LN4vllm18Fp8KVCacheDataTypeE0ES0_Li32ELi64ELi256ELb1ELi11EEvPKT_PKT0_S8_ifPKiSA_SA_iPKfiiiPfSD_PS3_PT2_iSC_SC_.uses_flat_scratch, or(0, .L__assert_fail.uses_flat_scratch)
	.set _Z39paged_attention_ll4mi_QKV_mfma16_kernelI14__hip_bfloat16S0_LN4vllm18Fp8KVCacheDataTypeE0ES0_Li32ELi64ELi256ELb1ELi11EEvPKT_PKT0_S8_ifPKiSA_SA_iPKfiiiPfSD_PS3_PT2_iSC_SC_.has_dyn_sized_stack, or(0, .L__assert_fail.has_dyn_sized_stack)
	.set _Z39paged_attention_ll4mi_QKV_mfma16_kernelI14__hip_bfloat16S0_LN4vllm18Fp8KVCacheDataTypeE0ES0_Li32ELi64ELi256ELb1ELi11EEvPKT_PKT0_S8_ifPKiSA_SA_iPKfiiiPfSD_PS3_PT2_iSC_SC_.has_recursion, or(0, .L__assert_fail.has_recursion)
	.set _Z39paged_attention_ll4mi_QKV_mfma16_kernelI14__hip_bfloat16S0_LN4vllm18Fp8KVCacheDataTypeE0ES0_Li32ELi64ELi256ELb1ELi11EEvPKT_PKT0_S8_ifPKiSA_SA_iPKfiiiPfSD_PS3_PT2_iSC_SC_.has_indirect_call, or(0, .L__assert_fail.has_indirect_call)
	.section	.AMDGPU.csdata,"",@progbits
; Kernel info:
; codeLenInByte = 68
; TotalNumSgprs: 36
; NumVgprs: 51
; ScratchSize: 64
; MemoryBound: 0
; FloatMode: 240
; IeeeMode: 1
; LDSByteSize: 0 bytes/workgroup (compile time only)
; SGPRBlocks: 0
; VGPRBlocks: 3
; NumSGPRsForWavesPerEU: 36
; NumVGPRsForWavesPerEU: 51
; NamedBarCnt: 0
; Occupancy: 16
; WaveLimiterHint : 1
; COMPUTE_PGM_RSRC2:SCRATCH_EN: 1
; COMPUTE_PGM_RSRC2:USER_SGPR: 2
; COMPUTE_PGM_RSRC2:TRAP_HANDLER: 0
; COMPUTE_PGM_RSRC2:TGID_X_EN: 1
; COMPUTE_PGM_RSRC2:TGID_Y_EN: 0
; COMPUTE_PGM_RSRC2:TGID_Z_EN: 0
; COMPUTE_PGM_RSRC2:TIDIG_COMP_CNT: 0
	.section	.text._Z39paged_attention_ll4mi_QKV_mfma16_kernelI14__hip_bfloat16S0_LN4vllm18Fp8KVCacheDataTypeE0ES0_Li32ELi64ELi256ELb1ELi12EEvPKT_PKT0_S8_ifPKiSA_SA_iPKfiiiPfSD_PS3_PT2_iSC_SC_,"axG",@progbits,_Z39paged_attention_ll4mi_QKV_mfma16_kernelI14__hip_bfloat16S0_LN4vllm18Fp8KVCacheDataTypeE0ES0_Li32ELi64ELi256ELb1ELi12EEvPKT_PKT0_S8_ifPKiSA_SA_iPKfiiiPfSD_PS3_PT2_iSC_SC_,comdat
	.protected	_Z39paged_attention_ll4mi_QKV_mfma16_kernelI14__hip_bfloat16S0_LN4vllm18Fp8KVCacheDataTypeE0ES0_Li32ELi64ELi256ELb1ELi12EEvPKT_PKT0_S8_ifPKiSA_SA_iPKfiiiPfSD_PS3_PT2_iSC_SC_ ; -- Begin function _Z39paged_attention_ll4mi_QKV_mfma16_kernelI14__hip_bfloat16S0_LN4vllm18Fp8KVCacheDataTypeE0ES0_Li32ELi64ELi256ELb1ELi12EEvPKT_PKT0_S8_ifPKiSA_SA_iPKfiiiPfSD_PS3_PT2_iSC_SC_
	.globl	_Z39paged_attention_ll4mi_QKV_mfma16_kernelI14__hip_bfloat16S0_LN4vllm18Fp8KVCacheDataTypeE0ES0_Li32ELi64ELi256ELb1ELi12EEvPKT_PKT0_S8_ifPKiSA_SA_iPKfiiiPfSD_PS3_PT2_iSC_SC_
	.p2align	8
	.type	_Z39paged_attention_ll4mi_QKV_mfma16_kernelI14__hip_bfloat16S0_LN4vllm18Fp8KVCacheDataTypeE0ES0_Li32ELi64ELi256ELb1ELi12EEvPKT_PKT0_S8_ifPKiSA_SA_iPKfiiiPfSD_PS3_PT2_iSC_SC_,@function
_Z39paged_attention_ll4mi_QKV_mfma16_kernelI14__hip_bfloat16S0_LN4vllm18Fp8KVCacheDataTypeE0ES0_Li32ELi64ELi256ELb1ELi12EEvPKT_PKT0_S8_ifPKiSA_SA_iPKfiiiPfSD_PS3_PT2_iSC_SC_: ; @_Z39paged_attention_ll4mi_QKV_mfma16_kernelI14__hip_bfloat16S0_LN4vllm18Fp8KVCacheDataTypeE0ES0_Li32ELi64ELi256ELb1ELi12EEvPKT_PKT0_S8_ifPKiSA_SA_iPKfiiiPfSD_PS3_PT2_iSC_SC_
; %bb.0:
	s_get_pc_i64 s[2:3]
	s_add_nc_u64 s[2:3], s[2:3], __PRETTY_FUNCTION__._Z39paged_attention_ll4mi_QKV_mfma16_kernelI14__hip_bfloat16S0_LN4vllm18Fp8KVCacheDataTypeE0ES0_Li32ELi64ELi256ELb1ELi12EEvPKT_PKT0_S8_ifPKiSA_SA_iPKfiiiPfSD_PS3_PT2_iSC_SC_@rel64+4
	s_delay_alu instid0(SALU_CYCLE_1)
	v_dual_mov_b32 v0, 0xbb3 :: v_dual_mov_b32 v1, s2
	v_mov_b32_e32 v2, s3
	s_add_nc_u64 s[8:9], s[0:1], 0x90
	s_get_pc_i64 s[0:1]
	s_add_nc_u64 s[0:1], s[0:1], __assert_fail@rel64+4
	s_mov_b32 s32, 0
	s_swap_pc_i64 s[30:31], s[0:1]
	.section	.rodata,"a",@progbits
	.p2align	6, 0x0
	.amdhsa_kernel _Z39paged_attention_ll4mi_QKV_mfma16_kernelI14__hip_bfloat16S0_LN4vllm18Fp8KVCacheDataTypeE0ES0_Li32ELi64ELi256ELb1ELi12EEvPKT_PKT0_S8_ifPKiSA_SA_iPKfiiiPfSD_PS3_PT2_iSC_SC_
		.amdhsa_group_segment_fixed_size 0
		.amdhsa_private_segment_fixed_size 64
		.amdhsa_kernarg_size 400
		.amdhsa_user_sgpr_count 2
		.amdhsa_user_sgpr_dispatch_ptr 0
		.amdhsa_user_sgpr_queue_ptr 0
		.amdhsa_user_sgpr_kernarg_segment_ptr 1
		.amdhsa_user_sgpr_dispatch_id 0
		.amdhsa_user_sgpr_kernarg_preload_length 0
		.amdhsa_user_sgpr_kernarg_preload_offset 0
		.amdhsa_user_sgpr_private_segment_size 0
		.amdhsa_wavefront_size32 1
		.amdhsa_uses_dynamic_stack 0
		.amdhsa_enable_private_segment 1
		.amdhsa_system_sgpr_workgroup_id_x 1
		.amdhsa_system_sgpr_workgroup_id_y 0
		.amdhsa_system_sgpr_workgroup_id_z 0
		.amdhsa_system_sgpr_workgroup_info 0
		.amdhsa_system_vgpr_workitem_id 0
		.amdhsa_next_free_vgpr 51
		.amdhsa_next_free_sgpr 34
		.amdhsa_named_barrier_count 0
		.amdhsa_reserve_vcc 1
		.amdhsa_float_round_mode_32 0
		.amdhsa_float_round_mode_16_64 0
		.amdhsa_float_denorm_mode_32 3
		.amdhsa_float_denorm_mode_16_64 3
		.amdhsa_fp16_overflow 0
		.amdhsa_memory_ordered 1
		.amdhsa_forward_progress 1
		.amdhsa_inst_pref_size 1
		.amdhsa_round_robin_scheduling 0
		.amdhsa_exception_fp_ieee_invalid_op 0
		.amdhsa_exception_fp_denorm_src 0
		.amdhsa_exception_fp_ieee_div_zero 0
		.amdhsa_exception_fp_ieee_overflow 0
		.amdhsa_exception_fp_ieee_underflow 0
		.amdhsa_exception_fp_ieee_inexact 0
		.amdhsa_exception_int_div_zero 0
	.end_amdhsa_kernel
	.section	.text._Z39paged_attention_ll4mi_QKV_mfma16_kernelI14__hip_bfloat16S0_LN4vllm18Fp8KVCacheDataTypeE0ES0_Li32ELi64ELi256ELb1ELi12EEvPKT_PKT0_S8_ifPKiSA_SA_iPKfiiiPfSD_PS3_PT2_iSC_SC_,"axG",@progbits,_Z39paged_attention_ll4mi_QKV_mfma16_kernelI14__hip_bfloat16S0_LN4vllm18Fp8KVCacheDataTypeE0ES0_Li32ELi64ELi256ELb1ELi12EEvPKT_PKT0_S8_ifPKiSA_SA_iPKfiiiPfSD_PS3_PT2_iSC_SC_,comdat
.Lfunc_end549:
	.size	_Z39paged_attention_ll4mi_QKV_mfma16_kernelI14__hip_bfloat16S0_LN4vllm18Fp8KVCacheDataTypeE0ES0_Li32ELi64ELi256ELb1ELi12EEvPKT_PKT0_S8_ifPKiSA_SA_iPKfiiiPfSD_PS3_PT2_iSC_SC_, .Lfunc_end549-_Z39paged_attention_ll4mi_QKV_mfma16_kernelI14__hip_bfloat16S0_LN4vllm18Fp8KVCacheDataTypeE0ES0_Li32ELi64ELi256ELb1ELi12EEvPKT_PKT0_S8_ifPKiSA_SA_iPKfiiiPfSD_PS3_PT2_iSC_SC_
                                        ; -- End function
	.set _Z39paged_attention_ll4mi_QKV_mfma16_kernelI14__hip_bfloat16S0_LN4vllm18Fp8KVCacheDataTypeE0ES0_Li32ELi64ELi256ELb1ELi12EEvPKT_PKT0_S8_ifPKiSA_SA_iPKfiiiPfSD_PS3_PT2_iSC_SC_.num_vgpr, max(3, .L__assert_fail.num_vgpr)
	.set _Z39paged_attention_ll4mi_QKV_mfma16_kernelI14__hip_bfloat16S0_LN4vllm18Fp8KVCacheDataTypeE0ES0_Li32ELi64ELi256ELb1ELi12EEvPKT_PKT0_S8_ifPKiSA_SA_iPKfiiiPfSD_PS3_PT2_iSC_SC_.num_agpr, max(0, .L__assert_fail.num_agpr)
	.set _Z39paged_attention_ll4mi_QKV_mfma16_kernelI14__hip_bfloat16S0_LN4vllm18Fp8KVCacheDataTypeE0ES0_Li32ELi64ELi256ELb1ELi12EEvPKT_PKT0_S8_ifPKiSA_SA_iPKfiiiPfSD_PS3_PT2_iSC_SC_.numbered_sgpr, max(33, .L__assert_fail.numbered_sgpr)
	.set _Z39paged_attention_ll4mi_QKV_mfma16_kernelI14__hip_bfloat16S0_LN4vllm18Fp8KVCacheDataTypeE0ES0_Li32ELi64ELi256ELb1ELi12EEvPKT_PKT0_S8_ifPKiSA_SA_iPKfiiiPfSD_PS3_PT2_iSC_SC_.num_named_barrier, max(0, .L__assert_fail.num_named_barrier)
	.set _Z39paged_attention_ll4mi_QKV_mfma16_kernelI14__hip_bfloat16S0_LN4vllm18Fp8KVCacheDataTypeE0ES0_Li32ELi64ELi256ELb1ELi12EEvPKT_PKT0_S8_ifPKiSA_SA_iPKfiiiPfSD_PS3_PT2_iSC_SC_.private_seg_size, 0+max(.L__assert_fail.private_seg_size)
	.set _Z39paged_attention_ll4mi_QKV_mfma16_kernelI14__hip_bfloat16S0_LN4vllm18Fp8KVCacheDataTypeE0ES0_Li32ELi64ELi256ELb1ELi12EEvPKT_PKT0_S8_ifPKiSA_SA_iPKfiiiPfSD_PS3_PT2_iSC_SC_.uses_vcc, or(1, .L__assert_fail.uses_vcc)
	.set _Z39paged_attention_ll4mi_QKV_mfma16_kernelI14__hip_bfloat16S0_LN4vllm18Fp8KVCacheDataTypeE0ES0_Li32ELi64ELi256ELb1ELi12EEvPKT_PKT0_S8_ifPKiSA_SA_iPKfiiiPfSD_PS3_PT2_iSC_SC_.uses_flat_scratch, or(0, .L__assert_fail.uses_flat_scratch)
	.set _Z39paged_attention_ll4mi_QKV_mfma16_kernelI14__hip_bfloat16S0_LN4vllm18Fp8KVCacheDataTypeE0ES0_Li32ELi64ELi256ELb1ELi12EEvPKT_PKT0_S8_ifPKiSA_SA_iPKfiiiPfSD_PS3_PT2_iSC_SC_.has_dyn_sized_stack, or(0, .L__assert_fail.has_dyn_sized_stack)
	.set _Z39paged_attention_ll4mi_QKV_mfma16_kernelI14__hip_bfloat16S0_LN4vllm18Fp8KVCacheDataTypeE0ES0_Li32ELi64ELi256ELb1ELi12EEvPKT_PKT0_S8_ifPKiSA_SA_iPKfiiiPfSD_PS3_PT2_iSC_SC_.has_recursion, or(0, .L__assert_fail.has_recursion)
	.set _Z39paged_attention_ll4mi_QKV_mfma16_kernelI14__hip_bfloat16S0_LN4vllm18Fp8KVCacheDataTypeE0ES0_Li32ELi64ELi256ELb1ELi12EEvPKT_PKT0_S8_ifPKiSA_SA_iPKfiiiPfSD_PS3_PT2_iSC_SC_.has_indirect_call, or(0, .L__assert_fail.has_indirect_call)
	.section	.AMDGPU.csdata,"",@progbits
; Kernel info:
; codeLenInByte = 68
; TotalNumSgprs: 36
; NumVgprs: 51
; ScratchSize: 64
; MemoryBound: 0
; FloatMode: 240
; IeeeMode: 1
; LDSByteSize: 0 bytes/workgroup (compile time only)
; SGPRBlocks: 0
; VGPRBlocks: 3
; NumSGPRsForWavesPerEU: 36
; NumVGPRsForWavesPerEU: 51
; NamedBarCnt: 0
; Occupancy: 16
; WaveLimiterHint : 1
; COMPUTE_PGM_RSRC2:SCRATCH_EN: 1
; COMPUTE_PGM_RSRC2:USER_SGPR: 2
; COMPUTE_PGM_RSRC2:TRAP_HANDLER: 0
; COMPUTE_PGM_RSRC2:TGID_X_EN: 1
; COMPUTE_PGM_RSRC2:TGID_Y_EN: 0
; COMPUTE_PGM_RSRC2:TGID_Z_EN: 0
; COMPUTE_PGM_RSRC2:TIDIG_COMP_CNT: 0
	.section	.text._Z39paged_attention_ll4mi_QKV_mfma16_kernelI14__hip_bfloat16S0_LN4vllm18Fp8KVCacheDataTypeE0ES0_Li32ELi64ELi256ELb1ELi13EEvPKT_PKT0_S8_ifPKiSA_SA_iPKfiiiPfSD_PS3_PT2_iSC_SC_,"axG",@progbits,_Z39paged_attention_ll4mi_QKV_mfma16_kernelI14__hip_bfloat16S0_LN4vllm18Fp8KVCacheDataTypeE0ES0_Li32ELi64ELi256ELb1ELi13EEvPKT_PKT0_S8_ifPKiSA_SA_iPKfiiiPfSD_PS3_PT2_iSC_SC_,comdat
	.protected	_Z39paged_attention_ll4mi_QKV_mfma16_kernelI14__hip_bfloat16S0_LN4vllm18Fp8KVCacheDataTypeE0ES0_Li32ELi64ELi256ELb1ELi13EEvPKT_PKT0_S8_ifPKiSA_SA_iPKfiiiPfSD_PS3_PT2_iSC_SC_ ; -- Begin function _Z39paged_attention_ll4mi_QKV_mfma16_kernelI14__hip_bfloat16S0_LN4vllm18Fp8KVCacheDataTypeE0ES0_Li32ELi64ELi256ELb1ELi13EEvPKT_PKT0_S8_ifPKiSA_SA_iPKfiiiPfSD_PS3_PT2_iSC_SC_
	.globl	_Z39paged_attention_ll4mi_QKV_mfma16_kernelI14__hip_bfloat16S0_LN4vllm18Fp8KVCacheDataTypeE0ES0_Li32ELi64ELi256ELb1ELi13EEvPKT_PKT0_S8_ifPKiSA_SA_iPKfiiiPfSD_PS3_PT2_iSC_SC_
	.p2align	8
	.type	_Z39paged_attention_ll4mi_QKV_mfma16_kernelI14__hip_bfloat16S0_LN4vllm18Fp8KVCacheDataTypeE0ES0_Li32ELi64ELi256ELb1ELi13EEvPKT_PKT0_S8_ifPKiSA_SA_iPKfiiiPfSD_PS3_PT2_iSC_SC_,@function
_Z39paged_attention_ll4mi_QKV_mfma16_kernelI14__hip_bfloat16S0_LN4vllm18Fp8KVCacheDataTypeE0ES0_Li32ELi64ELi256ELb1ELi13EEvPKT_PKT0_S8_ifPKiSA_SA_iPKfiiiPfSD_PS3_PT2_iSC_SC_: ; @_Z39paged_attention_ll4mi_QKV_mfma16_kernelI14__hip_bfloat16S0_LN4vllm18Fp8KVCacheDataTypeE0ES0_Li32ELi64ELi256ELb1ELi13EEvPKT_PKT0_S8_ifPKiSA_SA_iPKfiiiPfSD_PS3_PT2_iSC_SC_
; %bb.0:
	s_get_pc_i64 s[2:3]
	s_add_nc_u64 s[2:3], s[2:3], __PRETTY_FUNCTION__._Z39paged_attention_ll4mi_QKV_mfma16_kernelI14__hip_bfloat16S0_LN4vllm18Fp8KVCacheDataTypeE0ES0_Li32ELi64ELi256ELb1ELi13EEvPKT_PKT0_S8_ifPKiSA_SA_iPKfiiiPfSD_PS3_PT2_iSC_SC_@rel64+4
	s_delay_alu instid0(SALU_CYCLE_1)
	v_dual_mov_b32 v0, 0xbb3 :: v_dual_mov_b32 v1, s2
	v_mov_b32_e32 v2, s3
	s_add_nc_u64 s[8:9], s[0:1], 0x90
	s_get_pc_i64 s[0:1]
	s_add_nc_u64 s[0:1], s[0:1], __assert_fail@rel64+4
	s_mov_b32 s32, 0
	s_swap_pc_i64 s[30:31], s[0:1]
	.section	.rodata,"a",@progbits
	.p2align	6, 0x0
	.amdhsa_kernel _Z39paged_attention_ll4mi_QKV_mfma16_kernelI14__hip_bfloat16S0_LN4vllm18Fp8KVCacheDataTypeE0ES0_Li32ELi64ELi256ELb1ELi13EEvPKT_PKT0_S8_ifPKiSA_SA_iPKfiiiPfSD_PS3_PT2_iSC_SC_
		.amdhsa_group_segment_fixed_size 0
		.amdhsa_private_segment_fixed_size 64
		.amdhsa_kernarg_size 400
		.amdhsa_user_sgpr_count 2
		.amdhsa_user_sgpr_dispatch_ptr 0
		.amdhsa_user_sgpr_queue_ptr 0
		.amdhsa_user_sgpr_kernarg_segment_ptr 1
		.amdhsa_user_sgpr_dispatch_id 0
		.amdhsa_user_sgpr_kernarg_preload_length 0
		.amdhsa_user_sgpr_kernarg_preload_offset 0
		.amdhsa_user_sgpr_private_segment_size 0
		.amdhsa_wavefront_size32 1
		.amdhsa_uses_dynamic_stack 0
		.amdhsa_enable_private_segment 1
		.amdhsa_system_sgpr_workgroup_id_x 1
		.amdhsa_system_sgpr_workgroup_id_y 0
		.amdhsa_system_sgpr_workgroup_id_z 0
		.amdhsa_system_sgpr_workgroup_info 0
		.amdhsa_system_vgpr_workitem_id 0
		.amdhsa_next_free_vgpr 51
		.amdhsa_next_free_sgpr 34
		.amdhsa_named_barrier_count 0
		.amdhsa_reserve_vcc 1
		.amdhsa_float_round_mode_32 0
		.amdhsa_float_round_mode_16_64 0
		.amdhsa_float_denorm_mode_32 3
		.amdhsa_float_denorm_mode_16_64 3
		.amdhsa_fp16_overflow 0
		.amdhsa_memory_ordered 1
		.amdhsa_forward_progress 1
		.amdhsa_inst_pref_size 1
		.amdhsa_round_robin_scheduling 0
		.amdhsa_exception_fp_ieee_invalid_op 0
		.amdhsa_exception_fp_denorm_src 0
		.amdhsa_exception_fp_ieee_div_zero 0
		.amdhsa_exception_fp_ieee_overflow 0
		.amdhsa_exception_fp_ieee_underflow 0
		.amdhsa_exception_fp_ieee_inexact 0
		.amdhsa_exception_int_div_zero 0
	.end_amdhsa_kernel
	.section	.text._Z39paged_attention_ll4mi_QKV_mfma16_kernelI14__hip_bfloat16S0_LN4vllm18Fp8KVCacheDataTypeE0ES0_Li32ELi64ELi256ELb1ELi13EEvPKT_PKT0_S8_ifPKiSA_SA_iPKfiiiPfSD_PS3_PT2_iSC_SC_,"axG",@progbits,_Z39paged_attention_ll4mi_QKV_mfma16_kernelI14__hip_bfloat16S0_LN4vllm18Fp8KVCacheDataTypeE0ES0_Li32ELi64ELi256ELb1ELi13EEvPKT_PKT0_S8_ifPKiSA_SA_iPKfiiiPfSD_PS3_PT2_iSC_SC_,comdat
.Lfunc_end550:
	.size	_Z39paged_attention_ll4mi_QKV_mfma16_kernelI14__hip_bfloat16S0_LN4vllm18Fp8KVCacheDataTypeE0ES0_Li32ELi64ELi256ELb1ELi13EEvPKT_PKT0_S8_ifPKiSA_SA_iPKfiiiPfSD_PS3_PT2_iSC_SC_, .Lfunc_end550-_Z39paged_attention_ll4mi_QKV_mfma16_kernelI14__hip_bfloat16S0_LN4vllm18Fp8KVCacheDataTypeE0ES0_Li32ELi64ELi256ELb1ELi13EEvPKT_PKT0_S8_ifPKiSA_SA_iPKfiiiPfSD_PS3_PT2_iSC_SC_
                                        ; -- End function
	.set _Z39paged_attention_ll4mi_QKV_mfma16_kernelI14__hip_bfloat16S0_LN4vllm18Fp8KVCacheDataTypeE0ES0_Li32ELi64ELi256ELb1ELi13EEvPKT_PKT0_S8_ifPKiSA_SA_iPKfiiiPfSD_PS3_PT2_iSC_SC_.num_vgpr, max(3, .L__assert_fail.num_vgpr)
	.set _Z39paged_attention_ll4mi_QKV_mfma16_kernelI14__hip_bfloat16S0_LN4vllm18Fp8KVCacheDataTypeE0ES0_Li32ELi64ELi256ELb1ELi13EEvPKT_PKT0_S8_ifPKiSA_SA_iPKfiiiPfSD_PS3_PT2_iSC_SC_.num_agpr, max(0, .L__assert_fail.num_agpr)
	.set _Z39paged_attention_ll4mi_QKV_mfma16_kernelI14__hip_bfloat16S0_LN4vllm18Fp8KVCacheDataTypeE0ES0_Li32ELi64ELi256ELb1ELi13EEvPKT_PKT0_S8_ifPKiSA_SA_iPKfiiiPfSD_PS3_PT2_iSC_SC_.numbered_sgpr, max(33, .L__assert_fail.numbered_sgpr)
	.set _Z39paged_attention_ll4mi_QKV_mfma16_kernelI14__hip_bfloat16S0_LN4vllm18Fp8KVCacheDataTypeE0ES0_Li32ELi64ELi256ELb1ELi13EEvPKT_PKT0_S8_ifPKiSA_SA_iPKfiiiPfSD_PS3_PT2_iSC_SC_.num_named_barrier, max(0, .L__assert_fail.num_named_barrier)
	.set _Z39paged_attention_ll4mi_QKV_mfma16_kernelI14__hip_bfloat16S0_LN4vllm18Fp8KVCacheDataTypeE0ES0_Li32ELi64ELi256ELb1ELi13EEvPKT_PKT0_S8_ifPKiSA_SA_iPKfiiiPfSD_PS3_PT2_iSC_SC_.private_seg_size, 0+max(.L__assert_fail.private_seg_size)
	.set _Z39paged_attention_ll4mi_QKV_mfma16_kernelI14__hip_bfloat16S0_LN4vllm18Fp8KVCacheDataTypeE0ES0_Li32ELi64ELi256ELb1ELi13EEvPKT_PKT0_S8_ifPKiSA_SA_iPKfiiiPfSD_PS3_PT2_iSC_SC_.uses_vcc, or(1, .L__assert_fail.uses_vcc)
	.set _Z39paged_attention_ll4mi_QKV_mfma16_kernelI14__hip_bfloat16S0_LN4vllm18Fp8KVCacheDataTypeE0ES0_Li32ELi64ELi256ELb1ELi13EEvPKT_PKT0_S8_ifPKiSA_SA_iPKfiiiPfSD_PS3_PT2_iSC_SC_.uses_flat_scratch, or(0, .L__assert_fail.uses_flat_scratch)
	.set _Z39paged_attention_ll4mi_QKV_mfma16_kernelI14__hip_bfloat16S0_LN4vllm18Fp8KVCacheDataTypeE0ES0_Li32ELi64ELi256ELb1ELi13EEvPKT_PKT0_S8_ifPKiSA_SA_iPKfiiiPfSD_PS3_PT2_iSC_SC_.has_dyn_sized_stack, or(0, .L__assert_fail.has_dyn_sized_stack)
	.set _Z39paged_attention_ll4mi_QKV_mfma16_kernelI14__hip_bfloat16S0_LN4vllm18Fp8KVCacheDataTypeE0ES0_Li32ELi64ELi256ELb1ELi13EEvPKT_PKT0_S8_ifPKiSA_SA_iPKfiiiPfSD_PS3_PT2_iSC_SC_.has_recursion, or(0, .L__assert_fail.has_recursion)
	.set _Z39paged_attention_ll4mi_QKV_mfma16_kernelI14__hip_bfloat16S0_LN4vllm18Fp8KVCacheDataTypeE0ES0_Li32ELi64ELi256ELb1ELi13EEvPKT_PKT0_S8_ifPKiSA_SA_iPKfiiiPfSD_PS3_PT2_iSC_SC_.has_indirect_call, or(0, .L__assert_fail.has_indirect_call)
	.section	.AMDGPU.csdata,"",@progbits
; Kernel info:
; codeLenInByte = 68
; TotalNumSgprs: 36
; NumVgprs: 51
; ScratchSize: 64
; MemoryBound: 0
; FloatMode: 240
; IeeeMode: 1
; LDSByteSize: 0 bytes/workgroup (compile time only)
; SGPRBlocks: 0
; VGPRBlocks: 3
; NumSGPRsForWavesPerEU: 36
; NumVGPRsForWavesPerEU: 51
; NamedBarCnt: 0
; Occupancy: 16
; WaveLimiterHint : 1
; COMPUTE_PGM_RSRC2:SCRATCH_EN: 1
; COMPUTE_PGM_RSRC2:USER_SGPR: 2
; COMPUTE_PGM_RSRC2:TRAP_HANDLER: 0
; COMPUTE_PGM_RSRC2:TGID_X_EN: 1
; COMPUTE_PGM_RSRC2:TGID_Y_EN: 0
; COMPUTE_PGM_RSRC2:TGID_Z_EN: 0
; COMPUTE_PGM_RSRC2:TIDIG_COMP_CNT: 0
	.section	.text._Z39paged_attention_ll4mi_QKV_mfma16_kernelI14__hip_bfloat16S0_LN4vllm18Fp8KVCacheDataTypeE0ES0_Li32ELi64ELi256ELb1ELi14EEvPKT_PKT0_S8_ifPKiSA_SA_iPKfiiiPfSD_PS3_PT2_iSC_SC_,"axG",@progbits,_Z39paged_attention_ll4mi_QKV_mfma16_kernelI14__hip_bfloat16S0_LN4vllm18Fp8KVCacheDataTypeE0ES0_Li32ELi64ELi256ELb1ELi14EEvPKT_PKT0_S8_ifPKiSA_SA_iPKfiiiPfSD_PS3_PT2_iSC_SC_,comdat
	.protected	_Z39paged_attention_ll4mi_QKV_mfma16_kernelI14__hip_bfloat16S0_LN4vllm18Fp8KVCacheDataTypeE0ES0_Li32ELi64ELi256ELb1ELi14EEvPKT_PKT0_S8_ifPKiSA_SA_iPKfiiiPfSD_PS3_PT2_iSC_SC_ ; -- Begin function _Z39paged_attention_ll4mi_QKV_mfma16_kernelI14__hip_bfloat16S0_LN4vllm18Fp8KVCacheDataTypeE0ES0_Li32ELi64ELi256ELb1ELi14EEvPKT_PKT0_S8_ifPKiSA_SA_iPKfiiiPfSD_PS3_PT2_iSC_SC_
	.globl	_Z39paged_attention_ll4mi_QKV_mfma16_kernelI14__hip_bfloat16S0_LN4vllm18Fp8KVCacheDataTypeE0ES0_Li32ELi64ELi256ELb1ELi14EEvPKT_PKT0_S8_ifPKiSA_SA_iPKfiiiPfSD_PS3_PT2_iSC_SC_
	.p2align	8
	.type	_Z39paged_attention_ll4mi_QKV_mfma16_kernelI14__hip_bfloat16S0_LN4vllm18Fp8KVCacheDataTypeE0ES0_Li32ELi64ELi256ELb1ELi14EEvPKT_PKT0_S8_ifPKiSA_SA_iPKfiiiPfSD_PS3_PT2_iSC_SC_,@function
_Z39paged_attention_ll4mi_QKV_mfma16_kernelI14__hip_bfloat16S0_LN4vllm18Fp8KVCacheDataTypeE0ES0_Li32ELi64ELi256ELb1ELi14EEvPKT_PKT0_S8_ifPKiSA_SA_iPKfiiiPfSD_PS3_PT2_iSC_SC_: ; @_Z39paged_attention_ll4mi_QKV_mfma16_kernelI14__hip_bfloat16S0_LN4vllm18Fp8KVCacheDataTypeE0ES0_Li32ELi64ELi256ELb1ELi14EEvPKT_PKT0_S8_ifPKiSA_SA_iPKfiiiPfSD_PS3_PT2_iSC_SC_
; %bb.0:
	s_get_pc_i64 s[2:3]
	s_add_nc_u64 s[2:3], s[2:3], __PRETTY_FUNCTION__._Z39paged_attention_ll4mi_QKV_mfma16_kernelI14__hip_bfloat16S0_LN4vllm18Fp8KVCacheDataTypeE0ES0_Li32ELi64ELi256ELb1ELi14EEvPKT_PKT0_S8_ifPKiSA_SA_iPKfiiiPfSD_PS3_PT2_iSC_SC_@rel64+4
	s_delay_alu instid0(SALU_CYCLE_1)
	v_dual_mov_b32 v0, 0xbb3 :: v_dual_mov_b32 v1, s2
	v_mov_b32_e32 v2, s3
	s_add_nc_u64 s[8:9], s[0:1], 0x90
	s_get_pc_i64 s[0:1]
	s_add_nc_u64 s[0:1], s[0:1], __assert_fail@rel64+4
	s_mov_b32 s32, 0
	s_swap_pc_i64 s[30:31], s[0:1]
	.section	.rodata,"a",@progbits
	.p2align	6, 0x0
	.amdhsa_kernel _Z39paged_attention_ll4mi_QKV_mfma16_kernelI14__hip_bfloat16S0_LN4vllm18Fp8KVCacheDataTypeE0ES0_Li32ELi64ELi256ELb1ELi14EEvPKT_PKT0_S8_ifPKiSA_SA_iPKfiiiPfSD_PS3_PT2_iSC_SC_
		.amdhsa_group_segment_fixed_size 0
		.amdhsa_private_segment_fixed_size 64
		.amdhsa_kernarg_size 400
		.amdhsa_user_sgpr_count 2
		.amdhsa_user_sgpr_dispatch_ptr 0
		.amdhsa_user_sgpr_queue_ptr 0
		.amdhsa_user_sgpr_kernarg_segment_ptr 1
		.amdhsa_user_sgpr_dispatch_id 0
		.amdhsa_user_sgpr_kernarg_preload_length 0
		.amdhsa_user_sgpr_kernarg_preload_offset 0
		.amdhsa_user_sgpr_private_segment_size 0
		.amdhsa_wavefront_size32 1
		.amdhsa_uses_dynamic_stack 0
		.amdhsa_enable_private_segment 1
		.amdhsa_system_sgpr_workgroup_id_x 1
		.amdhsa_system_sgpr_workgroup_id_y 0
		.amdhsa_system_sgpr_workgroup_id_z 0
		.amdhsa_system_sgpr_workgroup_info 0
		.amdhsa_system_vgpr_workitem_id 0
		.amdhsa_next_free_vgpr 51
		.amdhsa_next_free_sgpr 34
		.amdhsa_named_barrier_count 0
		.amdhsa_reserve_vcc 1
		.amdhsa_float_round_mode_32 0
		.amdhsa_float_round_mode_16_64 0
		.amdhsa_float_denorm_mode_32 3
		.amdhsa_float_denorm_mode_16_64 3
		.amdhsa_fp16_overflow 0
		.amdhsa_memory_ordered 1
		.amdhsa_forward_progress 1
		.amdhsa_inst_pref_size 1
		.amdhsa_round_robin_scheduling 0
		.amdhsa_exception_fp_ieee_invalid_op 0
		.amdhsa_exception_fp_denorm_src 0
		.amdhsa_exception_fp_ieee_div_zero 0
		.amdhsa_exception_fp_ieee_overflow 0
		.amdhsa_exception_fp_ieee_underflow 0
		.amdhsa_exception_fp_ieee_inexact 0
		.amdhsa_exception_int_div_zero 0
	.end_amdhsa_kernel
	.section	.text._Z39paged_attention_ll4mi_QKV_mfma16_kernelI14__hip_bfloat16S0_LN4vllm18Fp8KVCacheDataTypeE0ES0_Li32ELi64ELi256ELb1ELi14EEvPKT_PKT0_S8_ifPKiSA_SA_iPKfiiiPfSD_PS3_PT2_iSC_SC_,"axG",@progbits,_Z39paged_attention_ll4mi_QKV_mfma16_kernelI14__hip_bfloat16S0_LN4vllm18Fp8KVCacheDataTypeE0ES0_Li32ELi64ELi256ELb1ELi14EEvPKT_PKT0_S8_ifPKiSA_SA_iPKfiiiPfSD_PS3_PT2_iSC_SC_,comdat
.Lfunc_end551:
	.size	_Z39paged_attention_ll4mi_QKV_mfma16_kernelI14__hip_bfloat16S0_LN4vllm18Fp8KVCacheDataTypeE0ES0_Li32ELi64ELi256ELb1ELi14EEvPKT_PKT0_S8_ifPKiSA_SA_iPKfiiiPfSD_PS3_PT2_iSC_SC_, .Lfunc_end551-_Z39paged_attention_ll4mi_QKV_mfma16_kernelI14__hip_bfloat16S0_LN4vllm18Fp8KVCacheDataTypeE0ES0_Li32ELi64ELi256ELb1ELi14EEvPKT_PKT0_S8_ifPKiSA_SA_iPKfiiiPfSD_PS3_PT2_iSC_SC_
                                        ; -- End function
	.set _Z39paged_attention_ll4mi_QKV_mfma16_kernelI14__hip_bfloat16S0_LN4vllm18Fp8KVCacheDataTypeE0ES0_Li32ELi64ELi256ELb1ELi14EEvPKT_PKT0_S8_ifPKiSA_SA_iPKfiiiPfSD_PS3_PT2_iSC_SC_.num_vgpr, max(3, .L__assert_fail.num_vgpr)
	.set _Z39paged_attention_ll4mi_QKV_mfma16_kernelI14__hip_bfloat16S0_LN4vllm18Fp8KVCacheDataTypeE0ES0_Li32ELi64ELi256ELb1ELi14EEvPKT_PKT0_S8_ifPKiSA_SA_iPKfiiiPfSD_PS3_PT2_iSC_SC_.num_agpr, max(0, .L__assert_fail.num_agpr)
	.set _Z39paged_attention_ll4mi_QKV_mfma16_kernelI14__hip_bfloat16S0_LN4vllm18Fp8KVCacheDataTypeE0ES0_Li32ELi64ELi256ELb1ELi14EEvPKT_PKT0_S8_ifPKiSA_SA_iPKfiiiPfSD_PS3_PT2_iSC_SC_.numbered_sgpr, max(33, .L__assert_fail.numbered_sgpr)
	.set _Z39paged_attention_ll4mi_QKV_mfma16_kernelI14__hip_bfloat16S0_LN4vllm18Fp8KVCacheDataTypeE0ES0_Li32ELi64ELi256ELb1ELi14EEvPKT_PKT0_S8_ifPKiSA_SA_iPKfiiiPfSD_PS3_PT2_iSC_SC_.num_named_barrier, max(0, .L__assert_fail.num_named_barrier)
	.set _Z39paged_attention_ll4mi_QKV_mfma16_kernelI14__hip_bfloat16S0_LN4vllm18Fp8KVCacheDataTypeE0ES0_Li32ELi64ELi256ELb1ELi14EEvPKT_PKT0_S8_ifPKiSA_SA_iPKfiiiPfSD_PS3_PT2_iSC_SC_.private_seg_size, 0+max(.L__assert_fail.private_seg_size)
	.set _Z39paged_attention_ll4mi_QKV_mfma16_kernelI14__hip_bfloat16S0_LN4vllm18Fp8KVCacheDataTypeE0ES0_Li32ELi64ELi256ELb1ELi14EEvPKT_PKT0_S8_ifPKiSA_SA_iPKfiiiPfSD_PS3_PT2_iSC_SC_.uses_vcc, or(1, .L__assert_fail.uses_vcc)
	.set _Z39paged_attention_ll4mi_QKV_mfma16_kernelI14__hip_bfloat16S0_LN4vllm18Fp8KVCacheDataTypeE0ES0_Li32ELi64ELi256ELb1ELi14EEvPKT_PKT0_S8_ifPKiSA_SA_iPKfiiiPfSD_PS3_PT2_iSC_SC_.uses_flat_scratch, or(0, .L__assert_fail.uses_flat_scratch)
	.set _Z39paged_attention_ll4mi_QKV_mfma16_kernelI14__hip_bfloat16S0_LN4vllm18Fp8KVCacheDataTypeE0ES0_Li32ELi64ELi256ELb1ELi14EEvPKT_PKT0_S8_ifPKiSA_SA_iPKfiiiPfSD_PS3_PT2_iSC_SC_.has_dyn_sized_stack, or(0, .L__assert_fail.has_dyn_sized_stack)
	.set _Z39paged_attention_ll4mi_QKV_mfma16_kernelI14__hip_bfloat16S0_LN4vllm18Fp8KVCacheDataTypeE0ES0_Li32ELi64ELi256ELb1ELi14EEvPKT_PKT0_S8_ifPKiSA_SA_iPKfiiiPfSD_PS3_PT2_iSC_SC_.has_recursion, or(0, .L__assert_fail.has_recursion)
	.set _Z39paged_attention_ll4mi_QKV_mfma16_kernelI14__hip_bfloat16S0_LN4vllm18Fp8KVCacheDataTypeE0ES0_Li32ELi64ELi256ELb1ELi14EEvPKT_PKT0_S8_ifPKiSA_SA_iPKfiiiPfSD_PS3_PT2_iSC_SC_.has_indirect_call, or(0, .L__assert_fail.has_indirect_call)
	.section	.AMDGPU.csdata,"",@progbits
; Kernel info:
; codeLenInByte = 68
; TotalNumSgprs: 36
; NumVgprs: 51
; ScratchSize: 64
; MemoryBound: 0
; FloatMode: 240
; IeeeMode: 1
; LDSByteSize: 0 bytes/workgroup (compile time only)
; SGPRBlocks: 0
; VGPRBlocks: 3
; NumSGPRsForWavesPerEU: 36
; NumVGPRsForWavesPerEU: 51
; NamedBarCnt: 0
; Occupancy: 16
; WaveLimiterHint : 1
; COMPUTE_PGM_RSRC2:SCRATCH_EN: 1
; COMPUTE_PGM_RSRC2:USER_SGPR: 2
; COMPUTE_PGM_RSRC2:TRAP_HANDLER: 0
; COMPUTE_PGM_RSRC2:TGID_X_EN: 1
; COMPUTE_PGM_RSRC2:TGID_Y_EN: 0
; COMPUTE_PGM_RSRC2:TGID_Z_EN: 0
; COMPUTE_PGM_RSRC2:TIDIG_COMP_CNT: 0
	.section	.text._Z39paged_attention_ll4mi_QKV_mfma16_kernelI14__hip_bfloat16S0_LN4vllm18Fp8KVCacheDataTypeE0ES0_Li32ELi64ELi256ELb1ELi15EEvPKT_PKT0_S8_ifPKiSA_SA_iPKfiiiPfSD_PS3_PT2_iSC_SC_,"axG",@progbits,_Z39paged_attention_ll4mi_QKV_mfma16_kernelI14__hip_bfloat16S0_LN4vllm18Fp8KVCacheDataTypeE0ES0_Li32ELi64ELi256ELb1ELi15EEvPKT_PKT0_S8_ifPKiSA_SA_iPKfiiiPfSD_PS3_PT2_iSC_SC_,comdat
	.protected	_Z39paged_attention_ll4mi_QKV_mfma16_kernelI14__hip_bfloat16S0_LN4vllm18Fp8KVCacheDataTypeE0ES0_Li32ELi64ELi256ELb1ELi15EEvPKT_PKT0_S8_ifPKiSA_SA_iPKfiiiPfSD_PS3_PT2_iSC_SC_ ; -- Begin function _Z39paged_attention_ll4mi_QKV_mfma16_kernelI14__hip_bfloat16S0_LN4vllm18Fp8KVCacheDataTypeE0ES0_Li32ELi64ELi256ELb1ELi15EEvPKT_PKT0_S8_ifPKiSA_SA_iPKfiiiPfSD_PS3_PT2_iSC_SC_
	.globl	_Z39paged_attention_ll4mi_QKV_mfma16_kernelI14__hip_bfloat16S0_LN4vllm18Fp8KVCacheDataTypeE0ES0_Li32ELi64ELi256ELb1ELi15EEvPKT_PKT0_S8_ifPKiSA_SA_iPKfiiiPfSD_PS3_PT2_iSC_SC_
	.p2align	8
	.type	_Z39paged_attention_ll4mi_QKV_mfma16_kernelI14__hip_bfloat16S0_LN4vllm18Fp8KVCacheDataTypeE0ES0_Li32ELi64ELi256ELb1ELi15EEvPKT_PKT0_S8_ifPKiSA_SA_iPKfiiiPfSD_PS3_PT2_iSC_SC_,@function
_Z39paged_attention_ll4mi_QKV_mfma16_kernelI14__hip_bfloat16S0_LN4vllm18Fp8KVCacheDataTypeE0ES0_Li32ELi64ELi256ELb1ELi15EEvPKT_PKT0_S8_ifPKiSA_SA_iPKfiiiPfSD_PS3_PT2_iSC_SC_: ; @_Z39paged_attention_ll4mi_QKV_mfma16_kernelI14__hip_bfloat16S0_LN4vllm18Fp8KVCacheDataTypeE0ES0_Li32ELi64ELi256ELb1ELi15EEvPKT_PKT0_S8_ifPKiSA_SA_iPKfiiiPfSD_PS3_PT2_iSC_SC_
; %bb.0:
	s_get_pc_i64 s[2:3]
	s_add_nc_u64 s[2:3], s[2:3], __PRETTY_FUNCTION__._Z39paged_attention_ll4mi_QKV_mfma16_kernelI14__hip_bfloat16S0_LN4vllm18Fp8KVCacheDataTypeE0ES0_Li32ELi64ELi256ELb1ELi15EEvPKT_PKT0_S8_ifPKiSA_SA_iPKfiiiPfSD_PS3_PT2_iSC_SC_@rel64+4
	s_delay_alu instid0(SALU_CYCLE_1)
	v_dual_mov_b32 v0, 0xbb3 :: v_dual_mov_b32 v1, s2
	v_mov_b32_e32 v2, s3
	s_add_nc_u64 s[8:9], s[0:1], 0x90
	s_get_pc_i64 s[0:1]
	s_add_nc_u64 s[0:1], s[0:1], __assert_fail@rel64+4
	s_mov_b32 s32, 0
	s_swap_pc_i64 s[30:31], s[0:1]
	.section	.rodata,"a",@progbits
	.p2align	6, 0x0
	.amdhsa_kernel _Z39paged_attention_ll4mi_QKV_mfma16_kernelI14__hip_bfloat16S0_LN4vllm18Fp8KVCacheDataTypeE0ES0_Li32ELi64ELi256ELb1ELi15EEvPKT_PKT0_S8_ifPKiSA_SA_iPKfiiiPfSD_PS3_PT2_iSC_SC_
		.amdhsa_group_segment_fixed_size 0
		.amdhsa_private_segment_fixed_size 64
		.amdhsa_kernarg_size 400
		.amdhsa_user_sgpr_count 2
		.amdhsa_user_sgpr_dispatch_ptr 0
		.amdhsa_user_sgpr_queue_ptr 0
		.amdhsa_user_sgpr_kernarg_segment_ptr 1
		.amdhsa_user_sgpr_dispatch_id 0
		.amdhsa_user_sgpr_kernarg_preload_length 0
		.amdhsa_user_sgpr_kernarg_preload_offset 0
		.amdhsa_user_sgpr_private_segment_size 0
		.amdhsa_wavefront_size32 1
		.amdhsa_uses_dynamic_stack 0
		.amdhsa_enable_private_segment 1
		.amdhsa_system_sgpr_workgroup_id_x 1
		.amdhsa_system_sgpr_workgroup_id_y 0
		.amdhsa_system_sgpr_workgroup_id_z 0
		.amdhsa_system_sgpr_workgroup_info 0
		.amdhsa_system_vgpr_workitem_id 0
		.amdhsa_next_free_vgpr 51
		.amdhsa_next_free_sgpr 34
		.amdhsa_named_barrier_count 0
		.amdhsa_reserve_vcc 1
		.amdhsa_float_round_mode_32 0
		.amdhsa_float_round_mode_16_64 0
		.amdhsa_float_denorm_mode_32 3
		.amdhsa_float_denorm_mode_16_64 3
		.amdhsa_fp16_overflow 0
		.amdhsa_memory_ordered 1
		.amdhsa_forward_progress 1
		.amdhsa_inst_pref_size 1
		.amdhsa_round_robin_scheduling 0
		.amdhsa_exception_fp_ieee_invalid_op 0
		.amdhsa_exception_fp_denorm_src 0
		.amdhsa_exception_fp_ieee_div_zero 0
		.amdhsa_exception_fp_ieee_overflow 0
		.amdhsa_exception_fp_ieee_underflow 0
		.amdhsa_exception_fp_ieee_inexact 0
		.amdhsa_exception_int_div_zero 0
	.end_amdhsa_kernel
	.section	.text._Z39paged_attention_ll4mi_QKV_mfma16_kernelI14__hip_bfloat16S0_LN4vllm18Fp8KVCacheDataTypeE0ES0_Li32ELi64ELi256ELb1ELi15EEvPKT_PKT0_S8_ifPKiSA_SA_iPKfiiiPfSD_PS3_PT2_iSC_SC_,"axG",@progbits,_Z39paged_attention_ll4mi_QKV_mfma16_kernelI14__hip_bfloat16S0_LN4vllm18Fp8KVCacheDataTypeE0ES0_Li32ELi64ELi256ELb1ELi15EEvPKT_PKT0_S8_ifPKiSA_SA_iPKfiiiPfSD_PS3_PT2_iSC_SC_,comdat
.Lfunc_end552:
	.size	_Z39paged_attention_ll4mi_QKV_mfma16_kernelI14__hip_bfloat16S0_LN4vllm18Fp8KVCacheDataTypeE0ES0_Li32ELi64ELi256ELb1ELi15EEvPKT_PKT0_S8_ifPKiSA_SA_iPKfiiiPfSD_PS3_PT2_iSC_SC_, .Lfunc_end552-_Z39paged_attention_ll4mi_QKV_mfma16_kernelI14__hip_bfloat16S0_LN4vllm18Fp8KVCacheDataTypeE0ES0_Li32ELi64ELi256ELb1ELi15EEvPKT_PKT0_S8_ifPKiSA_SA_iPKfiiiPfSD_PS3_PT2_iSC_SC_
                                        ; -- End function
	.set _Z39paged_attention_ll4mi_QKV_mfma16_kernelI14__hip_bfloat16S0_LN4vllm18Fp8KVCacheDataTypeE0ES0_Li32ELi64ELi256ELb1ELi15EEvPKT_PKT0_S8_ifPKiSA_SA_iPKfiiiPfSD_PS3_PT2_iSC_SC_.num_vgpr, max(3, .L__assert_fail.num_vgpr)
	.set _Z39paged_attention_ll4mi_QKV_mfma16_kernelI14__hip_bfloat16S0_LN4vllm18Fp8KVCacheDataTypeE0ES0_Li32ELi64ELi256ELb1ELi15EEvPKT_PKT0_S8_ifPKiSA_SA_iPKfiiiPfSD_PS3_PT2_iSC_SC_.num_agpr, max(0, .L__assert_fail.num_agpr)
	.set _Z39paged_attention_ll4mi_QKV_mfma16_kernelI14__hip_bfloat16S0_LN4vllm18Fp8KVCacheDataTypeE0ES0_Li32ELi64ELi256ELb1ELi15EEvPKT_PKT0_S8_ifPKiSA_SA_iPKfiiiPfSD_PS3_PT2_iSC_SC_.numbered_sgpr, max(33, .L__assert_fail.numbered_sgpr)
	.set _Z39paged_attention_ll4mi_QKV_mfma16_kernelI14__hip_bfloat16S0_LN4vllm18Fp8KVCacheDataTypeE0ES0_Li32ELi64ELi256ELb1ELi15EEvPKT_PKT0_S8_ifPKiSA_SA_iPKfiiiPfSD_PS3_PT2_iSC_SC_.num_named_barrier, max(0, .L__assert_fail.num_named_barrier)
	.set _Z39paged_attention_ll4mi_QKV_mfma16_kernelI14__hip_bfloat16S0_LN4vllm18Fp8KVCacheDataTypeE0ES0_Li32ELi64ELi256ELb1ELi15EEvPKT_PKT0_S8_ifPKiSA_SA_iPKfiiiPfSD_PS3_PT2_iSC_SC_.private_seg_size, 0+max(.L__assert_fail.private_seg_size)
	.set _Z39paged_attention_ll4mi_QKV_mfma16_kernelI14__hip_bfloat16S0_LN4vllm18Fp8KVCacheDataTypeE0ES0_Li32ELi64ELi256ELb1ELi15EEvPKT_PKT0_S8_ifPKiSA_SA_iPKfiiiPfSD_PS3_PT2_iSC_SC_.uses_vcc, or(1, .L__assert_fail.uses_vcc)
	.set _Z39paged_attention_ll4mi_QKV_mfma16_kernelI14__hip_bfloat16S0_LN4vllm18Fp8KVCacheDataTypeE0ES0_Li32ELi64ELi256ELb1ELi15EEvPKT_PKT0_S8_ifPKiSA_SA_iPKfiiiPfSD_PS3_PT2_iSC_SC_.uses_flat_scratch, or(0, .L__assert_fail.uses_flat_scratch)
	.set _Z39paged_attention_ll4mi_QKV_mfma16_kernelI14__hip_bfloat16S0_LN4vllm18Fp8KVCacheDataTypeE0ES0_Li32ELi64ELi256ELb1ELi15EEvPKT_PKT0_S8_ifPKiSA_SA_iPKfiiiPfSD_PS3_PT2_iSC_SC_.has_dyn_sized_stack, or(0, .L__assert_fail.has_dyn_sized_stack)
	.set _Z39paged_attention_ll4mi_QKV_mfma16_kernelI14__hip_bfloat16S0_LN4vllm18Fp8KVCacheDataTypeE0ES0_Li32ELi64ELi256ELb1ELi15EEvPKT_PKT0_S8_ifPKiSA_SA_iPKfiiiPfSD_PS3_PT2_iSC_SC_.has_recursion, or(0, .L__assert_fail.has_recursion)
	.set _Z39paged_attention_ll4mi_QKV_mfma16_kernelI14__hip_bfloat16S0_LN4vllm18Fp8KVCacheDataTypeE0ES0_Li32ELi64ELi256ELb1ELi15EEvPKT_PKT0_S8_ifPKiSA_SA_iPKfiiiPfSD_PS3_PT2_iSC_SC_.has_indirect_call, or(0, .L__assert_fail.has_indirect_call)
	.section	.AMDGPU.csdata,"",@progbits
; Kernel info:
; codeLenInByte = 68
; TotalNumSgprs: 36
; NumVgprs: 51
; ScratchSize: 64
; MemoryBound: 0
; FloatMode: 240
; IeeeMode: 1
; LDSByteSize: 0 bytes/workgroup (compile time only)
; SGPRBlocks: 0
; VGPRBlocks: 3
; NumSGPRsForWavesPerEU: 36
; NumVGPRsForWavesPerEU: 51
; NamedBarCnt: 0
; Occupancy: 16
; WaveLimiterHint : 1
; COMPUTE_PGM_RSRC2:SCRATCH_EN: 1
; COMPUTE_PGM_RSRC2:USER_SGPR: 2
; COMPUTE_PGM_RSRC2:TRAP_HANDLER: 0
; COMPUTE_PGM_RSRC2:TGID_X_EN: 1
; COMPUTE_PGM_RSRC2:TGID_Y_EN: 0
; COMPUTE_PGM_RSRC2:TGID_Z_EN: 0
; COMPUTE_PGM_RSRC2:TIDIG_COMP_CNT: 0
	.section	.text._Z39paged_attention_ll4mi_QKV_mfma16_kernelI14__hip_bfloat16S0_LN4vllm18Fp8KVCacheDataTypeE0ES0_Li32ELi64ELi256ELb1ELi16EEvPKT_PKT0_S8_ifPKiSA_SA_iPKfiiiPfSD_PS3_PT2_iSC_SC_,"axG",@progbits,_Z39paged_attention_ll4mi_QKV_mfma16_kernelI14__hip_bfloat16S0_LN4vllm18Fp8KVCacheDataTypeE0ES0_Li32ELi64ELi256ELb1ELi16EEvPKT_PKT0_S8_ifPKiSA_SA_iPKfiiiPfSD_PS3_PT2_iSC_SC_,comdat
	.protected	_Z39paged_attention_ll4mi_QKV_mfma16_kernelI14__hip_bfloat16S0_LN4vllm18Fp8KVCacheDataTypeE0ES0_Li32ELi64ELi256ELb1ELi16EEvPKT_PKT0_S8_ifPKiSA_SA_iPKfiiiPfSD_PS3_PT2_iSC_SC_ ; -- Begin function _Z39paged_attention_ll4mi_QKV_mfma16_kernelI14__hip_bfloat16S0_LN4vllm18Fp8KVCacheDataTypeE0ES0_Li32ELi64ELi256ELb1ELi16EEvPKT_PKT0_S8_ifPKiSA_SA_iPKfiiiPfSD_PS3_PT2_iSC_SC_
	.globl	_Z39paged_attention_ll4mi_QKV_mfma16_kernelI14__hip_bfloat16S0_LN4vllm18Fp8KVCacheDataTypeE0ES0_Li32ELi64ELi256ELb1ELi16EEvPKT_PKT0_S8_ifPKiSA_SA_iPKfiiiPfSD_PS3_PT2_iSC_SC_
	.p2align	8
	.type	_Z39paged_attention_ll4mi_QKV_mfma16_kernelI14__hip_bfloat16S0_LN4vllm18Fp8KVCacheDataTypeE0ES0_Li32ELi64ELi256ELb1ELi16EEvPKT_PKT0_S8_ifPKiSA_SA_iPKfiiiPfSD_PS3_PT2_iSC_SC_,@function
_Z39paged_attention_ll4mi_QKV_mfma16_kernelI14__hip_bfloat16S0_LN4vllm18Fp8KVCacheDataTypeE0ES0_Li32ELi64ELi256ELb1ELi16EEvPKT_PKT0_S8_ifPKiSA_SA_iPKfiiiPfSD_PS3_PT2_iSC_SC_: ; @_Z39paged_attention_ll4mi_QKV_mfma16_kernelI14__hip_bfloat16S0_LN4vllm18Fp8KVCacheDataTypeE0ES0_Li32ELi64ELi256ELb1ELi16EEvPKT_PKT0_S8_ifPKiSA_SA_iPKfiiiPfSD_PS3_PT2_iSC_SC_
; %bb.0:
	s_get_pc_i64 s[2:3]
	s_add_nc_u64 s[2:3], s[2:3], __PRETTY_FUNCTION__._Z39paged_attention_ll4mi_QKV_mfma16_kernelI14__hip_bfloat16S0_LN4vllm18Fp8KVCacheDataTypeE0ES0_Li32ELi64ELi256ELb1ELi16EEvPKT_PKT0_S8_ifPKiSA_SA_iPKfiiiPfSD_PS3_PT2_iSC_SC_@rel64+4
	s_delay_alu instid0(SALU_CYCLE_1)
	v_dual_mov_b32 v0, 0xbb3 :: v_dual_mov_b32 v1, s2
	v_mov_b32_e32 v2, s3
	s_add_nc_u64 s[8:9], s[0:1], 0x90
	s_get_pc_i64 s[0:1]
	s_add_nc_u64 s[0:1], s[0:1], __assert_fail@rel64+4
	s_mov_b32 s32, 0
	s_swap_pc_i64 s[30:31], s[0:1]
	.section	.rodata,"a",@progbits
	.p2align	6, 0x0
	.amdhsa_kernel _Z39paged_attention_ll4mi_QKV_mfma16_kernelI14__hip_bfloat16S0_LN4vllm18Fp8KVCacheDataTypeE0ES0_Li32ELi64ELi256ELb1ELi16EEvPKT_PKT0_S8_ifPKiSA_SA_iPKfiiiPfSD_PS3_PT2_iSC_SC_
		.amdhsa_group_segment_fixed_size 0
		.amdhsa_private_segment_fixed_size 64
		.amdhsa_kernarg_size 400
		.amdhsa_user_sgpr_count 2
		.amdhsa_user_sgpr_dispatch_ptr 0
		.amdhsa_user_sgpr_queue_ptr 0
		.amdhsa_user_sgpr_kernarg_segment_ptr 1
		.amdhsa_user_sgpr_dispatch_id 0
		.amdhsa_user_sgpr_kernarg_preload_length 0
		.amdhsa_user_sgpr_kernarg_preload_offset 0
		.amdhsa_user_sgpr_private_segment_size 0
		.amdhsa_wavefront_size32 1
		.amdhsa_uses_dynamic_stack 0
		.amdhsa_enable_private_segment 1
		.amdhsa_system_sgpr_workgroup_id_x 1
		.amdhsa_system_sgpr_workgroup_id_y 0
		.amdhsa_system_sgpr_workgroup_id_z 0
		.amdhsa_system_sgpr_workgroup_info 0
		.amdhsa_system_vgpr_workitem_id 0
		.amdhsa_next_free_vgpr 51
		.amdhsa_next_free_sgpr 34
		.amdhsa_named_barrier_count 0
		.amdhsa_reserve_vcc 1
		.amdhsa_float_round_mode_32 0
		.amdhsa_float_round_mode_16_64 0
		.amdhsa_float_denorm_mode_32 3
		.amdhsa_float_denorm_mode_16_64 3
		.amdhsa_fp16_overflow 0
		.amdhsa_memory_ordered 1
		.amdhsa_forward_progress 1
		.amdhsa_inst_pref_size 1
		.amdhsa_round_robin_scheduling 0
		.amdhsa_exception_fp_ieee_invalid_op 0
		.amdhsa_exception_fp_denorm_src 0
		.amdhsa_exception_fp_ieee_div_zero 0
		.amdhsa_exception_fp_ieee_overflow 0
		.amdhsa_exception_fp_ieee_underflow 0
		.amdhsa_exception_fp_ieee_inexact 0
		.amdhsa_exception_int_div_zero 0
	.end_amdhsa_kernel
	.section	.text._Z39paged_attention_ll4mi_QKV_mfma16_kernelI14__hip_bfloat16S0_LN4vllm18Fp8KVCacheDataTypeE0ES0_Li32ELi64ELi256ELb1ELi16EEvPKT_PKT0_S8_ifPKiSA_SA_iPKfiiiPfSD_PS3_PT2_iSC_SC_,"axG",@progbits,_Z39paged_attention_ll4mi_QKV_mfma16_kernelI14__hip_bfloat16S0_LN4vllm18Fp8KVCacheDataTypeE0ES0_Li32ELi64ELi256ELb1ELi16EEvPKT_PKT0_S8_ifPKiSA_SA_iPKfiiiPfSD_PS3_PT2_iSC_SC_,comdat
.Lfunc_end553:
	.size	_Z39paged_attention_ll4mi_QKV_mfma16_kernelI14__hip_bfloat16S0_LN4vllm18Fp8KVCacheDataTypeE0ES0_Li32ELi64ELi256ELb1ELi16EEvPKT_PKT0_S8_ifPKiSA_SA_iPKfiiiPfSD_PS3_PT2_iSC_SC_, .Lfunc_end553-_Z39paged_attention_ll4mi_QKV_mfma16_kernelI14__hip_bfloat16S0_LN4vllm18Fp8KVCacheDataTypeE0ES0_Li32ELi64ELi256ELb1ELi16EEvPKT_PKT0_S8_ifPKiSA_SA_iPKfiiiPfSD_PS3_PT2_iSC_SC_
                                        ; -- End function
	.set _Z39paged_attention_ll4mi_QKV_mfma16_kernelI14__hip_bfloat16S0_LN4vllm18Fp8KVCacheDataTypeE0ES0_Li32ELi64ELi256ELb1ELi16EEvPKT_PKT0_S8_ifPKiSA_SA_iPKfiiiPfSD_PS3_PT2_iSC_SC_.num_vgpr, max(3, .L__assert_fail.num_vgpr)
	.set _Z39paged_attention_ll4mi_QKV_mfma16_kernelI14__hip_bfloat16S0_LN4vllm18Fp8KVCacheDataTypeE0ES0_Li32ELi64ELi256ELb1ELi16EEvPKT_PKT0_S8_ifPKiSA_SA_iPKfiiiPfSD_PS3_PT2_iSC_SC_.num_agpr, max(0, .L__assert_fail.num_agpr)
	.set _Z39paged_attention_ll4mi_QKV_mfma16_kernelI14__hip_bfloat16S0_LN4vllm18Fp8KVCacheDataTypeE0ES0_Li32ELi64ELi256ELb1ELi16EEvPKT_PKT0_S8_ifPKiSA_SA_iPKfiiiPfSD_PS3_PT2_iSC_SC_.numbered_sgpr, max(33, .L__assert_fail.numbered_sgpr)
	.set _Z39paged_attention_ll4mi_QKV_mfma16_kernelI14__hip_bfloat16S0_LN4vllm18Fp8KVCacheDataTypeE0ES0_Li32ELi64ELi256ELb1ELi16EEvPKT_PKT0_S8_ifPKiSA_SA_iPKfiiiPfSD_PS3_PT2_iSC_SC_.num_named_barrier, max(0, .L__assert_fail.num_named_barrier)
	.set _Z39paged_attention_ll4mi_QKV_mfma16_kernelI14__hip_bfloat16S0_LN4vllm18Fp8KVCacheDataTypeE0ES0_Li32ELi64ELi256ELb1ELi16EEvPKT_PKT0_S8_ifPKiSA_SA_iPKfiiiPfSD_PS3_PT2_iSC_SC_.private_seg_size, 0+max(.L__assert_fail.private_seg_size)
	.set _Z39paged_attention_ll4mi_QKV_mfma16_kernelI14__hip_bfloat16S0_LN4vllm18Fp8KVCacheDataTypeE0ES0_Li32ELi64ELi256ELb1ELi16EEvPKT_PKT0_S8_ifPKiSA_SA_iPKfiiiPfSD_PS3_PT2_iSC_SC_.uses_vcc, or(1, .L__assert_fail.uses_vcc)
	.set _Z39paged_attention_ll4mi_QKV_mfma16_kernelI14__hip_bfloat16S0_LN4vllm18Fp8KVCacheDataTypeE0ES0_Li32ELi64ELi256ELb1ELi16EEvPKT_PKT0_S8_ifPKiSA_SA_iPKfiiiPfSD_PS3_PT2_iSC_SC_.uses_flat_scratch, or(0, .L__assert_fail.uses_flat_scratch)
	.set _Z39paged_attention_ll4mi_QKV_mfma16_kernelI14__hip_bfloat16S0_LN4vllm18Fp8KVCacheDataTypeE0ES0_Li32ELi64ELi256ELb1ELi16EEvPKT_PKT0_S8_ifPKiSA_SA_iPKfiiiPfSD_PS3_PT2_iSC_SC_.has_dyn_sized_stack, or(0, .L__assert_fail.has_dyn_sized_stack)
	.set _Z39paged_attention_ll4mi_QKV_mfma16_kernelI14__hip_bfloat16S0_LN4vllm18Fp8KVCacheDataTypeE0ES0_Li32ELi64ELi256ELb1ELi16EEvPKT_PKT0_S8_ifPKiSA_SA_iPKfiiiPfSD_PS3_PT2_iSC_SC_.has_recursion, or(0, .L__assert_fail.has_recursion)
	.set _Z39paged_attention_ll4mi_QKV_mfma16_kernelI14__hip_bfloat16S0_LN4vllm18Fp8KVCacheDataTypeE0ES0_Li32ELi64ELi256ELb1ELi16EEvPKT_PKT0_S8_ifPKiSA_SA_iPKfiiiPfSD_PS3_PT2_iSC_SC_.has_indirect_call, or(0, .L__assert_fail.has_indirect_call)
	.section	.AMDGPU.csdata,"",@progbits
; Kernel info:
; codeLenInByte = 68
; TotalNumSgprs: 36
; NumVgprs: 51
; ScratchSize: 64
; MemoryBound: 0
; FloatMode: 240
; IeeeMode: 1
; LDSByteSize: 0 bytes/workgroup (compile time only)
; SGPRBlocks: 0
; VGPRBlocks: 3
; NumSGPRsForWavesPerEU: 36
; NumVGPRsForWavesPerEU: 51
; NamedBarCnt: 0
; Occupancy: 16
; WaveLimiterHint : 1
; COMPUTE_PGM_RSRC2:SCRATCH_EN: 1
; COMPUTE_PGM_RSRC2:USER_SGPR: 2
; COMPUTE_PGM_RSRC2:TRAP_HANDLER: 0
; COMPUTE_PGM_RSRC2:TGID_X_EN: 1
; COMPUTE_PGM_RSRC2:TGID_Y_EN: 0
; COMPUTE_PGM_RSRC2:TGID_Z_EN: 0
; COMPUTE_PGM_RSRC2:TIDIG_COMP_CNT: 0
	.section	.text._Z39paged_attention_ll4mi_QKV_mfma16_kernelI14__hip_bfloat16S0_LN4vllm18Fp8KVCacheDataTypeE0ES0_Li32ELi64ELi256ELb1ELi1EEvPKT_PKT0_S8_ifPKiSA_SA_iPKfiiiPfSD_PS3_PT2_iSC_SC_,"axG",@progbits,_Z39paged_attention_ll4mi_QKV_mfma16_kernelI14__hip_bfloat16S0_LN4vllm18Fp8KVCacheDataTypeE0ES0_Li32ELi64ELi256ELb1ELi1EEvPKT_PKT0_S8_ifPKiSA_SA_iPKfiiiPfSD_PS3_PT2_iSC_SC_,comdat
	.protected	_Z39paged_attention_ll4mi_QKV_mfma16_kernelI14__hip_bfloat16S0_LN4vllm18Fp8KVCacheDataTypeE0ES0_Li32ELi64ELi256ELb1ELi1EEvPKT_PKT0_S8_ifPKiSA_SA_iPKfiiiPfSD_PS3_PT2_iSC_SC_ ; -- Begin function _Z39paged_attention_ll4mi_QKV_mfma16_kernelI14__hip_bfloat16S0_LN4vllm18Fp8KVCacheDataTypeE0ES0_Li32ELi64ELi256ELb1ELi1EEvPKT_PKT0_S8_ifPKiSA_SA_iPKfiiiPfSD_PS3_PT2_iSC_SC_
	.globl	_Z39paged_attention_ll4mi_QKV_mfma16_kernelI14__hip_bfloat16S0_LN4vllm18Fp8KVCacheDataTypeE0ES0_Li32ELi64ELi256ELb1ELi1EEvPKT_PKT0_S8_ifPKiSA_SA_iPKfiiiPfSD_PS3_PT2_iSC_SC_
	.p2align	8
	.type	_Z39paged_attention_ll4mi_QKV_mfma16_kernelI14__hip_bfloat16S0_LN4vllm18Fp8KVCacheDataTypeE0ES0_Li32ELi64ELi256ELb1ELi1EEvPKT_PKT0_S8_ifPKiSA_SA_iPKfiiiPfSD_PS3_PT2_iSC_SC_,@function
_Z39paged_attention_ll4mi_QKV_mfma16_kernelI14__hip_bfloat16S0_LN4vllm18Fp8KVCacheDataTypeE0ES0_Li32ELi64ELi256ELb1ELi1EEvPKT_PKT0_S8_ifPKiSA_SA_iPKfiiiPfSD_PS3_PT2_iSC_SC_: ; @_Z39paged_attention_ll4mi_QKV_mfma16_kernelI14__hip_bfloat16S0_LN4vllm18Fp8KVCacheDataTypeE0ES0_Li32ELi64ELi256ELb1ELi1EEvPKT_PKT0_S8_ifPKiSA_SA_iPKfiiiPfSD_PS3_PT2_iSC_SC_
; %bb.0:
	s_get_pc_i64 s[2:3]
	s_add_nc_u64 s[2:3], s[2:3], __PRETTY_FUNCTION__._Z39paged_attention_ll4mi_QKV_mfma16_kernelI14__hip_bfloat16S0_LN4vllm18Fp8KVCacheDataTypeE0ES0_Li32ELi64ELi256ELb1ELi1EEvPKT_PKT0_S8_ifPKiSA_SA_iPKfiiiPfSD_PS3_PT2_iSC_SC_@rel64+4
	s_delay_alu instid0(SALU_CYCLE_1)
	v_dual_mov_b32 v0, 0xbb3 :: v_dual_mov_b32 v1, s2
	v_mov_b32_e32 v2, s3
	s_add_nc_u64 s[8:9], s[0:1], 0x90
	s_get_pc_i64 s[0:1]
	s_add_nc_u64 s[0:1], s[0:1], __assert_fail@rel64+4
	s_mov_b32 s32, 0
	s_swap_pc_i64 s[30:31], s[0:1]
	.section	.rodata,"a",@progbits
	.p2align	6, 0x0
	.amdhsa_kernel _Z39paged_attention_ll4mi_QKV_mfma16_kernelI14__hip_bfloat16S0_LN4vllm18Fp8KVCacheDataTypeE0ES0_Li32ELi64ELi256ELb1ELi1EEvPKT_PKT0_S8_ifPKiSA_SA_iPKfiiiPfSD_PS3_PT2_iSC_SC_
		.amdhsa_group_segment_fixed_size 0
		.amdhsa_private_segment_fixed_size 64
		.amdhsa_kernarg_size 400
		.amdhsa_user_sgpr_count 2
		.amdhsa_user_sgpr_dispatch_ptr 0
		.amdhsa_user_sgpr_queue_ptr 0
		.amdhsa_user_sgpr_kernarg_segment_ptr 1
		.amdhsa_user_sgpr_dispatch_id 0
		.amdhsa_user_sgpr_kernarg_preload_length 0
		.amdhsa_user_sgpr_kernarg_preload_offset 0
		.amdhsa_user_sgpr_private_segment_size 0
		.amdhsa_wavefront_size32 1
		.amdhsa_uses_dynamic_stack 0
		.amdhsa_enable_private_segment 1
		.amdhsa_system_sgpr_workgroup_id_x 1
		.amdhsa_system_sgpr_workgroup_id_y 0
		.amdhsa_system_sgpr_workgroup_id_z 0
		.amdhsa_system_sgpr_workgroup_info 0
		.amdhsa_system_vgpr_workitem_id 0
		.amdhsa_next_free_vgpr 51
		.amdhsa_next_free_sgpr 34
		.amdhsa_named_barrier_count 0
		.amdhsa_reserve_vcc 1
		.amdhsa_float_round_mode_32 0
		.amdhsa_float_round_mode_16_64 0
		.amdhsa_float_denorm_mode_32 3
		.amdhsa_float_denorm_mode_16_64 3
		.amdhsa_fp16_overflow 0
		.amdhsa_memory_ordered 1
		.amdhsa_forward_progress 1
		.amdhsa_inst_pref_size 1
		.amdhsa_round_robin_scheduling 0
		.amdhsa_exception_fp_ieee_invalid_op 0
		.amdhsa_exception_fp_denorm_src 0
		.amdhsa_exception_fp_ieee_div_zero 0
		.amdhsa_exception_fp_ieee_overflow 0
		.amdhsa_exception_fp_ieee_underflow 0
		.amdhsa_exception_fp_ieee_inexact 0
		.amdhsa_exception_int_div_zero 0
	.end_amdhsa_kernel
	.section	.text._Z39paged_attention_ll4mi_QKV_mfma16_kernelI14__hip_bfloat16S0_LN4vllm18Fp8KVCacheDataTypeE0ES0_Li32ELi64ELi256ELb1ELi1EEvPKT_PKT0_S8_ifPKiSA_SA_iPKfiiiPfSD_PS3_PT2_iSC_SC_,"axG",@progbits,_Z39paged_attention_ll4mi_QKV_mfma16_kernelI14__hip_bfloat16S0_LN4vllm18Fp8KVCacheDataTypeE0ES0_Li32ELi64ELi256ELb1ELi1EEvPKT_PKT0_S8_ifPKiSA_SA_iPKfiiiPfSD_PS3_PT2_iSC_SC_,comdat
.Lfunc_end554:
	.size	_Z39paged_attention_ll4mi_QKV_mfma16_kernelI14__hip_bfloat16S0_LN4vllm18Fp8KVCacheDataTypeE0ES0_Li32ELi64ELi256ELb1ELi1EEvPKT_PKT0_S8_ifPKiSA_SA_iPKfiiiPfSD_PS3_PT2_iSC_SC_, .Lfunc_end554-_Z39paged_attention_ll4mi_QKV_mfma16_kernelI14__hip_bfloat16S0_LN4vllm18Fp8KVCacheDataTypeE0ES0_Li32ELi64ELi256ELb1ELi1EEvPKT_PKT0_S8_ifPKiSA_SA_iPKfiiiPfSD_PS3_PT2_iSC_SC_
                                        ; -- End function
	.set _Z39paged_attention_ll4mi_QKV_mfma16_kernelI14__hip_bfloat16S0_LN4vllm18Fp8KVCacheDataTypeE0ES0_Li32ELi64ELi256ELb1ELi1EEvPKT_PKT0_S8_ifPKiSA_SA_iPKfiiiPfSD_PS3_PT2_iSC_SC_.num_vgpr, max(3, .L__assert_fail.num_vgpr)
	.set _Z39paged_attention_ll4mi_QKV_mfma16_kernelI14__hip_bfloat16S0_LN4vllm18Fp8KVCacheDataTypeE0ES0_Li32ELi64ELi256ELb1ELi1EEvPKT_PKT0_S8_ifPKiSA_SA_iPKfiiiPfSD_PS3_PT2_iSC_SC_.num_agpr, max(0, .L__assert_fail.num_agpr)
	.set _Z39paged_attention_ll4mi_QKV_mfma16_kernelI14__hip_bfloat16S0_LN4vllm18Fp8KVCacheDataTypeE0ES0_Li32ELi64ELi256ELb1ELi1EEvPKT_PKT0_S8_ifPKiSA_SA_iPKfiiiPfSD_PS3_PT2_iSC_SC_.numbered_sgpr, max(33, .L__assert_fail.numbered_sgpr)
	.set _Z39paged_attention_ll4mi_QKV_mfma16_kernelI14__hip_bfloat16S0_LN4vllm18Fp8KVCacheDataTypeE0ES0_Li32ELi64ELi256ELb1ELi1EEvPKT_PKT0_S8_ifPKiSA_SA_iPKfiiiPfSD_PS3_PT2_iSC_SC_.num_named_barrier, max(0, .L__assert_fail.num_named_barrier)
	.set _Z39paged_attention_ll4mi_QKV_mfma16_kernelI14__hip_bfloat16S0_LN4vllm18Fp8KVCacheDataTypeE0ES0_Li32ELi64ELi256ELb1ELi1EEvPKT_PKT0_S8_ifPKiSA_SA_iPKfiiiPfSD_PS3_PT2_iSC_SC_.private_seg_size, 0+max(.L__assert_fail.private_seg_size)
	.set _Z39paged_attention_ll4mi_QKV_mfma16_kernelI14__hip_bfloat16S0_LN4vllm18Fp8KVCacheDataTypeE0ES0_Li32ELi64ELi256ELb1ELi1EEvPKT_PKT0_S8_ifPKiSA_SA_iPKfiiiPfSD_PS3_PT2_iSC_SC_.uses_vcc, or(1, .L__assert_fail.uses_vcc)
	.set _Z39paged_attention_ll4mi_QKV_mfma16_kernelI14__hip_bfloat16S0_LN4vllm18Fp8KVCacheDataTypeE0ES0_Li32ELi64ELi256ELb1ELi1EEvPKT_PKT0_S8_ifPKiSA_SA_iPKfiiiPfSD_PS3_PT2_iSC_SC_.uses_flat_scratch, or(0, .L__assert_fail.uses_flat_scratch)
	.set _Z39paged_attention_ll4mi_QKV_mfma16_kernelI14__hip_bfloat16S0_LN4vllm18Fp8KVCacheDataTypeE0ES0_Li32ELi64ELi256ELb1ELi1EEvPKT_PKT0_S8_ifPKiSA_SA_iPKfiiiPfSD_PS3_PT2_iSC_SC_.has_dyn_sized_stack, or(0, .L__assert_fail.has_dyn_sized_stack)
	.set _Z39paged_attention_ll4mi_QKV_mfma16_kernelI14__hip_bfloat16S0_LN4vllm18Fp8KVCacheDataTypeE0ES0_Li32ELi64ELi256ELb1ELi1EEvPKT_PKT0_S8_ifPKiSA_SA_iPKfiiiPfSD_PS3_PT2_iSC_SC_.has_recursion, or(0, .L__assert_fail.has_recursion)
	.set _Z39paged_attention_ll4mi_QKV_mfma16_kernelI14__hip_bfloat16S0_LN4vllm18Fp8KVCacheDataTypeE0ES0_Li32ELi64ELi256ELb1ELi1EEvPKT_PKT0_S8_ifPKiSA_SA_iPKfiiiPfSD_PS3_PT2_iSC_SC_.has_indirect_call, or(0, .L__assert_fail.has_indirect_call)
	.section	.AMDGPU.csdata,"",@progbits
; Kernel info:
; codeLenInByte = 68
; TotalNumSgprs: 36
; NumVgprs: 51
; ScratchSize: 64
; MemoryBound: 0
; FloatMode: 240
; IeeeMode: 1
; LDSByteSize: 0 bytes/workgroup (compile time only)
; SGPRBlocks: 0
; VGPRBlocks: 3
; NumSGPRsForWavesPerEU: 36
; NumVGPRsForWavesPerEU: 51
; NamedBarCnt: 0
; Occupancy: 16
; WaveLimiterHint : 1
; COMPUTE_PGM_RSRC2:SCRATCH_EN: 1
; COMPUTE_PGM_RSRC2:USER_SGPR: 2
; COMPUTE_PGM_RSRC2:TRAP_HANDLER: 0
; COMPUTE_PGM_RSRC2:TGID_X_EN: 1
; COMPUTE_PGM_RSRC2:TGID_Y_EN: 0
; COMPUTE_PGM_RSRC2:TGID_Z_EN: 0
; COMPUTE_PGM_RSRC2:TIDIG_COMP_CNT: 0
	.section	.text._Z39paged_attention_ll4mi_QKV_mfma16_kernelI14__hip_bfloat16S0_LN4vllm18Fp8KVCacheDataTypeE0ES0_Li32ELi64ELi256ELb1ELi2EEvPKT_PKT0_S8_ifPKiSA_SA_iPKfiiiPfSD_PS3_PT2_iSC_SC_,"axG",@progbits,_Z39paged_attention_ll4mi_QKV_mfma16_kernelI14__hip_bfloat16S0_LN4vllm18Fp8KVCacheDataTypeE0ES0_Li32ELi64ELi256ELb1ELi2EEvPKT_PKT0_S8_ifPKiSA_SA_iPKfiiiPfSD_PS3_PT2_iSC_SC_,comdat
	.protected	_Z39paged_attention_ll4mi_QKV_mfma16_kernelI14__hip_bfloat16S0_LN4vllm18Fp8KVCacheDataTypeE0ES0_Li32ELi64ELi256ELb1ELi2EEvPKT_PKT0_S8_ifPKiSA_SA_iPKfiiiPfSD_PS3_PT2_iSC_SC_ ; -- Begin function _Z39paged_attention_ll4mi_QKV_mfma16_kernelI14__hip_bfloat16S0_LN4vllm18Fp8KVCacheDataTypeE0ES0_Li32ELi64ELi256ELb1ELi2EEvPKT_PKT0_S8_ifPKiSA_SA_iPKfiiiPfSD_PS3_PT2_iSC_SC_
	.globl	_Z39paged_attention_ll4mi_QKV_mfma16_kernelI14__hip_bfloat16S0_LN4vllm18Fp8KVCacheDataTypeE0ES0_Li32ELi64ELi256ELb1ELi2EEvPKT_PKT0_S8_ifPKiSA_SA_iPKfiiiPfSD_PS3_PT2_iSC_SC_
	.p2align	8
	.type	_Z39paged_attention_ll4mi_QKV_mfma16_kernelI14__hip_bfloat16S0_LN4vllm18Fp8KVCacheDataTypeE0ES0_Li32ELi64ELi256ELb1ELi2EEvPKT_PKT0_S8_ifPKiSA_SA_iPKfiiiPfSD_PS3_PT2_iSC_SC_,@function
_Z39paged_attention_ll4mi_QKV_mfma16_kernelI14__hip_bfloat16S0_LN4vllm18Fp8KVCacheDataTypeE0ES0_Li32ELi64ELi256ELb1ELi2EEvPKT_PKT0_S8_ifPKiSA_SA_iPKfiiiPfSD_PS3_PT2_iSC_SC_: ; @_Z39paged_attention_ll4mi_QKV_mfma16_kernelI14__hip_bfloat16S0_LN4vllm18Fp8KVCacheDataTypeE0ES0_Li32ELi64ELi256ELb1ELi2EEvPKT_PKT0_S8_ifPKiSA_SA_iPKfiiiPfSD_PS3_PT2_iSC_SC_
; %bb.0:
	s_get_pc_i64 s[2:3]
	s_add_nc_u64 s[2:3], s[2:3], __PRETTY_FUNCTION__._Z39paged_attention_ll4mi_QKV_mfma16_kernelI14__hip_bfloat16S0_LN4vllm18Fp8KVCacheDataTypeE0ES0_Li32ELi64ELi256ELb1ELi2EEvPKT_PKT0_S8_ifPKiSA_SA_iPKfiiiPfSD_PS3_PT2_iSC_SC_@rel64+4
	s_delay_alu instid0(SALU_CYCLE_1)
	v_dual_mov_b32 v0, 0xbb3 :: v_dual_mov_b32 v1, s2
	v_mov_b32_e32 v2, s3
	s_add_nc_u64 s[8:9], s[0:1], 0x90
	s_get_pc_i64 s[0:1]
	s_add_nc_u64 s[0:1], s[0:1], __assert_fail@rel64+4
	s_mov_b32 s32, 0
	s_swap_pc_i64 s[30:31], s[0:1]
	.section	.rodata,"a",@progbits
	.p2align	6, 0x0
	.amdhsa_kernel _Z39paged_attention_ll4mi_QKV_mfma16_kernelI14__hip_bfloat16S0_LN4vllm18Fp8KVCacheDataTypeE0ES0_Li32ELi64ELi256ELb1ELi2EEvPKT_PKT0_S8_ifPKiSA_SA_iPKfiiiPfSD_PS3_PT2_iSC_SC_
		.amdhsa_group_segment_fixed_size 0
		.amdhsa_private_segment_fixed_size 64
		.amdhsa_kernarg_size 400
		.amdhsa_user_sgpr_count 2
		.amdhsa_user_sgpr_dispatch_ptr 0
		.amdhsa_user_sgpr_queue_ptr 0
		.amdhsa_user_sgpr_kernarg_segment_ptr 1
		.amdhsa_user_sgpr_dispatch_id 0
		.amdhsa_user_sgpr_kernarg_preload_length 0
		.amdhsa_user_sgpr_kernarg_preload_offset 0
		.amdhsa_user_sgpr_private_segment_size 0
		.amdhsa_wavefront_size32 1
		.amdhsa_uses_dynamic_stack 0
		.amdhsa_enable_private_segment 1
		.amdhsa_system_sgpr_workgroup_id_x 1
		.amdhsa_system_sgpr_workgroup_id_y 0
		.amdhsa_system_sgpr_workgroup_id_z 0
		.amdhsa_system_sgpr_workgroup_info 0
		.amdhsa_system_vgpr_workitem_id 0
		.amdhsa_next_free_vgpr 51
		.amdhsa_next_free_sgpr 34
		.amdhsa_named_barrier_count 0
		.amdhsa_reserve_vcc 1
		.amdhsa_float_round_mode_32 0
		.amdhsa_float_round_mode_16_64 0
		.amdhsa_float_denorm_mode_32 3
		.amdhsa_float_denorm_mode_16_64 3
		.amdhsa_fp16_overflow 0
		.amdhsa_memory_ordered 1
		.amdhsa_forward_progress 1
		.amdhsa_inst_pref_size 1
		.amdhsa_round_robin_scheduling 0
		.amdhsa_exception_fp_ieee_invalid_op 0
		.amdhsa_exception_fp_denorm_src 0
		.amdhsa_exception_fp_ieee_div_zero 0
		.amdhsa_exception_fp_ieee_overflow 0
		.amdhsa_exception_fp_ieee_underflow 0
		.amdhsa_exception_fp_ieee_inexact 0
		.amdhsa_exception_int_div_zero 0
	.end_amdhsa_kernel
	.section	.text._Z39paged_attention_ll4mi_QKV_mfma16_kernelI14__hip_bfloat16S0_LN4vllm18Fp8KVCacheDataTypeE0ES0_Li32ELi64ELi256ELb1ELi2EEvPKT_PKT0_S8_ifPKiSA_SA_iPKfiiiPfSD_PS3_PT2_iSC_SC_,"axG",@progbits,_Z39paged_attention_ll4mi_QKV_mfma16_kernelI14__hip_bfloat16S0_LN4vllm18Fp8KVCacheDataTypeE0ES0_Li32ELi64ELi256ELb1ELi2EEvPKT_PKT0_S8_ifPKiSA_SA_iPKfiiiPfSD_PS3_PT2_iSC_SC_,comdat
.Lfunc_end555:
	.size	_Z39paged_attention_ll4mi_QKV_mfma16_kernelI14__hip_bfloat16S0_LN4vllm18Fp8KVCacheDataTypeE0ES0_Li32ELi64ELi256ELb1ELi2EEvPKT_PKT0_S8_ifPKiSA_SA_iPKfiiiPfSD_PS3_PT2_iSC_SC_, .Lfunc_end555-_Z39paged_attention_ll4mi_QKV_mfma16_kernelI14__hip_bfloat16S0_LN4vllm18Fp8KVCacheDataTypeE0ES0_Li32ELi64ELi256ELb1ELi2EEvPKT_PKT0_S8_ifPKiSA_SA_iPKfiiiPfSD_PS3_PT2_iSC_SC_
                                        ; -- End function
	.set _Z39paged_attention_ll4mi_QKV_mfma16_kernelI14__hip_bfloat16S0_LN4vllm18Fp8KVCacheDataTypeE0ES0_Li32ELi64ELi256ELb1ELi2EEvPKT_PKT0_S8_ifPKiSA_SA_iPKfiiiPfSD_PS3_PT2_iSC_SC_.num_vgpr, max(3, .L__assert_fail.num_vgpr)
	.set _Z39paged_attention_ll4mi_QKV_mfma16_kernelI14__hip_bfloat16S0_LN4vllm18Fp8KVCacheDataTypeE0ES0_Li32ELi64ELi256ELb1ELi2EEvPKT_PKT0_S8_ifPKiSA_SA_iPKfiiiPfSD_PS3_PT2_iSC_SC_.num_agpr, max(0, .L__assert_fail.num_agpr)
	.set _Z39paged_attention_ll4mi_QKV_mfma16_kernelI14__hip_bfloat16S0_LN4vllm18Fp8KVCacheDataTypeE0ES0_Li32ELi64ELi256ELb1ELi2EEvPKT_PKT0_S8_ifPKiSA_SA_iPKfiiiPfSD_PS3_PT2_iSC_SC_.numbered_sgpr, max(33, .L__assert_fail.numbered_sgpr)
	.set _Z39paged_attention_ll4mi_QKV_mfma16_kernelI14__hip_bfloat16S0_LN4vllm18Fp8KVCacheDataTypeE0ES0_Li32ELi64ELi256ELb1ELi2EEvPKT_PKT0_S8_ifPKiSA_SA_iPKfiiiPfSD_PS3_PT2_iSC_SC_.num_named_barrier, max(0, .L__assert_fail.num_named_barrier)
	.set _Z39paged_attention_ll4mi_QKV_mfma16_kernelI14__hip_bfloat16S0_LN4vllm18Fp8KVCacheDataTypeE0ES0_Li32ELi64ELi256ELb1ELi2EEvPKT_PKT0_S8_ifPKiSA_SA_iPKfiiiPfSD_PS3_PT2_iSC_SC_.private_seg_size, 0+max(.L__assert_fail.private_seg_size)
	.set _Z39paged_attention_ll4mi_QKV_mfma16_kernelI14__hip_bfloat16S0_LN4vllm18Fp8KVCacheDataTypeE0ES0_Li32ELi64ELi256ELb1ELi2EEvPKT_PKT0_S8_ifPKiSA_SA_iPKfiiiPfSD_PS3_PT2_iSC_SC_.uses_vcc, or(1, .L__assert_fail.uses_vcc)
	.set _Z39paged_attention_ll4mi_QKV_mfma16_kernelI14__hip_bfloat16S0_LN4vllm18Fp8KVCacheDataTypeE0ES0_Li32ELi64ELi256ELb1ELi2EEvPKT_PKT0_S8_ifPKiSA_SA_iPKfiiiPfSD_PS3_PT2_iSC_SC_.uses_flat_scratch, or(0, .L__assert_fail.uses_flat_scratch)
	.set _Z39paged_attention_ll4mi_QKV_mfma16_kernelI14__hip_bfloat16S0_LN4vllm18Fp8KVCacheDataTypeE0ES0_Li32ELi64ELi256ELb1ELi2EEvPKT_PKT0_S8_ifPKiSA_SA_iPKfiiiPfSD_PS3_PT2_iSC_SC_.has_dyn_sized_stack, or(0, .L__assert_fail.has_dyn_sized_stack)
	.set _Z39paged_attention_ll4mi_QKV_mfma16_kernelI14__hip_bfloat16S0_LN4vllm18Fp8KVCacheDataTypeE0ES0_Li32ELi64ELi256ELb1ELi2EEvPKT_PKT0_S8_ifPKiSA_SA_iPKfiiiPfSD_PS3_PT2_iSC_SC_.has_recursion, or(0, .L__assert_fail.has_recursion)
	.set _Z39paged_attention_ll4mi_QKV_mfma16_kernelI14__hip_bfloat16S0_LN4vllm18Fp8KVCacheDataTypeE0ES0_Li32ELi64ELi256ELb1ELi2EEvPKT_PKT0_S8_ifPKiSA_SA_iPKfiiiPfSD_PS3_PT2_iSC_SC_.has_indirect_call, or(0, .L__assert_fail.has_indirect_call)
	.section	.AMDGPU.csdata,"",@progbits
; Kernel info:
; codeLenInByte = 68
; TotalNumSgprs: 36
; NumVgprs: 51
; ScratchSize: 64
; MemoryBound: 0
; FloatMode: 240
; IeeeMode: 1
; LDSByteSize: 0 bytes/workgroup (compile time only)
; SGPRBlocks: 0
; VGPRBlocks: 3
; NumSGPRsForWavesPerEU: 36
; NumVGPRsForWavesPerEU: 51
; NamedBarCnt: 0
; Occupancy: 16
; WaveLimiterHint : 1
; COMPUTE_PGM_RSRC2:SCRATCH_EN: 1
; COMPUTE_PGM_RSRC2:USER_SGPR: 2
; COMPUTE_PGM_RSRC2:TRAP_HANDLER: 0
; COMPUTE_PGM_RSRC2:TGID_X_EN: 1
; COMPUTE_PGM_RSRC2:TGID_Y_EN: 0
; COMPUTE_PGM_RSRC2:TGID_Z_EN: 0
; COMPUTE_PGM_RSRC2:TIDIG_COMP_CNT: 0
	.section	.text._Z39paged_attention_ll4mi_QKV_mfma16_kernelI14__hip_bfloat16S0_LN4vllm18Fp8KVCacheDataTypeE0ES0_Li32ELi64ELi256ELb1ELi3EEvPKT_PKT0_S8_ifPKiSA_SA_iPKfiiiPfSD_PS3_PT2_iSC_SC_,"axG",@progbits,_Z39paged_attention_ll4mi_QKV_mfma16_kernelI14__hip_bfloat16S0_LN4vllm18Fp8KVCacheDataTypeE0ES0_Li32ELi64ELi256ELb1ELi3EEvPKT_PKT0_S8_ifPKiSA_SA_iPKfiiiPfSD_PS3_PT2_iSC_SC_,comdat
	.protected	_Z39paged_attention_ll4mi_QKV_mfma16_kernelI14__hip_bfloat16S0_LN4vllm18Fp8KVCacheDataTypeE0ES0_Li32ELi64ELi256ELb1ELi3EEvPKT_PKT0_S8_ifPKiSA_SA_iPKfiiiPfSD_PS3_PT2_iSC_SC_ ; -- Begin function _Z39paged_attention_ll4mi_QKV_mfma16_kernelI14__hip_bfloat16S0_LN4vllm18Fp8KVCacheDataTypeE0ES0_Li32ELi64ELi256ELb1ELi3EEvPKT_PKT0_S8_ifPKiSA_SA_iPKfiiiPfSD_PS3_PT2_iSC_SC_
	.globl	_Z39paged_attention_ll4mi_QKV_mfma16_kernelI14__hip_bfloat16S0_LN4vllm18Fp8KVCacheDataTypeE0ES0_Li32ELi64ELi256ELb1ELi3EEvPKT_PKT0_S8_ifPKiSA_SA_iPKfiiiPfSD_PS3_PT2_iSC_SC_
	.p2align	8
	.type	_Z39paged_attention_ll4mi_QKV_mfma16_kernelI14__hip_bfloat16S0_LN4vllm18Fp8KVCacheDataTypeE0ES0_Li32ELi64ELi256ELb1ELi3EEvPKT_PKT0_S8_ifPKiSA_SA_iPKfiiiPfSD_PS3_PT2_iSC_SC_,@function
_Z39paged_attention_ll4mi_QKV_mfma16_kernelI14__hip_bfloat16S0_LN4vllm18Fp8KVCacheDataTypeE0ES0_Li32ELi64ELi256ELb1ELi3EEvPKT_PKT0_S8_ifPKiSA_SA_iPKfiiiPfSD_PS3_PT2_iSC_SC_: ; @_Z39paged_attention_ll4mi_QKV_mfma16_kernelI14__hip_bfloat16S0_LN4vllm18Fp8KVCacheDataTypeE0ES0_Li32ELi64ELi256ELb1ELi3EEvPKT_PKT0_S8_ifPKiSA_SA_iPKfiiiPfSD_PS3_PT2_iSC_SC_
; %bb.0:
	s_get_pc_i64 s[2:3]
	s_add_nc_u64 s[2:3], s[2:3], __PRETTY_FUNCTION__._Z39paged_attention_ll4mi_QKV_mfma16_kernelI14__hip_bfloat16S0_LN4vllm18Fp8KVCacheDataTypeE0ES0_Li32ELi64ELi256ELb1ELi3EEvPKT_PKT0_S8_ifPKiSA_SA_iPKfiiiPfSD_PS3_PT2_iSC_SC_@rel64+4
	s_delay_alu instid0(SALU_CYCLE_1)
	v_dual_mov_b32 v0, 0xbb3 :: v_dual_mov_b32 v1, s2
	v_mov_b32_e32 v2, s3
	s_add_nc_u64 s[8:9], s[0:1], 0x90
	s_get_pc_i64 s[0:1]
	s_add_nc_u64 s[0:1], s[0:1], __assert_fail@rel64+4
	s_mov_b32 s32, 0
	s_swap_pc_i64 s[30:31], s[0:1]
	.section	.rodata,"a",@progbits
	.p2align	6, 0x0
	.amdhsa_kernel _Z39paged_attention_ll4mi_QKV_mfma16_kernelI14__hip_bfloat16S0_LN4vllm18Fp8KVCacheDataTypeE0ES0_Li32ELi64ELi256ELb1ELi3EEvPKT_PKT0_S8_ifPKiSA_SA_iPKfiiiPfSD_PS3_PT2_iSC_SC_
		.amdhsa_group_segment_fixed_size 0
		.amdhsa_private_segment_fixed_size 64
		.amdhsa_kernarg_size 400
		.amdhsa_user_sgpr_count 2
		.amdhsa_user_sgpr_dispatch_ptr 0
		.amdhsa_user_sgpr_queue_ptr 0
		.amdhsa_user_sgpr_kernarg_segment_ptr 1
		.amdhsa_user_sgpr_dispatch_id 0
		.amdhsa_user_sgpr_kernarg_preload_length 0
		.amdhsa_user_sgpr_kernarg_preload_offset 0
		.amdhsa_user_sgpr_private_segment_size 0
		.amdhsa_wavefront_size32 1
		.amdhsa_uses_dynamic_stack 0
		.amdhsa_enable_private_segment 1
		.amdhsa_system_sgpr_workgroup_id_x 1
		.amdhsa_system_sgpr_workgroup_id_y 0
		.amdhsa_system_sgpr_workgroup_id_z 0
		.amdhsa_system_sgpr_workgroup_info 0
		.amdhsa_system_vgpr_workitem_id 0
		.amdhsa_next_free_vgpr 51
		.amdhsa_next_free_sgpr 34
		.amdhsa_named_barrier_count 0
		.amdhsa_reserve_vcc 1
		.amdhsa_float_round_mode_32 0
		.amdhsa_float_round_mode_16_64 0
		.amdhsa_float_denorm_mode_32 3
		.amdhsa_float_denorm_mode_16_64 3
		.amdhsa_fp16_overflow 0
		.amdhsa_memory_ordered 1
		.amdhsa_forward_progress 1
		.amdhsa_inst_pref_size 1
		.amdhsa_round_robin_scheduling 0
		.amdhsa_exception_fp_ieee_invalid_op 0
		.amdhsa_exception_fp_denorm_src 0
		.amdhsa_exception_fp_ieee_div_zero 0
		.amdhsa_exception_fp_ieee_overflow 0
		.amdhsa_exception_fp_ieee_underflow 0
		.amdhsa_exception_fp_ieee_inexact 0
		.amdhsa_exception_int_div_zero 0
	.end_amdhsa_kernel
	.section	.text._Z39paged_attention_ll4mi_QKV_mfma16_kernelI14__hip_bfloat16S0_LN4vllm18Fp8KVCacheDataTypeE0ES0_Li32ELi64ELi256ELb1ELi3EEvPKT_PKT0_S8_ifPKiSA_SA_iPKfiiiPfSD_PS3_PT2_iSC_SC_,"axG",@progbits,_Z39paged_attention_ll4mi_QKV_mfma16_kernelI14__hip_bfloat16S0_LN4vllm18Fp8KVCacheDataTypeE0ES0_Li32ELi64ELi256ELb1ELi3EEvPKT_PKT0_S8_ifPKiSA_SA_iPKfiiiPfSD_PS3_PT2_iSC_SC_,comdat
.Lfunc_end556:
	.size	_Z39paged_attention_ll4mi_QKV_mfma16_kernelI14__hip_bfloat16S0_LN4vllm18Fp8KVCacheDataTypeE0ES0_Li32ELi64ELi256ELb1ELi3EEvPKT_PKT0_S8_ifPKiSA_SA_iPKfiiiPfSD_PS3_PT2_iSC_SC_, .Lfunc_end556-_Z39paged_attention_ll4mi_QKV_mfma16_kernelI14__hip_bfloat16S0_LN4vllm18Fp8KVCacheDataTypeE0ES0_Li32ELi64ELi256ELb1ELi3EEvPKT_PKT0_S8_ifPKiSA_SA_iPKfiiiPfSD_PS3_PT2_iSC_SC_
                                        ; -- End function
	.set _Z39paged_attention_ll4mi_QKV_mfma16_kernelI14__hip_bfloat16S0_LN4vllm18Fp8KVCacheDataTypeE0ES0_Li32ELi64ELi256ELb1ELi3EEvPKT_PKT0_S8_ifPKiSA_SA_iPKfiiiPfSD_PS3_PT2_iSC_SC_.num_vgpr, max(3, .L__assert_fail.num_vgpr)
	.set _Z39paged_attention_ll4mi_QKV_mfma16_kernelI14__hip_bfloat16S0_LN4vllm18Fp8KVCacheDataTypeE0ES0_Li32ELi64ELi256ELb1ELi3EEvPKT_PKT0_S8_ifPKiSA_SA_iPKfiiiPfSD_PS3_PT2_iSC_SC_.num_agpr, max(0, .L__assert_fail.num_agpr)
	.set _Z39paged_attention_ll4mi_QKV_mfma16_kernelI14__hip_bfloat16S0_LN4vllm18Fp8KVCacheDataTypeE0ES0_Li32ELi64ELi256ELb1ELi3EEvPKT_PKT0_S8_ifPKiSA_SA_iPKfiiiPfSD_PS3_PT2_iSC_SC_.numbered_sgpr, max(33, .L__assert_fail.numbered_sgpr)
	.set _Z39paged_attention_ll4mi_QKV_mfma16_kernelI14__hip_bfloat16S0_LN4vllm18Fp8KVCacheDataTypeE0ES0_Li32ELi64ELi256ELb1ELi3EEvPKT_PKT0_S8_ifPKiSA_SA_iPKfiiiPfSD_PS3_PT2_iSC_SC_.num_named_barrier, max(0, .L__assert_fail.num_named_barrier)
	.set _Z39paged_attention_ll4mi_QKV_mfma16_kernelI14__hip_bfloat16S0_LN4vllm18Fp8KVCacheDataTypeE0ES0_Li32ELi64ELi256ELb1ELi3EEvPKT_PKT0_S8_ifPKiSA_SA_iPKfiiiPfSD_PS3_PT2_iSC_SC_.private_seg_size, 0+max(.L__assert_fail.private_seg_size)
	.set _Z39paged_attention_ll4mi_QKV_mfma16_kernelI14__hip_bfloat16S0_LN4vllm18Fp8KVCacheDataTypeE0ES0_Li32ELi64ELi256ELb1ELi3EEvPKT_PKT0_S8_ifPKiSA_SA_iPKfiiiPfSD_PS3_PT2_iSC_SC_.uses_vcc, or(1, .L__assert_fail.uses_vcc)
	.set _Z39paged_attention_ll4mi_QKV_mfma16_kernelI14__hip_bfloat16S0_LN4vllm18Fp8KVCacheDataTypeE0ES0_Li32ELi64ELi256ELb1ELi3EEvPKT_PKT0_S8_ifPKiSA_SA_iPKfiiiPfSD_PS3_PT2_iSC_SC_.uses_flat_scratch, or(0, .L__assert_fail.uses_flat_scratch)
	.set _Z39paged_attention_ll4mi_QKV_mfma16_kernelI14__hip_bfloat16S0_LN4vllm18Fp8KVCacheDataTypeE0ES0_Li32ELi64ELi256ELb1ELi3EEvPKT_PKT0_S8_ifPKiSA_SA_iPKfiiiPfSD_PS3_PT2_iSC_SC_.has_dyn_sized_stack, or(0, .L__assert_fail.has_dyn_sized_stack)
	.set _Z39paged_attention_ll4mi_QKV_mfma16_kernelI14__hip_bfloat16S0_LN4vllm18Fp8KVCacheDataTypeE0ES0_Li32ELi64ELi256ELb1ELi3EEvPKT_PKT0_S8_ifPKiSA_SA_iPKfiiiPfSD_PS3_PT2_iSC_SC_.has_recursion, or(0, .L__assert_fail.has_recursion)
	.set _Z39paged_attention_ll4mi_QKV_mfma16_kernelI14__hip_bfloat16S0_LN4vllm18Fp8KVCacheDataTypeE0ES0_Li32ELi64ELi256ELb1ELi3EEvPKT_PKT0_S8_ifPKiSA_SA_iPKfiiiPfSD_PS3_PT2_iSC_SC_.has_indirect_call, or(0, .L__assert_fail.has_indirect_call)
	.section	.AMDGPU.csdata,"",@progbits
; Kernel info:
; codeLenInByte = 68
; TotalNumSgprs: 36
; NumVgprs: 51
; ScratchSize: 64
; MemoryBound: 0
; FloatMode: 240
; IeeeMode: 1
; LDSByteSize: 0 bytes/workgroup (compile time only)
; SGPRBlocks: 0
; VGPRBlocks: 3
; NumSGPRsForWavesPerEU: 36
; NumVGPRsForWavesPerEU: 51
; NamedBarCnt: 0
; Occupancy: 16
; WaveLimiterHint : 1
; COMPUTE_PGM_RSRC2:SCRATCH_EN: 1
; COMPUTE_PGM_RSRC2:USER_SGPR: 2
; COMPUTE_PGM_RSRC2:TRAP_HANDLER: 0
; COMPUTE_PGM_RSRC2:TGID_X_EN: 1
; COMPUTE_PGM_RSRC2:TGID_Y_EN: 0
; COMPUTE_PGM_RSRC2:TGID_Z_EN: 0
; COMPUTE_PGM_RSRC2:TIDIG_COMP_CNT: 0
	.section	.text._Z39paged_attention_ll4mi_QKV_mfma16_kernelI14__hip_bfloat16S0_LN4vllm18Fp8KVCacheDataTypeE0ES0_Li32ELi64ELi256ELb1ELi4EEvPKT_PKT0_S8_ifPKiSA_SA_iPKfiiiPfSD_PS3_PT2_iSC_SC_,"axG",@progbits,_Z39paged_attention_ll4mi_QKV_mfma16_kernelI14__hip_bfloat16S0_LN4vllm18Fp8KVCacheDataTypeE0ES0_Li32ELi64ELi256ELb1ELi4EEvPKT_PKT0_S8_ifPKiSA_SA_iPKfiiiPfSD_PS3_PT2_iSC_SC_,comdat
	.protected	_Z39paged_attention_ll4mi_QKV_mfma16_kernelI14__hip_bfloat16S0_LN4vllm18Fp8KVCacheDataTypeE0ES0_Li32ELi64ELi256ELb1ELi4EEvPKT_PKT0_S8_ifPKiSA_SA_iPKfiiiPfSD_PS3_PT2_iSC_SC_ ; -- Begin function _Z39paged_attention_ll4mi_QKV_mfma16_kernelI14__hip_bfloat16S0_LN4vllm18Fp8KVCacheDataTypeE0ES0_Li32ELi64ELi256ELb1ELi4EEvPKT_PKT0_S8_ifPKiSA_SA_iPKfiiiPfSD_PS3_PT2_iSC_SC_
	.globl	_Z39paged_attention_ll4mi_QKV_mfma16_kernelI14__hip_bfloat16S0_LN4vllm18Fp8KVCacheDataTypeE0ES0_Li32ELi64ELi256ELb1ELi4EEvPKT_PKT0_S8_ifPKiSA_SA_iPKfiiiPfSD_PS3_PT2_iSC_SC_
	.p2align	8
	.type	_Z39paged_attention_ll4mi_QKV_mfma16_kernelI14__hip_bfloat16S0_LN4vllm18Fp8KVCacheDataTypeE0ES0_Li32ELi64ELi256ELb1ELi4EEvPKT_PKT0_S8_ifPKiSA_SA_iPKfiiiPfSD_PS3_PT2_iSC_SC_,@function
_Z39paged_attention_ll4mi_QKV_mfma16_kernelI14__hip_bfloat16S0_LN4vllm18Fp8KVCacheDataTypeE0ES0_Li32ELi64ELi256ELb1ELi4EEvPKT_PKT0_S8_ifPKiSA_SA_iPKfiiiPfSD_PS3_PT2_iSC_SC_: ; @_Z39paged_attention_ll4mi_QKV_mfma16_kernelI14__hip_bfloat16S0_LN4vllm18Fp8KVCacheDataTypeE0ES0_Li32ELi64ELi256ELb1ELi4EEvPKT_PKT0_S8_ifPKiSA_SA_iPKfiiiPfSD_PS3_PT2_iSC_SC_
; %bb.0:
	s_get_pc_i64 s[2:3]
	s_add_nc_u64 s[2:3], s[2:3], __PRETTY_FUNCTION__._Z39paged_attention_ll4mi_QKV_mfma16_kernelI14__hip_bfloat16S0_LN4vllm18Fp8KVCacheDataTypeE0ES0_Li32ELi64ELi256ELb1ELi4EEvPKT_PKT0_S8_ifPKiSA_SA_iPKfiiiPfSD_PS3_PT2_iSC_SC_@rel64+4
	s_delay_alu instid0(SALU_CYCLE_1)
	v_dual_mov_b32 v0, 0xbb3 :: v_dual_mov_b32 v1, s2
	v_mov_b32_e32 v2, s3
	s_add_nc_u64 s[8:9], s[0:1], 0x90
	s_get_pc_i64 s[0:1]
	s_add_nc_u64 s[0:1], s[0:1], __assert_fail@rel64+4
	s_mov_b32 s32, 0
	s_swap_pc_i64 s[30:31], s[0:1]
	.section	.rodata,"a",@progbits
	.p2align	6, 0x0
	.amdhsa_kernel _Z39paged_attention_ll4mi_QKV_mfma16_kernelI14__hip_bfloat16S0_LN4vllm18Fp8KVCacheDataTypeE0ES0_Li32ELi64ELi256ELb1ELi4EEvPKT_PKT0_S8_ifPKiSA_SA_iPKfiiiPfSD_PS3_PT2_iSC_SC_
		.amdhsa_group_segment_fixed_size 0
		.amdhsa_private_segment_fixed_size 64
		.amdhsa_kernarg_size 400
		.amdhsa_user_sgpr_count 2
		.amdhsa_user_sgpr_dispatch_ptr 0
		.amdhsa_user_sgpr_queue_ptr 0
		.amdhsa_user_sgpr_kernarg_segment_ptr 1
		.amdhsa_user_sgpr_dispatch_id 0
		.amdhsa_user_sgpr_kernarg_preload_length 0
		.amdhsa_user_sgpr_kernarg_preload_offset 0
		.amdhsa_user_sgpr_private_segment_size 0
		.amdhsa_wavefront_size32 1
		.amdhsa_uses_dynamic_stack 0
		.amdhsa_enable_private_segment 1
		.amdhsa_system_sgpr_workgroup_id_x 1
		.amdhsa_system_sgpr_workgroup_id_y 0
		.amdhsa_system_sgpr_workgroup_id_z 0
		.amdhsa_system_sgpr_workgroup_info 0
		.amdhsa_system_vgpr_workitem_id 0
		.amdhsa_next_free_vgpr 51
		.amdhsa_next_free_sgpr 34
		.amdhsa_named_barrier_count 0
		.amdhsa_reserve_vcc 1
		.amdhsa_float_round_mode_32 0
		.amdhsa_float_round_mode_16_64 0
		.amdhsa_float_denorm_mode_32 3
		.amdhsa_float_denorm_mode_16_64 3
		.amdhsa_fp16_overflow 0
		.amdhsa_memory_ordered 1
		.amdhsa_forward_progress 1
		.amdhsa_inst_pref_size 1
		.amdhsa_round_robin_scheduling 0
		.amdhsa_exception_fp_ieee_invalid_op 0
		.amdhsa_exception_fp_denorm_src 0
		.amdhsa_exception_fp_ieee_div_zero 0
		.amdhsa_exception_fp_ieee_overflow 0
		.amdhsa_exception_fp_ieee_underflow 0
		.amdhsa_exception_fp_ieee_inexact 0
		.amdhsa_exception_int_div_zero 0
	.end_amdhsa_kernel
	.section	.text._Z39paged_attention_ll4mi_QKV_mfma16_kernelI14__hip_bfloat16S0_LN4vllm18Fp8KVCacheDataTypeE0ES0_Li32ELi64ELi256ELb1ELi4EEvPKT_PKT0_S8_ifPKiSA_SA_iPKfiiiPfSD_PS3_PT2_iSC_SC_,"axG",@progbits,_Z39paged_attention_ll4mi_QKV_mfma16_kernelI14__hip_bfloat16S0_LN4vllm18Fp8KVCacheDataTypeE0ES0_Li32ELi64ELi256ELb1ELi4EEvPKT_PKT0_S8_ifPKiSA_SA_iPKfiiiPfSD_PS3_PT2_iSC_SC_,comdat
.Lfunc_end557:
	.size	_Z39paged_attention_ll4mi_QKV_mfma16_kernelI14__hip_bfloat16S0_LN4vllm18Fp8KVCacheDataTypeE0ES0_Li32ELi64ELi256ELb1ELi4EEvPKT_PKT0_S8_ifPKiSA_SA_iPKfiiiPfSD_PS3_PT2_iSC_SC_, .Lfunc_end557-_Z39paged_attention_ll4mi_QKV_mfma16_kernelI14__hip_bfloat16S0_LN4vllm18Fp8KVCacheDataTypeE0ES0_Li32ELi64ELi256ELb1ELi4EEvPKT_PKT0_S8_ifPKiSA_SA_iPKfiiiPfSD_PS3_PT2_iSC_SC_
                                        ; -- End function
	.set _Z39paged_attention_ll4mi_QKV_mfma16_kernelI14__hip_bfloat16S0_LN4vllm18Fp8KVCacheDataTypeE0ES0_Li32ELi64ELi256ELb1ELi4EEvPKT_PKT0_S8_ifPKiSA_SA_iPKfiiiPfSD_PS3_PT2_iSC_SC_.num_vgpr, max(3, .L__assert_fail.num_vgpr)
	.set _Z39paged_attention_ll4mi_QKV_mfma16_kernelI14__hip_bfloat16S0_LN4vllm18Fp8KVCacheDataTypeE0ES0_Li32ELi64ELi256ELb1ELi4EEvPKT_PKT0_S8_ifPKiSA_SA_iPKfiiiPfSD_PS3_PT2_iSC_SC_.num_agpr, max(0, .L__assert_fail.num_agpr)
	.set _Z39paged_attention_ll4mi_QKV_mfma16_kernelI14__hip_bfloat16S0_LN4vllm18Fp8KVCacheDataTypeE0ES0_Li32ELi64ELi256ELb1ELi4EEvPKT_PKT0_S8_ifPKiSA_SA_iPKfiiiPfSD_PS3_PT2_iSC_SC_.numbered_sgpr, max(33, .L__assert_fail.numbered_sgpr)
	.set _Z39paged_attention_ll4mi_QKV_mfma16_kernelI14__hip_bfloat16S0_LN4vllm18Fp8KVCacheDataTypeE0ES0_Li32ELi64ELi256ELb1ELi4EEvPKT_PKT0_S8_ifPKiSA_SA_iPKfiiiPfSD_PS3_PT2_iSC_SC_.num_named_barrier, max(0, .L__assert_fail.num_named_barrier)
	.set _Z39paged_attention_ll4mi_QKV_mfma16_kernelI14__hip_bfloat16S0_LN4vllm18Fp8KVCacheDataTypeE0ES0_Li32ELi64ELi256ELb1ELi4EEvPKT_PKT0_S8_ifPKiSA_SA_iPKfiiiPfSD_PS3_PT2_iSC_SC_.private_seg_size, 0+max(.L__assert_fail.private_seg_size)
	.set _Z39paged_attention_ll4mi_QKV_mfma16_kernelI14__hip_bfloat16S0_LN4vllm18Fp8KVCacheDataTypeE0ES0_Li32ELi64ELi256ELb1ELi4EEvPKT_PKT0_S8_ifPKiSA_SA_iPKfiiiPfSD_PS3_PT2_iSC_SC_.uses_vcc, or(1, .L__assert_fail.uses_vcc)
	.set _Z39paged_attention_ll4mi_QKV_mfma16_kernelI14__hip_bfloat16S0_LN4vllm18Fp8KVCacheDataTypeE0ES0_Li32ELi64ELi256ELb1ELi4EEvPKT_PKT0_S8_ifPKiSA_SA_iPKfiiiPfSD_PS3_PT2_iSC_SC_.uses_flat_scratch, or(0, .L__assert_fail.uses_flat_scratch)
	.set _Z39paged_attention_ll4mi_QKV_mfma16_kernelI14__hip_bfloat16S0_LN4vllm18Fp8KVCacheDataTypeE0ES0_Li32ELi64ELi256ELb1ELi4EEvPKT_PKT0_S8_ifPKiSA_SA_iPKfiiiPfSD_PS3_PT2_iSC_SC_.has_dyn_sized_stack, or(0, .L__assert_fail.has_dyn_sized_stack)
	.set _Z39paged_attention_ll4mi_QKV_mfma16_kernelI14__hip_bfloat16S0_LN4vllm18Fp8KVCacheDataTypeE0ES0_Li32ELi64ELi256ELb1ELi4EEvPKT_PKT0_S8_ifPKiSA_SA_iPKfiiiPfSD_PS3_PT2_iSC_SC_.has_recursion, or(0, .L__assert_fail.has_recursion)
	.set _Z39paged_attention_ll4mi_QKV_mfma16_kernelI14__hip_bfloat16S0_LN4vllm18Fp8KVCacheDataTypeE0ES0_Li32ELi64ELi256ELb1ELi4EEvPKT_PKT0_S8_ifPKiSA_SA_iPKfiiiPfSD_PS3_PT2_iSC_SC_.has_indirect_call, or(0, .L__assert_fail.has_indirect_call)
	.section	.AMDGPU.csdata,"",@progbits
; Kernel info:
; codeLenInByte = 68
; TotalNumSgprs: 36
; NumVgprs: 51
; ScratchSize: 64
; MemoryBound: 0
; FloatMode: 240
; IeeeMode: 1
; LDSByteSize: 0 bytes/workgroup (compile time only)
; SGPRBlocks: 0
; VGPRBlocks: 3
; NumSGPRsForWavesPerEU: 36
; NumVGPRsForWavesPerEU: 51
; NamedBarCnt: 0
; Occupancy: 16
; WaveLimiterHint : 1
; COMPUTE_PGM_RSRC2:SCRATCH_EN: 1
; COMPUTE_PGM_RSRC2:USER_SGPR: 2
; COMPUTE_PGM_RSRC2:TRAP_HANDLER: 0
; COMPUTE_PGM_RSRC2:TGID_X_EN: 1
; COMPUTE_PGM_RSRC2:TGID_Y_EN: 0
; COMPUTE_PGM_RSRC2:TGID_Z_EN: 0
; COMPUTE_PGM_RSRC2:TIDIG_COMP_CNT: 0
	.section	.text._Z38paged_attention_ll4mi_QKV_mfma4_kernelI14__hip_bfloat16S0_LN4vllm18Fp8KVCacheDataTypeE0ES0_Li32ELi64ELi256ELb0ELi1EEvPKT_PKT0_S8_ifPKiSA_SA_iPKfiiiPfSD_PS3_PT2_iSC_SC_,"axG",@progbits,_Z38paged_attention_ll4mi_QKV_mfma4_kernelI14__hip_bfloat16S0_LN4vllm18Fp8KVCacheDataTypeE0ES0_Li32ELi64ELi256ELb0ELi1EEvPKT_PKT0_S8_ifPKiSA_SA_iPKfiiiPfSD_PS3_PT2_iSC_SC_,comdat
	.protected	_Z38paged_attention_ll4mi_QKV_mfma4_kernelI14__hip_bfloat16S0_LN4vllm18Fp8KVCacheDataTypeE0ES0_Li32ELi64ELi256ELb0ELi1EEvPKT_PKT0_S8_ifPKiSA_SA_iPKfiiiPfSD_PS3_PT2_iSC_SC_ ; -- Begin function _Z38paged_attention_ll4mi_QKV_mfma4_kernelI14__hip_bfloat16S0_LN4vllm18Fp8KVCacheDataTypeE0ES0_Li32ELi64ELi256ELb0ELi1EEvPKT_PKT0_S8_ifPKiSA_SA_iPKfiiiPfSD_PS3_PT2_iSC_SC_
	.globl	_Z38paged_attention_ll4mi_QKV_mfma4_kernelI14__hip_bfloat16S0_LN4vllm18Fp8KVCacheDataTypeE0ES0_Li32ELi64ELi256ELb0ELi1EEvPKT_PKT0_S8_ifPKiSA_SA_iPKfiiiPfSD_PS3_PT2_iSC_SC_
	.p2align	8
	.type	_Z38paged_attention_ll4mi_QKV_mfma4_kernelI14__hip_bfloat16S0_LN4vllm18Fp8KVCacheDataTypeE0ES0_Li32ELi64ELi256ELb0ELi1EEvPKT_PKT0_S8_ifPKiSA_SA_iPKfiiiPfSD_PS3_PT2_iSC_SC_,@function
_Z38paged_attention_ll4mi_QKV_mfma4_kernelI14__hip_bfloat16S0_LN4vllm18Fp8KVCacheDataTypeE0ES0_Li32ELi64ELi256ELb0ELi1EEvPKT_PKT0_S8_ifPKiSA_SA_iPKfiiiPfSD_PS3_PT2_iSC_SC_: ; @_Z38paged_attention_ll4mi_QKV_mfma4_kernelI14__hip_bfloat16S0_LN4vllm18Fp8KVCacheDataTypeE0ES0_Li32ELi64ELi256ELb0ELi1EEvPKT_PKT0_S8_ifPKiSA_SA_iPKfiiiPfSD_PS3_PT2_iSC_SC_
; %bb.0:
	s_get_pc_i64 s[2:3]
	s_add_nc_u64 s[2:3], s[2:3], __PRETTY_FUNCTION__._Z38paged_attention_ll4mi_QKV_mfma4_kernelI14__hip_bfloat16S0_LN4vllm18Fp8KVCacheDataTypeE0ES0_Li32ELi64ELi256ELb0ELi1EEvPKT_PKT0_S8_ifPKiSA_SA_iPKfiiiPfSD_PS3_PT2_iSC_SC_@rel64+4
	s_delay_alu instid0(SALU_CYCLE_1)
	v_dual_mov_b32 v0, 0xbce :: v_dual_mov_b32 v1, s2
	v_mov_b32_e32 v2, s3
	s_add_nc_u64 s[8:9], s[0:1], 0x90
	s_get_pc_i64 s[0:1]
	s_add_nc_u64 s[0:1], s[0:1], __assert_fail@rel64+4
	s_mov_b32 s32, 0
	s_swap_pc_i64 s[30:31], s[0:1]
	.section	.rodata,"a",@progbits
	.p2align	6, 0x0
	.amdhsa_kernel _Z38paged_attention_ll4mi_QKV_mfma4_kernelI14__hip_bfloat16S0_LN4vllm18Fp8KVCacheDataTypeE0ES0_Li32ELi64ELi256ELb0ELi1EEvPKT_PKT0_S8_ifPKiSA_SA_iPKfiiiPfSD_PS3_PT2_iSC_SC_
		.amdhsa_group_segment_fixed_size 0
		.amdhsa_private_segment_fixed_size 64
		.amdhsa_kernarg_size 400
		.amdhsa_user_sgpr_count 2
		.amdhsa_user_sgpr_dispatch_ptr 0
		.amdhsa_user_sgpr_queue_ptr 0
		.amdhsa_user_sgpr_kernarg_segment_ptr 1
		.amdhsa_user_sgpr_dispatch_id 0
		.amdhsa_user_sgpr_kernarg_preload_length 0
		.amdhsa_user_sgpr_kernarg_preload_offset 0
		.amdhsa_user_sgpr_private_segment_size 0
		.amdhsa_wavefront_size32 1
		.amdhsa_uses_dynamic_stack 0
		.amdhsa_enable_private_segment 1
		.amdhsa_system_sgpr_workgroup_id_x 1
		.amdhsa_system_sgpr_workgroup_id_y 0
		.amdhsa_system_sgpr_workgroup_id_z 0
		.amdhsa_system_sgpr_workgroup_info 0
		.amdhsa_system_vgpr_workitem_id 0
		.amdhsa_next_free_vgpr 51
		.amdhsa_next_free_sgpr 34
		.amdhsa_named_barrier_count 0
		.amdhsa_reserve_vcc 1
		.amdhsa_float_round_mode_32 0
		.amdhsa_float_round_mode_16_64 0
		.amdhsa_float_denorm_mode_32 3
		.amdhsa_float_denorm_mode_16_64 3
		.amdhsa_fp16_overflow 0
		.amdhsa_memory_ordered 1
		.amdhsa_forward_progress 1
		.amdhsa_inst_pref_size 1
		.amdhsa_round_robin_scheduling 0
		.amdhsa_exception_fp_ieee_invalid_op 0
		.amdhsa_exception_fp_denorm_src 0
		.amdhsa_exception_fp_ieee_div_zero 0
		.amdhsa_exception_fp_ieee_overflow 0
		.amdhsa_exception_fp_ieee_underflow 0
		.amdhsa_exception_fp_ieee_inexact 0
		.amdhsa_exception_int_div_zero 0
	.end_amdhsa_kernel
	.section	.text._Z38paged_attention_ll4mi_QKV_mfma4_kernelI14__hip_bfloat16S0_LN4vllm18Fp8KVCacheDataTypeE0ES0_Li32ELi64ELi256ELb0ELi1EEvPKT_PKT0_S8_ifPKiSA_SA_iPKfiiiPfSD_PS3_PT2_iSC_SC_,"axG",@progbits,_Z38paged_attention_ll4mi_QKV_mfma4_kernelI14__hip_bfloat16S0_LN4vllm18Fp8KVCacheDataTypeE0ES0_Li32ELi64ELi256ELb0ELi1EEvPKT_PKT0_S8_ifPKiSA_SA_iPKfiiiPfSD_PS3_PT2_iSC_SC_,comdat
.Lfunc_end558:
	.size	_Z38paged_attention_ll4mi_QKV_mfma4_kernelI14__hip_bfloat16S0_LN4vllm18Fp8KVCacheDataTypeE0ES0_Li32ELi64ELi256ELb0ELi1EEvPKT_PKT0_S8_ifPKiSA_SA_iPKfiiiPfSD_PS3_PT2_iSC_SC_, .Lfunc_end558-_Z38paged_attention_ll4mi_QKV_mfma4_kernelI14__hip_bfloat16S0_LN4vllm18Fp8KVCacheDataTypeE0ES0_Li32ELi64ELi256ELb0ELi1EEvPKT_PKT0_S8_ifPKiSA_SA_iPKfiiiPfSD_PS3_PT2_iSC_SC_
                                        ; -- End function
	.set _Z38paged_attention_ll4mi_QKV_mfma4_kernelI14__hip_bfloat16S0_LN4vllm18Fp8KVCacheDataTypeE0ES0_Li32ELi64ELi256ELb0ELi1EEvPKT_PKT0_S8_ifPKiSA_SA_iPKfiiiPfSD_PS3_PT2_iSC_SC_.num_vgpr, max(3, .L__assert_fail.num_vgpr)
	.set _Z38paged_attention_ll4mi_QKV_mfma4_kernelI14__hip_bfloat16S0_LN4vllm18Fp8KVCacheDataTypeE0ES0_Li32ELi64ELi256ELb0ELi1EEvPKT_PKT0_S8_ifPKiSA_SA_iPKfiiiPfSD_PS3_PT2_iSC_SC_.num_agpr, max(0, .L__assert_fail.num_agpr)
	.set _Z38paged_attention_ll4mi_QKV_mfma4_kernelI14__hip_bfloat16S0_LN4vllm18Fp8KVCacheDataTypeE0ES0_Li32ELi64ELi256ELb0ELi1EEvPKT_PKT0_S8_ifPKiSA_SA_iPKfiiiPfSD_PS3_PT2_iSC_SC_.numbered_sgpr, max(33, .L__assert_fail.numbered_sgpr)
	.set _Z38paged_attention_ll4mi_QKV_mfma4_kernelI14__hip_bfloat16S0_LN4vllm18Fp8KVCacheDataTypeE0ES0_Li32ELi64ELi256ELb0ELi1EEvPKT_PKT0_S8_ifPKiSA_SA_iPKfiiiPfSD_PS3_PT2_iSC_SC_.num_named_barrier, max(0, .L__assert_fail.num_named_barrier)
	.set _Z38paged_attention_ll4mi_QKV_mfma4_kernelI14__hip_bfloat16S0_LN4vllm18Fp8KVCacheDataTypeE0ES0_Li32ELi64ELi256ELb0ELi1EEvPKT_PKT0_S8_ifPKiSA_SA_iPKfiiiPfSD_PS3_PT2_iSC_SC_.private_seg_size, 0+max(.L__assert_fail.private_seg_size)
	.set _Z38paged_attention_ll4mi_QKV_mfma4_kernelI14__hip_bfloat16S0_LN4vllm18Fp8KVCacheDataTypeE0ES0_Li32ELi64ELi256ELb0ELi1EEvPKT_PKT0_S8_ifPKiSA_SA_iPKfiiiPfSD_PS3_PT2_iSC_SC_.uses_vcc, or(1, .L__assert_fail.uses_vcc)
	.set _Z38paged_attention_ll4mi_QKV_mfma4_kernelI14__hip_bfloat16S0_LN4vllm18Fp8KVCacheDataTypeE0ES0_Li32ELi64ELi256ELb0ELi1EEvPKT_PKT0_S8_ifPKiSA_SA_iPKfiiiPfSD_PS3_PT2_iSC_SC_.uses_flat_scratch, or(0, .L__assert_fail.uses_flat_scratch)
	.set _Z38paged_attention_ll4mi_QKV_mfma4_kernelI14__hip_bfloat16S0_LN4vllm18Fp8KVCacheDataTypeE0ES0_Li32ELi64ELi256ELb0ELi1EEvPKT_PKT0_S8_ifPKiSA_SA_iPKfiiiPfSD_PS3_PT2_iSC_SC_.has_dyn_sized_stack, or(0, .L__assert_fail.has_dyn_sized_stack)
	.set _Z38paged_attention_ll4mi_QKV_mfma4_kernelI14__hip_bfloat16S0_LN4vllm18Fp8KVCacheDataTypeE0ES0_Li32ELi64ELi256ELb0ELi1EEvPKT_PKT0_S8_ifPKiSA_SA_iPKfiiiPfSD_PS3_PT2_iSC_SC_.has_recursion, or(0, .L__assert_fail.has_recursion)
	.set _Z38paged_attention_ll4mi_QKV_mfma4_kernelI14__hip_bfloat16S0_LN4vllm18Fp8KVCacheDataTypeE0ES0_Li32ELi64ELi256ELb0ELi1EEvPKT_PKT0_S8_ifPKiSA_SA_iPKfiiiPfSD_PS3_PT2_iSC_SC_.has_indirect_call, or(0, .L__assert_fail.has_indirect_call)
	.section	.AMDGPU.csdata,"",@progbits
; Kernel info:
; codeLenInByte = 68
; TotalNumSgprs: 36
; NumVgprs: 51
; ScratchSize: 64
; MemoryBound: 0
; FloatMode: 240
; IeeeMode: 1
; LDSByteSize: 0 bytes/workgroup (compile time only)
; SGPRBlocks: 0
; VGPRBlocks: 3
; NumSGPRsForWavesPerEU: 36
; NumVGPRsForWavesPerEU: 51
; NamedBarCnt: 0
; Occupancy: 16
; WaveLimiterHint : 1
; COMPUTE_PGM_RSRC2:SCRATCH_EN: 1
; COMPUTE_PGM_RSRC2:USER_SGPR: 2
; COMPUTE_PGM_RSRC2:TRAP_HANDLER: 0
; COMPUTE_PGM_RSRC2:TGID_X_EN: 1
; COMPUTE_PGM_RSRC2:TGID_Y_EN: 0
; COMPUTE_PGM_RSRC2:TGID_Z_EN: 0
; COMPUTE_PGM_RSRC2:TIDIG_COMP_CNT: 0
	.section	.text._Z38paged_attention_ll4mi_QKV_mfma4_kernelI14__hip_bfloat16S0_LN4vllm18Fp8KVCacheDataTypeE0ES0_Li32ELi64ELi256ELb0ELi2EEvPKT_PKT0_S8_ifPKiSA_SA_iPKfiiiPfSD_PS3_PT2_iSC_SC_,"axG",@progbits,_Z38paged_attention_ll4mi_QKV_mfma4_kernelI14__hip_bfloat16S0_LN4vllm18Fp8KVCacheDataTypeE0ES0_Li32ELi64ELi256ELb0ELi2EEvPKT_PKT0_S8_ifPKiSA_SA_iPKfiiiPfSD_PS3_PT2_iSC_SC_,comdat
	.protected	_Z38paged_attention_ll4mi_QKV_mfma4_kernelI14__hip_bfloat16S0_LN4vllm18Fp8KVCacheDataTypeE0ES0_Li32ELi64ELi256ELb0ELi2EEvPKT_PKT0_S8_ifPKiSA_SA_iPKfiiiPfSD_PS3_PT2_iSC_SC_ ; -- Begin function _Z38paged_attention_ll4mi_QKV_mfma4_kernelI14__hip_bfloat16S0_LN4vllm18Fp8KVCacheDataTypeE0ES0_Li32ELi64ELi256ELb0ELi2EEvPKT_PKT0_S8_ifPKiSA_SA_iPKfiiiPfSD_PS3_PT2_iSC_SC_
	.globl	_Z38paged_attention_ll4mi_QKV_mfma4_kernelI14__hip_bfloat16S0_LN4vllm18Fp8KVCacheDataTypeE0ES0_Li32ELi64ELi256ELb0ELi2EEvPKT_PKT0_S8_ifPKiSA_SA_iPKfiiiPfSD_PS3_PT2_iSC_SC_
	.p2align	8
	.type	_Z38paged_attention_ll4mi_QKV_mfma4_kernelI14__hip_bfloat16S0_LN4vllm18Fp8KVCacheDataTypeE0ES0_Li32ELi64ELi256ELb0ELi2EEvPKT_PKT0_S8_ifPKiSA_SA_iPKfiiiPfSD_PS3_PT2_iSC_SC_,@function
_Z38paged_attention_ll4mi_QKV_mfma4_kernelI14__hip_bfloat16S0_LN4vllm18Fp8KVCacheDataTypeE0ES0_Li32ELi64ELi256ELb0ELi2EEvPKT_PKT0_S8_ifPKiSA_SA_iPKfiiiPfSD_PS3_PT2_iSC_SC_: ; @_Z38paged_attention_ll4mi_QKV_mfma4_kernelI14__hip_bfloat16S0_LN4vllm18Fp8KVCacheDataTypeE0ES0_Li32ELi64ELi256ELb0ELi2EEvPKT_PKT0_S8_ifPKiSA_SA_iPKfiiiPfSD_PS3_PT2_iSC_SC_
; %bb.0:
	s_get_pc_i64 s[2:3]
	s_add_nc_u64 s[2:3], s[2:3], __PRETTY_FUNCTION__._Z38paged_attention_ll4mi_QKV_mfma4_kernelI14__hip_bfloat16S0_LN4vllm18Fp8KVCacheDataTypeE0ES0_Li32ELi64ELi256ELb0ELi2EEvPKT_PKT0_S8_ifPKiSA_SA_iPKfiiiPfSD_PS3_PT2_iSC_SC_@rel64+4
	s_delay_alu instid0(SALU_CYCLE_1)
	v_dual_mov_b32 v0, 0xbce :: v_dual_mov_b32 v1, s2
	v_mov_b32_e32 v2, s3
	s_add_nc_u64 s[8:9], s[0:1], 0x90
	s_get_pc_i64 s[0:1]
	s_add_nc_u64 s[0:1], s[0:1], __assert_fail@rel64+4
	s_mov_b32 s32, 0
	s_swap_pc_i64 s[30:31], s[0:1]
	.section	.rodata,"a",@progbits
	.p2align	6, 0x0
	.amdhsa_kernel _Z38paged_attention_ll4mi_QKV_mfma4_kernelI14__hip_bfloat16S0_LN4vllm18Fp8KVCacheDataTypeE0ES0_Li32ELi64ELi256ELb0ELi2EEvPKT_PKT0_S8_ifPKiSA_SA_iPKfiiiPfSD_PS3_PT2_iSC_SC_
		.amdhsa_group_segment_fixed_size 0
		.amdhsa_private_segment_fixed_size 64
		.amdhsa_kernarg_size 400
		.amdhsa_user_sgpr_count 2
		.amdhsa_user_sgpr_dispatch_ptr 0
		.amdhsa_user_sgpr_queue_ptr 0
		.amdhsa_user_sgpr_kernarg_segment_ptr 1
		.amdhsa_user_sgpr_dispatch_id 0
		.amdhsa_user_sgpr_kernarg_preload_length 0
		.amdhsa_user_sgpr_kernarg_preload_offset 0
		.amdhsa_user_sgpr_private_segment_size 0
		.amdhsa_wavefront_size32 1
		.amdhsa_uses_dynamic_stack 0
		.amdhsa_enable_private_segment 1
		.amdhsa_system_sgpr_workgroup_id_x 1
		.amdhsa_system_sgpr_workgroup_id_y 0
		.amdhsa_system_sgpr_workgroup_id_z 0
		.amdhsa_system_sgpr_workgroup_info 0
		.amdhsa_system_vgpr_workitem_id 0
		.amdhsa_next_free_vgpr 51
		.amdhsa_next_free_sgpr 34
		.amdhsa_named_barrier_count 0
		.amdhsa_reserve_vcc 1
		.amdhsa_float_round_mode_32 0
		.amdhsa_float_round_mode_16_64 0
		.amdhsa_float_denorm_mode_32 3
		.amdhsa_float_denorm_mode_16_64 3
		.amdhsa_fp16_overflow 0
		.amdhsa_memory_ordered 1
		.amdhsa_forward_progress 1
		.amdhsa_inst_pref_size 1
		.amdhsa_round_robin_scheduling 0
		.amdhsa_exception_fp_ieee_invalid_op 0
		.amdhsa_exception_fp_denorm_src 0
		.amdhsa_exception_fp_ieee_div_zero 0
		.amdhsa_exception_fp_ieee_overflow 0
		.amdhsa_exception_fp_ieee_underflow 0
		.amdhsa_exception_fp_ieee_inexact 0
		.amdhsa_exception_int_div_zero 0
	.end_amdhsa_kernel
	.section	.text._Z38paged_attention_ll4mi_QKV_mfma4_kernelI14__hip_bfloat16S0_LN4vllm18Fp8KVCacheDataTypeE0ES0_Li32ELi64ELi256ELb0ELi2EEvPKT_PKT0_S8_ifPKiSA_SA_iPKfiiiPfSD_PS3_PT2_iSC_SC_,"axG",@progbits,_Z38paged_attention_ll4mi_QKV_mfma4_kernelI14__hip_bfloat16S0_LN4vllm18Fp8KVCacheDataTypeE0ES0_Li32ELi64ELi256ELb0ELi2EEvPKT_PKT0_S8_ifPKiSA_SA_iPKfiiiPfSD_PS3_PT2_iSC_SC_,comdat
.Lfunc_end559:
	.size	_Z38paged_attention_ll4mi_QKV_mfma4_kernelI14__hip_bfloat16S0_LN4vllm18Fp8KVCacheDataTypeE0ES0_Li32ELi64ELi256ELb0ELi2EEvPKT_PKT0_S8_ifPKiSA_SA_iPKfiiiPfSD_PS3_PT2_iSC_SC_, .Lfunc_end559-_Z38paged_attention_ll4mi_QKV_mfma4_kernelI14__hip_bfloat16S0_LN4vllm18Fp8KVCacheDataTypeE0ES0_Li32ELi64ELi256ELb0ELi2EEvPKT_PKT0_S8_ifPKiSA_SA_iPKfiiiPfSD_PS3_PT2_iSC_SC_
                                        ; -- End function
	.set _Z38paged_attention_ll4mi_QKV_mfma4_kernelI14__hip_bfloat16S0_LN4vllm18Fp8KVCacheDataTypeE0ES0_Li32ELi64ELi256ELb0ELi2EEvPKT_PKT0_S8_ifPKiSA_SA_iPKfiiiPfSD_PS3_PT2_iSC_SC_.num_vgpr, max(3, .L__assert_fail.num_vgpr)
	.set _Z38paged_attention_ll4mi_QKV_mfma4_kernelI14__hip_bfloat16S0_LN4vllm18Fp8KVCacheDataTypeE0ES0_Li32ELi64ELi256ELb0ELi2EEvPKT_PKT0_S8_ifPKiSA_SA_iPKfiiiPfSD_PS3_PT2_iSC_SC_.num_agpr, max(0, .L__assert_fail.num_agpr)
	.set _Z38paged_attention_ll4mi_QKV_mfma4_kernelI14__hip_bfloat16S0_LN4vllm18Fp8KVCacheDataTypeE0ES0_Li32ELi64ELi256ELb0ELi2EEvPKT_PKT0_S8_ifPKiSA_SA_iPKfiiiPfSD_PS3_PT2_iSC_SC_.numbered_sgpr, max(33, .L__assert_fail.numbered_sgpr)
	.set _Z38paged_attention_ll4mi_QKV_mfma4_kernelI14__hip_bfloat16S0_LN4vllm18Fp8KVCacheDataTypeE0ES0_Li32ELi64ELi256ELb0ELi2EEvPKT_PKT0_S8_ifPKiSA_SA_iPKfiiiPfSD_PS3_PT2_iSC_SC_.num_named_barrier, max(0, .L__assert_fail.num_named_barrier)
	.set _Z38paged_attention_ll4mi_QKV_mfma4_kernelI14__hip_bfloat16S0_LN4vllm18Fp8KVCacheDataTypeE0ES0_Li32ELi64ELi256ELb0ELi2EEvPKT_PKT0_S8_ifPKiSA_SA_iPKfiiiPfSD_PS3_PT2_iSC_SC_.private_seg_size, 0+max(.L__assert_fail.private_seg_size)
	.set _Z38paged_attention_ll4mi_QKV_mfma4_kernelI14__hip_bfloat16S0_LN4vllm18Fp8KVCacheDataTypeE0ES0_Li32ELi64ELi256ELb0ELi2EEvPKT_PKT0_S8_ifPKiSA_SA_iPKfiiiPfSD_PS3_PT2_iSC_SC_.uses_vcc, or(1, .L__assert_fail.uses_vcc)
	.set _Z38paged_attention_ll4mi_QKV_mfma4_kernelI14__hip_bfloat16S0_LN4vllm18Fp8KVCacheDataTypeE0ES0_Li32ELi64ELi256ELb0ELi2EEvPKT_PKT0_S8_ifPKiSA_SA_iPKfiiiPfSD_PS3_PT2_iSC_SC_.uses_flat_scratch, or(0, .L__assert_fail.uses_flat_scratch)
	.set _Z38paged_attention_ll4mi_QKV_mfma4_kernelI14__hip_bfloat16S0_LN4vllm18Fp8KVCacheDataTypeE0ES0_Li32ELi64ELi256ELb0ELi2EEvPKT_PKT0_S8_ifPKiSA_SA_iPKfiiiPfSD_PS3_PT2_iSC_SC_.has_dyn_sized_stack, or(0, .L__assert_fail.has_dyn_sized_stack)
	.set _Z38paged_attention_ll4mi_QKV_mfma4_kernelI14__hip_bfloat16S0_LN4vllm18Fp8KVCacheDataTypeE0ES0_Li32ELi64ELi256ELb0ELi2EEvPKT_PKT0_S8_ifPKiSA_SA_iPKfiiiPfSD_PS3_PT2_iSC_SC_.has_recursion, or(0, .L__assert_fail.has_recursion)
	.set _Z38paged_attention_ll4mi_QKV_mfma4_kernelI14__hip_bfloat16S0_LN4vllm18Fp8KVCacheDataTypeE0ES0_Li32ELi64ELi256ELb0ELi2EEvPKT_PKT0_S8_ifPKiSA_SA_iPKfiiiPfSD_PS3_PT2_iSC_SC_.has_indirect_call, or(0, .L__assert_fail.has_indirect_call)
	.section	.AMDGPU.csdata,"",@progbits
; Kernel info:
; codeLenInByte = 68
; TotalNumSgprs: 36
; NumVgprs: 51
; ScratchSize: 64
; MemoryBound: 0
; FloatMode: 240
; IeeeMode: 1
; LDSByteSize: 0 bytes/workgroup (compile time only)
; SGPRBlocks: 0
; VGPRBlocks: 3
; NumSGPRsForWavesPerEU: 36
; NumVGPRsForWavesPerEU: 51
; NamedBarCnt: 0
; Occupancy: 16
; WaveLimiterHint : 1
; COMPUTE_PGM_RSRC2:SCRATCH_EN: 1
; COMPUTE_PGM_RSRC2:USER_SGPR: 2
; COMPUTE_PGM_RSRC2:TRAP_HANDLER: 0
; COMPUTE_PGM_RSRC2:TGID_X_EN: 1
; COMPUTE_PGM_RSRC2:TGID_Y_EN: 0
; COMPUTE_PGM_RSRC2:TGID_Z_EN: 0
; COMPUTE_PGM_RSRC2:TIDIG_COMP_CNT: 0
	.section	.text._Z38paged_attention_ll4mi_QKV_mfma4_kernelI14__hip_bfloat16S0_LN4vllm18Fp8KVCacheDataTypeE0ES0_Li32ELi64ELi256ELb0ELi3EEvPKT_PKT0_S8_ifPKiSA_SA_iPKfiiiPfSD_PS3_PT2_iSC_SC_,"axG",@progbits,_Z38paged_attention_ll4mi_QKV_mfma4_kernelI14__hip_bfloat16S0_LN4vllm18Fp8KVCacheDataTypeE0ES0_Li32ELi64ELi256ELb0ELi3EEvPKT_PKT0_S8_ifPKiSA_SA_iPKfiiiPfSD_PS3_PT2_iSC_SC_,comdat
	.protected	_Z38paged_attention_ll4mi_QKV_mfma4_kernelI14__hip_bfloat16S0_LN4vllm18Fp8KVCacheDataTypeE0ES0_Li32ELi64ELi256ELb0ELi3EEvPKT_PKT0_S8_ifPKiSA_SA_iPKfiiiPfSD_PS3_PT2_iSC_SC_ ; -- Begin function _Z38paged_attention_ll4mi_QKV_mfma4_kernelI14__hip_bfloat16S0_LN4vllm18Fp8KVCacheDataTypeE0ES0_Li32ELi64ELi256ELb0ELi3EEvPKT_PKT0_S8_ifPKiSA_SA_iPKfiiiPfSD_PS3_PT2_iSC_SC_
	.globl	_Z38paged_attention_ll4mi_QKV_mfma4_kernelI14__hip_bfloat16S0_LN4vllm18Fp8KVCacheDataTypeE0ES0_Li32ELi64ELi256ELb0ELi3EEvPKT_PKT0_S8_ifPKiSA_SA_iPKfiiiPfSD_PS3_PT2_iSC_SC_
	.p2align	8
	.type	_Z38paged_attention_ll4mi_QKV_mfma4_kernelI14__hip_bfloat16S0_LN4vllm18Fp8KVCacheDataTypeE0ES0_Li32ELi64ELi256ELb0ELi3EEvPKT_PKT0_S8_ifPKiSA_SA_iPKfiiiPfSD_PS3_PT2_iSC_SC_,@function
_Z38paged_attention_ll4mi_QKV_mfma4_kernelI14__hip_bfloat16S0_LN4vllm18Fp8KVCacheDataTypeE0ES0_Li32ELi64ELi256ELb0ELi3EEvPKT_PKT0_S8_ifPKiSA_SA_iPKfiiiPfSD_PS3_PT2_iSC_SC_: ; @_Z38paged_attention_ll4mi_QKV_mfma4_kernelI14__hip_bfloat16S0_LN4vllm18Fp8KVCacheDataTypeE0ES0_Li32ELi64ELi256ELb0ELi3EEvPKT_PKT0_S8_ifPKiSA_SA_iPKfiiiPfSD_PS3_PT2_iSC_SC_
; %bb.0:
	s_get_pc_i64 s[2:3]
	s_add_nc_u64 s[2:3], s[2:3], __PRETTY_FUNCTION__._Z38paged_attention_ll4mi_QKV_mfma4_kernelI14__hip_bfloat16S0_LN4vllm18Fp8KVCacheDataTypeE0ES0_Li32ELi64ELi256ELb0ELi3EEvPKT_PKT0_S8_ifPKiSA_SA_iPKfiiiPfSD_PS3_PT2_iSC_SC_@rel64+4
	s_delay_alu instid0(SALU_CYCLE_1)
	v_dual_mov_b32 v0, 0xbce :: v_dual_mov_b32 v1, s2
	v_mov_b32_e32 v2, s3
	s_add_nc_u64 s[8:9], s[0:1], 0x90
	s_get_pc_i64 s[0:1]
	s_add_nc_u64 s[0:1], s[0:1], __assert_fail@rel64+4
	s_mov_b32 s32, 0
	s_swap_pc_i64 s[30:31], s[0:1]
	.section	.rodata,"a",@progbits
	.p2align	6, 0x0
	.amdhsa_kernel _Z38paged_attention_ll4mi_QKV_mfma4_kernelI14__hip_bfloat16S0_LN4vllm18Fp8KVCacheDataTypeE0ES0_Li32ELi64ELi256ELb0ELi3EEvPKT_PKT0_S8_ifPKiSA_SA_iPKfiiiPfSD_PS3_PT2_iSC_SC_
		.amdhsa_group_segment_fixed_size 0
		.amdhsa_private_segment_fixed_size 64
		.amdhsa_kernarg_size 400
		.amdhsa_user_sgpr_count 2
		.amdhsa_user_sgpr_dispatch_ptr 0
		.amdhsa_user_sgpr_queue_ptr 0
		.amdhsa_user_sgpr_kernarg_segment_ptr 1
		.amdhsa_user_sgpr_dispatch_id 0
		.amdhsa_user_sgpr_kernarg_preload_length 0
		.amdhsa_user_sgpr_kernarg_preload_offset 0
		.amdhsa_user_sgpr_private_segment_size 0
		.amdhsa_wavefront_size32 1
		.amdhsa_uses_dynamic_stack 0
		.amdhsa_enable_private_segment 1
		.amdhsa_system_sgpr_workgroup_id_x 1
		.amdhsa_system_sgpr_workgroup_id_y 0
		.amdhsa_system_sgpr_workgroup_id_z 0
		.amdhsa_system_sgpr_workgroup_info 0
		.amdhsa_system_vgpr_workitem_id 0
		.amdhsa_next_free_vgpr 51
		.amdhsa_next_free_sgpr 34
		.amdhsa_named_barrier_count 0
		.amdhsa_reserve_vcc 1
		.amdhsa_float_round_mode_32 0
		.amdhsa_float_round_mode_16_64 0
		.amdhsa_float_denorm_mode_32 3
		.amdhsa_float_denorm_mode_16_64 3
		.amdhsa_fp16_overflow 0
		.amdhsa_memory_ordered 1
		.amdhsa_forward_progress 1
		.amdhsa_inst_pref_size 1
		.amdhsa_round_robin_scheduling 0
		.amdhsa_exception_fp_ieee_invalid_op 0
		.amdhsa_exception_fp_denorm_src 0
		.amdhsa_exception_fp_ieee_div_zero 0
		.amdhsa_exception_fp_ieee_overflow 0
		.amdhsa_exception_fp_ieee_underflow 0
		.amdhsa_exception_fp_ieee_inexact 0
		.amdhsa_exception_int_div_zero 0
	.end_amdhsa_kernel
	.section	.text._Z38paged_attention_ll4mi_QKV_mfma4_kernelI14__hip_bfloat16S0_LN4vllm18Fp8KVCacheDataTypeE0ES0_Li32ELi64ELi256ELb0ELi3EEvPKT_PKT0_S8_ifPKiSA_SA_iPKfiiiPfSD_PS3_PT2_iSC_SC_,"axG",@progbits,_Z38paged_attention_ll4mi_QKV_mfma4_kernelI14__hip_bfloat16S0_LN4vllm18Fp8KVCacheDataTypeE0ES0_Li32ELi64ELi256ELb0ELi3EEvPKT_PKT0_S8_ifPKiSA_SA_iPKfiiiPfSD_PS3_PT2_iSC_SC_,comdat
.Lfunc_end560:
	.size	_Z38paged_attention_ll4mi_QKV_mfma4_kernelI14__hip_bfloat16S0_LN4vllm18Fp8KVCacheDataTypeE0ES0_Li32ELi64ELi256ELb0ELi3EEvPKT_PKT0_S8_ifPKiSA_SA_iPKfiiiPfSD_PS3_PT2_iSC_SC_, .Lfunc_end560-_Z38paged_attention_ll4mi_QKV_mfma4_kernelI14__hip_bfloat16S0_LN4vllm18Fp8KVCacheDataTypeE0ES0_Li32ELi64ELi256ELb0ELi3EEvPKT_PKT0_S8_ifPKiSA_SA_iPKfiiiPfSD_PS3_PT2_iSC_SC_
                                        ; -- End function
	.set _Z38paged_attention_ll4mi_QKV_mfma4_kernelI14__hip_bfloat16S0_LN4vllm18Fp8KVCacheDataTypeE0ES0_Li32ELi64ELi256ELb0ELi3EEvPKT_PKT0_S8_ifPKiSA_SA_iPKfiiiPfSD_PS3_PT2_iSC_SC_.num_vgpr, max(3, .L__assert_fail.num_vgpr)
	.set _Z38paged_attention_ll4mi_QKV_mfma4_kernelI14__hip_bfloat16S0_LN4vllm18Fp8KVCacheDataTypeE0ES0_Li32ELi64ELi256ELb0ELi3EEvPKT_PKT0_S8_ifPKiSA_SA_iPKfiiiPfSD_PS3_PT2_iSC_SC_.num_agpr, max(0, .L__assert_fail.num_agpr)
	.set _Z38paged_attention_ll4mi_QKV_mfma4_kernelI14__hip_bfloat16S0_LN4vllm18Fp8KVCacheDataTypeE0ES0_Li32ELi64ELi256ELb0ELi3EEvPKT_PKT0_S8_ifPKiSA_SA_iPKfiiiPfSD_PS3_PT2_iSC_SC_.numbered_sgpr, max(33, .L__assert_fail.numbered_sgpr)
	.set _Z38paged_attention_ll4mi_QKV_mfma4_kernelI14__hip_bfloat16S0_LN4vllm18Fp8KVCacheDataTypeE0ES0_Li32ELi64ELi256ELb0ELi3EEvPKT_PKT0_S8_ifPKiSA_SA_iPKfiiiPfSD_PS3_PT2_iSC_SC_.num_named_barrier, max(0, .L__assert_fail.num_named_barrier)
	.set _Z38paged_attention_ll4mi_QKV_mfma4_kernelI14__hip_bfloat16S0_LN4vllm18Fp8KVCacheDataTypeE0ES0_Li32ELi64ELi256ELb0ELi3EEvPKT_PKT0_S8_ifPKiSA_SA_iPKfiiiPfSD_PS3_PT2_iSC_SC_.private_seg_size, 0+max(.L__assert_fail.private_seg_size)
	.set _Z38paged_attention_ll4mi_QKV_mfma4_kernelI14__hip_bfloat16S0_LN4vllm18Fp8KVCacheDataTypeE0ES0_Li32ELi64ELi256ELb0ELi3EEvPKT_PKT0_S8_ifPKiSA_SA_iPKfiiiPfSD_PS3_PT2_iSC_SC_.uses_vcc, or(1, .L__assert_fail.uses_vcc)
	.set _Z38paged_attention_ll4mi_QKV_mfma4_kernelI14__hip_bfloat16S0_LN4vllm18Fp8KVCacheDataTypeE0ES0_Li32ELi64ELi256ELb0ELi3EEvPKT_PKT0_S8_ifPKiSA_SA_iPKfiiiPfSD_PS3_PT2_iSC_SC_.uses_flat_scratch, or(0, .L__assert_fail.uses_flat_scratch)
	.set _Z38paged_attention_ll4mi_QKV_mfma4_kernelI14__hip_bfloat16S0_LN4vllm18Fp8KVCacheDataTypeE0ES0_Li32ELi64ELi256ELb0ELi3EEvPKT_PKT0_S8_ifPKiSA_SA_iPKfiiiPfSD_PS3_PT2_iSC_SC_.has_dyn_sized_stack, or(0, .L__assert_fail.has_dyn_sized_stack)
	.set _Z38paged_attention_ll4mi_QKV_mfma4_kernelI14__hip_bfloat16S0_LN4vllm18Fp8KVCacheDataTypeE0ES0_Li32ELi64ELi256ELb0ELi3EEvPKT_PKT0_S8_ifPKiSA_SA_iPKfiiiPfSD_PS3_PT2_iSC_SC_.has_recursion, or(0, .L__assert_fail.has_recursion)
	.set _Z38paged_attention_ll4mi_QKV_mfma4_kernelI14__hip_bfloat16S0_LN4vllm18Fp8KVCacheDataTypeE0ES0_Li32ELi64ELi256ELb0ELi3EEvPKT_PKT0_S8_ifPKiSA_SA_iPKfiiiPfSD_PS3_PT2_iSC_SC_.has_indirect_call, or(0, .L__assert_fail.has_indirect_call)
	.section	.AMDGPU.csdata,"",@progbits
; Kernel info:
; codeLenInByte = 68
; TotalNumSgprs: 36
; NumVgprs: 51
; ScratchSize: 64
; MemoryBound: 0
; FloatMode: 240
; IeeeMode: 1
; LDSByteSize: 0 bytes/workgroup (compile time only)
; SGPRBlocks: 0
; VGPRBlocks: 3
; NumSGPRsForWavesPerEU: 36
; NumVGPRsForWavesPerEU: 51
; NamedBarCnt: 0
; Occupancy: 16
; WaveLimiterHint : 1
; COMPUTE_PGM_RSRC2:SCRATCH_EN: 1
; COMPUTE_PGM_RSRC2:USER_SGPR: 2
; COMPUTE_PGM_RSRC2:TRAP_HANDLER: 0
; COMPUTE_PGM_RSRC2:TGID_X_EN: 1
; COMPUTE_PGM_RSRC2:TGID_Y_EN: 0
; COMPUTE_PGM_RSRC2:TGID_Z_EN: 0
; COMPUTE_PGM_RSRC2:TIDIG_COMP_CNT: 0
	.section	.text._Z38paged_attention_ll4mi_QKV_mfma4_kernelI14__hip_bfloat16S0_LN4vllm18Fp8KVCacheDataTypeE0ES0_Li32ELi64ELi256ELb0ELi4EEvPKT_PKT0_S8_ifPKiSA_SA_iPKfiiiPfSD_PS3_PT2_iSC_SC_,"axG",@progbits,_Z38paged_attention_ll4mi_QKV_mfma4_kernelI14__hip_bfloat16S0_LN4vllm18Fp8KVCacheDataTypeE0ES0_Li32ELi64ELi256ELb0ELi4EEvPKT_PKT0_S8_ifPKiSA_SA_iPKfiiiPfSD_PS3_PT2_iSC_SC_,comdat
	.protected	_Z38paged_attention_ll4mi_QKV_mfma4_kernelI14__hip_bfloat16S0_LN4vllm18Fp8KVCacheDataTypeE0ES0_Li32ELi64ELi256ELb0ELi4EEvPKT_PKT0_S8_ifPKiSA_SA_iPKfiiiPfSD_PS3_PT2_iSC_SC_ ; -- Begin function _Z38paged_attention_ll4mi_QKV_mfma4_kernelI14__hip_bfloat16S0_LN4vllm18Fp8KVCacheDataTypeE0ES0_Li32ELi64ELi256ELb0ELi4EEvPKT_PKT0_S8_ifPKiSA_SA_iPKfiiiPfSD_PS3_PT2_iSC_SC_
	.globl	_Z38paged_attention_ll4mi_QKV_mfma4_kernelI14__hip_bfloat16S0_LN4vllm18Fp8KVCacheDataTypeE0ES0_Li32ELi64ELi256ELb0ELi4EEvPKT_PKT0_S8_ifPKiSA_SA_iPKfiiiPfSD_PS3_PT2_iSC_SC_
	.p2align	8
	.type	_Z38paged_attention_ll4mi_QKV_mfma4_kernelI14__hip_bfloat16S0_LN4vllm18Fp8KVCacheDataTypeE0ES0_Li32ELi64ELi256ELb0ELi4EEvPKT_PKT0_S8_ifPKiSA_SA_iPKfiiiPfSD_PS3_PT2_iSC_SC_,@function
_Z38paged_attention_ll4mi_QKV_mfma4_kernelI14__hip_bfloat16S0_LN4vllm18Fp8KVCacheDataTypeE0ES0_Li32ELi64ELi256ELb0ELi4EEvPKT_PKT0_S8_ifPKiSA_SA_iPKfiiiPfSD_PS3_PT2_iSC_SC_: ; @_Z38paged_attention_ll4mi_QKV_mfma4_kernelI14__hip_bfloat16S0_LN4vllm18Fp8KVCacheDataTypeE0ES0_Li32ELi64ELi256ELb0ELi4EEvPKT_PKT0_S8_ifPKiSA_SA_iPKfiiiPfSD_PS3_PT2_iSC_SC_
; %bb.0:
	s_get_pc_i64 s[2:3]
	s_add_nc_u64 s[2:3], s[2:3], __PRETTY_FUNCTION__._Z38paged_attention_ll4mi_QKV_mfma4_kernelI14__hip_bfloat16S0_LN4vllm18Fp8KVCacheDataTypeE0ES0_Li32ELi64ELi256ELb0ELi4EEvPKT_PKT0_S8_ifPKiSA_SA_iPKfiiiPfSD_PS3_PT2_iSC_SC_@rel64+4
	s_delay_alu instid0(SALU_CYCLE_1)
	v_dual_mov_b32 v0, 0xbce :: v_dual_mov_b32 v1, s2
	v_mov_b32_e32 v2, s3
	s_add_nc_u64 s[8:9], s[0:1], 0x90
	s_get_pc_i64 s[0:1]
	s_add_nc_u64 s[0:1], s[0:1], __assert_fail@rel64+4
	s_mov_b32 s32, 0
	s_swap_pc_i64 s[30:31], s[0:1]
	.section	.rodata,"a",@progbits
	.p2align	6, 0x0
	.amdhsa_kernel _Z38paged_attention_ll4mi_QKV_mfma4_kernelI14__hip_bfloat16S0_LN4vllm18Fp8KVCacheDataTypeE0ES0_Li32ELi64ELi256ELb0ELi4EEvPKT_PKT0_S8_ifPKiSA_SA_iPKfiiiPfSD_PS3_PT2_iSC_SC_
		.amdhsa_group_segment_fixed_size 0
		.amdhsa_private_segment_fixed_size 64
		.amdhsa_kernarg_size 400
		.amdhsa_user_sgpr_count 2
		.amdhsa_user_sgpr_dispatch_ptr 0
		.amdhsa_user_sgpr_queue_ptr 0
		.amdhsa_user_sgpr_kernarg_segment_ptr 1
		.amdhsa_user_sgpr_dispatch_id 0
		.amdhsa_user_sgpr_kernarg_preload_length 0
		.amdhsa_user_sgpr_kernarg_preload_offset 0
		.amdhsa_user_sgpr_private_segment_size 0
		.amdhsa_wavefront_size32 1
		.amdhsa_uses_dynamic_stack 0
		.amdhsa_enable_private_segment 1
		.amdhsa_system_sgpr_workgroup_id_x 1
		.amdhsa_system_sgpr_workgroup_id_y 0
		.amdhsa_system_sgpr_workgroup_id_z 0
		.amdhsa_system_sgpr_workgroup_info 0
		.amdhsa_system_vgpr_workitem_id 0
		.amdhsa_next_free_vgpr 51
		.amdhsa_next_free_sgpr 34
		.amdhsa_named_barrier_count 0
		.amdhsa_reserve_vcc 1
		.amdhsa_float_round_mode_32 0
		.amdhsa_float_round_mode_16_64 0
		.amdhsa_float_denorm_mode_32 3
		.amdhsa_float_denorm_mode_16_64 3
		.amdhsa_fp16_overflow 0
		.amdhsa_memory_ordered 1
		.amdhsa_forward_progress 1
		.amdhsa_inst_pref_size 1
		.amdhsa_round_robin_scheduling 0
		.amdhsa_exception_fp_ieee_invalid_op 0
		.amdhsa_exception_fp_denorm_src 0
		.amdhsa_exception_fp_ieee_div_zero 0
		.amdhsa_exception_fp_ieee_overflow 0
		.amdhsa_exception_fp_ieee_underflow 0
		.amdhsa_exception_fp_ieee_inexact 0
		.amdhsa_exception_int_div_zero 0
	.end_amdhsa_kernel
	.section	.text._Z38paged_attention_ll4mi_QKV_mfma4_kernelI14__hip_bfloat16S0_LN4vllm18Fp8KVCacheDataTypeE0ES0_Li32ELi64ELi256ELb0ELi4EEvPKT_PKT0_S8_ifPKiSA_SA_iPKfiiiPfSD_PS3_PT2_iSC_SC_,"axG",@progbits,_Z38paged_attention_ll4mi_QKV_mfma4_kernelI14__hip_bfloat16S0_LN4vllm18Fp8KVCacheDataTypeE0ES0_Li32ELi64ELi256ELb0ELi4EEvPKT_PKT0_S8_ifPKiSA_SA_iPKfiiiPfSD_PS3_PT2_iSC_SC_,comdat
.Lfunc_end561:
	.size	_Z38paged_attention_ll4mi_QKV_mfma4_kernelI14__hip_bfloat16S0_LN4vllm18Fp8KVCacheDataTypeE0ES0_Li32ELi64ELi256ELb0ELi4EEvPKT_PKT0_S8_ifPKiSA_SA_iPKfiiiPfSD_PS3_PT2_iSC_SC_, .Lfunc_end561-_Z38paged_attention_ll4mi_QKV_mfma4_kernelI14__hip_bfloat16S0_LN4vllm18Fp8KVCacheDataTypeE0ES0_Li32ELi64ELi256ELb0ELi4EEvPKT_PKT0_S8_ifPKiSA_SA_iPKfiiiPfSD_PS3_PT2_iSC_SC_
                                        ; -- End function
	.set _Z38paged_attention_ll4mi_QKV_mfma4_kernelI14__hip_bfloat16S0_LN4vllm18Fp8KVCacheDataTypeE0ES0_Li32ELi64ELi256ELb0ELi4EEvPKT_PKT0_S8_ifPKiSA_SA_iPKfiiiPfSD_PS3_PT2_iSC_SC_.num_vgpr, max(3, .L__assert_fail.num_vgpr)
	.set _Z38paged_attention_ll4mi_QKV_mfma4_kernelI14__hip_bfloat16S0_LN4vllm18Fp8KVCacheDataTypeE0ES0_Li32ELi64ELi256ELb0ELi4EEvPKT_PKT0_S8_ifPKiSA_SA_iPKfiiiPfSD_PS3_PT2_iSC_SC_.num_agpr, max(0, .L__assert_fail.num_agpr)
	.set _Z38paged_attention_ll4mi_QKV_mfma4_kernelI14__hip_bfloat16S0_LN4vllm18Fp8KVCacheDataTypeE0ES0_Li32ELi64ELi256ELb0ELi4EEvPKT_PKT0_S8_ifPKiSA_SA_iPKfiiiPfSD_PS3_PT2_iSC_SC_.numbered_sgpr, max(33, .L__assert_fail.numbered_sgpr)
	.set _Z38paged_attention_ll4mi_QKV_mfma4_kernelI14__hip_bfloat16S0_LN4vllm18Fp8KVCacheDataTypeE0ES0_Li32ELi64ELi256ELb0ELi4EEvPKT_PKT0_S8_ifPKiSA_SA_iPKfiiiPfSD_PS3_PT2_iSC_SC_.num_named_barrier, max(0, .L__assert_fail.num_named_barrier)
	.set _Z38paged_attention_ll4mi_QKV_mfma4_kernelI14__hip_bfloat16S0_LN4vllm18Fp8KVCacheDataTypeE0ES0_Li32ELi64ELi256ELb0ELi4EEvPKT_PKT0_S8_ifPKiSA_SA_iPKfiiiPfSD_PS3_PT2_iSC_SC_.private_seg_size, 0+max(.L__assert_fail.private_seg_size)
	.set _Z38paged_attention_ll4mi_QKV_mfma4_kernelI14__hip_bfloat16S0_LN4vllm18Fp8KVCacheDataTypeE0ES0_Li32ELi64ELi256ELb0ELi4EEvPKT_PKT0_S8_ifPKiSA_SA_iPKfiiiPfSD_PS3_PT2_iSC_SC_.uses_vcc, or(1, .L__assert_fail.uses_vcc)
	.set _Z38paged_attention_ll4mi_QKV_mfma4_kernelI14__hip_bfloat16S0_LN4vllm18Fp8KVCacheDataTypeE0ES0_Li32ELi64ELi256ELb0ELi4EEvPKT_PKT0_S8_ifPKiSA_SA_iPKfiiiPfSD_PS3_PT2_iSC_SC_.uses_flat_scratch, or(0, .L__assert_fail.uses_flat_scratch)
	.set _Z38paged_attention_ll4mi_QKV_mfma4_kernelI14__hip_bfloat16S0_LN4vllm18Fp8KVCacheDataTypeE0ES0_Li32ELi64ELi256ELb0ELi4EEvPKT_PKT0_S8_ifPKiSA_SA_iPKfiiiPfSD_PS3_PT2_iSC_SC_.has_dyn_sized_stack, or(0, .L__assert_fail.has_dyn_sized_stack)
	.set _Z38paged_attention_ll4mi_QKV_mfma4_kernelI14__hip_bfloat16S0_LN4vllm18Fp8KVCacheDataTypeE0ES0_Li32ELi64ELi256ELb0ELi4EEvPKT_PKT0_S8_ifPKiSA_SA_iPKfiiiPfSD_PS3_PT2_iSC_SC_.has_recursion, or(0, .L__assert_fail.has_recursion)
	.set _Z38paged_attention_ll4mi_QKV_mfma4_kernelI14__hip_bfloat16S0_LN4vllm18Fp8KVCacheDataTypeE0ES0_Li32ELi64ELi256ELb0ELi4EEvPKT_PKT0_S8_ifPKiSA_SA_iPKfiiiPfSD_PS3_PT2_iSC_SC_.has_indirect_call, or(0, .L__assert_fail.has_indirect_call)
	.section	.AMDGPU.csdata,"",@progbits
; Kernel info:
; codeLenInByte = 68
; TotalNumSgprs: 36
; NumVgprs: 51
; ScratchSize: 64
; MemoryBound: 0
; FloatMode: 240
; IeeeMode: 1
; LDSByteSize: 0 bytes/workgroup (compile time only)
; SGPRBlocks: 0
; VGPRBlocks: 3
; NumSGPRsForWavesPerEU: 36
; NumVGPRsForWavesPerEU: 51
; NamedBarCnt: 0
; Occupancy: 16
; WaveLimiterHint : 1
; COMPUTE_PGM_RSRC2:SCRATCH_EN: 1
; COMPUTE_PGM_RSRC2:USER_SGPR: 2
; COMPUTE_PGM_RSRC2:TRAP_HANDLER: 0
; COMPUTE_PGM_RSRC2:TGID_X_EN: 1
; COMPUTE_PGM_RSRC2:TGID_Y_EN: 0
; COMPUTE_PGM_RSRC2:TGID_Z_EN: 0
; COMPUTE_PGM_RSRC2:TIDIG_COMP_CNT: 0
	.section	.text._Z39paged_attention_ll4mi_QKV_mfma16_kernelI14__hip_bfloat16S0_LN4vllm18Fp8KVCacheDataTypeE0ES0_Li32ELi64ELi256ELb0ELi5EEvPKT_PKT0_S8_ifPKiSA_SA_iPKfiiiPfSD_PS3_PT2_iSC_SC_,"axG",@progbits,_Z39paged_attention_ll4mi_QKV_mfma16_kernelI14__hip_bfloat16S0_LN4vllm18Fp8KVCacheDataTypeE0ES0_Li32ELi64ELi256ELb0ELi5EEvPKT_PKT0_S8_ifPKiSA_SA_iPKfiiiPfSD_PS3_PT2_iSC_SC_,comdat
	.protected	_Z39paged_attention_ll4mi_QKV_mfma16_kernelI14__hip_bfloat16S0_LN4vllm18Fp8KVCacheDataTypeE0ES0_Li32ELi64ELi256ELb0ELi5EEvPKT_PKT0_S8_ifPKiSA_SA_iPKfiiiPfSD_PS3_PT2_iSC_SC_ ; -- Begin function _Z39paged_attention_ll4mi_QKV_mfma16_kernelI14__hip_bfloat16S0_LN4vllm18Fp8KVCacheDataTypeE0ES0_Li32ELi64ELi256ELb0ELi5EEvPKT_PKT0_S8_ifPKiSA_SA_iPKfiiiPfSD_PS3_PT2_iSC_SC_
	.globl	_Z39paged_attention_ll4mi_QKV_mfma16_kernelI14__hip_bfloat16S0_LN4vllm18Fp8KVCacheDataTypeE0ES0_Li32ELi64ELi256ELb0ELi5EEvPKT_PKT0_S8_ifPKiSA_SA_iPKfiiiPfSD_PS3_PT2_iSC_SC_
	.p2align	8
	.type	_Z39paged_attention_ll4mi_QKV_mfma16_kernelI14__hip_bfloat16S0_LN4vllm18Fp8KVCacheDataTypeE0ES0_Li32ELi64ELi256ELb0ELi5EEvPKT_PKT0_S8_ifPKiSA_SA_iPKfiiiPfSD_PS3_PT2_iSC_SC_,@function
_Z39paged_attention_ll4mi_QKV_mfma16_kernelI14__hip_bfloat16S0_LN4vllm18Fp8KVCacheDataTypeE0ES0_Li32ELi64ELi256ELb0ELi5EEvPKT_PKT0_S8_ifPKiSA_SA_iPKfiiiPfSD_PS3_PT2_iSC_SC_: ; @_Z39paged_attention_ll4mi_QKV_mfma16_kernelI14__hip_bfloat16S0_LN4vllm18Fp8KVCacheDataTypeE0ES0_Li32ELi64ELi256ELb0ELi5EEvPKT_PKT0_S8_ifPKiSA_SA_iPKfiiiPfSD_PS3_PT2_iSC_SC_
; %bb.0:
	s_get_pc_i64 s[2:3]
	s_add_nc_u64 s[2:3], s[2:3], __PRETTY_FUNCTION__._Z39paged_attention_ll4mi_QKV_mfma16_kernelI14__hip_bfloat16S0_LN4vllm18Fp8KVCacheDataTypeE0ES0_Li32ELi64ELi256ELb0ELi5EEvPKT_PKT0_S8_ifPKiSA_SA_iPKfiiiPfSD_PS3_PT2_iSC_SC_@rel64+4
	s_delay_alu instid0(SALU_CYCLE_1)
	v_dual_mov_b32 v0, 0xbb3 :: v_dual_mov_b32 v1, s2
	v_mov_b32_e32 v2, s3
	s_add_nc_u64 s[8:9], s[0:1], 0x90
	s_get_pc_i64 s[0:1]
	s_add_nc_u64 s[0:1], s[0:1], __assert_fail@rel64+4
	s_mov_b32 s32, 0
	s_swap_pc_i64 s[30:31], s[0:1]
	.section	.rodata,"a",@progbits
	.p2align	6, 0x0
	.amdhsa_kernel _Z39paged_attention_ll4mi_QKV_mfma16_kernelI14__hip_bfloat16S0_LN4vllm18Fp8KVCacheDataTypeE0ES0_Li32ELi64ELi256ELb0ELi5EEvPKT_PKT0_S8_ifPKiSA_SA_iPKfiiiPfSD_PS3_PT2_iSC_SC_
		.amdhsa_group_segment_fixed_size 0
		.amdhsa_private_segment_fixed_size 64
		.amdhsa_kernarg_size 400
		.amdhsa_user_sgpr_count 2
		.amdhsa_user_sgpr_dispatch_ptr 0
		.amdhsa_user_sgpr_queue_ptr 0
		.amdhsa_user_sgpr_kernarg_segment_ptr 1
		.amdhsa_user_sgpr_dispatch_id 0
		.amdhsa_user_sgpr_kernarg_preload_length 0
		.amdhsa_user_sgpr_kernarg_preload_offset 0
		.amdhsa_user_sgpr_private_segment_size 0
		.amdhsa_wavefront_size32 1
		.amdhsa_uses_dynamic_stack 0
		.amdhsa_enable_private_segment 1
		.amdhsa_system_sgpr_workgroup_id_x 1
		.amdhsa_system_sgpr_workgroup_id_y 0
		.amdhsa_system_sgpr_workgroup_id_z 0
		.amdhsa_system_sgpr_workgroup_info 0
		.amdhsa_system_vgpr_workitem_id 0
		.amdhsa_next_free_vgpr 51
		.amdhsa_next_free_sgpr 34
		.amdhsa_named_barrier_count 0
		.amdhsa_reserve_vcc 1
		.amdhsa_float_round_mode_32 0
		.amdhsa_float_round_mode_16_64 0
		.amdhsa_float_denorm_mode_32 3
		.amdhsa_float_denorm_mode_16_64 3
		.amdhsa_fp16_overflow 0
		.amdhsa_memory_ordered 1
		.amdhsa_forward_progress 1
		.amdhsa_inst_pref_size 1
		.amdhsa_round_robin_scheduling 0
		.amdhsa_exception_fp_ieee_invalid_op 0
		.amdhsa_exception_fp_denorm_src 0
		.amdhsa_exception_fp_ieee_div_zero 0
		.amdhsa_exception_fp_ieee_overflow 0
		.amdhsa_exception_fp_ieee_underflow 0
		.amdhsa_exception_fp_ieee_inexact 0
		.amdhsa_exception_int_div_zero 0
	.end_amdhsa_kernel
	.section	.text._Z39paged_attention_ll4mi_QKV_mfma16_kernelI14__hip_bfloat16S0_LN4vllm18Fp8KVCacheDataTypeE0ES0_Li32ELi64ELi256ELb0ELi5EEvPKT_PKT0_S8_ifPKiSA_SA_iPKfiiiPfSD_PS3_PT2_iSC_SC_,"axG",@progbits,_Z39paged_attention_ll4mi_QKV_mfma16_kernelI14__hip_bfloat16S0_LN4vllm18Fp8KVCacheDataTypeE0ES0_Li32ELi64ELi256ELb0ELi5EEvPKT_PKT0_S8_ifPKiSA_SA_iPKfiiiPfSD_PS3_PT2_iSC_SC_,comdat
.Lfunc_end562:
	.size	_Z39paged_attention_ll4mi_QKV_mfma16_kernelI14__hip_bfloat16S0_LN4vllm18Fp8KVCacheDataTypeE0ES0_Li32ELi64ELi256ELb0ELi5EEvPKT_PKT0_S8_ifPKiSA_SA_iPKfiiiPfSD_PS3_PT2_iSC_SC_, .Lfunc_end562-_Z39paged_attention_ll4mi_QKV_mfma16_kernelI14__hip_bfloat16S0_LN4vllm18Fp8KVCacheDataTypeE0ES0_Li32ELi64ELi256ELb0ELi5EEvPKT_PKT0_S8_ifPKiSA_SA_iPKfiiiPfSD_PS3_PT2_iSC_SC_
                                        ; -- End function
	.set _Z39paged_attention_ll4mi_QKV_mfma16_kernelI14__hip_bfloat16S0_LN4vllm18Fp8KVCacheDataTypeE0ES0_Li32ELi64ELi256ELb0ELi5EEvPKT_PKT0_S8_ifPKiSA_SA_iPKfiiiPfSD_PS3_PT2_iSC_SC_.num_vgpr, max(3, .L__assert_fail.num_vgpr)
	.set _Z39paged_attention_ll4mi_QKV_mfma16_kernelI14__hip_bfloat16S0_LN4vllm18Fp8KVCacheDataTypeE0ES0_Li32ELi64ELi256ELb0ELi5EEvPKT_PKT0_S8_ifPKiSA_SA_iPKfiiiPfSD_PS3_PT2_iSC_SC_.num_agpr, max(0, .L__assert_fail.num_agpr)
	.set _Z39paged_attention_ll4mi_QKV_mfma16_kernelI14__hip_bfloat16S0_LN4vllm18Fp8KVCacheDataTypeE0ES0_Li32ELi64ELi256ELb0ELi5EEvPKT_PKT0_S8_ifPKiSA_SA_iPKfiiiPfSD_PS3_PT2_iSC_SC_.numbered_sgpr, max(33, .L__assert_fail.numbered_sgpr)
	.set _Z39paged_attention_ll4mi_QKV_mfma16_kernelI14__hip_bfloat16S0_LN4vllm18Fp8KVCacheDataTypeE0ES0_Li32ELi64ELi256ELb0ELi5EEvPKT_PKT0_S8_ifPKiSA_SA_iPKfiiiPfSD_PS3_PT2_iSC_SC_.num_named_barrier, max(0, .L__assert_fail.num_named_barrier)
	.set _Z39paged_attention_ll4mi_QKV_mfma16_kernelI14__hip_bfloat16S0_LN4vllm18Fp8KVCacheDataTypeE0ES0_Li32ELi64ELi256ELb0ELi5EEvPKT_PKT0_S8_ifPKiSA_SA_iPKfiiiPfSD_PS3_PT2_iSC_SC_.private_seg_size, 0+max(.L__assert_fail.private_seg_size)
	.set _Z39paged_attention_ll4mi_QKV_mfma16_kernelI14__hip_bfloat16S0_LN4vllm18Fp8KVCacheDataTypeE0ES0_Li32ELi64ELi256ELb0ELi5EEvPKT_PKT0_S8_ifPKiSA_SA_iPKfiiiPfSD_PS3_PT2_iSC_SC_.uses_vcc, or(1, .L__assert_fail.uses_vcc)
	.set _Z39paged_attention_ll4mi_QKV_mfma16_kernelI14__hip_bfloat16S0_LN4vllm18Fp8KVCacheDataTypeE0ES0_Li32ELi64ELi256ELb0ELi5EEvPKT_PKT0_S8_ifPKiSA_SA_iPKfiiiPfSD_PS3_PT2_iSC_SC_.uses_flat_scratch, or(0, .L__assert_fail.uses_flat_scratch)
	.set _Z39paged_attention_ll4mi_QKV_mfma16_kernelI14__hip_bfloat16S0_LN4vllm18Fp8KVCacheDataTypeE0ES0_Li32ELi64ELi256ELb0ELi5EEvPKT_PKT0_S8_ifPKiSA_SA_iPKfiiiPfSD_PS3_PT2_iSC_SC_.has_dyn_sized_stack, or(0, .L__assert_fail.has_dyn_sized_stack)
	.set _Z39paged_attention_ll4mi_QKV_mfma16_kernelI14__hip_bfloat16S0_LN4vllm18Fp8KVCacheDataTypeE0ES0_Li32ELi64ELi256ELb0ELi5EEvPKT_PKT0_S8_ifPKiSA_SA_iPKfiiiPfSD_PS3_PT2_iSC_SC_.has_recursion, or(0, .L__assert_fail.has_recursion)
	.set _Z39paged_attention_ll4mi_QKV_mfma16_kernelI14__hip_bfloat16S0_LN4vllm18Fp8KVCacheDataTypeE0ES0_Li32ELi64ELi256ELb0ELi5EEvPKT_PKT0_S8_ifPKiSA_SA_iPKfiiiPfSD_PS3_PT2_iSC_SC_.has_indirect_call, or(0, .L__assert_fail.has_indirect_call)
	.section	.AMDGPU.csdata,"",@progbits
; Kernel info:
; codeLenInByte = 68
; TotalNumSgprs: 36
; NumVgprs: 51
; ScratchSize: 64
; MemoryBound: 0
; FloatMode: 240
; IeeeMode: 1
; LDSByteSize: 0 bytes/workgroup (compile time only)
; SGPRBlocks: 0
; VGPRBlocks: 3
; NumSGPRsForWavesPerEU: 36
; NumVGPRsForWavesPerEU: 51
; NamedBarCnt: 0
; Occupancy: 16
; WaveLimiterHint : 1
; COMPUTE_PGM_RSRC2:SCRATCH_EN: 1
; COMPUTE_PGM_RSRC2:USER_SGPR: 2
; COMPUTE_PGM_RSRC2:TRAP_HANDLER: 0
; COMPUTE_PGM_RSRC2:TGID_X_EN: 1
; COMPUTE_PGM_RSRC2:TGID_Y_EN: 0
; COMPUTE_PGM_RSRC2:TGID_Z_EN: 0
; COMPUTE_PGM_RSRC2:TIDIG_COMP_CNT: 0
	.section	.text._Z39paged_attention_ll4mi_QKV_mfma16_kernelI14__hip_bfloat16S0_LN4vllm18Fp8KVCacheDataTypeE0ES0_Li32ELi64ELi256ELb0ELi6EEvPKT_PKT0_S8_ifPKiSA_SA_iPKfiiiPfSD_PS3_PT2_iSC_SC_,"axG",@progbits,_Z39paged_attention_ll4mi_QKV_mfma16_kernelI14__hip_bfloat16S0_LN4vllm18Fp8KVCacheDataTypeE0ES0_Li32ELi64ELi256ELb0ELi6EEvPKT_PKT0_S8_ifPKiSA_SA_iPKfiiiPfSD_PS3_PT2_iSC_SC_,comdat
	.protected	_Z39paged_attention_ll4mi_QKV_mfma16_kernelI14__hip_bfloat16S0_LN4vllm18Fp8KVCacheDataTypeE0ES0_Li32ELi64ELi256ELb0ELi6EEvPKT_PKT0_S8_ifPKiSA_SA_iPKfiiiPfSD_PS3_PT2_iSC_SC_ ; -- Begin function _Z39paged_attention_ll4mi_QKV_mfma16_kernelI14__hip_bfloat16S0_LN4vllm18Fp8KVCacheDataTypeE0ES0_Li32ELi64ELi256ELb0ELi6EEvPKT_PKT0_S8_ifPKiSA_SA_iPKfiiiPfSD_PS3_PT2_iSC_SC_
	.globl	_Z39paged_attention_ll4mi_QKV_mfma16_kernelI14__hip_bfloat16S0_LN4vllm18Fp8KVCacheDataTypeE0ES0_Li32ELi64ELi256ELb0ELi6EEvPKT_PKT0_S8_ifPKiSA_SA_iPKfiiiPfSD_PS3_PT2_iSC_SC_
	.p2align	8
	.type	_Z39paged_attention_ll4mi_QKV_mfma16_kernelI14__hip_bfloat16S0_LN4vllm18Fp8KVCacheDataTypeE0ES0_Li32ELi64ELi256ELb0ELi6EEvPKT_PKT0_S8_ifPKiSA_SA_iPKfiiiPfSD_PS3_PT2_iSC_SC_,@function
_Z39paged_attention_ll4mi_QKV_mfma16_kernelI14__hip_bfloat16S0_LN4vllm18Fp8KVCacheDataTypeE0ES0_Li32ELi64ELi256ELb0ELi6EEvPKT_PKT0_S8_ifPKiSA_SA_iPKfiiiPfSD_PS3_PT2_iSC_SC_: ; @_Z39paged_attention_ll4mi_QKV_mfma16_kernelI14__hip_bfloat16S0_LN4vllm18Fp8KVCacheDataTypeE0ES0_Li32ELi64ELi256ELb0ELi6EEvPKT_PKT0_S8_ifPKiSA_SA_iPKfiiiPfSD_PS3_PT2_iSC_SC_
; %bb.0:
	s_get_pc_i64 s[2:3]
	s_add_nc_u64 s[2:3], s[2:3], __PRETTY_FUNCTION__._Z39paged_attention_ll4mi_QKV_mfma16_kernelI14__hip_bfloat16S0_LN4vllm18Fp8KVCacheDataTypeE0ES0_Li32ELi64ELi256ELb0ELi6EEvPKT_PKT0_S8_ifPKiSA_SA_iPKfiiiPfSD_PS3_PT2_iSC_SC_@rel64+4
	s_delay_alu instid0(SALU_CYCLE_1)
	v_dual_mov_b32 v0, 0xbb3 :: v_dual_mov_b32 v1, s2
	v_mov_b32_e32 v2, s3
	s_add_nc_u64 s[8:9], s[0:1], 0x90
	s_get_pc_i64 s[0:1]
	s_add_nc_u64 s[0:1], s[0:1], __assert_fail@rel64+4
	s_mov_b32 s32, 0
	s_swap_pc_i64 s[30:31], s[0:1]
	.section	.rodata,"a",@progbits
	.p2align	6, 0x0
	.amdhsa_kernel _Z39paged_attention_ll4mi_QKV_mfma16_kernelI14__hip_bfloat16S0_LN4vllm18Fp8KVCacheDataTypeE0ES0_Li32ELi64ELi256ELb0ELi6EEvPKT_PKT0_S8_ifPKiSA_SA_iPKfiiiPfSD_PS3_PT2_iSC_SC_
		.amdhsa_group_segment_fixed_size 0
		.amdhsa_private_segment_fixed_size 64
		.amdhsa_kernarg_size 400
		.amdhsa_user_sgpr_count 2
		.amdhsa_user_sgpr_dispatch_ptr 0
		.amdhsa_user_sgpr_queue_ptr 0
		.amdhsa_user_sgpr_kernarg_segment_ptr 1
		.amdhsa_user_sgpr_dispatch_id 0
		.amdhsa_user_sgpr_kernarg_preload_length 0
		.amdhsa_user_sgpr_kernarg_preload_offset 0
		.amdhsa_user_sgpr_private_segment_size 0
		.amdhsa_wavefront_size32 1
		.amdhsa_uses_dynamic_stack 0
		.amdhsa_enable_private_segment 1
		.amdhsa_system_sgpr_workgroup_id_x 1
		.amdhsa_system_sgpr_workgroup_id_y 0
		.amdhsa_system_sgpr_workgroup_id_z 0
		.amdhsa_system_sgpr_workgroup_info 0
		.amdhsa_system_vgpr_workitem_id 0
		.amdhsa_next_free_vgpr 51
		.amdhsa_next_free_sgpr 34
		.amdhsa_named_barrier_count 0
		.amdhsa_reserve_vcc 1
		.amdhsa_float_round_mode_32 0
		.amdhsa_float_round_mode_16_64 0
		.amdhsa_float_denorm_mode_32 3
		.amdhsa_float_denorm_mode_16_64 3
		.amdhsa_fp16_overflow 0
		.amdhsa_memory_ordered 1
		.amdhsa_forward_progress 1
		.amdhsa_inst_pref_size 1
		.amdhsa_round_robin_scheduling 0
		.amdhsa_exception_fp_ieee_invalid_op 0
		.amdhsa_exception_fp_denorm_src 0
		.amdhsa_exception_fp_ieee_div_zero 0
		.amdhsa_exception_fp_ieee_overflow 0
		.amdhsa_exception_fp_ieee_underflow 0
		.amdhsa_exception_fp_ieee_inexact 0
		.amdhsa_exception_int_div_zero 0
	.end_amdhsa_kernel
	.section	.text._Z39paged_attention_ll4mi_QKV_mfma16_kernelI14__hip_bfloat16S0_LN4vllm18Fp8KVCacheDataTypeE0ES0_Li32ELi64ELi256ELb0ELi6EEvPKT_PKT0_S8_ifPKiSA_SA_iPKfiiiPfSD_PS3_PT2_iSC_SC_,"axG",@progbits,_Z39paged_attention_ll4mi_QKV_mfma16_kernelI14__hip_bfloat16S0_LN4vllm18Fp8KVCacheDataTypeE0ES0_Li32ELi64ELi256ELb0ELi6EEvPKT_PKT0_S8_ifPKiSA_SA_iPKfiiiPfSD_PS3_PT2_iSC_SC_,comdat
.Lfunc_end563:
	.size	_Z39paged_attention_ll4mi_QKV_mfma16_kernelI14__hip_bfloat16S0_LN4vllm18Fp8KVCacheDataTypeE0ES0_Li32ELi64ELi256ELb0ELi6EEvPKT_PKT0_S8_ifPKiSA_SA_iPKfiiiPfSD_PS3_PT2_iSC_SC_, .Lfunc_end563-_Z39paged_attention_ll4mi_QKV_mfma16_kernelI14__hip_bfloat16S0_LN4vllm18Fp8KVCacheDataTypeE0ES0_Li32ELi64ELi256ELb0ELi6EEvPKT_PKT0_S8_ifPKiSA_SA_iPKfiiiPfSD_PS3_PT2_iSC_SC_
                                        ; -- End function
	.set _Z39paged_attention_ll4mi_QKV_mfma16_kernelI14__hip_bfloat16S0_LN4vllm18Fp8KVCacheDataTypeE0ES0_Li32ELi64ELi256ELb0ELi6EEvPKT_PKT0_S8_ifPKiSA_SA_iPKfiiiPfSD_PS3_PT2_iSC_SC_.num_vgpr, max(3, .L__assert_fail.num_vgpr)
	.set _Z39paged_attention_ll4mi_QKV_mfma16_kernelI14__hip_bfloat16S0_LN4vllm18Fp8KVCacheDataTypeE0ES0_Li32ELi64ELi256ELb0ELi6EEvPKT_PKT0_S8_ifPKiSA_SA_iPKfiiiPfSD_PS3_PT2_iSC_SC_.num_agpr, max(0, .L__assert_fail.num_agpr)
	.set _Z39paged_attention_ll4mi_QKV_mfma16_kernelI14__hip_bfloat16S0_LN4vllm18Fp8KVCacheDataTypeE0ES0_Li32ELi64ELi256ELb0ELi6EEvPKT_PKT0_S8_ifPKiSA_SA_iPKfiiiPfSD_PS3_PT2_iSC_SC_.numbered_sgpr, max(33, .L__assert_fail.numbered_sgpr)
	.set _Z39paged_attention_ll4mi_QKV_mfma16_kernelI14__hip_bfloat16S0_LN4vllm18Fp8KVCacheDataTypeE0ES0_Li32ELi64ELi256ELb0ELi6EEvPKT_PKT0_S8_ifPKiSA_SA_iPKfiiiPfSD_PS3_PT2_iSC_SC_.num_named_barrier, max(0, .L__assert_fail.num_named_barrier)
	.set _Z39paged_attention_ll4mi_QKV_mfma16_kernelI14__hip_bfloat16S0_LN4vllm18Fp8KVCacheDataTypeE0ES0_Li32ELi64ELi256ELb0ELi6EEvPKT_PKT0_S8_ifPKiSA_SA_iPKfiiiPfSD_PS3_PT2_iSC_SC_.private_seg_size, 0+max(.L__assert_fail.private_seg_size)
	.set _Z39paged_attention_ll4mi_QKV_mfma16_kernelI14__hip_bfloat16S0_LN4vllm18Fp8KVCacheDataTypeE0ES0_Li32ELi64ELi256ELb0ELi6EEvPKT_PKT0_S8_ifPKiSA_SA_iPKfiiiPfSD_PS3_PT2_iSC_SC_.uses_vcc, or(1, .L__assert_fail.uses_vcc)
	.set _Z39paged_attention_ll4mi_QKV_mfma16_kernelI14__hip_bfloat16S0_LN4vllm18Fp8KVCacheDataTypeE0ES0_Li32ELi64ELi256ELb0ELi6EEvPKT_PKT0_S8_ifPKiSA_SA_iPKfiiiPfSD_PS3_PT2_iSC_SC_.uses_flat_scratch, or(0, .L__assert_fail.uses_flat_scratch)
	.set _Z39paged_attention_ll4mi_QKV_mfma16_kernelI14__hip_bfloat16S0_LN4vllm18Fp8KVCacheDataTypeE0ES0_Li32ELi64ELi256ELb0ELi6EEvPKT_PKT0_S8_ifPKiSA_SA_iPKfiiiPfSD_PS3_PT2_iSC_SC_.has_dyn_sized_stack, or(0, .L__assert_fail.has_dyn_sized_stack)
	.set _Z39paged_attention_ll4mi_QKV_mfma16_kernelI14__hip_bfloat16S0_LN4vllm18Fp8KVCacheDataTypeE0ES0_Li32ELi64ELi256ELb0ELi6EEvPKT_PKT0_S8_ifPKiSA_SA_iPKfiiiPfSD_PS3_PT2_iSC_SC_.has_recursion, or(0, .L__assert_fail.has_recursion)
	.set _Z39paged_attention_ll4mi_QKV_mfma16_kernelI14__hip_bfloat16S0_LN4vllm18Fp8KVCacheDataTypeE0ES0_Li32ELi64ELi256ELb0ELi6EEvPKT_PKT0_S8_ifPKiSA_SA_iPKfiiiPfSD_PS3_PT2_iSC_SC_.has_indirect_call, or(0, .L__assert_fail.has_indirect_call)
	.section	.AMDGPU.csdata,"",@progbits
; Kernel info:
; codeLenInByte = 68
; TotalNumSgprs: 36
; NumVgprs: 51
; ScratchSize: 64
; MemoryBound: 0
; FloatMode: 240
; IeeeMode: 1
; LDSByteSize: 0 bytes/workgroup (compile time only)
; SGPRBlocks: 0
; VGPRBlocks: 3
; NumSGPRsForWavesPerEU: 36
; NumVGPRsForWavesPerEU: 51
; NamedBarCnt: 0
; Occupancy: 16
; WaveLimiterHint : 1
; COMPUTE_PGM_RSRC2:SCRATCH_EN: 1
; COMPUTE_PGM_RSRC2:USER_SGPR: 2
; COMPUTE_PGM_RSRC2:TRAP_HANDLER: 0
; COMPUTE_PGM_RSRC2:TGID_X_EN: 1
; COMPUTE_PGM_RSRC2:TGID_Y_EN: 0
; COMPUTE_PGM_RSRC2:TGID_Z_EN: 0
; COMPUTE_PGM_RSRC2:TIDIG_COMP_CNT: 0
	.section	.text._Z39paged_attention_ll4mi_QKV_mfma16_kernelI14__hip_bfloat16S0_LN4vllm18Fp8KVCacheDataTypeE0ES0_Li32ELi64ELi256ELb0ELi7EEvPKT_PKT0_S8_ifPKiSA_SA_iPKfiiiPfSD_PS3_PT2_iSC_SC_,"axG",@progbits,_Z39paged_attention_ll4mi_QKV_mfma16_kernelI14__hip_bfloat16S0_LN4vllm18Fp8KVCacheDataTypeE0ES0_Li32ELi64ELi256ELb0ELi7EEvPKT_PKT0_S8_ifPKiSA_SA_iPKfiiiPfSD_PS3_PT2_iSC_SC_,comdat
	.protected	_Z39paged_attention_ll4mi_QKV_mfma16_kernelI14__hip_bfloat16S0_LN4vllm18Fp8KVCacheDataTypeE0ES0_Li32ELi64ELi256ELb0ELi7EEvPKT_PKT0_S8_ifPKiSA_SA_iPKfiiiPfSD_PS3_PT2_iSC_SC_ ; -- Begin function _Z39paged_attention_ll4mi_QKV_mfma16_kernelI14__hip_bfloat16S0_LN4vllm18Fp8KVCacheDataTypeE0ES0_Li32ELi64ELi256ELb0ELi7EEvPKT_PKT0_S8_ifPKiSA_SA_iPKfiiiPfSD_PS3_PT2_iSC_SC_
	.globl	_Z39paged_attention_ll4mi_QKV_mfma16_kernelI14__hip_bfloat16S0_LN4vllm18Fp8KVCacheDataTypeE0ES0_Li32ELi64ELi256ELb0ELi7EEvPKT_PKT0_S8_ifPKiSA_SA_iPKfiiiPfSD_PS3_PT2_iSC_SC_
	.p2align	8
	.type	_Z39paged_attention_ll4mi_QKV_mfma16_kernelI14__hip_bfloat16S0_LN4vllm18Fp8KVCacheDataTypeE0ES0_Li32ELi64ELi256ELb0ELi7EEvPKT_PKT0_S8_ifPKiSA_SA_iPKfiiiPfSD_PS3_PT2_iSC_SC_,@function
_Z39paged_attention_ll4mi_QKV_mfma16_kernelI14__hip_bfloat16S0_LN4vllm18Fp8KVCacheDataTypeE0ES0_Li32ELi64ELi256ELb0ELi7EEvPKT_PKT0_S8_ifPKiSA_SA_iPKfiiiPfSD_PS3_PT2_iSC_SC_: ; @_Z39paged_attention_ll4mi_QKV_mfma16_kernelI14__hip_bfloat16S0_LN4vllm18Fp8KVCacheDataTypeE0ES0_Li32ELi64ELi256ELb0ELi7EEvPKT_PKT0_S8_ifPKiSA_SA_iPKfiiiPfSD_PS3_PT2_iSC_SC_
; %bb.0:
	s_get_pc_i64 s[2:3]
	s_add_nc_u64 s[2:3], s[2:3], __PRETTY_FUNCTION__._Z39paged_attention_ll4mi_QKV_mfma16_kernelI14__hip_bfloat16S0_LN4vllm18Fp8KVCacheDataTypeE0ES0_Li32ELi64ELi256ELb0ELi7EEvPKT_PKT0_S8_ifPKiSA_SA_iPKfiiiPfSD_PS3_PT2_iSC_SC_@rel64+4
	s_delay_alu instid0(SALU_CYCLE_1)
	v_dual_mov_b32 v0, 0xbb3 :: v_dual_mov_b32 v1, s2
	v_mov_b32_e32 v2, s3
	s_add_nc_u64 s[8:9], s[0:1], 0x90
	s_get_pc_i64 s[0:1]
	s_add_nc_u64 s[0:1], s[0:1], __assert_fail@rel64+4
	s_mov_b32 s32, 0
	s_swap_pc_i64 s[30:31], s[0:1]
	.section	.rodata,"a",@progbits
	.p2align	6, 0x0
	.amdhsa_kernel _Z39paged_attention_ll4mi_QKV_mfma16_kernelI14__hip_bfloat16S0_LN4vllm18Fp8KVCacheDataTypeE0ES0_Li32ELi64ELi256ELb0ELi7EEvPKT_PKT0_S8_ifPKiSA_SA_iPKfiiiPfSD_PS3_PT2_iSC_SC_
		.amdhsa_group_segment_fixed_size 0
		.amdhsa_private_segment_fixed_size 64
		.amdhsa_kernarg_size 400
		.amdhsa_user_sgpr_count 2
		.amdhsa_user_sgpr_dispatch_ptr 0
		.amdhsa_user_sgpr_queue_ptr 0
		.amdhsa_user_sgpr_kernarg_segment_ptr 1
		.amdhsa_user_sgpr_dispatch_id 0
		.amdhsa_user_sgpr_kernarg_preload_length 0
		.amdhsa_user_sgpr_kernarg_preload_offset 0
		.amdhsa_user_sgpr_private_segment_size 0
		.amdhsa_wavefront_size32 1
		.amdhsa_uses_dynamic_stack 0
		.amdhsa_enable_private_segment 1
		.amdhsa_system_sgpr_workgroup_id_x 1
		.amdhsa_system_sgpr_workgroup_id_y 0
		.amdhsa_system_sgpr_workgroup_id_z 0
		.amdhsa_system_sgpr_workgroup_info 0
		.amdhsa_system_vgpr_workitem_id 0
		.amdhsa_next_free_vgpr 51
		.amdhsa_next_free_sgpr 34
		.amdhsa_named_barrier_count 0
		.amdhsa_reserve_vcc 1
		.amdhsa_float_round_mode_32 0
		.amdhsa_float_round_mode_16_64 0
		.amdhsa_float_denorm_mode_32 3
		.amdhsa_float_denorm_mode_16_64 3
		.amdhsa_fp16_overflow 0
		.amdhsa_memory_ordered 1
		.amdhsa_forward_progress 1
		.amdhsa_inst_pref_size 1
		.amdhsa_round_robin_scheduling 0
		.amdhsa_exception_fp_ieee_invalid_op 0
		.amdhsa_exception_fp_denorm_src 0
		.amdhsa_exception_fp_ieee_div_zero 0
		.amdhsa_exception_fp_ieee_overflow 0
		.amdhsa_exception_fp_ieee_underflow 0
		.amdhsa_exception_fp_ieee_inexact 0
		.amdhsa_exception_int_div_zero 0
	.end_amdhsa_kernel
	.section	.text._Z39paged_attention_ll4mi_QKV_mfma16_kernelI14__hip_bfloat16S0_LN4vllm18Fp8KVCacheDataTypeE0ES0_Li32ELi64ELi256ELb0ELi7EEvPKT_PKT0_S8_ifPKiSA_SA_iPKfiiiPfSD_PS3_PT2_iSC_SC_,"axG",@progbits,_Z39paged_attention_ll4mi_QKV_mfma16_kernelI14__hip_bfloat16S0_LN4vllm18Fp8KVCacheDataTypeE0ES0_Li32ELi64ELi256ELb0ELi7EEvPKT_PKT0_S8_ifPKiSA_SA_iPKfiiiPfSD_PS3_PT2_iSC_SC_,comdat
.Lfunc_end564:
	.size	_Z39paged_attention_ll4mi_QKV_mfma16_kernelI14__hip_bfloat16S0_LN4vllm18Fp8KVCacheDataTypeE0ES0_Li32ELi64ELi256ELb0ELi7EEvPKT_PKT0_S8_ifPKiSA_SA_iPKfiiiPfSD_PS3_PT2_iSC_SC_, .Lfunc_end564-_Z39paged_attention_ll4mi_QKV_mfma16_kernelI14__hip_bfloat16S0_LN4vllm18Fp8KVCacheDataTypeE0ES0_Li32ELi64ELi256ELb0ELi7EEvPKT_PKT0_S8_ifPKiSA_SA_iPKfiiiPfSD_PS3_PT2_iSC_SC_
                                        ; -- End function
	.set _Z39paged_attention_ll4mi_QKV_mfma16_kernelI14__hip_bfloat16S0_LN4vllm18Fp8KVCacheDataTypeE0ES0_Li32ELi64ELi256ELb0ELi7EEvPKT_PKT0_S8_ifPKiSA_SA_iPKfiiiPfSD_PS3_PT2_iSC_SC_.num_vgpr, max(3, .L__assert_fail.num_vgpr)
	.set _Z39paged_attention_ll4mi_QKV_mfma16_kernelI14__hip_bfloat16S0_LN4vllm18Fp8KVCacheDataTypeE0ES0_Li32ELi64ELi256ELb0ELi7EEvPKT_PKT0_S8_ifPKiSA_SA_iPKfiiiPfSD_PS3_PT2_iSC_SC_.num_agpr, max(0, .L__assert_fail.num_agpr)
	.set _Z39paged_attention_ll4mi_QKV_mfma16_kernelI14__hip_bfloat16S0_LN4vllm18Fp8KVCacheDataTypeE0ES0_Li32ELi64ELi256ELb0ELi7EEvPKT_PKT0_S8_ifPKiSA_SA_iPKfiiiPfSD_PS3_PT2_iSC_SC_.numbered_sgpr, max(33, .L__assert_fail.numbered_sgpr)
	.set _Z39paged_attention_ll4mi_QKV_mfma16_kernelI14__hip_bfloat16S0_LN4vllm18Fp8KVCacheDataTypeE0ES0_Li32ELi64ELi256ELb0ELi7EEvPKT_PKT0_S8_ifPKiSA_SA_iPKfiiiPfSD_PS3_PT2_iSC_SC_.num_named_barrier, max(0, .L__assert_fail.num_named_barrier)
	.set _Z39paged_attention_ll4mi_QKV_mfma16_kernelI14__hip_bfloat16S0_LN4vllm18Fp8KVCacheDataTypeE0ES0_Li32ELi64ELi256ELb0ELi7EEvPKT_PKT0_S8_ifPKiSA_SA_iPKfiiiPfSD_PS3_PT2_iSC_SC_.private_seg_size, 0+max(.L__assert_fail.private_seg_size)
	.set _Z39paged_attention_ll4mi_QKV_mfma16_kernelI14__hip_bfloat16S0_LN4vllm18Fp8KVCacheDataTypeE0ES0_Li32ELi64ELi256ELb0ELi7EEvPKT_PKT0_S8_ifPKiSA_SA_iPKfiiiPfSD_PS3_PT2_iSC_SC_.uses_vcc, or(1, .L__assert_fail.uses_vcc)
	.set _Z39paged_attention_ll4mi_QKV_mfma16_kernelI14__hip_bfloat16S0_LN4vllm18Fp8KVCacheDataTypeE0ES0_Li32ELi64ELi256ELb0ELi7EEvPKT_PKT0_S8_ifPKiSA_SA_iPKfiiiPfSD_PS3_PT2_iSC_SC_.uses_flat_scratch, or(0, .L__assert_fail.uses_flat_scratch)
	.set _Z39paged_attention_ll4mi_QKV_mfma16_kernelI14__hip_bfloat16S0_LN4vllm18Fp8KVCacheDataTypeE0ES0_Li32ELi64ELi256ELb0ELi7EEvPKT_PKT0_S8_ifPKiSA_SA_iPKfiiiPfSD_PS3_PT2_iSC_SC_.has_dyn_sized_stack, or(0, .L__assert_fail.has_dyn_sized_stack)
	.set _Z39paged_attention_ll4mi_QKV_mfma16_kernelI14__hip_bfloat16S0_LN4vllm18Fp8KVCacheDataTypeE0ES0_Li32ELi64ELi256ELb0ELi7EEvPKT_PKT0_S8_ifPKiSA_SA_iPKfiiiPfSD_PS3_PT2_iSC_SC_.has_recursion, or(0, .L__assert_fail.has_recursion)
	.set _Z39paged_attention_ll4mi_QKV_mfma16_kernelI14__hip_bfloat16S0_LN4vllm18Fp8KVCacheDataTypeE0ES0_Li32ELi64ELi256ELb0ELi7EEvPKT_PKT0_S8_ifPKiSA_SA_iPKfiiiPfSD_PS3_PT2_iSC_SC_.has_indirect_call, or(0, .L__assert_fail.has_indirect_call)
	.section	.AMDGPU.csdata,"",@progbits
; Kernel info:
; codeLenInByte = 68
; TotalNumSgprs: 36
; NumVgprs: 51
; ScratchSize: 64
; MemoryBound: 0
; FloatMode: 240
; IeeeMode: 1
; LDSByteSize: 0 bytes/workgroup (compile time only)
; SGPRBlocks: 0
; VGPRBlocks: 3
; NumSGPRsForWavesPerEU: 36
; NumVGPRsForWavesPerEU: 51
; NamedBarCnt: 0
; Occupancy: 16
; WaveLimiterHint : 1
; COMPUTE_PGM_RSRC2:SCRATCH_EN: 1
; COMPUTE_PGM_RSRC2:USER_SGPR: 2
; COMPUTE_PGM_RSRC2:TRAP_HANDLER: 0
; COMPUTE_PGM_RSRC2:TGID_X_EN: 1
; COMPUTE_PGM_RSRC2:TGID_Y_EN: 0
; COMPUTE_PGM_RSRC2:TGID_Z_EN: 0
; COMPUTE_PGM_RSRC2:TIDIG_COMP_CNT: 0
	.section	.text._Z39paged_attention_ll4mi_QKV_mfma16_kernelI14__hip_bfloat16S0_LN4vllm18Fp8KVCacheDataTypeE0ES0_Li32ELi64ELi256ELb0ELi8EEvPKT_PKT0_S8_ifPKiSA_SA_iPKfiiiPfSD_PS3_PT2_iSC_SC_,"axG",@progbits,_Z39paged_attention_ll4mi_QKV_mfma16_kernelI14__hip_bfloat16S0_LN4vllm18Fp8KVCacheDataTypeE0ES0_Li32ELi64ELi256ELb0ELi8EEvPKT_PKT0_S8_ifPKiSA_SA_iPKfiiiPfSD_PS3_PT2_iSC_SC_,comdat
	.protected	_Z39paged_attention_ll4mi_QKV_mfma16_kernelI14__hip_bfloat16S0_LN4vllm18Fp8KVCacheDataTypeE0ES0_Li32ELi64ELi256ELb0ELi8EEvPKT_PKT0_S8_ifPKiSA_SA_iPKfiiiPfSD_PS3_PT2_iSC_SC_ ; -- Begin function _Z39paged_attention_ll4mi_QKV_mfma16_kernelI14__hip_bfloat16S0_LN4vllm18Fp8KVCacheDataTypeE0ES0_Li32ELi64ELi256ELb0ELi8EEvPKT_PKT0_S8_ifPKiSA_SA_iPKfiiiPfSD_PS3_PT2_iSC_SC_
	.globl	_Z39paged_attention_ll4mi_QKV_mfma16_kernelI14__hip_bfloat16S0_LN4vllm18Fp8KVCacheDataTypeE0ES0_Li32ELi64ELi256ELb0ELi8EEvPKT_PKT0_S8_ifPKiSA_SA_iPKfiiiPfSD_PS3_PT2_iSC_SC_
	.p2align	8
	.type	_Z39paged_attention_ll4mi_QKV_mfma16_kernelI14__hip_bfloat16S0_LN4vllm18Fp8KVCacheDataTypeE0ES0_Li32ELi64ELi256ELb0ELi8EEvPKT_PKT0_S8_ifPKiSA_SA_iPKfiiiPfSD_PS3_PT2_iSC_SC_,@function
_Z39paged_attention_ll4mi_QKV_mfma16_kernelI14__hip_bfloat16S0_LN4vllm18Fp8KVCacheDataTypeE0ES0_Li32ELi64ELi256ELb0ELi8EEvPKT_PKT0_S8_ifPKiSA_SA_iPKfiiiPfSD_PS3_PT2_iSC_SC_: ; @_Z39paged_attention_ll4mi_QKV_mfma16_kernelI14__hip_bfloat16S0_LN4vllm18Fp8KVCacheDataTypeE0ES0_Li32ELi64ELi256ELb0ELi8EEvPKT_PKT0_S8_ifPKiSA_SA_iPKfiiiPfSD_PS3_PT2_iSC_SC_
; %bb.0:
	s_get_pc_i64 s[2:3]
	s_add_nc_u64 s[2:3], s[2:3], __PRETTY_FUNCTION__._Z39paged_attention_ll4mi_QKV_mfma16_kernelI14__hip_bfloat16S0_LN4vllm18Fp8KVCacheDataTypeE0ES0_Li32ELi64ELi256ELb0ELi8EEvPKT_PKT0_S8_ifPKiSA_SA_iPKfiiiPfSD_PS3_PT2_iSC_SC_@rel64+4
	s_delay_alu instid0(SALU_CYCLE_1)
	v_dual_mov_b32 v0, 0xbb3 :: v_dual_mov_b32 v1, s2
	v_mov_b32_e32 v2, s3
	s_add_nc_u64 s[8:9], s[0:1], 0x90
	s_get_pc_i64 s[0:1]
	s_add_nc_u64 s[0:1], s[0:1], __assert_fail@rel64+4
	s_mov_b32 s32, 0
	s_swap_pc_i64 s[30:31], s[0:1]
	.section	.rodata,"a",@progbits
	.p2align	6, 0x0
	.amdhsa_kernel _Z39paged_attention_ll4mi_QKV_mfma16_kernelI14__hip_bfloat16S0_LN4vllm18Fp8KVCacheDataTypeE0ES0_Li32ELi64ELi256ELb0ELi8EEvPKT_PKT0_S8_ifPKiSA_SA_iPKfiiiPfSD_PS3_PT2_iSC_SC_
		.amdhsa_group_segment_fixed_size 0
		.amdhsa_private_segment_fixed_size 64
		.amdhsa_kernarg_size 400
		.amdhsa_user_sgpr_count 2
		.amdhsa_user_sgpr_dispatch_ptr 0
		.amdhsa_user_sgpr_queue_ptr 0
		.amdhsa_user_sgpr_kernarg_segment_ptr 1
		.amdhsa_user_sgpr_dispatch_id 0
		.amdhsa_user_sgpr_kernarg_preload_length 0
		.amdhsa_user_sgpr_kernarg_preload_offset 0
		.amdhsa_user_sgpr_private_segment_size 0
		.amdhsa_wavefront_size32 1
		.amdhsa_uses_dynamic_stack 0
		.amdhsa_enable_private_segment 1
		.amdhsa_system_sgpr_workgroup_id_x 1
		.amdhsa_system_sgpr_workgroup_id_y 0
		.amdhsa_system_sgpr_workgroup_id_z 0
		.amdhsa_system_sgpr_workgroup_info 0
		.amdhsa_system_vgpr_workitem_id 0
		.amdhsa_next_free_vgpr 51
		.amdhsa_next_free_sgpr 34
		.amdhsa_named_barrier_count 0
		.amdhsa_reserve_vcc 1
		.amdhsa_float_round_mode_32 0
		.amdhsa_float_round_mode_16_64 0
		.amdhsa_float_denorm_mode_32 3
		.amdhsa_float_denorm_mode_16_64 3
		.amdhsa_fp16_overflow 0
		.amdhsa_memory_ordered 1
		.amdhsa_forward_progress 1
		.amdhsa_inst_pref_size 1
		.amdhsa_round_robin_scheduling 0
		.amdhsa_exception_fp_ieee_invalid_op 0
		.amdhsa_exception_fp_denorm_src 0
		.amdhsa_exception_fp_ieee_div_zero 0
		.amdhsa_exception_fp_ieee_overflow 0
		.amdhsa_exception_fp_ieee_underflow 0
		.amdhsa_exception_fp_ieee_inexact 0
		.amdhsa_exception_int_div_zero 0
	.end_amdhsa_kernel
	.section	.text._Z39paged_attention_ll4mi_QKV_mfma16_kernelI14__hip_bfloat16S0_LN4vllm18Fp8KVCacheDataTypeE0ES0_Li32ELi64ELi256ELb0ELi8EEvPKT_PKT0_S8_ifPKiSA_SA_iPKfiiiPfSD_PS3_PT2_iSC_SC_,"axG",@progbits,_Z39paged_attention_ll4mi_QKV_mfma16_kernelI14__hip_bfloat16S0_LN4vllm18Fp8KVCacheDataTypeE0ES0_Li32ELi64ELi256ELb0ELi8EEvPKT_PKT0_S8_ifPKiSA_SA_iPKfiiiPfSD_PS3_PT2_iSC_SC_,comdat
.Lfunc_end565:
	.size	_Z39paged_attention_ll4mi_QKV_mfma16_kernelI14__hip_bfloat16S0_LN4vllm18Fp8KVCacheDataTypeE0ES0_Li32ELi64ELi256ELb0ELi8EEvPKT_PKT0_S8_ifPKiSA_SA_iPKfiiiPfSD_PS3_PT2_iSC_SC_, .Lfunc_end565-_Z39paged_attention_ll4mi_QKV_mfma16_kernelI14__hip_bfloat16S0_LN4vllm18Fp8KVCacheDataTypeE0ES0_Li32ELi64ELi256ELb0ELi8EEvPKT_PKT0_S8_ifPKiSA_SA_iPKfiiiPfSD_PS3_PT2_iSC_SC_
                                        ; -- End function
	.set _Z39paged_attention_ll4mi_QKV_mfma16_kernelI14__hip_bfloat16S0_LN4vllm18Fp8KVCacheDataTypeE0ES0_Li32ELi64ELi256ELb0ELi8EEvPKT_PKT0_S8_ifPKiSA_SA_iPKfiiiPfSD_PS3_PT2_iSC_SC_.num_vgpr, max(3, .L__assert_fail.num_vgpr)
	.set _Z39paged_attention_ll4mi_QKV_mfma16_kernelI14__hip_bfloat16S0_LN4vllm18Fp8KVCacheDataTypeE0ES0_Li32ELi64ELi256ELb0ELi8EEvPKT_PKT0_S8_ifPKiSA_SA_iPKfiiiPfSD_PS3_PT2_iSC_SC_.num_agpr, max(0, .L__assert_fail.num_agpr)
	.set _Z39paged_attention_ll4mi_QKV_mfma16_kernelI14__hip_bfloat16S0_LN4vllm18Fp8KVCacheDataTypeE0ES0_Li32ELi64ELi256ELb0ELi8EEvPKT_PKT0_S8_ifPKiSA_SA_iPKfiiiPfSD_PS3_PT2_iSC_SC_.numbered_sgpr, max(33, .L__assert_fail.numbered_sgpr)
	.set _Z39paged_attention_ll4mi_QKV_mfma16_kernelI14__hip_bfloat16S0_LN4vllm18Fp8KVCacheDataTypeE0ES0_Li32ELi64ELi256ELb0ELi8EEvPKT_PKT0_S8_ifPKiSA_SA_iPKfiiiPfSD_PS3_PT2_iSC_SC_.num_named_barrier, max(0, .L__assert_fail.num_named_barrier)
	.set _Z39paged_attention_ll4mi_QKV_mfma16_kernelI14__hip_bfloat16S0_LN4vllm18Fp8KVCacheDataTypeE0ES0_Li32ELi64ELi256ELb0ELi8EEvPKT_PKT0_S8_ifPKiSA_SA_iPKfiiiPfSD_PS3_PT2_iSC_SC_.private_seg_size, 0+max(.L__assert_fail.private_seg_size)
	.set _Z39paged_attention_ll4mi_QKV_mfma16_kernelI14__hip_bfloat16S0_LN4vllm18Fp8KVCacheDataTypeE0ES0_Li32ELi64ELi256ELb0ELi8EEvPKT_PKT0_S8_ifPKiSA_SA_iPKfiiiPfSD_PS3_PT2_iSC_SC_.uses_vcc, or(1, .L__assert_fail.uses_vcc)
	.set _Z39paged_attention_ll4mi_QKV_mfma16_kernelI14__hip_bfloat16S0_LN4vllm18Fp8KVCacheDataTypeE0ES0_Li32ELi64ELi256ELb0ELi8EEvPKT_PKT0_S8_ifPKiSA_SA_iPKfiiiPfSD_PS3_PT2_iSC_SC_.uses_flat_scratch, or(0, .L__assert_fail.uses_flat_scratch)
	.set _Z39paged_attention_ll4mi_QKV_mfma16_kernelI14__hip_bfloat16S0_LN4vllm18Fp8KVCacheDataTypeE0ES0_Li32ELi64ELi256ELb0ELi8EEvPKT_PKT0_S8_ifPKiSA_SA_iPKfiiiPfSD_PS3_PT2_iSC_SC_.has_dyn_sized_stack, or(0, .L__assert_fail.has_dyn_sized_stack)
	.set _Z39paged_attention_ll4mi_QKV_mfma16_kernelI14__hip_bfloat16S0_LN4vllm18Fp8KVCacheDataTypeE0ES0_Li32ELi64ELi256ELb0ELi8EEvPKT_PKT0_S8_ifPKiSA_SA_iPKfiiiPfSD_PS3_PT2_iSC_SC_.has_recursion, or(0, .L__assert_fail.has_recursion)
	.set _Z39paged_attention_ll4mi_QKV_mfma16_kernelI14__hip_bfloat16S0_LN4vllm18Fp8KVCacheDataTypeE0ES0_Li32ELi64ELi256ELb0ELi8EEvPKT_PKT0_S8_ifPKiSA_SA_iPKfiiiPfSD_PS3_PT2_iSC_SC_.has_indirect_call, or(0, .L__assert_fail.has_indirect_call)
	.section	.AMDGPU.csdata,"",@progbits
; Kernel info:
; codeLenInByte = 68
; TotalNumSgprs: 36
; NumVgprs: 51
; ScratchSize: 64
; MemoryBound: 0
; FloatMode: 240
; IeeeMode: 1
; LDSByteSize: 0 bytes/workgroup (compile time only)
; SGPRBlocks: 0
; VGPRBlocks: 3
; NumSGPRsForWavesPerEU: 36
; NumVGPRsForWavesPerEU: 51
; NamedBarCnt: 0
; Occupancy: 16
; WaveLimiterHint : 1
; COMPUTE_PGM_RSRC2:SCRATCH_EN: 1
; COMPUTE_PGM_RSRC2:USER_SGPR: 2
; COMPUTE_PGM_RSRC2:TRAP_HANDLER: 0
; COMPUTE_PGM_RSRC2:TGID_X_EN: 1
; COMPUTE_PGM_RSRC2:TGID_Y_EN: 0
; COMPUTE_PGM_RSRC2:TGID_Z_EN: 0
; COMPUTE_PGM_RSRC2:TIDIG_COMP_CNT: 0
	.section	.text._Z39paged_attention_ll4mi_QKV_mfma16_kernelI14__hip_bfloat16S0_LN4vllm18Fp8KVCacheDataTypeE0ES0_Li32ELi64ELi256ELb0ELi9EEvPKT_PKT0_S8_ifPKiSA_SA_iPKfiiiPfSD_PS3_PT2_iSC_SC_,"axG",@progbits,_Z39paged_attention_ll4mi_QKV_mfma16_kernelI14__hip_bfloat16S0_LN4vllm18Fp8KVCacheDataTypeE0ES0_Li32ELi64ELi256ELb0ELi9EEvPKT_PKT0_S8_ifPKiSA_SA_iPKfiiiPfSD_PS3_PT2_iSC_SC_,comdat
	.protected	_Z39paged_attention_ll4mi_QKV_mfma16_kernelI14__hip_bfloat16S0_LN4vllm18Fp8KVCacheDataTypeE0ES0_Li32ELi64ELi256ELb0ELi9EEvPKT_PKT0_S8_ifPKiSA_SA_iPKfiiiPfSD_PS3_PT2_iSC_SC_ ; -- Begin function _Z39paged_attention_ll4mi_QKV_mfma16_kernelI14__hip_bfloat16S0_LN4vllm18Fp8KVCacheDataTypeE0ES0_Li32ELi64ELi256ELb0ELi9EEvPKT_PKT0_S8_ifPKiSA_SA_iPKfiiiPfSD_PS3_PT2_iSC_SC_
	.globl	_Z39paged_attention_ll4mi_QKV_mfma16_kernelI14__hip_bfloat16S0_LN4vllm18Fp8KVCacheDataTypeE0ES0_Li32ELi64ELi256ELb0ELi9EEvPKT_PKT0_S8_ifPKiSA_SA_iPKfiiiPfSD_PS3_PT2_iSC_SC_
	.p2align	8
	.type	_Z39paged_attention_ll4mi_QKV_mfma16_kernelI14__hip_bfloat16S0_LN4vllm18Fp8KVCacheDataTypeE0ES0_Li32ELi64ELi256ELb0ELi9EEvPKT_PKT0_S8_ifPKiSA_SA_iPKfiiiPfSD_PS3_PT2_iSC_SC_,@function
_Z39paged_attention_ll4mi_QKV_mfma16_kernelI14__hip_bfloat16S0_LN4vllm18Fp8KVCacheDataTypeE0ES0_Li32ELi64ELi256ELb0ELi9EEvPKT_PKT0_S8_ifPKiSA_SA_iPKfiiiPfSD_PS3_PT2_iSC_SC_: ; @_Z39paged_attention_ll4mi_QKV_mfma16_kernelI14__hip_bfloat16S0_LN4vllm18Fp8KVCacheDataTypeE0ES0_Li32ELi64ELi256ELb0ELi9EEvPKT_PKT0_S8_ifPKiSA_SA_iPKfiiiPfSD_PS3_PT2_iSC_SC_
; %bb.0:
	s_get_pc_i64 s[2:3]
	s_add_nc_u64 s[2:3], s[2:3], __PRETTY_FUNCTION__._Z39paged_attention_ll4mi_QKV_mfma16_kernelI14__hip_bfloat16S0_LN4vllm18Fp8KVCacheDataTypeE0ES0_Li32ELi64ELi256ELb0ELi9EEvPKT_PKT0_S8_ifPKiSA_SA_iPKfiiiPfSD_PS3_PT2_iSC_SC_@rel64+4
	s_delay_alu instid0(SALU_CYCLE_1)
	v_dual_mov_b32 v0, 0xbb3 :: v_dual_mov_b32 v1, s2
	v_mov_b32_e32 v2, s3
	s_add_nc_u64 s[8:9], s[0:1], 0x90
	s_get_pc_i64 s[0:1]
	s_add_nc_u64 s[0:1], s[0:1], __assert_fail@rel64+4
	s_mov_b32 s32, 0
	s_swap_pc_i64 s[30:31], s[0:1]
	.section	.rodata,"a",@progbits
	.p2align	6, 0x0
	.amdhsa_kernel _Z39paged_attention_ll4mi_QKV_mfma16_kernelI14__hip_bfloat16S0_LN4vllm18Fp8KVCacheDataTypeE0ES0_Li32ELi64ELi256ELb0ELi9EEvPKT_PKT0_S8_ifPKiSA_SA_iPKfiiiPfSD_PS3_PT2_iSC_SC_
		.amdhsa_group_segment_fixed_size 0
		.amdhsa_private_segment_fixed_size 64
		.amdhsa_kernarg_size 400
		.amdhsa_user_sgpr_count 2
		.amdhsa_user_sgpr_dispatch_ptr 0
		.amdhsa_user_sgpr_queue_ptr 0
		.amdhsa_user_sgpr_kernarg_segment_ptr 1
		.amdhsa_user_sgpr_dispatch_id 0
		.amdhsa_user_sgpr_kernarg_preload_length 0
		.amdhsa_user_sgpr_kernarg_preload_offset 0
		.amdhsa_user_sgpr_private_segment_size 0
		.amdhsa_wavefront_size32 1
		.amdhsa_uses_dynamic_stack 0
		.amdhsa_enable_private_segment 1
		.amdhsa_system_sgpr_workgroup_id_x 1
		.amdhsa_system_sgpr_workgroup_id_y 0
		.amdhsa_system_sgpr_workgroup_id_z 0
		.amdhsa_system_sgpr_workgroup_info 0
		.amdhsa_system_vgpr_workitem_id 0
		.amdhsa_next_free_vgpr 51
		.amdhsa_next_free_sgpr 34
		.amdhsa_named_barrier_count 0
		.amdhsa_reserve_vcc 1
		.amdhsa_float_round_mode_32 0
		.amdhsa_float_round_mode_16_64 0
		.amdhsa_float_denorm_mode_32 3
		.amdhsa_float_denorm_mode_16_64 3
		.amdhsa_fp16_overflow 0
		.amdhsa_memory_ordered 1
		.amdhsa_forward_progress 1
		.amdhsa_inst_pref_size 1
		.amdhsa_round_robin_scheduling 0
		.amdhsa_exception_fp_ieee_invalid_op 0
		.amdhsa_exception_fp_denorm_src 0
		.amdhsa_exception_fp_ieee_div_zero 0
		.amdhsa_exception_fp_ieee_overflow 0
		.amdhsa_exception_fp_ieee_underflow 0
		.amdhsa_exception_fp_ieee_inexact 0
		.amdhsa_exception_int_div_zero 0
	.end_amdhsa_kernel
	.section	.text._Z39paged_attention_ll4mi_QKV_mfma16_kernelI14__hip_bfloat16S0_LN4vllm18Fp8KVCacheDataTypeE0ES0_Li32ELi64ELi256ELb0ELi9EEvPKT_PKT0_S8_ifPKiSA_SA_iPKfiiiPfSD_PS3_PT2_iSC_SC_,"axG",@progbits,_Z39paged_attention_ll4mi_QKV_mfma16_kernelI14__hip_bfloat16S0_LN4vllm18Fp8KVCacheDataTypeE0ES0_Li32ELi64ELi256ELb0ELi9EEvPKT_PKT0_S8_ifPKiSA_SA_iPKfiiiPfSD_PS3_PT2_iSC_SC_,comdat
.Lfunc_end566:
	.size	_Z39paged_attention_ll4mi_QKV_mfma16_kernelI14__hip_bfloat16S0_LN4vllm18Fp8KVCacheDataTypeE0ES0_Li32ELi64ELi256ELb0ELi9EEvPKT_PKT0_S8_ifPKiSA_SA_iPKfiiiPfSD_PS3_PT2_iSC_SC_, .Lfunc_end566-_Z39paged_attention_ll4mi_QKV_mfma16_kernelI14__hip_bfloat16S0_LN4vllm18Fp8KVCacheDataTypeE0ES0_Li32ELi64ELi256ELb0ELi9EEvPKT_PKT0_S8_ifPKiSA_SA_iPKfiiiPfSD_PS3_PT2_iSC_SC_
                                        ; -- End function
	.set _Z39paged_attention_ll4mi_QKV_mfma16_kernelI14__hip_bfloat16S0_LN4vllm18Fp8KVCacheDataTypeE0ES0_Li32ELi64ELi256ELb0ELi9EEvPKT_PKT0_S8_ifPKiSA_SA_iPKfiiiPfSD_PS3_PT2_iSC_SC_.num_vgpr, max(3, .L__assert_fail.num_vgpr)
	.set _Z39paged_attention_ll4mi_QKV_mfma16_kernelI14__hip_bfloat16S0_LN4vllm18Fp8KVCacheDataTypeE0ES0_Li32ELi64ELi256ELb0ELi9EEvPKT_PKT0_S8_ifPKiSA_SA_iPKfiiiPfSD_PS3_PT2_iSC_SC_.num_agpr, max(0, .L__assert_fail.num_agpr)
	.set _Z39paged_attention_ll4mi_QKV_mfma16_kernelI14__hip_bfloat16S0_LN4vllm18Fp8KVCacheDataTypeE0ES0_Li32ELi64ELi256ELb0ELi9EEvPKT_PKT0_S8_ifPKiSA_SA_iPKfiiiPfSD_PS3_PT2_iSC_SC_.numbered_sgpr, max(33, .L__assert_fail.numbered_sgpr)
	.set _Z39paged_attention_ll4mi_QKV_mfma16_kernelI14__hip_bfloat16S0_LN4vllm18Fp8KVCacheDataTypeE0ES0_Li32ELi64ELi256ELb0ELi9EEvPKT_PKT0_S8_ifPKiSA_SA_iPKfiiiPfSD_PS3_PT2_iSC_SC_.num_named_barrier, max(0, .L__assert_fail.num_named_barrier)
	.set _Z39paged_attention_ll4mi_QKV_mfma16_kernelI14__hip_bfloat16S0_LN4vllm18Fp8KVCacheDataTypeE0ES0_Li32ELi64ELi256ELb0ELi9EEvPKT_PKT0_S8_ifPKiSA_SA_iPKfiiiPfSD_PS3_PT2_iSC_SC_.private_seg_size, 0+max(.L__assert_fail.private_seg_size)
	.set _Z39paged_attention_ll4mi_QKV_mfma16_kernelI14__hip_bfloat16S0_LN4vllm18Fp8KVCacheDataTypeE0ES0_Li32ELi64ELi256ELb0ELi9EEvPKT_PKT0_S8_ifPKiSA_SA_iPKfiiiPfSD_PS3_PT2_iSC_SC_.uses_vcc, or(1, .L__assert_fail.uses_vcc)
	.set _Z39paged_attention_ll4mi_QKV_mfma16_kernelI14__hip_bfloat16S0_LN4vllm18Fp8KVCacheDataTypeE0ES0_Li32ELi64ELi256ELb0ELi9EEvPKT_PKT0_S8_ifPKiSA_SA_iPKfiiiPfSD_PS3_PT2_iSC_SC_.uses_flat_scratch, or(0, .L__assert_fail.uses_flat_scratch)
	.set _Z39paged_attention_ll4mi_QKV_mfma16_kernelI14__hip_bfloat16S0_LN4vllm18Fp8KVCacheDataTypeE0ES0_Li32ELi64ELi256ELb0ELi9EEvPKT_PKT0_S8_ifPKiSA_SA_iPKfiiiPfSD_PS3_PT2_iSC_SC_.has_dyn_sized_stack, or(0, .L__assert_fail.has_dyn_sized_stack)
	.set _Z39paged_attention_ll4mi_QKV_mfma16_kernelI14__hip_bfloat16S0_LN4vllm18Fp8KVCacheDataTypeE0ES0_Li32ELi64ELi256ELb0ELi9EEvPKT_PKT0_S8_ifPKiSA_SA_iPKfiiiPfSD_PS3_PT2_iSC_SC_.has_recursion, or(0, .L__assert_fail.has_recursion)
	.set _Z39paged_attention_ll4mi_QKV_mfma16_kernelI14__hip_bfloat16S0_LN4vllm18Fp8KVCacheDataTypeE0ES0_Li32ELi64ELi256ELb0ELi9EEvPKT_PKT0_S8_ifPKiSA_SA_iPKfiiiPfSD_PS3_PT2_iSC_SC_.has_indirect_call, or(0, .L__assert_fail.has_indirect_call)
	.section	.AMDGPU.csdata,"",@progbits
; Kernel info:
; codeLenInByte = 68
; TotalNumSgprs: 36
; NumVgprs: 51
; ScratchSize: 64
; MemoryBound: 0
; FloatMode: 240
; IeeeMode: 1
; LDSByteSize: 0 bytes/workgroup (compile time only)
; SGPRBlocks: 0
; VGPRBlocks: 3
; NumSGPRsForWavesPerEU: 36
; NumVGPRsForWavesPerEU: 51
; NamedBarCnt: 0
; Occupancy: 16
; WaveLimiterHint : 1
; COMPUTE_PGM_RSRC2:SCRATCH_EN: 1
; COMPUTE_PGM_RSRC2:USER_SGPR: 2
; COMPUTE_PGM_RSRC2:TRAP_HANDLER: 0
; COMPUTE_PGM_RSRC2:TGID_X_EN: 1
; COMPUTE_PGM_RSRC2:TGID_Y_EN: 0
; COMPUTE_PGM_RSRC2:TGID_Z_EN: 0
; COMPUTE_PGM_RSRC2:TIDIG_COMP_CNT: 0
	.section	.text._Z39paged_attention_ll4mi_QKV_mfma16_kernelI14__hip_bfloat16S0_LN4vllm18Fp8KVCacheDataTypeE0ES0_Li32ELi64ELi256ELb0ELi10EEvPKT_PKT0_S8_ifPKiSA_SA_iPKfiiiPfSD_PS3_PT2_iSC_SC_,"axG",@progbits,_Z39paged_attention_ll4mi_QKV_mfma16_kernelI14__hip_bfloat16S0_LN4vllm18Fp8KVCacheDataTypeE0ES0_Li32ELi64ELi256ELb0ELi10EEvPKT_PKT0_S8_ifPKiSA_SA_iPKfiiiPfSD_PS3_PT2_iSC_SC_,comdat
	.protected	_Z39paged_attention_ll4mi_QKV_mfma16_kernelI14__hip_bfloat16S0_LN4vllm18Fp8KVCacheDataTypeE0ES0_Li32ELi64ELi256ELb0ELi10EEvPKT_PKT0_S8_ifPKiSA_SA_iPKfiiiPfSD_PS3_PT2_iSC_SC_ ; -- Begin function _Z39paged_attention_ll4mi_QKV_mfma16_kernelI14__hip_bfloat16S0_LN4vllm18Fp8KVCacheDataTypeE0ES0_Li32ELi64ELi256ELb0ELi10EEvPKT_PKT0_S8_ifPKiSA_SA_iPKfiiiPfSD_PS3_PT2_iSC_SC_
	.globl	_Z39paged_attention_ll4mi_QKV_mfma16_kernelI14__hip_bfloat16S0_LN4vllm18Fp8KVCacheDataTypeE0ES0_Li32ELi64ELi256ELb0ELi10EEvPKT_PKT0_S8_ifPKiSA_SA_iPKfiiiPfSD_PS3_PT2_iSC_SC_
	.p2align	8
	.type	_Z39paged_attention_ll4mi_QKV_mfma16_kernelI14__hip_bfloat16S0_LN4vllm18Fp8KVCacheDataTypeE0ES0_Li32ELi64ELi256ELb0ELi10EEvPKT_PKT0_S8_ifPKiSA_SA_iPKfiiiPfSD_PS3_PT2_iSC_SC_,@function
_Z39paged_attention_ll4mi_QKV_mfma16_kernelI14__hip_bfloat16S0_LN4vllm18Fp8KVCacheDataTypeE0ES0_Li32ELi64ELi256ELb0ELi10EEvPKT_PKT0_S8_ifPKiSA_SA_iPKfiiiPfSD_PS3_PT2_iSC_SC_: ; @_Z39paged_attention_ll4mi_QKV_mfma16_kernelI14__hip_bfloat16S0_LN4vllm18Fp8KVCacheDataTypeE0ES0_Li32ELi64ELi256ELb0ELi10EEvPKT_PKT0_S8_ifPKiSA_SA_iPKfiiiPfSD_PS3_PT2_iSC_SC_
; %bb.0:
	s_get_pc_i64 s[2:3]
	s_add_nc_u64 s[2:3], s[2:3], __PRETTY_FUNCTION__._Z39paged_attention_ll4mi_QKV_mfma16_kernelI14__hip_bfloat16S0_LN4vllm18Fp8KVCacheDataTypeE0ES0_Li32ELi64ELi256ELb0ELi10EEvPKT_PKT0_S8_ifPKiSA_SA_iPKfiiiPfSD_PS3_PT2_iSC_SC_@rel64+4
	s_delay_alu instid0(SALU_CYCLE_1)
	v_dual_mov_b32 v0, 0xbb3 :: v_dual_mov_b32 v1, s2
	v_mov_b32_e32 v2, s3
	s_add_nc_u64 s[8:9], s[0:1], 0x90
	s_get_pc_i64 s[0:1]
	s_add_nc_u64 s[0:1], s[0:1], __assert_fail@rel64+4
	s_mov_b32 s32, 0
	s_swap_pc_i64 s[30:31], s[0:1]
	.section	.rodata,"a",@progbits
	.p2align	6, 0x0
	.amdhsa_kernel _Z39paged_attention_ll4mi_QKV_mfma16_kernelI14__hip_bfloat16S0_LN4vllm18Fp8KVCacheDataTypeE0ES0_Li32ELi64ELi256ELb0ELi10EEvPKT_PKT0_S8_ifPKiSA_SA_iPKfiiiPfSD_PS3_PT2_iSC_SC_
		.amdhsa_group_segment_fixed_size 0
		.amdhsa_private_segment_fixed_size 64
		.amdhsa_kernarg_size 400
		.amdhsa_user_sgpr_count 2
		.amdhsa_user_sgpr_dispatch_ptr 0
		.amdhsa_user_sgpr_queue_ptr 0
		.amdhsa_user_sgpr_kernarg_segment_ptr 1
		.amdhsa_user_sgpr_dispatch_id 0
		.amdhsa_user_sgpr_kernarg_preload_length 0
		.amdhsa_user_sgpr_kernarg_preload_offset 0
		.amdhsa_user_sgpr_private_segment_size 0
		.amdhsa_wavefront_size32 1
		.amdhsa_uses_dynamic_stack 0
		.amdhsa_enable_private_segment 1
		.amdhsa_system_sgpr_workgroup_id_x 1
		.amdhsa_system_sgpr_workgroup_id_y 0
		.amdhsa_system_sgpr_workgroup_id_z 0
		.amdhsa_system_sgpr_workgroup_info 0
		.amdhsa_system_vgpr_workitem_id 0
		.amdhsa_next_free_vgpr 51
		.amdhsa_next_free_sgpr 34
		.amdhsa_named_barrier_count 0
		.amdhsa_reserve_vcc 1
		.amdhsa_float_round_mode_32 0
		.amdhsa_float_round_mode_16_64 0
		.amdhsa_float_denorm_mode_32 3
		.amdhsa_float_denorm_mode_16_64 3
		.amdhsa_fp16_overflow 0
		.amdhsa_memory_ordered 1
		.amdhsa_forward_progress 1
		.amdhsa_inst_pref_size 1
		.amdhsa_round_robin_scheduling 0
		.amdhsa_exception_fp_ieee_invalid_op 0
		.amdhsa_exception_fp_denorm_src 0
		.amdhsa_exception_fp_ieee_div_zero 0
		.amdhsa_exception_fp_ieee_overflow 0
		.amdhsa_exception_fp_ieee_underflow 0
		.amdhsa_exception_fp_ieee_inexact 0
		.amdhsa_exception_int_div_zero 0
	.end_amdhsa_kernel
	.section	.text._Z39paged_attention_ll4mi_QKV_mfma16_kernelI14__hip_bfloat16S0_LN4vllm18Fp8KVCacheDataTypeE0ES0_Li32ELi64ELi256ELb0ELi10EEvPKT_PKT0_S8_ifPKiSA_SA_iPKfiiiPfSD_PS3_PT2_iSC_SC_,"axG",@progbits,_Z39paged_attention_ll4mi_QKV_mfma16_kernelI14__hip_bfloat16S0_LN4vllm18Fp8KVCacheDataTypeE0ES0_Li32ELi64ELi256ELb0ELi10EEvPKT_PKT0_S8_ifPKiSA_SA_iPKfiiiPfSD_PS3_PT2_iSC_SC_,comdat
.Lfunc_end567:
	.size	_Z39paged_attention_ll4mi_QKV_mfma16_kernelI14__hip_bfloat16S0_LN4vllm18Fp8KVCacheDataTypeE0ES0_Li32ELi64ELi256ELb0ELi10EEvPKT_PKT0_S8_ifPKiSA_SA_iPKfiiiPfSD_PS3_PT2_iSC_SC_, .Lfunc_end567-_Z39paged_attention_ll4mi_QKV_mfma16_kernelI14__hip_bfloat16S0_LN4vllm18Fp8KVCacheDataTypeE0ES0_Li32ELi64ELi256ELb0ELi10EEvPKT_PKT0_S8_ifPKiSA_SA_iPKfiiiPfSD_PS3_PT2_iSC_SC_
                                        ; -- End function
	.set _Z39paged_attention_ll4mi_QKV_mfma16_kernelI14__hip_bfloat16S0_LN4vllm18Fp8KVCacheDataTypeE0ES0_Li32ELi64ELi256ELb0ELi10EEvPKT_PKT0_S8_ifPKiSA_SA_iPKfiiiPfSD_PS3_PT2_iSC_SC_.num_vgpr, max(3, .L__assert_fail.num_vgpr)
	.set _Z39paged_attention_ll4mi_QKV_mfma16_kernelI14__hip_bfloat16S0_LN4vllm18Fp8KVCacheDataTypeE0ES0_Li32ELi64ELi256ELb0ELi10EEvPKT_PKT0_S8_ifPKiSA_SA_iPKfiiiPfSD_PS3_PT2_iSC_SC_.num_agpr, max(0, .L__assert_fail.num_agpr)
	.set _Z39paged_attention_ll4mi_QKV_mfma16_kernelI14__hip_bfloat16S0_LN4vllm18Fp8KVCacheDataTypeE0ES0_Li32ELi64ELi256ELb0ELi10EEvPKT_PKT0_S8_ifPKiSA_SA_iPKfiiiPfSD_PS3_PT2_iSC_SC_.numbered_sgpr, max(33, .L__assert_fail.numbered_sgpr)
	.set _Z39paged_attention_ll4mi_QKV_mfma16_kernelI14__hip_bfloat16S0_LN4vllm18Fp8KVCacheDataTypeE0ES0_Li32ELi64ELi256ELb0ELi10EEvPKT_PKT0_S8_ifPKiSA_SA_iPKfiiiPfSD_PS3_PT2_iSC_SC_.num_named_barrier, max(0, .L__assert_fail.num_named_barrier)
	.set _Z39paged_attention_ll4mi_QKV_mfma16_kernelI14__hip_bfloat16S0_LN4vllm18Fp8KVCacheDataTypeE0ES0_Li32ELi64ELi256ELb0ELi10EEvPKT_PKT0_S8_ifPKiSA_SA_iPKfiiiPfSD_PS3_PT2_iSC_SC_.private_seg_size, 0+max(.L__assert_fail.private_seg_size)
	.set _Z39paged_attention_ll4mi_QKV_mfma16_kernelI14__hip_bfloat16S0_LN4vllm18Fp8KVCacheDataTypeE0ES0_Li32ELi64ELi256ELb0ELi10EEvPKT_PKT0_S8_ifPKiSA_SA_iPKfiiiPfSD_PS3_PT2_iSC_SC_.uses_vcc, or(1, .L__assert_fail.uses_vcc)
	.set _Z39paged_attention_ll4mi_QKV_mfma16_kernelI14__hip_bfloat16S0_LN4vllm18Fp8KVCacheDataTypeE0ES0_Li32ELi64ELi256ELb0ELi10EEvPKT_PKT0_S8_ifPKiSA_SA_iPKfiiiPfSD_PS3_PT2_iSC_SC_.uses_flat_scratch, or(0, .L__assert_fail.uses_flat_scratch)
	.set _Z39paged_attention_ll4mi_QKV_mfma16_kernelI14__hip_bfloat16S0_LN4vllm18Fp8KVCacheDataTypeE0ES0_Li32ELi64ELi256ELb0ELi10EEvPKT_PKT0_S8_ifPKiSA_SA_iPKfiiiPfSD_PS3_PT2_iSC_SC_.has_dyn_sized_stack, or(0, .L__assert_fail.has_dyn_sized_stack)
	.set _Z39paged_attention_ll4mi_QKV_mfma16_kernelI14__hip_bfloat16S0_LN4vllm18Fp8KVCacheDataTypeE0ES0_Li32ELi64ELi256ELb0ELi10EEvPKT_PKT0_S8_ifPKiSA_SA_iPKfiiiPfSD_PS3_PT2_iSC_SC_.has_recursion, or(0, .L__assert_fail.has_recursion)
	.set _Z39paged_attention_ll4mi_QKV_mfma16_kernelI14__hip_bfloat16S0_LN4vllm18Fp8KVCacheDataTypeE0ES0_Li32ELi64ELi256ELb0ELi10EEvPKT_PKT0_S8_ifPKiSA_SA_iPKfiiiPfSD_PS3_PT2_iSC_SC_.has_indirect_call, or(0, .L__assert_fail.has_indirect_call)
	.section	.AMDGPU.csdata,"",@progbits
; Kernel info:
; codeLenInByte = 68
; TotalNumSgprs: 36
; NumVgprs: 51
; ScratchSize: 64
; MemoryBound: 0
; FloatMode: 240
; IeeeMode: 1
; LDSByteSize: 0 bytes/workgroup (compile time only)
; SGPRBlocks: 0
; VGPRBlocks: 3
; NumSGPRsForWavesPerEU: 36
; NumVGPRsForWavesPerEU: 51
; NamedBarCnt: 0
; Occupancy: 16
; WaveLimiterHint : 1
; COMPUTE_PGM_RSRC2:SCRATCH_EN: 1
; COMPUTE_PGM_RSRC2:USER_SGPR: 2
; COMPUTE_PGM_RSRC2:TRAP_HANDLER: 0
; COMPUTE_PGM_RSRC2:TGID_X_EN: 1
; COMPUTE_PGM_RSRC2:TGID_Y_EN: 0
; COMPUTE_PGM_RSRC2:TGID_Z_EN: 0
; COMPUTE_PGM_RSRC2:TIDIG_COMP_CNT: 0
	.section	.text._Z39paged_attention_ll4mi_QKV_mfma16_kernelI14__hip_bfloat16S0_LN4vllm18Fp8KVCacheDataTypeE0ES0_Li32ELi64ELi256ELb0ELi11EEvPKT_PKT0_S8_ifPKiSA_SA_iPKfiiiPfSD_PS3_PT2_iSC_SC_,"axG",@progbits,_Z39paged_attention_ll4mi_QKV_mfma16_kernelI14__hip_bfloat16S0_LN4vllm18Fp8KVCacheDataTypeE0ES0_Li32ELi64ELi256ELb0ELi11EEvPKT_PKT0_S8_ifPKiSA_SA_iPKfiiiPfSD_PS3_PT2_iSC_SC_,comdat
	.protected	_Z39paged_attention_ll4mi_QKV_mfma16_kernelI14__hip_bfloat16S0_LN4vllm18Fp8KVCacheDataTypeE0ES0_Li32ELi64ELi256ELb0ELi11EEvPKT_PKT0_S8_ifPKiSA_SA_iPKfiiiPfSD_PS3_PT2_iSC_SC_ ; -- Begin function _Z39paged_attention_ll4mi_QKV_mfma16_kernelI14__hip_bfloat16S0_LN4vllm18Fp8KVCacheDataTypeE0ES0_Li32ELi64ELi256ELb0ELi11EEvPKT_PKT0_S8_ifPKiSA_SA_iPKfiiiPfSD_PS3_PT2_iSC_SC_
	.globl	_Z39paged_attention_ll4mi_QKV_mfma16_kernelI14__hip_bfloat16S0_LN4vllm18Fp8KVCacheDataTypeE0ES0_Li32ELi64ELi256ELb0ELi11EEvPKT_PKT0_S8_ifPKiSA_SA_iPKfiiiPfSD_PS3_PT2_iSC_SC_
	.p2align	8
	.type	_Z39paged_attention_ll4mi_QKV_mfma16_kernelI14__hip_bfloat16S0_LN4vllm18Fp8KVCacheDataTypeE0ES0_Li32ELi64ELi256ELb0ELi11EEvPKT_PKT0_S8_ifPKiSA_SA_iPKfiiiPfSD_PS3_PT2_iSC_SC_,@function
_Z39paged_attention_ll4mi_QKV_mfma16_kernelI14__hip_bfloat16S0_LN4vllm18Fp8KVCacheDataTypeE0ES0_Li32ELi64ELi256ELb0ELi11EEvPKT_PKT0_S8_ifPKiSA_SA_iPKfiiiPfSD_PS3_PT2_iSC_SC_: ; @_Z39paged_attention_ll4mi_QKV_mfma16_kernelI14__hip_bfloat16S0_LN4vllm18Fp8KVCacheDataTypeE0ES0_Li32ELi64ELi256ELb0ELi11EEvPKT_PKT0_S8_ifPKiSA_SA_iPKfiiiPfSD_PS3_PT2_iSC_SC_
; %bb.0:
	s_get_pc_i64 s[2:3]
	s_add_nc_u64 s[2:3], s[2:3], __PRETTY_FUNCTION__._Z39paged_attention_ll4mi_QKV_mfma16_kernelI14__hip_bfloat16S0_LN4vllm18Fp8KVCacheDataTypeE0ES0_Li32ELi64ELi256ELb0ELi11EEvPKT_PKT0_S8_ifPKiSA_SA_iPKfiiiPfSD_PS3_PT2_iSC_SC_@rel64+4
	s_delay_alu instid0(SALU_CYCLE_1)
	v_dual_mov_b32 v0, 0xbb3 :: v_dual_mov_b32 v1, s2
	v_mov_b32_e32 v2, s3
	s_add_nc_u64 s[8:9], s[0:1], 0x90
	s_get_pc_i64 s[0:1]
	s_add_nc_u64 s[0:1], s[0:1], __assert_fail@rel64+4
	s_mov_b32 s32, 0
	s_swap_pc_i64 s[30:31], s[0:1]
	.section	.rodata,"a",@progbits
	.p2align	6, 0x0
	.amdhsa_kernel _Z39paged_attention_ll4mi_QKV_mfma16_kernelI14__hip_bfloat16S0_LN4vllm18Fp8KVCacheDataTypeE0ES0_Li32ELi64ELi256ELb0ELi11EEvPKT_PKT0_S8_ifPKiSA_SA_iPKfiiiPfSD_PS3_PT2_iSC_SC_
		.amdhsa_group_segment_fixed_size 0
		.amdhsa_private_segment_fixed_size 64
		.amdhsa_kernarg_size 400
		.amdhsa_user_sgpr_count 2
		.amdhsa_user_sgpr_dispatch_ptr 0
		.amdhsa_user_sgpr_queue_ptr 0
		.amdhsa_user_sgpr_kernarg_segment_ptr 1
		.amdhsa_user_sgpr_dispatch_id 0
		.amdhsa_user_sgpr_kernarg_preload_length 0
		.amdhsa_user_sgpr_kernarg_preload_offset 0
		.amdhsa_user_sgpr_private_segment_size 0
		.amdhsa_wavefront_size32 1
		.amdhsa_uses_dynamic_stack 0
		.amdhsa_enable_private_segment 1
		.amdhsa_system_sgpr_workgroup_id_x 1
		.amdhsa_system_sgpr_workgroup_id_y 0
		.amdhsa_system_sgpr_workgroup_id_z 0
		.amdhsa_system_sgpr_workgroup_info 0
		.amdhsa_system_vgpr_workitem_id 0
		.amdhsa_next_free_vgpr 51
		.amdhsa_next_free_sgpr 34
		.amdhsa_named_barrier_count 0
		.amdhsa_reserve_vcc 1
		.amdhsa_float_round_mode_32 0
		.amdhsa_float_round_mode_16_64 0
		.amdhsa_float_denorm_mode_32 3
		.amdhsa_float_denorm_mode_16_64 3
		.amdhsa_fp16_overflow 0
		.amdhsa_memory_ordered 1
		.amdhsa_forward_progress 1
		.amdhsa_inst_pref_size 1
		.amdhsa_round_robin_scheduling 0
		.amdhsa_exception_fp_ieee_invalid_op 0
		.amdhsa_exception_fp_denorm_src 0
		.amdhsa_exception_fp_ieee_div_zero 0
		.amdhsa_exception_fp_ieee_overflow 0
		.amdhsa_exception_fp_ieee_underflow 0
		.amdhsa_exception_fp_ieee_inexact 0
		.amdhsa_exception_int_div_zero 0
	.end_amdhsa_kernel
	.section	.text._Z39paged_attention_ll4mi_QKV_mfma16_kernelI14__hip_bfloat16S0_LN4vllm18Fp8KVCacheDataTypeE0ES0_Li32ELi64ELi256ELb0ELi11EEvPKT_PKT0_S8_ifPKiSA_SA_iPKfiiiPfSD_PS3_PT2_iSC_SC_,"axG",@progbits,_Z39paged_attention_ll4mi_QKV_mfma16_kernelI14__hip_bfloat16S0_LN4vllm18Fp8KVCacheDataTypeE0ES0_Li32ELi64ELi256ELb0ELi11EEvPKT_PKT0_S8_ifPKiSA_SA_iPKfiiiPfSD_PS3_PT2_iSC_SC_,comdat
.Lfunc_end568:
	.size	_Z39paged_attention_ll4mi_QKV_mfma16_kernelI14__hip_bfloat16S0_LN4vllm18Fp8KVCacheDataTypeE0ES0_Li32ELi64ELi256ELb0ELi11EEvPKT_PKT0_S8_ifPKiSA_SA_iPKfiiiPfSD_PS3_PT2_iSC_SC_, .Lfunc_end568-_Z39paged_attention_ll4mi_QKV_mfma16_kernelI14__hip_bfloat16S0_LN4vllm18Fp8KVCacheDataTypeE0ES0_Li32ELi64ELi256ELb0ELi11EEvPKT_PKT0_S8_ifPKiSA_SA_iPKfiiiPfSD_PS3_PT2_iSC_SC_
                                        ; -- End function
	.set _Z39paged_attention_ll4mi_QKV_mfma16_kernelI14__hip_bfloat16S0_LN4vllm18Fp8KVCacheDataTypeE0ES0_Li32ELi64ELi256ELb0ELi11EEvPKT_PKT0_S8_ifPKiSA_SA_iPKfiiiPfSD_PS3_PT2_iSC_SC_.num_vgpr, max(3, .L__assert_fail.num_vgpr)
	.set _Z39paged_attention_ll4mi_QKV_mfma16_kernelI14__hip_bfloat16S0_LN4vllm18Fp8KVCacheDataTypeE0ES0_Li32ELi64ELi256ELb0ELi11EEvPKT_PKT0_S8_ifPKiSA_SA_iPKfiiiPfSD_PS3_PT2_iSC_SC_.num_agpr, max(0, .L__assert_fail.num_agpr)
	.set _Z39paged_attention_ll4mi_QKV_mfma16_kernelI14__hip_bfloat16S0_LN4vllm18Fp8KVCacheDataTypeE0ES0_Li32ELi64ELi256ELb0ELi11EEvPKT_PKT0_S8_ifPKiSA_SA_iPKfiiiPfSD_PS3_PT2_iSC_SC_.numbered_sgpr, max(33, .L__assert_fail.numbered_sgpr)
	.set _Z39paged_attention_ll4mi_QKV_mfma16_kernelI14__hip_bfloat16S0_LN4vllm18Fp8KVCacheDataTypeE0ES0_Li32ELi64ELi256ELb0ELi11EEvPKT_PKT0_S8_ifPKiSA_SA_iPKfiiiPfSD_PS3_PT2_iSC_SC_.num_named_barrier, max(0, .L__assert_fail.num_named_barrier)
	.set _Z39paged_attention_ll4mi_QKV_mfma16_kernelI14__hip_bfloat16S0_LN4vllm18Fp8KVCacheDataTypeE0ES0_Li32ELi64ELi256ELb0ELi11EEvPKT_PKT0_S8_ifPKiSA_SA_iPKfiiiPfSD_PS3_PT2_iSC_SC_.private_seg_size, 0+max(.L__assert_fail.private_seg_size)
	.set _Z39paged_attention_ll4mi_QKV_mfma16_kernelI14__hip_bfloat16S0_LN4vllm18Fp8KVCacheDataTypeE0ES0_Li32ELi64ELi256ELb0ELi11EEvPKT_PKT0_S8_ifPKiSA_SA_iPKfiiiPfSD_PS3_PT2_iSC_SC_.uses_vcc, or(1, .L__assert_fail.uses_vcc)
	.set _Z39paged_attention_ll4mi_QKV_mfma16_kernelI14__hip_bfloat16S0_LN4vllm18Fp8KVCacheDataTypeE0ES0_Li32ELi64ELi256ELb0ELi11EEvPKT_PKT0_S8_ifPKiSA_SA_iPKfiiiPfSD_PS3_PT2_iSC_SC_.uses_flat_scratch, or(0, .L__assert_fail.uses_flat_scratch)
	.set _Z39paged_attention_ll4mi_QKV_mfma16_kernelI14__hip_bfloat16S0_LN4vllm18Fp8KVCacheDataTypeE0ES0_Li32ELi64ELi256ELb0ELi11EEvPKT_PKT0_S8_ifPKiSA_SA_iPKfiiiPfSD_PS3_PT2_iSC_SC_.has_dyn_sized_stack, or(0, .L__assert_fail.has_dyn_sized_stack)
	.set _Z39paged_attention_ll4mi_QKV_mfma16_kernelI14__hip_bfloat16S0_LN4vllm18Fp8KVCacheDataTypeE0ES0_Li32ELi64ELi256ELb0ELi11EEvPKT_PKT0_S8_ifPKiSA_SA_iPKfiiiPfSD_PS3_PT2_iSC_SC_.has_recursion, or(0, .L__assert_fail.has_recursion)
	.set _Z39paged_attention_ll4mi_QKV_mfma16_kernelI14__hip_bfloat16S0_LN4vllm18Fp8KVCacheDataTypeE0ES0_Li32ELi64ELi256ELb0ELi11EEvPKT_PKT0_S8_ifPKiSA_SA_iPKfiiiPfSD_PS3_PT2_iSC_SC_.has_indirect_call, or(0, .L__assert_fail.has_indirect_call)
	.section	.AMDGPU.csdata,"",@progbits
; Kernel info:
; codeLenInByte = 68
; TotalNumSgprs: 36
; NumVgprs: 51
; ScratchSize: 64
; MemoryBound: 0
; FloatMode: 240
; IeeeMode: 1
; LDSByteSize: 0 bytes/workgroup (compile time only)
; SGPRBlocks: 0
; VGPRBlocks: 3
; NumSGPRsForWavesPerEU: 36
; NumVGPRsForWavesPerEU: 51
; NamedBarCnt: 0
; Occupancy: 16
; WaveLimiterHint : 1
; COMPUTE_PGM_RSRC2:SCRATCH_EN: 1
; COMPUTE_PGM_RSRC2:USER_SGPR: 2
; COMPUTE_PGM_RSRC2:TRAP_HANDLER: 0
; COMPUTE_PGM_RSRC2:TGID_X_EN: 1
; COMPUTE_PGM_RSRC2:TGID_Y_EN: 0
; COMPUTE_PGM_RSRC2:TGID_Z_EN: 0
; COMPUTE_PGM_RSRC2:TIDIG_COMP_CNT: 0
	.section	.text._Z39paged_attention_ll4mi_QKV_mfma16_kernelI14__hip_bfloat16S0_LN4vllm18Fp8KVCacheDataTypeE0ES0_Li32ELi64ELi256ELb0ELi12EEvPKT_PKT0_S8_ifPKiSA_SA_iPKfiiiPfSD_PS3_PT2_iSC_SC_,"axG",@progbits,_Z39paged_attention_ll4mi_QKV_mfma16_kernelI14__hip_bfloat16S0_LN4vllm18Fp8KVCacheDataTypeE0ES0_Li32ELi64ELi256ELb0ELi12EEvPKT_PKT0_S8_ifPKiSA_SA_iPKfiiiPfSD_PS3_PT2_iSC_SC_,comdat
	.protected	_Z39paged_attention_ll4mi_QKV_mfma16_kernelI14__hip_bfloat16S0_LN4vllm18Fp8KVCacheDataTypeE0ES0_Li32ELi64ELi256ELb0ELi12EEvPKT_PKT0_S8_ifPKiSA_SA_iPKfiiiPfSD_PS3_PT2_iSC_SC_ ; -- Begin function _Z39paged_attention_ll4mi_QKV_mfma16_kernelI14__hip_bfloat16S0_LN4vllm18Fp8KVCacheDataTypeE0ES0_Li32ELi64ELi256ELb0ELi12EEvPKT_PKT0_S8_ifPKiSA_SA_iPKfiiiPfSD_PS3_PT2_iSC_SC_
	.globl	_Z39paged_attention_ll4mi_QKV_mfma16_kernelI14__hip_bfloat16S0_LN4vllm18Fp8KVCacheDataTypeE0ES0_Li32ELi64ELi256ELb0ELi12EEvPKT_PKT0_S8_ifPKiSA_SA_iPKfiiiPfSD_PS3_PT2_iSC_SC_
	.p2align	8
	.type	_Z39paged_attention_ll4mi_QKV_mfma16_kernelI14__hip_bfloat16S0_LN4vllm18Fp8KVCacheDataTypeE0ES0_Li32ELi64ELi256ELb0ELi12EEvPKT_PKT0_S8_ifPKiSA_SA_iPKfiiiPfSD_PS3_PT2_iSC_SC_,@function
_Z39paged_attention_ll4mi_QKV_mfma16_kernelI14__hip_bfloat16S0_LN4vllm18Fp8KVCacheDataTypeE0ES0_Li32ELi64ELi256ELb0ELi12EEvPKT_PKT0_S8_ifPKiSA_SA_iPKfiiiPfSD_PS3_PT2_iSC_SC_: ; @_Z39paged_attention_ll4mi_QKV_mfma16_kernelI14__hip_bfloat16S0_LN4vllm18Fp8KVCacheDataTypeE0ES0_Li32ELi64ELi256ELb0ELi12EEvPKT_PKT0_S8_ifPKiSA_SA_iPKfiiiPfSD_PS3_PT2_iSC_SC_
; %bb.0:
	s_get_pc_i64 s[2:3]
	s_add_nc_u64 s[2:3], s[2:3], __PRETTY_FUNCTION__._Z39paged_attention_ll4mi_QKV_mfma16_kernelI14__hip_bfloat16S0_LN4vllm18Fp8KVCacheDataTypeE0ES0_Li32ELi64ELi256ELb0ELi12EEvPKT_PKT0_S8_ifPKiSA_SA_iPKfiiiPfSD_PS3_PT2_iSC_SC_@rel64+4
	s_delay_alu instid0(SALU_CYCLE_1)
	v_dual_mov_b32 v0, 0xbb3 :: v_dual_mov_b32 v1, s2
	v_mov_b32_e32 v2, s3
	s_add_nc_u64 s[8:9], s[0:1], 0x90
	s_get_pc_i64 s[0:1]
	s_add_nc_u64 s[0:1], s[0:1], __assert_fail@rel64+4
	s_mov_b32 s32, 0
	s_swap_pc_i64 s[30:31], s[0:1]
	.section	.rodata,"a",@progbits
	.p2align	6, 0x0
	.amdhsa_kernel _Z39paged_attention_ll4mi_QKV_mfma16_kernelI14__hip_bfloat16S0_LN4vllm18Fp8KVCacheDataTypeE0ES0_Li32ELi64ELi256ELb0ELi12EEvPKT_PKT0_S8_ifPKiSA_SA_iPKfiiiPfSD_PS3_PT2_iSC_SC_
		.amdhsa_group_segment_fixed_size 0
		.amdhsa_private_segment_fixed_size 64
		.amdhsa_kernarg_size 400
		.amdhsa_user_sgpr_count 2
		.amdhsa_user_sgpr_dispatch_ptr 0
		.amdhsa_user_sgpr_queue_ptr 0
		.amdhsa_user_sgpr_kernarg_segment_ptr 1
		.amdhsa_user_sgpr_dispatch_id 0
		.amdhsa_user_sgpr_kernarg_preload_length 0
		.amdhsa_user_sgpr_kernarg_preload_offset 0
		.amdhsa_user_sgpr_private_segment_size 0
		.amdhsa_wavefront_size32 1
		.amdhsa_uses_dynamic_stack 0
		.amdhsa_enable_private_segment 1
		.amdhsa_system_sgpr_workgroup_id_x 1
		.amdhsa_system_sgpr_workgroup_id_y 0
		.amdhsa_system_sgpr_workgroup_id_z 0
		.amdhsa_system_sgpr_workgroup_info 0
		.amdhsa_system_vgpr_workitem_id 0
		.amdhsa_next_free_vgpr 51
		.amdhsa_next_free_sgpr 34
		.amdhsa_named_barrier_count 0
		.amdhsa_reserve_vcc 1
		.amdhsa_float_round_mode_32 0
		.amdhsa_float_round_mode_16_64 0
		.amdhsa_float_denorm_mode_32 3
		.amdhsa_float_denorm_mode_16_64 3
		.amdhsa_fp16_overflow 0
		.amdhsa_memory_ordered 1
		.amdhsa_forward_progress 1
		.amdhsa_inst_pref_size 1
		.amdhsa_round_robin_scheduling 0
		.amdhsa_exception_fp_ieee_invalid_op 0
		.amdhsa_exception_fp_denorm_src 0
		.amdhsa_exception_fp_ieee_div_zero 0
		.amdhsa_exception_fp_ieee_overflow 0
		.amdhsa_exception_fp_ieee_underflow 0
		.amdhsa_exception_fp_ieee_inexact 0
		.amdhsa_exception_int_div_zero 0
	.end_amdhsa_kernel
	.section	.text._Z39paged_attention_ll4mi_QKV_mfma16_kernelI14__hip_bfloat16S0_LN4vllm18Fp8KVCacheDataTypeE0ES0_Li32ELi64ELi256ELb0ELi12EEvPKT_PKT0_S8_ifPKiSA_SA_iPKfiiiPfSD_PS3_PT2_iSC_SC_,"axG",@progbits,_Z39paged_attention_ll4mi_QKV_mfma16_kernelI14__hip_bfloat16S0_LN4vllm18Fp8KVCacheDataTypeE0ES0_Li32ELi64ELi256ELb0ELi12EEvPKT_PKT0_S8_ifPKiSA_SA_iPKfiiiPfSD_PS3_PT2_iSC_SC_,comdat
.Lfunc_end569:
	.size	_Z39paged_attention_ll4mi_QKV_mfma16_kernelI14__hip_bfloat16S0_LN4vllm18Fp8KVCacheDataTypeE0ES0_Li32ELi64ELi256ELb0ELi12EEvPKT_PKT0_S8_ifPKiSA_SA_iPKfiiiPfSD_PS3_PT2_iSC_SC_, .Lfunc_end569-_Z39paged_attention_ll4mi_QKV_mfma16_kernelI14__hip_bfloat16S0_LN4vllm18Fp8KVCacheDataTypeE0ES0_Li32ELi64ELi256ELb0ELi12EEvPKT_PKT0_S8_ifPKiSA_SA_iPKfiiiPfSD_PS3_PT2_iSC_SC_
                                        ; -- End function
	.set _Z39paged_attention_ll4mi_QKV_mfma16_kernelI14__hip_bfloat16S0_LN4vllm18Fp8KVCacheDataTypeE0ES0_Li32ELi64ELi256ELb0ELi12EEvPKT_PKT0_S8_ifPKiSA_SA_iPKfiiiPfSD_PS3_PT2_iSC_SC_.num_vgpr, max(3, .L__assert_fail.num_vgpr)
	.set _Z39paged_attention_ll4mi_QKV_mfma16_kernelI14__hip_bfloat16S0_LN4vllm18Fp8KVCacheDataTypeE0ES0_Li32ELi64ELi256ELb0ELi12EEvPKT_PKT0_S8_ifPKiSA_SA_iPKfiiiPfSD_PS3_PT2_iSC_SC_.num_agpr, max(0, .L__assert_fail.num_agpr)
	.set _Z39paged_attention_ll4mi_QKV_mfma16_kernelI14__hip_bfloat16S0_LN4vllm18Fp8KVCacheDataTypeE0ES0_Li32ELi64ELi256ELb0ELi12EEvPKT_PKT0_S8_ifPKiSA_SA_iPKfiiiPfSD_PS3_PT2_iSC_SC_.numbered_sgpr, max(33, .L__assert_fail.numbered_sgpr)
	.set _Z39paged_attention_ll4mi_QKV_mfma16_kernelI14__hip_bfloat16S0_LN4vllm18Fp8KVCacheDataTypeE0ES0_Li32ELi64ELi256ELb0ELi12EEvPKT_PKT0_S8_ifPKiSA_SA_iPKfiiiPfSD_PS3_PT2_iSC_SC_.num_named_barrier, max(0, .L__assert_fail.num_named_barrier)
	.set _Z39paged_attention_ll4mi_QKV_mfma16_kernelI14__hip_bfloat16S0_LN4vllm18Fp8KVCacheDataTypeE0ES0_Li32ELi64ELi256ELb0ELi12EEvPKT_PKT0_S8_ifPKiSA_SA_iPKfiiiPfSD_PS3_PT2_iSC_SC_.private_seg_size, 0+max(.L__assert_fail.private_seg_size)
	.set _Z39paged_attention_ll4mi_QKV_mfma16_kernelI14__hip_bfloat16S0_LN4vllm18Fp8KVCacheDataTypeE0ES0_Li32ELi64ELi256ELb0ELi12EEvPKT_PKT0_S8_ifPKiSA_SA_iPKfiiiPfSD_PS3_PT2_iSC_SC_.uses_vcc, or(1, .L__assert_fail.uses_vcc)
	.set _Z39paged_attention_ll4mi_QKV_mfma16_kernelI14__hip_bfloat16S0_LN4vllm18Fp8KVCacheDataTypeE0ES0_Li32ELi64ELi256ELb0ELi12EEvPKT_PKT0_S8_ifPKiSA_SA_iPKfiiiPfSD_PS3_PT2_iSC_SC_.uses_flat_scratch, or(0, .L__assert_fail.uses_flat_scratch)
	.set _Z39paged_attention_ll4mi_QKV_mfma16_kernelI14__hip_bfloat16S0_LN4vllm18Fp8KVCacheDataTypeE0ES0_Li32ELi64ELi256ELb0ELi12EEvPKT_PKT0_S8_ifPKiSA_SA_iPKfiiiPfSD_PS3_PT2_iSC_SC_.has_dyn_sized_stack, or(0, .L__assert_fail.has_dyn_sized_stack)
	.set _Z39paged_attention_ll4mi_QKV_mfma16_kernelI14__hip_bfloat16S0_LN4vllm18Fp8KVCacheDataTypeE0ES0_Li32ELi64ELi256ELb0ELi12EEvPKT_PKT0_S8_ifPKiSA_SA_iPKfiiiPfSD_PS3_PT2_iSC_SC_.has_recursion, or(0, .L__assert_fail.has_recursion)
	.set _Z39paged_attention_ll4mi_QKV_mfma16_kernelI14__hip_bfloat16S0_LN4vllm18Fp8KVCacheDataTypeE0ES0_Li32ELi64ELi256ELb0ELi12EEvPKT_PKT0_S8_ifPKiSA_SA_iPKfiiiPfSD_PS3_PT2_iSC_SC_.has_indirect_call, or(0, .L__assert_fail.has_indirect_call)
	.section	.AMDGPU.csdata,"",@progbits
; Kernel info:
; codeLenInByte = 68
; TotalNumSgprs: 36
; NumVgprs: 51
; ScratchSize: 64
; MemoryBound: 0
; FloatMode: 240
; IeeeMode: 1
; LDSByteSize: 0 bytes/workgroup (compile time only)
; SGPRBlocks: 0
; VGPRBlocks: 3
; NumSGPRsForWavesPerEU: 36
; NumVGPRsForWavesPerEU: 51
; NamedBarCnt: 0
; Occupancy: 16
; WaveLimiterHint : 1
; COMPUTE_PGM_RSRC2:SCRATCH_EN: 1
; COMPUTE_PGM_RSRC2:USER_SGPR: 2
; COMPUTE_PGM_RSRC2:TRAP_HANDLER: 0
; COMPUTE_PGM_RSRC2:TGID_X_EN: 1
; COMPUTE_PGM_RSRC2:TGID_Y_EN: 0
; COMPUTE_PGM_RSRC2:TGID_Z_EN: 0
; COMPUTE_PGM_RSRC2:TIDIG_COMP_CNT: 0
	.section	.text._Z39paged_attention_ll4mi_QKV_mfma16_kernelI14__hip_bfloat16S0_LN4vllm18Fp8KVCacheDataTypeE0ES0_Li32ELi64ELi256ELb0ELi13EEvPKT_PKT0_S8_ifPKiSA_SA_iPKfiiiPfSD_PS3_PT2_iSC_SC_,"axG",@progbits,_Z39paged_attention_ll4mi_QKV_mfma16_kernelI14__hip_bfloat16S0_LN4vllm18Fp8KVCacheDataTypeE0ES0_Li32ELi64ELi256ELb0ELi13EEvPKT_PKT0_S8_ifPKiSA_SA_iPKfiiiPfSD_PS3_PT2_iSC_SC_,comdat
	.protected	_Z39paged_attention_ll4mi_QKV_mfma16_kernelI14__hip_bfloat16S0_LN4vllm18Fp8KVCacheDataTypeE0ES0_Li32ELi64ELi256ELb0ELi13EEvPKT_PKT0_S8_ifPKiSA_SA_iPKfiiiPfSD_PS3_PT2_iSC_SC_ ; -- Begin function _Z39paged_attention_ll4mi_QKV_mfma16_kernelI14__hip_bfloat16S0_LN4vllm18Fp8KVCacheDataTypeE0ES0_Li32ELi64ELi256ELb0ELi13EEvPKT_PKT0_S8_ifPKiSA_SA_iPKfiiiPfSD_PS3_PT2_iSC_SC_
	.globl	_Z39paged_attention_ll4mi_QKV_mfma16_kernelI14__hip_bfloat16S0_LN4vllm18Fp8KVCacheDataTypeE0ES0_Li32ELi64ELi256ELb0ELi13EEvPKT_PKT0_S8_ifPKiSA_SA_iPKfiiiPfSD_PS3_PT2_iSC_SC_
	.p2align	8
	.type	_Z39paged_attention_ll4mi_QKV_mfma16_kernelI14__hip_bfloat16S0_LN4vllm18Fp8KVCacheDataTypeE0ES0_Li32ELi64ELi256ELb0ELi13EEvPKT_PKT0_S8_ifPKiSA_SA_iPKfiiiPfSD_PS3_PT2_iSC_SC_,@function
_Z39paged_attention_ll4mi_QKV_mfma16_kernelI14__hip_bfloat16S0_LN4vllm18Fp8KVCacheDataTypeE0ES0_Li32ELi64ELi256ELb0ELi13EEvPKT_PKT0_S8_ifPKiSA_SA_iPKfiiiPfSD_PS3_PT2_iSC_SC_: ; @_Z39paged_attention_ll4mi_QKV_mfma16_kernelI14__hip_bfloat16S0_LN4vllm18Fp8KVCacheDataTypeE0ES0_Li32ELi64ELi256ELb0ELi13EEvPKT_PKT0_S8_ifPKiSA_SA_iPKfiiiPfSD_PS3_PT2_iSC_SC_
; %bb.0:
	s_get_pc_i64 s[2:3]
	s_add_nc_u64 s[2:3], s[2:3], __PRETTY_FUNCTION__._Z39paged_attention_ll4mi_QKV_mfma16_kernelI14__hip_bfloat16S0_LN4vllm18Fp8KVCacheDataTypeE0ES0_Li32ELi64ELi256ELb0ELi13EEvPKT_PKT0_S8_ifPKiSA_SA_iPKfiiiPfSD_PS3_PT2_iSC_SC_@rel64+4
	s_delay_alu instid0(SALU_CYCLE_1)
	v_dual_mov_b32 v0, 0xbb3 :: v_dual_mov_b32 v1, s2
	v_mov_b32_e32 v2, s3
	s_add_nc_u64 s[8:9], s[0:1], 0x90
	s_get_pc_i64 s[0:1]
	s_add_nc_u64 s[0:1], s[0:1], __assert_fail@rel64+4
	s_mov_b32 s32, 0
	s_swap_pc_i64 s[30:31], s[0:1]
	.section	.rodata,"a",@progbits
	.p2align	6, 0x0
	.amdhsa_kernel _Z39paged_attention_ll4mi_QKV_mfma16_kernelI14__hip_bfloat16S0_LN4vllm18Fp8KVCacheDataTypeE0ES0_Li32ELi64ELi256ELb0ELi13EEvPKT_PKT0_S8_ifPKiSA_SA_iPKfiiiPfSD_PS3_PT2_iSC_SC_
		.amdhsa_group_segment_fixed_size 0
		.amdhsa_private_segment_fixed_size 64
		.amdhsa_kernarg_size 400
		.amdhsa_user_sgpr_count 2
		.amdhsa_user_sgpr_dispatch_ptr 0
		.amdhsa_user_sgpr_queue_ptr 0
		.amdhsa_user_sgpr_kernarg_segment_ptr 1
		.amdhsa_user_sgpr_dispatch_id 0
		.amdhsa_user_sgpr_kernarg_preload_length 0
		.amdhsa_user_sgpr_kernarg_preload_offset 0
		.amdhsa_user_sgpr_private_segment_size 0
		.amdhsa_wavefront_size32 1
		.amdhsa_uses_dynamic_stack 0
		.amdhsa_enable_private_segment 1
		.amdhsa_system_sgpr_workgroup_id_x 1
		.amdhsa_system_sgpr_workgroup_id_y 0
		.amdhsa_system_sgpr_workgroup_id_z 0
		.amdhsa_system_sgpr_workgroup_info 0
		.amdhsa_system_vgpr_workitem_id 0
		.amdhsa_next_free_vgpr 51
		.amdhsa_next_free_sgpr 34
		.amdhsa_named_barrier_count 0
		.amdhsa_reserve_vcc 1
		.amdhsa_float_round_mode_32 0
		.amdhsa_float_round_mode_16_64 0
		.amdhsa_float_denorm_mode_32 3
		.amdhsa_float_denorm_mode_16_64 3
		.amdhsa_fp16_overflow 0
		.amdhsa_memory_ordered 1
		.amdhsa_forward_progress 1
		.amdhsa_inst_pref_size 1
		.amdhsa_round_robin_scheduling 0
		.amdhsa_exception_fp_ieee_invalid_op 0
		.amdhsa_exception_fp_denorm_src 0
		.amdhsa_exception_fp_ieee_div_zero 0
		.amdhsa_exception_fp_ieee_overflow 0
		.amdhsa_exception_fp_ieee_underflow 0
		.amdhsa_exception_fp_ieee_inexact 0
		.amdhsa_exception_int_div_zero 0
	.end_amdhsa_kernel
	.section	.text._Z39paged_attention_ll4mi_QKV_mfma16_kernelI14__hip_bfloat16S0_LN4vllm18Fp8KVCacheDataTypeE0ES0_Li32ELi64ELi256ELb0ELi13EEvPKT_PKT0_S8_ifPKiSA_SA_iPKfiiiPfSD_PS3_PT2_iSC_SC_,"axG",@progbits,_Z39paged_attention_ll4mi_QKV_mfma16_kernelI14__hip_bfloat16S0_LN4vllm18Fp8KVCacheDataTypeE0ES0_Li32ELi64ELi256ELb0ELi13EEvPKT_PKT0_S8_ifPKiSA_SA_iPKfiiiPfSD_PS3_PT2_iSC_SC_,comdat
.Lfunc_end570:
	.size	_Z39paged_attention_ll4mi_QKV_mfma16_kernelI14__hip_bfloat16S0_LN4vllm18Fp8KVCacheDataTypeE0ES0_Li32ELi64ELi256ELb0ELi13EEvPKT_PKT0_S8_ifPKiSA_SA_iPKfiiiPfSD_PS3_PT2_iSC_SC_, .Lfunc_end570-_Z39paged_attention_ll4mi_QKV_mfma16_kernelI14__hip_bfloat16S0_LN4vllm18Fp8KVCacheDataTypeE0ES0_Li32ELi64ELi256ELb0ELi13EEvPKT_PKT0_S8_ifPKiSA_SA_iPKfiiiPfSD_PS3_PT2_iSC_SC_
                                        ; -- End function
	.set _Z39paged_attention_ll4mi_QKV_mfma16_kernelI14__hip_bfloat16S0_LN4vllm18Fp8KVCacheDataTypeE0ES0_Li32ELi64ELi256ELb0ELi13EEvPKT_PKT0_S8_ifPKiSA_SA_iPKfiiiPfSD_PS3_PT2_iSC_SC_.num_vgpr, max(3, .L__assert_fail.num_vgpr)
	.set _Z39paged_attention_ll4mi_QKV_mfma16_kernelI14__hip_bfloat16S0_LN4vllm18Fp8KVCacheDataTypeE0ES0_Li32ELi64ELi256ELb0ELi13EEvPKT_PKT0_S8_ifPKiSA_SA_iPKfiiiPfSD_PS3_PT2_iSC_SC_.num_agpr, max(0, .L__assert_fail.num_agpr)
	.set _Z39paged_attention_ll4mi_QKV_mfma16_kernelI14__hip_bfloat16S0_LN4vllm18Fp8KVCacheDataTypeE0ES0_Li32ELi64ELi256ELb0ELi13EEvPKT_PKT0_S8_ifPKiSA_SA_iPKfiiiPfSD_PS3_PT2_iSC_SC_.numbered_sgpr, max(33, .L__assert_fail.numbered_sgpr)
	.set _Z39paged_attention_ll4mi_QKV_mfma16_kernelI14__hip_bfloat16S0_LN4vllm18Fp8KVCacheDataTypeE0ES0_Li32ELi64ELi256ELb0ELi13EEvPKT_PKT0_S8_ifPKiSA_SA_iPKfiiiPfSD_PS3_PT2_iSC_SC_.num_named_barrier, max(0, .L__assert_fail.num_named_barrier)
	.set _Z39paged_attention_ll4mi_QKV_mfma16_kernelI14__hip_bfloat16S0_LN4vllm18Fp8KVCacheDataTypeE0ES0_Li32ELi64ELi256ELb0ELi13EEvPKT_PKT0_S8_ifPKiSA_SA_iPKfiiiPfSD_PS3_PT2_iSC_SC_.private_seg_size, 0+max(.L__assert_fail.private_seg_size)
	.set _Z39paged_attention_ll4mi_QKV_mfma16_kernelI14__hip_bfloat16S0_LN4vllm18Fp8KVCacheDataTypeE0ES0_Li32ELi64ELi256ELb0ELi13EEvPKT_PKT0_S8_ifPKiSA_SA_iPKfiiiPfSD_PS3_PT2_iSC_SC_.uses_vcc, or(1, .L__assert_fail.uses_vcc)
	.set _Z39paged_attention_ll4mi_QKV_mfma16_kernelI14__hip_bfloat16S0_LN4vllm18Fp8KVCacheDataTypeE0ES0_Li32ELi64ELi256ELb0ELi13EEvPKT_PKT0_S8_ifPKiSA_SA_iPKfiiiPfSD_PS3_PT2_iSC_SC_.uses_flat_scratch, or(0, .L__assert_fail.uses_flat_scratch)
	.set _Z39paged_attention_ll4mi_QKV_mfma16_kernelI14__hip_bfloat16S0_LN4vllm18Fp8KVCacheDataTypeE0ES0_Li32ELi64ELi256ELb0ELi13EEvPKT_PKT0_S8_ifPKiSA_SA_iPKfiiiPfSD_PS3_PT2_iSC_SC_.has_dyn_sized_stack, or(0, .L__assert_fail.has_dyn_sized_stack)
	.set _Z39paged_attention_ll4mi_QKV_mfma16_kernelI14__hip_bfloat16S0_LN4vllm18Fp8KVCacheDataTypeE0ES0_Li32ELi64ELi256ELb0ELi13EEvPKT_PKT0_S8_ifPKiSA_SA_iPKfiiiPfSD_PS3_PT2_iSC_SC_.has_recursion, or(0, .L__assert_fail.has_recursion)
	.set _Z39paged_attention_ll4mi_QKV_mfma16_kernelI14__hip_bfloat16S0_LN4vllm18Fp8KVCacheDataTypeE0ES0_Li32ELi64ELi256ELb0ELi13EEvPKT_PKT0_S8_ifPKiSA_SA_iPKfiiiPfSD_PS3_PT2_iSC_SC_.has_indirect_call, or(0, .L__assert_fail.has_indirect_call)
	.section	.AMDGPU.csdata,"",@progbits
; Kernel info:
; codeLenInByte = 68
; TotalNumSgprs: 36
; NumVgprs: 51
; ScratchSize: 64
; MemoryBound: 0
; FloatMode: 240
; IeeeMode: 1
; LDSByteSize: 0 bytes/workgroup (compile time only)
; SGPRBlocks: 0
; VGPRBlocks: 3
; NumSGPRsForWavesPerEU: 36
; NumVGPRsForWavesPerEU: 51
; NamedBarCnt: 0
; Occupancy: 16
; WaveLimiterHint : 1
; COMPUTE_PGM_RSRC2:SCRATCH_EN: 1
; COMPUTE_PGM_RSRC2:USER_SGPR: 2
; COMPUTE_PGM_RSRC2:TRAP_HANDLER: 0
; COMPUTE_PGM_RSRC2:TGID_X_EN: 1
; COMPUTE_PGM_RSRC2:TGID_Y_EN: 0
; COMPUTE_PGM_RSRC2:TGID_Z_EN: 0
; COMPUTE_PGM_RSRC2:TIDIG_COMP_CNT: 0
	.section	.text._Z39paged_attention_ll4mi_QKV_mfma16_kernelI14__hip_bfloat16S0_LN4vllm18Fp8KVCacheDataTypeE0ES0_Li32ELi64ELi256ELb0ELi14EEvPKT_PKT0_S8_ifPKiSA_SA_iPKfiiiPfSD_PS3_PT2_iSC_SC_,"axG",@progbits,_Z39paged_attention_ll4mi_QKV_mfma16_kernelI14__hip_bfloat16S0_LN4vllm18Fp8KVCacheDataTypeE0ES0_Li32ELi64ELi256ELb0ELi14EEvPKT_PKT0_S8_ifPKiSA_SA_iPKfiiiPfSD_PS3_PT2_iSC_SC_,comdat
	.protected	_Z39paged_attention_ll4mi_QKV_mfma16_kernelI14__hip_bfloat16S0_LN4vllm18Fp8KVCacheDataTypeE0ES0_Li32ELi64ELi256ELb0ELi14EEvPKT_PKT0_S8_ifPKiSA_SA_iPKfiiiPfSD_PS3_PT2_iSC_SC_ ; -- Begin function _Z39paged_attention_ll4mi_QKV_mfma16_kernelI14__hip_bfloat16S0_LN4vllm18Fp8KVCacheDataTypeE0ES0_Li32ELi64ELi256ELb0ELi14EEvPKT_PKT0_S8_ifPKiSA_SA_iPKfiiiPfSD_PS3_PT2_iSC_SC_
	.globl	_Z39paged_attention_ll4mi_QKV_mfma16_kernelI14__hip_bfloat16S0_LN4vllm18Fp8KVCacheDataTypeE0ES0_Li32ELi64ELi256ELb0ELi14EEvPKT_PKT0_S8_ifPKiSA_SA_iPKfiiiPfSD_PS3_PT2_iSC_SC_
	.p2align	8
	.type	_Z39paged_attention_ll4mi_QKV_mfma16_kernelI14__hip_bfloat16S0_LN4vllm18Fp8KVCacheDataTypeE0ES0_Li32ELi64ELi256ELb0ELi14EEvPKT_PKT0_S8_ifPKiSA_SA_iPKfiiiPfSD_PS3_PT2_iSC_SC_,@function
_Z39paged_attention_ll4mi_QKV_mfma16_kernelI14__hip_bfloat16S0_LN4vllm18Fp8KVCacheDataTypeE0ES0_Li32ELi64ELi256ELb0ELi14EEvPKT_PKT0_S8_ifPKiSA_SA_iPKfiiiPfSD_PS3_PT2_iSC_SC_: ; @_Z39paged_attention_ll4mi_QKV_mfma16_kernelI14__hip_bfloat16S0_LN4vllm18Fp8KVCacheDataTypeE0ES0_Li32ELi64ELi256ELb0ELi14EEvPKT_PKT0_S8_ifPKiSA_SA_iPKfiiiPfSD_PS3_PT2_iSC_SC_
; %bb.0:
	s_get_pc_i64 s[2:3]
	s_add_nc_u64 s[2:3], s[2:3], __PRETTY_FUNCTION__._Z39paged_attention_ll4mi_QKV_mfma16_kernelI14__hip_bfloat16S0_LN4vllm18Fp8KVCacheDataTypeE0ES0_Li32ELi64ELi256ELb0ELi14EEvPKT_PKT0_S8_ifPKiSA_SA_iPKfiiiPfSD_PS3_PT2_iSC_SC_@rel64+4
	s_delay_alu instid0(SALU_CYCLE_1)
	v_dual_mov_b32 v0, 0xbb3 :: v_dual_mov_b32 v1, s2
	v_mov_b32_e32 v2, s3
	s_add_nc_u64 s[8:9], s[0:1], 0x90
	s_get_pc_i64 s[0:1]
	s_add_nc_u64 s[0:1], s[0:1], __assert_fail@rel64+4
	s_mov_b32 s32, 0
	s_swap_pc_i64 s[30:31], s[0:1]
	.section	.rodata,"a",@progbits
	.p2align	6, 0x0
	.amdhsa_kernel _Z39paged_attention_ll4mi_QKV_mfma16_kernelI14__hip_bfloat16S0_LN4vllm18Fp8KVCacheDataTypeE0ES0_Li32ELi64ELi256ELb0ELi14EEvPKT_PKT0_S8_ifPKiSA_SA_iPKfiiiPfSD_PS3_PT2_iSC_SC_
		.amdhsa_group_segment_fixed_size 0
		.amdhsa_private_segment_fixed_size 64
		.amdhsa_kernarg_size 400
		.amdhsa_user_sgpr_count 2
		.amdhsa_user_sgpr_dispatch_ptr 0
		.amdhsa_user_sgpr_queue_ptr 0
		.amdhsa_user_sgpr_kernarg_segment_ptr 1
		.amdhsa_user_sgpr_dispatch_id 0
		.amdhsa_user_sgpr_kernarg_preload_length 0
		.amdhsa_user_sgpr_kernarg_preload_offset 0
		.amdhsa_user_sgpr_private_segment_size 0
		.amdhsa_wavefront_size32 1
		.amdhsa_uses_dynamic_stack 0
		.amdhsa_enable_private_segment 1
		.amdhsa_system_sgpr_workgroup_id_x 1
		.amdhsa_system_sgpr_workgroup_id_y 0
		.amdhsa_system_sgpr_workgroup_id_z 0
		.amdhsa_system_sgpr_workgroup_info 0
		.amdhsa_system_vgpr_workitem_id 0
		.amdhsa_next_free_vgpr 51
		.amdhsa_next_free_sgpr 34
		.amdhsa_named_barrier_count 0
		.amdhsa_reserve_vcc 1
		.amdhsa_float_round_mode_32 0
		.amdhsa_float_round_mode_16_64 0
		.amdhsa_float_denorm_mode_32 3
		.amdhsa_float_denorm_mode_16_64 3
		.amdhsa_fp16_overflow 0
		.amdhsa_memory_ordered 1
		.amdhsa_forward_progress 1
		.amdhsa_inst_pref_size 1
		.amdhsa_round_robin_scheduling 0
		.amdhsa_exception_fp_ieee_invalid_op 0
		.amdhsa_exception_fp_denorm_src 0
		.amdhsa_exception_fp_ieee_div_zero 0
		.amdhsa_exception_fp_ieee_overflow 0
		.amdhsa_exception_fp_ieee_underflow 0
		.amdhsa_exception_fp_ieee_inexact 0
		.amdhsa_exception_int_div_zero 0
	.end_amdhsa_kernel
	.section	.text._Z39paged_attention_ll4mi_QKV_mfma16_kernelI14__hip_bfloat16S0_LN4vllm18Fp8KVCacheDataTypeE0ES0_Li32ELi64ELi256ELb0ELi14EEvPKT_PKT0_S8_ifPKiSA_SA_iPKfiiiPfSD_PS3_PT2_iSC_SC_,"axG",@progbits,_Z39paged_attention_ll4mi_QKV_mfma16_kernelI14__hip_bfloat16S0_LN4vllm18Fp8KVCacheDataTypeE0ES0_Li32ELi64ELi256ELb0ELi14EEvPKT_PKT0_S8_ifPKiSA_SA_iPKfiiiPfSD_PS3_PT2_iSC_SC_,comdat
.Lfunc_end571:
	.size	_Z39paged_attention_ll4mi_QKV_mfma16_kernelI14__hip_bfloat16S0_LN4vllm18Fp8KVCacheDataTypeE0ES0_Li32ELi64ELi256ELb0ELi14EEvPKT_PKT0_S8_ifPKiSA_SA_iPKfiiiPfSD_PS3_PT2_iSC_SC_, .Lfunc_end571-_Z39paged_attention_ll4mi_QKV_mfma16_kernelI14__hip_bfloat16S0_LN4vllm18Fp8KVCacheDataTypeE0ES0_Li32ELi64ELi256ELb0ELi14EEvPKT_PKT0_S8_ifPKiSA_SA_iPKfiiiPfSD_PS3_PT2_iSC_SC_
                                        ; -- End function
	.set _Z39paged_attention_ll4mi_QKV_mfma16_kernelI14__hip_bfloat16S0_LN4vllm18Fp8KVCacheDataTypeE0ES0_Li32ELi64ELi256ELb0ELi14EEvPKT_PKT0_S8_ifPKiSA_SA_iPKfiiiPfSD_PS3_PT2_iSC_SC_.num_vgpr, max(3, .L__assert_fail.num_vgpr)
	.set _Z39paged_attention_ll4mi_QKV_mfma16_kernelI14__hip_bfloat16S0_LN4vllm18Fp8KVCacheDataTypeE0ES0_Li32ELi64ELi256ELb0ELi14EEvPKT_PKT0_S8_ifPKiSA_SA_iPKfiiiPfSD_PS3_PT2_iSC_SC_.num_agpr, max(0, .L__assert_fail.num_agpr)
	.set _Z39paged_attention_ll4mi_QKV_mfma16_kernelI14__hip_bfloat16S0_LN4vllm18Fp8KVCacheDataTypeE0ES0_Li32ELi64ELi256ELb0ELi14EEvPKT_PKT0_S8_ifPKiSA_SA_iPKfiiiPfSD_PS3_PT2_iSC_SC_.numbered_sgpr, max(33, .L__assert_fail.numbered_sgpr)
	.set _Z39paged_attention_ll4mi_QKV_mfma16_kernelI14__hip_bfloat16S0_LN4vllm18Fp8KVCacheDataTypeE0ES0_Li32ELi64ELi256ELb0ELi14EEvPKT_PKT0_S8_ifPKiSA_SA_iPKfiiiPfSD_PS3_PT2_iSC_SC_.num_named_barrier, max(0, .L__assert_fail.num_named_barrier)
	.set _Z39paged_attention_ll4mi_QKV_mfma16_kernelI14__hip_bfloat16S0_LN4vllm18Fp8KVCacheDataTypeE0ES0_Li32ELi64ELi256ELb0ELi14EEvPKT_PKT0_S8_ifPKiSA_SA_iPKfiiiPfSD_PS3_PT2_iSC_SC_.private_seg_size, 0+max(.L__assert_fail.private_seg_size)
	.set _Z39paged_attention_ll4mi_QKV_mfma16_kernelI14__hip_bfloat16S0_LN4vllm18Fp8KVCacheDataTypeE0ES0_Li32ELi64ELi256ELb0ELi14EEvPKT_PKT0_S8_ifPKiSA_SA_iPKfiiiPfSD_PS3_PT2_iSC_SC_.uses_vcc, or(1, .L__assert_fail.uses_vcc)
	.set _Z39paged_attention_ll4mi_QKV_mfma16_kernelI14__hip_bfloat16S0_LN4vllm18Fp8KVCacheDataTypeE0ES0_Li32ELi64ELi256ELb0ELi14EEvPKT_PKT0_S8_ifPKiSA_SA_iPKfiiiPfSD_PS3_PT2_iSC_SC_.uses_flat_scratch, or(0, .L__assert_fail.uses_flat_scratch)
	.set _Z39paged_attention_ll4mi_QKV_mfma16_kernelI14__hip_bfloat16S0_LN4vllm18Fp8KVCacheDataTypeE0ES0_Li32ELi64ELi256ELb0ELi14EEvPKT_PKT0_S8_ifPKiSA_SA_iPKfiiiPfSD_PS3_PT2_iSC_SC_.has_dyn_sized_stack, or(0, .L__assert_fail.has_dyn_sized_stack)
	.set _Z39paged_attention_ll4mi_QKV_mfma16_kernelI14__hip_bfloat16S0_LN4vllm18Fp8KVCacheDataTypeE0ES0_Li32ELi64ELi256ELb0ELi14EEvPKT_PKT0_S8_ifPKiSA_SA_iPKfiiiPfSD_PS3_PT2_iSC_SC_.has_recursion, or(0, .L__assert_fail.has_recursion)
	.set _Z39paged_attention_ll4mi_QKV_mfma16_kernelI14__hip_bfloat16S0_LN4vllm18Fp8KVCacheDataTypeE0ES0_Li32ELi64ELi256ELb0ELi14EEvPKT_PKT0_S8_ifPKiSA_SA_iPKfiiiPfSD_PS3_PT2_iSC_SC_.has_indirect_call, or(0, .L__assert_fail.has_indirect_call)
	.section	.AMDGPU.csdata,"",@progbits
; Kernel info:
; codeLenInByte = 68
; TotalNumSgprs: 36
; NumVgprs: 51
; ScratchSize: 64
; MemoryBound: 0
; FloatMode: 240
; IeeeMode: 1
; LDSByteSize: 0 bytes/workgroup (compile time only)
; SGPRBlocks: 0
; VGPRBlocks: 3
; NumSGPRsForWavesPerEU: 36
; NumVGPRsForWavesPerEU: 51
; NamedBarCnt: 0
; Occupancy: 16
; WaveLimiterHint : 1
; COMPUTE_PGM_RSRC2:SCRATCH_EN: 1
; COMPUTE_PGM_RSRC2:USER_SGPR: 2
; COMPUTE_PGM_RSRC2:TRAP_HANDLER: 0
; COMPUTE_PGM_RSRC2:TGID_X_EN: 1
; COMPUTE_PGM_RSRC2:TGID_Y_EN: 0
; COMPUTE_PGM_RSRC2:TGID_Z_EN: 0
; COMPUTE_PGM_RSRC2:TIDIG_COMP_CNT: 0
	.section	.text._Z39paged_attention_ll4mi_QKV_mfma16_kernelI14__hip_bfloat16S0_LN4vllm18Fp8KVCacheDataTypeE0ES0_Li32ELi64ELi256ELb0ELi15EEvPKT_PKT0_S8_ifPKiSA_SA_iPKfiiiPfSD_PS3_PT2_iSC_SC_,"axG",@progbits,_Z39paged_attention_ll4mi_QKV_mfma16_kernelI14__hip_bfloat16S0_LN4vllm18Fp8KVCacheDataTypeE0ES0_Li32ELi64ELi256ELb0ELi15EEvPKT_PKT0_S8_ifPKiSA_SA_iPKfiiiPfSD_PS3_PT2_iSC_SC_,comdat
	.protected	_Z39paged_attention_ll4mi_QKV_mfma16_kernelI14__hip_bfloat16S0_LN4vllm18Fp8KVCacheDataTypeE0ES0_Li32ELi64ELi256ELb0ELi15EEvPKT_PKT0_S8_ifPKiSA_SA_iPKfiiiPfSD_PS3_PT2_iSC_SC_ ; -- Begin function _Z39paged_attention_ll4mi_QKV_mfma16_kernelI14__hip_bfloat16S0_LN4vllm18Fp8KVCacheDataTypeE0ES0_Li32ELi64ELi256ELb0ELi15EEvPKT_PKT0_S8_ifPKiSA_SA_iPKfiiiPfSD_PS3_PT2_iSC_SC_
	.globl	_Z39paged_attention_ll4mi_QKV_mfma16_kernelI14__hip_bfloat16S0_LN4vllm18Fp8KVCacheDataTypeE0ES0_Li32ELi64ELi256ELb0ELi15EEvPKT_PKT0_S8_ifPKiSA_SA_iPKfiiiPfSD_PS3_PT2_iSC_SC_
	.p2align	8
	.type	_Z39paged_attention_ll4mi_QKV_mfma16_kernelI14__hip_bfloat16S0_LN4vllm18Fp8KVCacheDataTypeE0ES0_Li32ELi64ELi256ELb0ELi15EEvPKT_PKT0_S8_ifPKiSA_SA_iPKfiiiPfSD_PS3_PT2_iSC_SC_,@function
_Z39paged_attention_ll4mi_QKV_mfma16_kernelI14__hip_bfloat16S0_LN4vllm18Fp8KVCacheDataTypeE0ES0_Li32ELi64ELi256ELb0ELi15EEvPKT_PKT0_S8_ifPKiSA_SA_iPKfiiiPfSD_PS3_PT2_iSC_SC_: ; @_Z39paged_attention_ll4mi_QKV_mfma16_kernelI14__hip_bfloat16S0_LN4vllm18Fp8KVCacheDataTypeE0ES0_Li32ELi64ELi256ELb0ELi15EEvPKT_PKT0_S8_ifPKiSA_SA_iPKfiiiPfSD_PS3_PT2_iSC_SC_
; %bb.0:
	s_get_pc_i64 s[2:3]
	s_add_nc_u64 s[2:3], s[2:3], __PRETTY_FUNCTION__._Z39paged_attention_ll4mi_QKV_mfma16_kernelI14__hip_bfloat16S0_LN4vllm18Fp8KVCacheDataTypeE0ES0_Li32ELi64ELi256ELb0ELi15EEvPKT_PKT0_S8_ifPKiSA_SA_iPKfiiiPfSD_PS3_PT2_iSC_SC_@rel64+4
	s_delay_alu instid0(SALU_CYCLE_1)
	v_dual_mov_b32 v0, 0xbb3 :: v_dual_mov_b32 v1, s2
	v_mov_b32_e32 v2, s3
	s_add_nc_u64 s[8:9], s[0:1], 0x90
	s_get_pc_i64 s[0:1]
	s_add_nc_u64 s[0:1], s[0:1], __assert_fail@rel64+4
	s_mov_b32 s32, 0
	s_swap_pc_i64 s[30:31], s[0:1]
	.section	.rodata,"a",@progbits
	.p2align	6, 0x0
	.amdhsa_kernel _Z39paged_attention_ll4mi_QKV_mfma16_kernelI14__hip_bfloat16S0_LN4vllm18Fp8KVCacheDataTypeE0ES0_Li32ELi64ELi256ELb0ELi15EEvPKT_PKT0_S8_ifPKiSA_SA_iPKfiiiPfSD_PS3_PT2_iSC_SC_
		.amdhsa_group_segment_fixed_size 0
		.amdhsa_private_segment_fixed_size 64
		.amdhsa_kernarg_size 400
		.amdhsa_user_sgpr_count 2
		.amdhsa_user_sgpr_dispatch_ptr 0
		.amdhsa_user_sgpr_queue_ptr 0
		.amdhsa_user_sgpr_kernarg_segment_ptr 1
		.amdhsa_user_sgpr_dispatch_id 0
		.amdhsa_user_sgpr_kernarg_preload_length 0
		.amdhsa_user_sgpr_kernarg_preload_offset 0
		.amdhsa_user_sgpr_private_segment_size 0
		.amdhsa_wavefront_size32 1
		.amdhsa_uses_dynamic_stack 0
		.amdhsa_enable_private_segment 1
		.amdhsa_system_sgpr_workgroup_id_x 1
		.amdhsa_system_sgpr_workgroup_id_y 0
		.amdhsa_system_sgpr_workgroup_id_z 0
		.amdhsa_system_sgpr_workgroup_info 0
		.amdhsa_system_vgpr_workitem_id 0
		.amdhsa_next_free_vgpr 51
		.amdhsa_next_free_sgpr 34
		.amdhsa_named_barrier_count 0
		.amdhsa_reserve_vcc 1
		.amdhsa_float_round_mode_32 0
		.amdhsa_float_round_mode_16_64 0
		.amdhsa_float_denorm_mode_32 3
		.amdhsa_float_denorm_mode_16_64 3
		.amdhsa_fp16_overflow 0
		.amdhsa_memory_ordered 1
		.amdhsa_forward_progress 1
		.amdhsa_inst_pref_size 1
		.amdhsa_round_robin_scheduling 0
		.amdhsa_exception_fp_ieee_invalid_op 0
		.amdhsa_exception_fp_denorm_src 0
		.amdhsa_exception_fp_ieee_div_zero 0
		.amdhsa_exception_fp_ieee_overflow 0
		.amdhsa_exception_fp_ieee_underflow 0
		.amdhsa_exception_fp_ieee_inexact 0
		.amdhsa_exception_int_div_zero 0
	.end_amdhsa_kernel
	.section	.text._Z39paged_attention_ll4mi_QKV_mfma16_kernelI14__hip_bfloat16S0_LN4vllm18Fp8KVCacheDataTypeE0ES0_Li32ELi64ELi256ELb0ELi15EEvPKT_PKT0_S8_ifPKiSA_SA_iPKfiiiPfSD_PS3_PT2_iSC_SC_,"axG",@progbits,_Z39paged_attention_ll4mi_QKV_mfma16_kernelI14__hip_bfloat16S0_LN4vllm18Fp8KVCacheDataTypeE0ES0_Li32ELi64ELi256ELb0ELi15EEvPKT_PKT0_S8_ifPKiSA_SA_iPKfiiiPfSD_PS3_PT2_iSC_SC_,comdat
.Lfunc_end572:
	.size	_Z39paged_attention_ll4mi_QKV_mfma16_kernelI14__hip_bfloat16S0_LN4vllm18Fp8KVCacheDataTypeE0ES0_Li32ELi64ELi256ELb0ELi15EEvPKT_PKT0_S8_ifPKiSA_SA_iPKfiiiPfSD_PS3_PT2_iSC_SC_, .Lfunc_end572-_Z39paged_attention_ll4mi_QKV_mfma16_kernelI14__hip_bfloat16S0_LN4vllm18Fp8KVCacheDataTypeE0ES0_Li32ELi64ELi256ELb0ELi15EEvPKT_PKT0_S8_ifPKiSA_SA_iPKfiiiPfSD_PS3_PT2_iSC_SC_
                                        ; -- End function
	.set _Z39paged_attention_ll4mi_QKV_mfma16_kernelI14__hip_bfloat16S0_LN4vllm18Fp8KVCacheDataTypeE0ES0_Li32ELi64ELi256ELb0ELi15EEvPKT_PKT0_S8_ifPKiSA_SA_iPKfiiiPfSD_PS3_PT2_iSC_SC_.num_vgpr, max(3, .L__assert_fail.num_vgpr)
	.set _Z39paged_attention_ll4mi_QKV_mfma16_kernelI14__hip_bfloat16S0_LN4vllm18Fp8KVCacheDataTypeE0ES0_Li32ELi64ELi256ELb0ELi15EEvPKT_PKT0_S8_ifPKiSA_SA_iPKfiiiPfSD_PS3_PT2_iSC_SC_.num_agpr, max(0, .L__assert_fail.num_agpr)
	.set _Z39paged_attention_ll4mi_QKV_mfma16_kernelI14__hip_bfloat16S0_LN4vllm18Fp8KVCacheDataTypeE0ES0_Li32ELi64ELi256ELb0ELi15EEvPKT_PKT0_S8_ifPKiSA_SA_iPKfiiiPfSD_PS3_PT2_iSC_SC_.numbered_sgpr, max(33, .L__assert_fail.numbered_sgpr)
	.set _Z39paged_attention_ll4mi_QKV_mfma16_kernelI14__hip_bfloat16S0_LN4vllm18Fp8KVCacheDataTypeE0ES0_Li32ELi64ELi256ELb0ELi15EEvPKT_PKT0_S8_ifPKiSA_SA_iPKfiiiPfSD_PS3_PT2_iSC_SC_.num_named_barrier, max(0, .L__assert_fail.num_named_barrier)
	.set _Z39paged_attention_ll4mi_QKV_mfma16_kernelI14__hip_bfloat16S0_LN4vllm18Fp8KVCacheDataTypeE0ES0_Li32ELi64ELi256ELb0ELi15EEvPKT_PKT0_S8_ifPKiSA_SA_iPKfiiiPfSD_PS3_PT2_iSC_SC_.private_seg_size, 0+max(.L__assert_fail.private_seg_size)
	.set _Z39paged_attention_ll4mi_QKV_mfma16_kernelI14__hip_bfloat16S0_LN4vllm18Fp8KVCacheDataTypeE0ES0_Li32ELi64ELi256ELb0ELi15EEvPKT_PKT0_S8_ifPKiSA_SA_iPKfiiiPfSD_PS3_PT2_iSC_SC_.uses_vcc, or(1, .L__assert_fail.uses_vcc)
	.set _Z39paged_attention_ll4mi_QKV_mfma16_kernelI14__hip_bfloat16S0_LN4vllm18Fp8KVCacheDataTypeE0ES0_Li32ELi64ELi256ELb0ELi15EEvPKT_PKT0_S8_ifPKiSA_SA_iPKfiiiPfSD_PS3_PT2_iSC_SC_.uses_flat_scratch, or(0, .L__assert_fail.uses_flat_scratch)
	.set _Z39paged_attention_ll4mi_QKV_mfma16_kernelI14__hip_bfloat16S0_LN4vllm18Fp8KVCacheDataTypeE0ES0_Li32ELi64ELi256ELb0ELi15EEvPKT_PKT0_S8_ifPKiSA_SA_iPKfiiiPfSD_PS3_PT2_iSC_SC_.has_dyn_sized_stack, or(0, .L__assert_fail.has_dyn_sized_stack)
	.set _Z39paged_attention_ll4mi_QKV_mfma16_kernelI14__hip_bfloat16S0_LN4vllm18Fp8KVCacheDataTypeE0ES0_Li32ELi64ELi256ELb0ELi15EEvPKT_PKT0_S8_ifPKiSA_SA_iPKfiiiPfSD_PS3_PT2_iSC_SC_.has_recursion, or(0, .L__assert_fail.has_recursion)
	.set _Z39paged_attention_ll4mi_QKV_mfma16_kernelI14__hip_bfloat16S0_LN4vllm18Fp8KVCacheDataTypeE0ES0_Li32ELi64ELi256ELb0ELi15EEvPKT_PKT0_S8_ifPKiSA_SA_iPKfiiiPfSD_PS3_PT2_iSC_SC_.has_indirect_call, or(0, .L__assert_fail.has_indirect_call)
	.section	.AMDGPU.csdata,"",@progbits
; Kernel info:
; codeLenInByte = 68
; TotalNumSgprs: 36
; NumVgprs: 51
; ScratchSize: 64
; MemoryBound: 0
; FloatMode: 240
; IeeeMode: 1
; LDSByteSize: 0 bytes/workgroup (compile time only)
; SGPRBlocks: 0
; VGPRBlocks: 3
; NumSGPRsForWavesPerEU: 36
; NumVGPRsForWavesPerEU: 51
; NamedBarCnt: 0
; Occupancy: 16
; WaveLimiterHint : 1
; COMPUTE_PGM_RSRC2:SCRATCH_EN: 1
; COMPUTE_PGM_RSRC2:USER_SGPR: 2
; COMPUTE_PGM_RSRC2:TRAP_HANDLER: 0
; COMPUTE_PGM_RSRC2:TGID_X_EN: 1
; COMPUTE_PGM_RSRC2:TGID_Y_EN: 0
; COMPUTE_PGM_RSRC2:TGID_Z_EN: 0
; COMPUTE_PGM_RSRC2:TIDIG_COMP_CNT: 0
	.section	.text._Z39paged_attention_ll4mi_QKV_mfma16_kernelI14__hip_bfloat16S0_LN4vllm18Fp8KVCacheDataTypeE0ES0_Li32ELi64ELi256ELb0ELi16EEvPKT_PKT0_S8_ifPKiSA_SA_iPKfiiiPfSD_PS3_PT2_iSC_SC_,"axG",@progbits,_Z39paged_attention_ll4mi_QKV_mfma16_kernelI14__hip_bfloat16S0_LN4vllm18Fp8KVCacheDataTypeE0ES0_Li32ELi64ELi256ELb0ELi16EEvPKT_PKT0_S8_ifPKiSA_SA_iPKfiiiPfSD_PS3_PT2_iSC_SC_,comdat
	.protected	_Z39paged_attention_ll4mi_QKV_mfma16_kernelI14__hip_bfloat16S0_LN4vllm18Fp8KVCacheDataTypeE0ES0_Li32ELi64ELi256ELb0ELi16EEvPKT_PKT0_S8_ifPKiSA_SA_iPKfiiiPfSD_PS3_PT2_iSC_SC_ ; -- Begin function _Z39paged_attention_ll4mi_QKV_mfma16_kernelI14__hip_bfloat16S0_LN4vllm18Fp8KVCacheDataTypeE0ES0_Li32ELi64ELi256ELb0ELi16EEvPKT_PKT0_S8_ifPKiSA_SA_iPKfiiiPfSD_PS3_PT2_iSC_SC_
	.globl	_Z39paged_attention_ll4mi_QKV_mfma16_kernelI14__hip_bfloat16S0_LN4vllm18Fp8KVCacheDataTypeE0ES0_Li32ELi64ELi256ELb0ELi16EEvPKT_PKT0_S8_ifPKiSA_SA_iPKfiiiPfSD_PS3_PT2_iSC_SC_
	.p2align	8
	.type	_Z39paged_attention_ll4mi_QKV_mfma16_kernelI14__hip_bfloat16S0_LN4vllm18Fp8KVCacheDataTypeE0ES0_Li32ELi64ELi256ELb0ELi16EEvPKT_PKT0_S8_ifPKiSA_SA_iPKfiiiPfSD_PS3_PT2_iSC_SC_,@function
_Z39paged_attention_ll4mi_QKV_mfma16_kernelI14__hip_bfloat16S0_LN4vllm18Fp8KVCacheDataTypeE0ES0_Li32ELi64ELi256ELb0ELi16EEvPKT_PKT0_S8_ifPKiSA_SA_iPKfiiiPfSD_PS3_PT2_iSC_SC_: ; @_Z39paged_attention_ll4mi_QKV_mfma16_kernelI14__hip_bfloat16S0_LN4vllm18Fp8KVCacheDataTypeE0ES0_Li32ELi64ELi256ELb0ELi16EEvPKT_PKT0_S8_ifPKiSA_SA_iPKfiiiPfSD_PS3_PT2_iSC_SC_
; %bb.0:
	s_get_pc_i64 s[2:3]
	s_add_nc_u64 s[2:3], s[2:3], __PRETTY_FUNCTION__._Z39paged_attention_ll4mi_QKV_mfma16_kernelI14__hip_bfloat16S0_LN4vllm18Fp8KVCacheDataTypeE0ES0_Li32ELi64ELi256ELb0ELi16EEvPKT_PKT0_S8_ifPKiSA_SA_iPKfiiiPfSD_PS3_PT2_iSC_SC_@rel64+4
	s_delay_alu instid0(SALU_CYCLE_1)
	v_dual_mov_b32 v0, 0xbb3 :: v_dual_mov_b32 v1, s2
	v_mov_b32_e32 v2, s3
	s_add_nc_u64 s[8:9], s[0:1], 0x90
	s_get_pc_i64 s[0:1]
	s_add_nc_u64 s[0:1], s[0:1], __assert_fail@rel64+4
	s_mov_b32 s32, 0
	s_swap_pc_i64 s[30:31], s[0:1]
	.section	.rodata,"a",@progbits
	.p2align	6, 0x0
	.amdhsa_kernel _Z39paged_attention_ll4mi_QKV_mfma16_kernelI14__hip_bfloat16S0_LN4vllm18Fp8KVCacheDataTypeE0ES0_Li32ELi64ELi256ELb0ELi16EEvPKT_PKT0_S8_ifPKiSA_SA_iPKfiiiPfSD_PS3_PT2_iSC_SC_
		.amdhsa_group_segment_fixed_size 0
		.amdhsa_private_segment_fixed_size 64
		.amdhsa_kernarg_size 400
		.amdhsa_user_sgpr_count 2
		.amdhsa_user_sgpr_dispatch_ptr 0
		.amdhsa_user_sgpr_queue_ptr 0
		.amdhsa_user_sgpr_kernarg_segment_ptr 1
		.amdhsa_user_sgpr_dispatch_id 0
		.amdhsa_user_sgpr_kernarg_preload_length 0
		.amdhsa_user_sgpr_kernarg_preload_offset 0
		.amdhsa_user_sgpr_private_segment_size 0
		.amdhsa_wavefront_size32 1
		.amdhsa_uses_dynamic_stack 0
		.amdhsa_enable_private_segment 1
		.amdhsa_system_sgpr_workgroup_id_x 1
		.amdhsa_system_sgpr_workgroup_id_y 0
		.amdhsa_system_sgpr_workgroup_id_z 0
		.amdhsa_system_sgpr_workgroup_info 0
		.amdhsa_system_vgpr_workitem_id 0
		.amdhsa_next_free_vgpr 51
		.amdhsa_next_free_sgpr 34
		.amdhsa_named_barrier_count 0
		.amdhsa_reserve_vcc 1
		.amdhsa_float_round_mode_32 0
		.amdhsa_float_round_mode_16_64 0
		.amdhsa_float_denorm_mode_32 3
		.amdhsa_float_denorm_mode_16_64 3
		.amdhsa_fp16_overflow 0
		.amdhsa_memory_ordered 1
		.amdhsa_forward_progress 1
		.amdhsa_inst_pref_size 1
		.amdhsa_round_robin_scheduling 0
		.amdhsa_exception_fp_ieee_invalid_op 0
		.amdhsa_exception_fp_denorm_src 0
		.amdhsa_exception_fp_ieee_div_zero 0
		.amdhsa_exception_fp_ieee_overflow 0
		.amdhsa_exception_fp_ieee_underflow 0
		.amdhsa_exception_fp_ieee_inexact 0
		.amdhsa_exception_int_div_zero 0
	.end_amdhsa_kernel
	.section	.text._Z39paged_attention_ll4mi_QKV_mfma16_kernelI14__hip_bfloat16S0_LN4vllm18Fp8KVCacheDataTypeE0ES0_Li32ELi64ELi256ELb0ELi16EEvPKT_PKT0_S8_ifPKiSA_SA_iPKfiiiPfSD_PS3_PT2_iSC_SC_,"axG",@progbits,_Z39paged_attention_ll4mi_QKV_mfma16_kernelI14__hip_bfloat16S0_LN4vllm18Fp8KVCacheDataTypeE0ES0_Li32ELi64ELi256ELb0ELi16EEvPKT_PKT0_S8_ifPKiSA_SA_iPKfiiiPfSD_PS3_PT2_iSC_SC_,comdat
.Lfunc_end573:
	.size	_Z39paged_attention_ll4mi_QKV_mfma16_kernelI14__hip_bfloat16S0_LN4vllm18Fp8KVCacheDataTypeE0ES0_Li32ELi64ELi256ELb0ELi16EEvPKT_PKT0_S8_ifPKiSA_SA_iPKfiiiPfSD_PS3_PT2_iSC_SC_, .Lfunc_end573-_Z39paged_attention_ll4mi_QKV_mfma16_kernelI14__hip_bfloat16S0_LN4vllm18Fp8KVCacheDataTypeE0ES0_Li32ELi64ELi256ELb0ELi16EEvPKT_PKT0_S8_ifPKiSA_SA_iPKfiiiPfSD_PS3_PT2_iSC_SC_
                                        ; -- End function
	.set _Z39paged_attention_ll4mi_QKV_mfma16_kernelI14__hip_bfloat16S0_LN4vllm18Fp8KVCacheDataTypeE0ES0_Li32ELi64ELi256ELb0ELi16EEvPKT_PKT0_S8_ifPKiSA_SA_iPKfiiiPfSD_PS3_PT2_iSC_SC_.num_vgpr, max(3, .L__assert_fail.num_vgpr)
	.set _Z39paged_attention_ll4mi_QKV_mfma16_kernelI14__hip_bfloat16S0_LN4vllm18Fp8KVCacheDataTypeE0ES0_Li32ELi64ELi256ELb0ELi16EEvPKT_PKT0_S8_ifPKiSA_SA_iPKfiiiPfSD_PS3_PT2_iSC_SC_.num_agpr, max(0, .L__assert_fail.num_agpr)
	.set _Z39paged_attention_ll4mi_QKV_mfma16_kernelI14__hip_bfloat16S0_LN4vllm18Fp8KVCacheDataTypeE0ES0_Li32ELi64ELi256ELb0ELi16EEvPKT_PKT0_S8_ifPKiSA_SA_iPKfiiiPfSD_PS3_PT2_iSC_SC_.numbered_sgpr, max(33, .L__assert_fail.numbered_sgpr)
	.set _Z39paged_attention_ll4mi_QKV_mfma16_kernelI14__hip_bfloat16S0_LN4vllm18Fp8KVCacheDataTypeE0ES0_Li32ELi64ELi256ELb0ELi16EEvPKT_PKT0_S8_ifPKiSA_SA_iPKfiiiPfSD_PS3_PT2_iSC_SC_.num_named_barrier, max(0, .L__assert_fail.num_named_barrier)
	.set _Z39paged_attention_ll4mi_QKV_mfma16_kernelI14__hip_bfloat16S0_LN4vllm18Fp8KVCacheDataTypeE0ES0_Li32ELi64ELi256ELb0ELi16EEvPKT_PKT0_S8_ifPKiSA_SA_iPKfiiiPfSD_PS3_PT2_iSC_SC_.private_seg_size, 0+max(.L__assert_fail.private_seg_size)
	.set _Z39paged_attention_ll4mi_QKV_mfma16_kernelI14__hip_bfloat16S0_LN4vllm18Fp8KVCacheDataTypeE0ES0_Li32ELi64ELi256ELb0ELi16EEvPKT_PKT0_S8_ifPKiSA_SA_iPKfiiiPfSD_PS3_PT2_iSC_SC_.uses_vcc, or(1, .L__assert_fail.uses_vcc)
	.set _Z39paged_attention_ll4mi_QKV_mfma16_kernelI14__hip_bfloat16S0_LN4vllm18Fp8KVCacheDataTypeE0ES0_Li32ELi64ELi256ELb0ELi16EEvPKT_PKT0_S8_ifPKiSA_SA_iPKfiiiPfSD_PS3_PT2_iSC_SC_.uses_flat_scratch, or(0, .L__assert_fail.uses_flat_scratch)
	.set _Z39paged_attention_ll4mi_QKV_mfma16_kernelI14__hip_bfloat16S0_LN4vllm18Fp8KVCacheDataTypeE0ES0_Li32ELi64ELi256ELb0ELi16EEvPKT_PKT0_S8_ifPKiSA_SA_iPKfiiiPfSD_PS3_PT2_iSC_SC_.has_dyn_sized_stack, or(0, .L__assert_fail.has_dyn_sized_stack)
	.set _Z39paged_attention_ll4mi_QKV_mfma16_kernelI14__hip_bfloat16S0_LN4vllm18Fp8KVCacheDataTypeE0ES0_Li32ELi64ELi256ELb0ELi16EEvPKT_PKT0_S8_ifPKiSA_SA_iPKfiiiPfSD_PS3_PT2_iSC_SC_.has_recursion, or(0, .L__assert_fail.has_recursion)
	.set _Z39paged_attention_ll4mi_QKV_mfma16_kernelI14__hip_bfloat16S0_LN4vllm18Fp8KVCacheDataTypeE0ES0_Li32ELi64ELi256ELb0ELi16EEvPKT_PKT0_S8_ifPKiSA_SA_iPKfiiiPfSD_PS3_PT2_iSC_SC_.has_indirect_call, or(0, .L__assert_fail.has_indirect_call)
	.section	.AMDGPU.csdata,"",@progbits
; Kernel info:
; codeLenInByte = 68
; TotalNumSgprs: 36
; NumVgprs: 51
; ScratchSize: 64
; MemoryBound: 0
; FloatMode: 240
; IeeeMode: 1
; LDSByteSize: 0 bytes/workgroup (compile time only)
; SGPRBlocks: 0
; VGPRBlocks: 3
; NumSGPRsForWavesPerEU: 36
; NumVGPRsForWavesPerEU: 51
; NamedBarCnt: 0
; Occupancy: 16
; WaveLimiterHint : 1
; COMPUTE_PGM_RSRC2:SCRATCH_EN: 1
; COMPUTE_PGM_RSRC2:USER_SGPR: 2
; COMPUTE_PGM_RSRC2:TRAP_HANDLER: 0
; COMPUTE_PGM_RSRC2:TGID_X_EN: 1
; COMPUTE_PGM_RSRC2:TGID_Y_EN: 0
; COMPUTE_PGM_RSRC2:TGID_Z_EN: 0
; COMPUTE_PGM_RSRC2:TIDIG_COMP_CNT: 0
	.section	.text._Z39paged_attention_ll4mi_QKV_mfma16_kernelI14__hip_bfloat16S0_LN4vllm18Fp8KVCacheDataTypeE0ES0_Li32ELi64ELi256ELb0ELi1EEvPKT_PKT0_S8_ifPKiSA_SA_iPKfiiiPfSD_PS3_PT2_iSC_SC_,"axG",@progbits,_Z39paged_attention_ll4mi_QKV_mfma16_kernelI14__hip_bfloat16S0_LN4vllm18Fp8KVCacheDataTypeE0ES0_Li32ELi64ELi256ELb0ELi1EEvPKT_PKT0_S8_ifPKiSA_SA_iPKfiiiPfSD_PS3_PT2_iSC_SC_,comdat
	.protected	_Z39paged_attention_ll4mi_QKV_mfma16_kernelI14__hip_bfloat16S0_LN4vllm18Fp8KVCacheDataTypeE0ES0_Li32ELi64ELi256ELb0ELi1EEvPKT_PKT0_S8_ifPKiSA_SA_iPKfiiiPfSD_PS3_PT2_iSC_SC_ ; -- Begin function _Z39paged_attention_ll4mi_QKV_mfma16_kernelI14__hip_bfloat16S0_LN4vllm18Fp8KVCacheDataTypeE0ES0_Li32ELi64ELi256ELb0ELi1EEvPKT_PKT0_S8_ifPKiSA_SA_iPKfiiiPfSD_PS3_PT2_iSC_SC_
	.globl	_Z39paged_attention_ll4mi_QKV_mfma16_kernelI14__hip_bfloat16S0_LN4vllm18Fp8KVCacheDataTypeE0ES0_Li32ELi64ELi256ELb0ELi1EEvPKT_PKT0_S8_ifPKiSA_SA_iPKfiiiPfSD_PS3_PT2_iSC_SC_
	.p2align	8
	.type	_Z39paged_attention_ll4mi_QKV_mfma16_kernelI14__hip_bfloat16S0_LN4vllm18Fp8KVCacheDataTypeE0ES0_Li32ELi64ELi256ELb0ELi1EEvPKT_PKT0_S8_ifPKiSA_SA_iPKfiiiPfSD_PS3_PT2_iSC_SC_,@function
_Z39paged_attention_ll4mi_QKV_mfma16_kernelI14__hip_bfloat16S0_LN4vllm18Fp8KVCacheDataTypeE0ES0_Li32ELi64ELi256ELb0ELi1EEvPKT_PKT0_S8_ifPKiSA_SA_iPKfiiiPfSD_PS3_PT2_iSC_SC_: ; @_Z39paged_attention_ll4mi_QKV_mfma16_kernelI14__hip_bfloat16S0_LN4vllm18Fp8KVCacheDataTypeE0ES0_Li32ELi64ELi256ELb0ELi1EEvPKT_PKT0_S8_ifPKiSA_SA_iPKfiiiPfSD_PS3_PT2_iSC_SC_
; %bb.0:
	s_get_pc_i64 s[2:3]
	s_add_nc_u64 s[2:3], s[2:3], __PRETTY_FUNCTION__._Z39paged_attention_ll4mi_QKV_mfma16_kernelI14__hip_bfloat16S0_LN4vllm18Fp8KVCacheDataTypeE0ES0_Li32ELi64ELi256ELb0ELi1EEvPKT_PKT0_S8_ifPKiSA_SA_iPKfiiiPfSD_PS3_PT2_iSC_SC_@rel64+4
	s_delay_alu instid0(SALU_CYCLE_1)
	v_dual_mov_b32 v0, 0xbb3 :: v_dual_mov_b32 v1, s2
	v_mov_b32_e32 v2, s3
	s_add_nc_u64 s[8:9], s[0:1], 0x90
	s_get_pc_i64 s[0:1]
	s_add_nc_u64 s[0:1], s[0:1], __assert_fail@rel64+4
	s_mov_b32 s32, 0
	s_swap_pc_i64 s[30:31], s[0:1]
	.section	.rodata,"a",@progbits
	.p2align	6, 0x0
	.amdhsa_kernel _Z39paged_attention_ll4mi_QKV_mfma16_kernelI14__hip_bfloat16S0_LN4vllm18Fp8KVCacheDataTypeE0ES0_Li32ELi64ELi256ELb0ELi1EEvPKT_PKT0_S8_ifPKiSA_SA_iPKfiiiPfSD_PS3_PT2_iSC_SC_
		.amdhsa_group_segment_fixed_size 0
		.amdhsa_private_segment_fixed_size 64
		.amdhsa_kernarg_size 400
		.amdhsa_user_sgpr_count 2
		.amdhsa_user_sgpr_dispatch_ptr 0
		.amdhsa_user_sgpr_queue_ptr 0
		.amdhsa_user_sgpr_kernarg_segment_ptr 1
		.amdhsa_user_sgpr_dispatch_id 0
		.amdhsa_user_sgpr_kernarg_preload_length 0
		.amdhsa_user_sgpr_kernarg_preload_offset 0
		.amdhsa_user_sgpr_private_segment_size 0
		.amdhsa_wavefront_size32 1
		.amdhsa_uses_dynamic_stack 0
		.amdhsa_enable_private_segment 1
		.amdhsa_system_sgpr_workgroup_id_x 1
		.amdhsa_system_sgpr_workgroup_id_y 0
		.amdhsa_system_sgpr_workgroup_id_z 0
		.amdhsa_system_sgpr_workgroup_info 0
		.amdhsa_system_vgpr_workitem_id 0
		.amdhsa_next_free_vgpr 51
		.amdhsa_next_free_sgpr 34
		.amdhsa_named_barrier_count 0
		.amdhsa_reserve_vcc 1
		.amdhsa_float_round_mode_32 0
		.amdhsa_float_round_mode_16_64 0
		.amdhsa_float_denorm_mode_32 3
		.amdhsa_float_denorm_mode_16_64 3
		.amdhsa_fp16_overflow 0
		.amdhsa_memory_ordered 1
		.amdhsa_forward_progress 1
		.amdhsa_inst_pref_size 1
		.amdhsa_round_robin_scheduling 0
		.amdhsa_exception_fp_ieee_invalid_op 0
		.amdhsa_exception_fp_denorm_src 0
		.amdhsa_exception_fp_ieee_div_zero 0
		.amdhsa_exception_fp_ieee_overflow 0
		.amdhsa_exception_fp_ieee_underflow 0
		.amdhsa_exception_fp_ieee_inexact 0
		.amdhsa_exception_int_div_zero 0
	.end_amdhsa_kernel
	.section	.text._Z39paged_attention_ll4mi_QKV_mfma16_kernelI14__hip_bfloat16S0_LN4vllm18Fp8KVCacheDataTypeE0ES0_Li32ELi64ELi256ELb0ELi1EEvPKT_PKT0_S8_ifPKiSA_SA_iPKfiiiPfSD_PS3_PT2_iSC_SC_,"axG",@progbits,_Z39paged_attention_ll4mi_QKV_mfma16_kernelI14__hip_bfloat16S0_LN4vllm18Fp8KVCacheDataTypeE0ES0_Li32ELi64ELi256ELb0ELi1EEvPKT_PKT0_S8_ifPKiSA_SA_iPKfiiiPfSD_PS3_PT2_iSC_SC_,comdat
.Lfunc_end574:
	.size	_Z39paged_attention_ll4mi_QKV_mfma16_kernelI14__hip_bfloat16S0_LN4vllm18Fp8KVCacheDataTypeE0ES0_Li32ELi64ELi256ELb0ELi1EEvPKT_PKT0_S8_ifPKiSA_SA_iPKfiiiPfSD_PS3_PT2_iSC_SC_, .Lfunc_end574-_Z39paged_attention_ll4mi_QKV_mfma16_kernelI14__hip_bfloat16S0_LN4vllm18Fp8KVCacheDataTypeE0ES0_Li32ELi64ELi256ELb0ELi1EEvPKT_PKT0_S8_ifPKiSA_SA_iPKfiiiPfSD_PS3_PT2_iSC_SC_
                                        ; -- End function
	.set _Z39paged_attention_ll4mi_QKV_mfma16_kernelI14__hip_bfloat16S0_LN4vllm18Fp8KVCacheDataTypeE0ES0_Li32ELi64ELi256ELb0ELi1EEvPKT_PKT0_S8_ifPKiSA_SA_iPKfiiiPfSD_PS3_PT2_iSC_SC_.num_vgpr, max(3, .L__assert_fail.num_vgpr)
	.set _Z39paged_attention_ll4mi_QKV_mfma16_kernelI14__hip_bfloat16S0_LN4vllm18Fp8KVCacheDataTypeE0ES0_Li32ELi64ELi256ELb0ELi1EEvPKT_PKT0_S8_ifPKiSA_SA_iPKfiiiPfSD_PS3_PT2_iSC_SC_.num_agpr, max(0, .L__assert_fail.num_agpr)
	.set _Z39paged_attention_ll4mi_QKV_mfma16_kernelI14__hip_bfloat16S0_LN4vllm18Fp8KVCacheDataTypeE0ES0_Li32ELi64ELi256ELb0ELi1EEvPKT_PKT0_S8_ifPKiSA_SA_iPKfiiiPfSD_PS3_PT2_iSC_SC_.numbered_sgpr, max(33, .L__assert_fail.numbered_sgpr)
	.set _Z39paged_attention_ll4mi_QKV_mfma16_kernelI14__hip_bfloat16S0_LN4vllm18Fp8KVCacheDataTypeE0ES0_Li32ELi64ELi256ELb0ELi1EEvPKT_PKT0_S8_ifPKiSA_SA_iPKfiiiPfSD_PS3_PT2_iSC_SC_.num_named_barrier, max(0, .L__assert_fail.num_named_barrier)
	.set _Z39paged_attention_ll4mi_QKV_mfma16_kernelI14__hip_bfloat16S0_LN4vllm18Fp8KVCacheDataTypeE0ES0_Li32ELi64ELi256ELb0ELi1EEvPKT_PKT0_S8_ifPKiSA_SA_iPKfiiiPfSD_PS3_PT2_iSC_SC_.private_seg_size, 0+max(.L__assert_fail.private_seg_size)
	.set _Z39paged_attention_ll4mi_QKV_mfma16_kernelI14__hip_bfloat16S0_LN4vllm18Fp8KVCacheDataTypeE0ES0_Li32ELi64ELi256ELb0ELi1EEvPKT_PKT0_S8_ifPKiSA_SA_iPKfiiiPfSD_PS3_PT2_iSC_SC_.uses_vcc, or(1, .L__assert_fail.uses_vcc)
	.set _Z39paged_attention_ll4mi_QKV_mfma16_kernelI14__hip_bfloat16S0_LN4vllm18Fp8KVCacheDataTypeE0ES0_Li32ELi64ELi256ELb0ELi1EEvPKT_PKT0_S8_ifPKiSA_SA_iPKfiiiPfSD_PS3_PT2_iSC_SC_.uses_flat_scratch, or(0, .L__assert_fail.uses_flat_scratch)
	.set _Z39paged_attention_ll4mi_QKV_mfma16_kernelI14__hip_bfloat16S0_LN4vllm18Fp8KVCacheDataTypeE0ES0_Li32ELi64ELi256ELb0ELi1EEvPKT_PKT0_S8_ifPKiSA_SA_iPKfiiiPfSD_PS3_PT2_iSC_SC_.has_dyn_sized_stack, or(0, .L__assert_fail.has_dyn_sized_stack)
	.set _Z39paged_attention_ll4mi_QKV_mfma16_kernelI14__hip_bfloat16S0_LN4vllm18Fp8KVCacheDataTypeE0ES0_Li32ELi64ELi256ELb0ELi1EEvPKT_PKT0_S8_ifPKiSA_SA_iPKfiiiPfSD_PS3_PT2_iSC_SC_.has_recursion, or(0, .L__assert_fail.has_recursion)
	.set _Z39paged_attention_ll4mi_QKV_mfma16_kernelI14__hip_bfloat16S0_LN4vllm18Fp8KVCacheDataTypeE0ES0_Li32ELi64ELi256ELb0ELi1EEvPKT_PKT0_S8_ifPKiSA_SA_iPKfiiiPfSD_PS3_PT2_iSC_SC_.has_indirect_call, or(0, .L__assert_fail.has_indirect_call)
	.section	.AMDGPU.csdata,"",@progbits
; Kernel info:
; codeLenInByte = 68
; TotalNumSgprs: 36
; NumVgprs: 51
; ScratchSize: 64
; MemoryBound: 0
; FloatMode: 240
; IeeeMode: 1
; LDSByteSize: 0 bytes/workgroup (compile time only)
; SGPRBlocks: 0
; VGPRBlocks: 3
; NumSGPRsForWavesPerEU: 36
; NumVGPRsForWavesPerEU: 51
; NamedBarCnt: 0
; Occupancy: 16
; WaveLimiterHint : 1
; COMPUTE_PGM_RSRC2:SCRATCH_EN: 1
; COMPUTE_PGM_RSRC2:USER_SGPR: 2
; COMPUTE_PGM_RSRC2:TRAP_HANDLER: 0
; COMPUTE_PGM_RSRC2:TGID_X_EN: 1
; COMPUTE_PGM_RSRC2:TGID_Y_EN: 0
; COMPUTE_PGM_RSRC2:TGID_Z_EN: 0
; COMPUTE_PGM_RSRC2:TIDIG_COMP_CNT: 0
	.section	.text._Z39paged_attention_ll4mi_QKV_mfma16_kernelI14__hip_bfloat16S0_LN4vllm18Fp8KVCacheDataTypeE0ES0_Li32ELi64ELi256ELb0ELi2EEvPKT_PKT0_S8_ifPKiSA_SA_iPKfiiiPfSD_PS3_PT2_iSC_SC_,"axG",@progbits,_Z39paged_attention_ll4mi_QKV_mfma16_kernelI14__hip_bfloat16S0_LN4vllm18Fp8KVCacheDataTypeE0ES0_Li32ELi64ELi256ELb0ELi2EEvPKT_PKT0_S8_ifPKiSA_SA_iPKfiiiPfSD_PS3_PT2_iSC_SC_,comdat
	.protected	_Z39paged_attention_ll4mi_QKV_mfma16_kernelI14__hip_bfloat16S0_LN4vllm18Fp8KVCacheDataTypeE0ES0_Li32ELi64ELi256ELb0ELi2EEvPKT_PKT0_S8_ifPKiSA_SA_iPKfiiiPfSD_PS3_PT2_iSC_SC_ ; -- Begin function _Z39paged_attention_ll4mi_QKV_mfma16_kernelI14__hip_bfloat16S0_LN4vllm18Fp8KVCacheDataTypeE0ES0_Li32ELi64ELi256ELb0ELi2EEvPKT_PKT0_S8_ifPKiSA_SA_iPKfiiiPfSD_PS3_PT2_iSC_SC_
	.globl	_Z39paged_attention_ll4mi_QKV_mfma16_kernelI14__hip_bfloat16S0_LN4vllm18Fp8KVCacheDataTypeE0ES0_Li32ELi64ELi256ELb0ELi2EEvPKT_PKT0_S8_ifPKiSA_SA_iPKfiiiPfSD_PS3_PT2_iSC_SC_
	.p2align	8
	.type	_Z39paged_attention_ll4mi_QKV_mfma16_kernelI14__hip_bfloat16S0_LN4vllm18Fp8KVCacheDataTypeE0ES0_Li32ELi64ELi256ELb0ELi2EEvPKT_PKT0_S8_ifPKiSA_SA_iPKfiiiPfSD_PS3_PT2_iSC_SC_,@function
_Z39paged_attention_ll4mi_QKV_mfma16_kernelI14__hip_bfloat16S0_LN4vllm18Fp8KVCacheDataTypeE0ES0_Li32ELi64ELi256ELb0ELi2EEvPKT_PKT0_S8_ifPKiSA_SA_iPKfiiiPfSD_PS3_PT2_iSC_SC_: ; @_Z39paged_attention_ll4mi_QKV_mfma16_kernelI14__hip_bfloat16S0_LN4vllm18Fp8KVCacheDataTypeE0ES0_Li32ELi64ELi256ELb0ELi2EEvPKT_PKT0_S8_ifPKiSA_SA_iPKfiiiPfSD_PS3_PT2_iSC_SC_
; %bb.0:
	s_get_pc_i64 s[2:3]
	s_add_nc_u64 s[2:3], s[2:3], __PRETTY_FUNCTION__._Z39paged_attention_ll4mi_QKV_mfma16_kernelI14__hip_bfloat16S0_LN4vllm18Fp8KVCacheDataTypeE0ES0_Li32ELi64ELi256ELb0ELi2EEvPKT_PKT0_S8_ifPKiSA_SA_iPKfiiiPfSD_PS3_PT2_iSC_SC_@rel64+4
	s_delay_alu instid0(SALU_CYCLE_1)
	v_dual_mov_b32 v0, 0xbb3 :: v_dual_mov_b32 v1, s2
	v_mov_b32_e32 v2, s3
	s_add_nc_u64 s[8:9], s[0:1], 0x90
	s_get_pc_i64 s[0:1]
	s_add_nc_u64 s[0:1], s[0:1], __assert_fail@rel64+4
	s_mov_b32 s32, 0
	s_swap_pc_i64 s[30:31], s[0:1]
	.section	.rodata,"a",@progbits
	.p2align	6, 0x0
	.amdhsa_kernel _Z39paged_attention_ll4mi_QKV_mfma16_kernelI14__hip_bfloat16S0_LN4vllm18Fp8KVCacheDataTypeE0ES0_Li32ELi64ELi256ELb0ELi2EEvPKT_PKT0_S8_ifPKiSA_SA_iPKfiiiPfSD_PS3_PT2_iSC_SC_
		.amdhsa_group_segment_fixed_size 0
		.amdhsa_private_segment_fixed_size 64
		.amdhsa_kernarg_size 400
		.amdhsa_user_sgpr_count 2
		.amdhsa_user_sgpr_dispatch_ptr 0
		.amdhsa_user_sgpr_queue_ptr 0
		.amdhsa_user_sgpr_kernarg_segment_ptr 1
		.amdhsa_user_sgpr_dispatch_id 0
		.amdhsa_user_sgpr_kernarg_preload_length 0
		.amdhsa_user_sgpr_kernarg_preload_offset 0
		.amdhsa_user_sgpr_private_segment_size 0
		.amdhsa_wavefront_size32 1
		.amdhsa_uses_dynamic_stack 0
		.amdhsa_enable_private_segment 1
		.amdhsa_system_sgpr_workgroup_id_x 1
		.amdhsa_system_sgpr_workgroup_id_y 0
		.amdhsa_system_sgpr_workgroup_id_z 0
		.amdhsa_system_sgpr_workgroup_info 0
		.amdhsa_system_vgpr_workitem_id 0
		.amdhsa_next_free_vgpr 51
		.amdhsa_next_free_sgpr 34
		.amdhsa_named_barrier_count 0
		.amdhsa_reserve_vcc 1
		.amdhsa_float_round_mode_32 0
		.amdhsa_float_round_mode_16_64 0
		.amdhsa_float_denorm_mode_32 3
		.amdhsa_float_denorm_mode_16_64 3
		.amdhsa_fp16_overflow 0
		.amdhsa_memory_ordered 1
		.amdhsa_forward_progress 1
		.amdhsa_inst_pref_size 1
		.amdhsa_round_robin_scheduling 0
		.amdhsa_exception_fp_ieee_invalid_op 0
		.amdhsa_exception_fp_denorm_src 0
		.amdhsa_exception_fp_ieee_div_zero 0
		.amdhsa_exception_fp_ieee_overflow 0
		.amdhsa_exception_fp_ieee_underflow 0
		.amdhsa_exception_fp_ieee_inexact 0
		.amdhsa_exception_int_div_zero 0
	.end_amdhsa_kernel
	.section	.text._Z39paged_attention_ll4mi_QKV_mfma16_kernelI14__hip_bfloat16S0_LN4vllm18Fp8KVCacheDataTypeE0ES0_Li32ELi64ELi256ELb0ELi2EEvPKT_PKT0_S8_ifPKiSA_SA_iPKfiiiPfSD_PS3_PT2_iSC_SC_,"axG",@progbits,_Z39paged_attention_ll4mi_QKV_mfma16_kernelI14__hip_bfloat16S0_LN4vllm18Fp8KVCacheDataTypeE0ES0_Li32ELi64ELi256ELb0ELi2EEvPKT_PKT0_S8_ifPKiSA_SA_iPKfiiiPfSD_PS3_PT2_iSC_SC_,comdat
.Lfunc_end575:
	.size	_Z39paged_attention_ll4mi_QKV_mfma16_kernelI14__hip_bfloat16S0_LN4vllm18Fp8KVCacheDataTypeE0ES0_Li32ELi64ELi256ELb0ELi2EEvPKT_PKT0_S8_ifPKiSA_SA_iPKfiiiPfSD_PS3_PT2_iSC_SC_, .Lfunc_end575-_Z39paged_attention_ll4mi_QKV_mfma16_kernelI14__hip_bfloat16S0_LN4vllm18Fp8KVCacheDataTypeE0ES0_Li32ELi64ELi256ELb0ELi2EEvPKT_PKT0_S8_ifPKiSA_SA_iPKfiiiPfSD_PS3_PT2_iSC_SC_
                                        ; -- End function
	.set _Z39paged_attention_ll4mi_QKV_mfma16_kernelI14__hip_bfloat16S0_LN4vllm18Fp8KVCacheDataTypeE0ES0_Li32ELi64ELi256ELb0ELi2EEvPKT_PKT0_S8_ifPKiSA_SA_iPKfiiiPfSD_PS3_PT2_iSC_SC_.num_vgpr, max(3, .L__assert_fail.num_vgpr)
	.set _Z39paged_attention_ll4mi_QKV_mfma16_kernelI14__hip_bfloat16S0_LN4vllm18Fp8KVCacheDataTypeE0ES0_Li32ELi64ELi256ELb0ELi2EEvPKT_PKT0_S8_ifPKiSA_SA_iPKfiiiPfSD_PS3_PT2_iSC_SC_.num_agpr, max(0, .L__assert_fail.num_agpr)
	.set _Z39paged_attention_ll4mi_QKV_mfma16_kernelI14__hip_bfloat16S0_LN4vllm18Fp8KVCacheDataTypeE0ES0_Li32ELi64ELi256ELb0ELi2EEvPKT_PKT0_S8_ifPKiSA_SA_iPKfiiiPfSD_PS3_PT2_iSC_SC_.numbered_sgpr, max(33, .L__assert_fail.numbered_sgpr)
	.set _Z39paged_attention_ll4mi_QKV_mfma16_kernelI14__hip_bfloat16S0_LN4vllm18Fp8KVCacheDataTypeE0ES0_Li32ELi64ELi256ELb0ELi2EEvPKT_PKT0_S8_ifPKiSA_SA_iPKfiiiPfSD_PS3_PT2_iSC_SC_.num_named_barrier, max(0, .L__assert_fail.num_named_barrier)
	.set _Z39paged_attention_ll4mi_QKV_mfma16_kernelI14__hip_bfloat16S0_LN4vllm18Fp8KVCacheDataTypeE0ES0_Li32ELi64ELi256ELb0ELi2EEvPKT_PKT0_S8_ifPKiSA_SA_iPKfiiiPfSD_PS3_PT2_iSC_SC_.private_seg_size, 0+max(.L__assert_fail.private_seg_size)
	.set _Z39paged_attention_ll4mi_QKV_mfma16_kernelI14__hip_bfloat16S0_LN4vllm18Fp8KVCacheDataTypeE0ES0_Li32ELi64ELi256ELb0ELi2EEvPKT_PKT0_S8_ifPKiSA_SA_iPKfiiiPfSD_PS3_PT2_iSC_SC_.uses_vcc, or(1, .L__assert_fail.uses_vcc)
	.set _Z39paged_attention_ll4mi_QKV_mfma16_kernelI14__hip_bfloat16S0_LN4vllm18Fp8KVCacheDataTypeE0ES0_Li32ELi64ELi256ELb0ELi2EEvPKT_PKT0_S8_ifPKiSA_SA_iPKfiiiPfSD_PS3_PT2_iSC_SC_.uses_flat_scratch, or(0, .L__assert_fail.uses_flat_scratch)
	.set _Z39paged_attention_ll4mi_QKV_mfma16_kernelI14__hip_bfloat16S0_LN4vllm18Fp8KVCacheDataTypeE0ES0_Li32ELi64ELi256ELb0ELi2EEvPKT_PKT0_S8_ifPKiSA_SA_iPKfiiiPfSD_PS3_PT2_iSC_SC_.has_dyn_sized_stack, or(0, .L__assert_fail.has_dyn_sized_stack)
	.set _Z39paged_attention_ll4mi_QKV_mfma16_kernelI14__hip_bfloat16S0_LN4vllm18Fp8KVCacheDataTypeE0ES0_Li32ELi64ELi256ELb0ELi2EEvPKT_PKT0_S8_ifPKiSA_SA_iPKfiiiPfSD_PS3_PT2_iSC_SC_.has_recursion, or(0, .L__assert_fail.has_recursion)
	.set _Z39paged_attention_ll4mi_QKV_mfma16_kernelI14__hip_bfloat16S0_LN4vllm18Fp8KVCacheDataTypeE0ES0_Li32ELi64ELi256ELb0ELi2EEvPKT_PKT0_S8_ifPKiSA_SA_iPKfiiiPfSD_PS3_PT2_iSC_SC_.has_indirect_call, or(0, .L__assert_fail.has_indirect_call)
	.section	.AMDGPU.csdata,"",@progbits
; Kernel info:
; codeLenInByte = 68
; TotalNumSgprs: 36
; NumVgprs: 51
; ScratchSize: 64
; MemoryBound: 0
; FloatMode: 240
; IeeeMode: 1
; LDSByteSize: 0 bytes/workgroup (compile time only)
; SGPRBlocks: 0
; VGPRBlocks: 3
; NumSGPRsForWavesPerEU: 36
; NumVGPRsForWavesPerEU: 51
; NamedBarCnt: 0
; Occupancy: 16
; WaveLimiterHint : 1
; COMPUTE_PGM_RSRC2:SCRATCH_EN: 1
; COMPUTE_PGM_RSRC2:USER_SGPR: 2
; COMPUTE_PGM_RSRC2:TRAP_HANDLER: 0
; COMPUTE_PGM_RSRC2:TGID_X_EN: 1
; COMPUTE_PGM_RSRC2:TGID_Y_EN: 0
; COMPUTE_PGM_RSRC2:TGID_Z_EN: 0
; COMPUTE_PGM_RSRC2:TIDIG_COMP_CNT: 0
	.section	.text._Z39paged_attention_ll4mi_QKV_mfma16_kernelI14__hip_bfloat16S0_LN4vllm18Fp8KVCacheDataTypeE0ES0_Li32ELi64ELi256ELb0ELi3EEvPKT_PKT0_S8_ifPKiSA_SA_iPKfiiiPfSD_PS3_PT2_iSC_SC_,"axG",@progbits,_Z39paged_attention_ll4mi_QKV_mfma16_kernelI14__hip_bfloat16S0_LN4vllm18Fp8KVCacheDataTypeE0ES0_Li32ELi64ELi256ELb0ELi3EEvPKT_PKT0_S8_ifPKiSA_SA_iPKfiiiPfSD_PS3_PT2_iSC_SC_,comdat
	.protected	_Z39paged_attention_ll4mi_QKV_mfma16_kernelI14__hip_bfloat16S0_LN4vllm18Fp8KVCacheDataTypeE0ES0_Li32ELi64ELi256ELb0ELi3EEvPKT_PKT0_S8_ifPKiSA_SA_iPKfiiiPfSD_PS3_PT2_iSC_SC_ ; -- Begin function _Z39paged_attention_ll4mi_QKV_mfma16_kernelI14__hip_bfloat16S0_LN4vllm18Fp8KVCacheDataTypeE0ES0_Li32ELi64ELi256ELb0ELi3EEvPKT_PKT0_S8_ifPKiSA_SA_iPKfiiiPfSD_PS3_PT2_iSC_SC_
	.globl	_Z39paged_attention_ll4mi_QKV_mfma16_kernelI14__hip_bfloat16S0_LN4vllm18Fp8KVCacheDataTypeE0ES0_Li32ELi64ELi256ELb0ELi3EEvPKT_PKT0_S8_ifPKiSA_SA_iPKfiiiPfSD_PS3_PT2_iSC_SC_
	.p2align	8
	.type	_Z39paged_attention_ll4mi_QKV_mfma16_kernelI14__hip_bfloat16S0_LN4vllm18Fp8KVCacheDataTypeE0ES0_Li32ELi64ELi256ELb0ELi3EEvPKT_PKT0_S8_ifPKiSA_SA_iPKfiiiPfSD_PS3_PT2_iSC_SC_,@function
_Z39paged_attention_ll4mi_QKV_mfma16_kernelI14__hip_bfloat16S0_LN4vllm18Fp8KVCacheDataTypeE0ES0_Li32ELi64ELi256ELb0ELi3EEvPKT_PKT0_S8_ifPKiSA_SA_iPKfiiiPfSD_PS3_PT2_iSC_SC_: ; @_Z39paged_attention_ll4mi_QKV_mfma16_kernelI14__hip_bfloat16S0_LN4vllm18Fp8KVCacheDataTypeE0ES0_Li32ELi64ELi256ELb0ELi3EEvPKT_PKT0_S8_ifPKiSA_SA_iPKfiiiPfSD_PS3_PT2_iSC_SC_
; %bb.0:
	s_get_pc_i64 s[2:3]
	s_add_nc_u64 s[2:3], s[2:3], __PRETTY_FUNCTION__._Z39paged_attention_ll4mi_QKV_mfma16_kernelI14__hip_bfloat16S0_LN4vllm18Fp8KVCacheDataTypeE0ES0_Li32ELi64ELi256ELb0ELi3EEvPKT_PKT0_S8_ifPKiSA_SA_iPKfiiiPfSD_PS3_PT2_iSC_SC_@rel64+4
	s_delay_alu instid0(SALU_CYCLE_1)
	v_dual_mov_b32 v0, 0xbb3 :: v_dual_mov_b32 v1, s2
	v_mov_b32_e32 v2, s3
	s_add_nc_u64 s[8:9], s[0:1], 0x90
	s_get_pc_i64 s[0:1]
	s_add_nc_u64 s[0:1], s[0:1], __assert_fail@rel64+4
	s_mov_b32 s32, 0
	s_swap_pc_i64 s[30:31], s[0:1]
	.section	.rodata,"a",@progbits
	.p2align	6, 0x0
	.amdhsa_kernel _Z39paged_attention_ll4mi_QKV_mfma16_kernelI14__hip_bfloat16S0_LN4vllm18Fp8KVCacheDataTypeE0ES0_Li32ELi64ELi256ELb0ELi3EEvPKT_PKT0_S8_ifPKiSA_SA_iPKfiiiPfSD_PS3_PT2_iSC_SC_
		.amdhsa_group_segment_fixed_size 0
		.amdhsa_private_segment_fixed_size 64
		.amdhsa_kernarg_size 400
		.amdhsa_user_sgpr_count 2
		.amdhsa_user_sgpr_dispatch_ptr 0
		.amdhsa_user_sgpr_queue_ptr 0
		.amdhsa_user_sgpr_kernarg_segment_ptr 1
		.amdhsa_user_sgpr_dispatch_id 0
		.amdhsa_user_sgpr_kernarg_preload_length 0
		.amdhsa_user_sgpr_kernarg_preload_offset 0
		.amdhsa_user_sgpr_private_segment_size 0
		.amdhsa_wavefront_size32 1
		.amdhsa_uses_dynamic_stack 0
		.amdhsa_enable_private_segment 1
		.amdhsa_system_sgpr_workgroup_id_x 1
		.amdhsa_system_sgpr_workgroup_id_y 0
		.amdhsa_system_sgpr_workgroup_id_z 0
		.amdhsa_system_sgpr_workgroup_info 0
		.amdhsa_system_vgpr_workitem_id 0
		.amdhsa_next_free_vgpr 51
		.amdhsa_next_free_sgpr 34
		.amdhsa_named_barrier_count 0
		.amdhsa_reserve_vcc 1
		.amdhsa_float_round_mode_32 0
		.amdhsa_float_round_mode_16_64 0
		.amdhsa_float_denorm_mode_32 3
		.amdhsa_float_denorm_mode_16_64 3
		.amdhsa_fp16_overflow 0
		.amdhsa_memory_ordered 1
		.amdhsa_forward_progress 1
		.amdhsa_inst_pref_size 1
		.amdhsa_round_robin_scheduling 0
		.amdhsa_exception_fp_ieee_invalid_op 0
		.amdhsa_exception_fp_denorm_src 0
		.amdhsa_exception_fp_ieee_div_zero 0
		.amdhsa_exception_fp_ieee_overflow 0
		.amdhsa_exception_fp_ieee_underflow 0
		.amdhsa_exception_fp_ieee_inexact 0
		.amdhsa_exception_int_div_zero 0
	.end_amdhsa_kernel
	.section	.text._Z39paged_attention_ll4mi_QKV_mfma16_kernelI14__hip_bfloat16S0_LN4vllm18Fp8KVCacheDataTypeE0ES0_Li32ELi64ELi256ELb0ELi3EEvPKT_PKT0_S8_ifPKiSA_SA_iPKfiiiPfSD_PS3_PT2_iSC_SC_,"axG",@progbits,_Z39paged_attention_ll4mi_QKV_mfma16_kernelI14__hip_bfloat16S0_LN4vllm18Fp8KVCacheDataTypeE0ES0_Li32ELi64ELi256ELb0ELi3EEvPKT_PKT0_S8_ifPKiSA_SA_iPKfiiiPfSD_PS3_PT2_iSC_SC_,comdat
.Lfunc_end576:
	.size	_Z39paged_attention_ll4mi_QKV_mfma16_kernelI14__hip_bfloat16S0_LN4vllm18Fp8KVCacheDataTypeE0ES0_Li32ELi64ELi256ELb0ELi3EEvPKT_PKT0_S8_ifPKiSA_SA_iPKfiiiPfSD_PS3_PT2_iSC_SC_, .Lfunc_end576-_Z39paged_attention_ll4mi_QKV_mfma16_kernelI14__hip_bfloat16S0_LN4vllm18Fp8KVCacheDataTypeE0ES0_Li32ELi64ELi256ELb0ELi3EEvPKT_PKT0_S8_ifPKiSA_SA_iPKfiiiPfSD_PS3_PT2_iSC_SC_
                                        ; -- End function
	.set _Z39paged_attention_ll4mi_QKV_mfma16_kernelI14__hip_bfloat16S0_LN4vllm18Fp8KVCacheDataTypeE0ES0_Li32ELi64ELi256ELb0ELi3EEvPKT_PKT0_S8_ifPKiSA_SA_iPKfiiiPfSD_PS3_PT2_iSC_SC_.num_vgpr, max(3, .L__assert_fail.num_vgpr)
	.set _Z39paged_attention_ll4mi_QKV_mfma16_kernelI14__hip_bfloat16S0_LN4vllm18Fp8KVCacheDataTypeE0ES0_Li32ELi64ELi256ELb0ELi3EEvPKT_PKT0_S8_ifPKiSA_SA_iPKfiiiPfSD_PS3_PT2_iSC_SC_.num_agpr, max(0, .L__assert_fail.num_agpr)
	.set _Z39paged_attention_ll4mi_QKV_mfma16_kernelI14__hip_bfloat16S0_LN4vllm18Fp8KVCacheDataTypeE0ES0_Li32ELi64ELi256ELb0ELi3EEvPKT_PKT0_S8_ifPKiSA_SA_iPKfiiiPfSD_PS3_PT2_iSC_SC_.numbered_sgpr, max(33, .L__assert_fail.numbered_sgpr)
	.set _Z39paged_attention_ll4mi_QKV_mfma16_kernelI14__hip_bfloat16S0_LN4vllm18Fp8KVCacheDataTypeE0ES0_Li32ELi64ELi256ELb0ELi3EEvPKT_PKT0_S8_ifPKiSA_SA_iPKfiiiPfSD_PS3_PT2_iSC_SC_.num_named_barrier, max(0, .L__assert_fail.num_named_barrier)
	.set _Z39paged_attention_ll4mi_QKV_mfma16_kernelI14__hip_bfloat16S0_LN4vllm18Fp8KVCacheDataTypeE0ES0_Li32ELi64ELi256ELb0ELi3EEvPKT_PKT0_S8_ifPKiSA_SA_iPKfiiiPfSD_PS3_PT2_iSC_SC_.private_seg_size, 0+max(.L__assert_fail.private_seg_size)
	.set _Z39paged_attention_ll4mi_QKV_mfma16_kernelI14__hip_bfloat16S0_LN4vllm18Fp8KVCacheDataTypeE0ES0_Li32ELi64ELi256ELb0ELi3EEvPKT_PKT0_S8_ifPKiSA_SA_iPKfiiiPfSD_PS3_PT2_iSC_SC_.uses_vcc, or(1, .L__assert_fail.uses_vcc)
	.set _Z39paged_attention_ll4mi_QKV_mfma16_kernelI14__hip_bfloat16S0_LN4vllm18Fp8KVCacheDataTypeE0ES0_Li32ELi64ELi256ELb0ELi3EEvPKT_PKT0_S8_ifPKiSA_SA_iPKfiiiPfSD_PS3_PT2_iSC_SC_.uses_flat_scratch, or(0, .L__assert_fail.uses_flat_scratch)
	.set _Z39paged_attention_ll4mi_QKV_mfma16_kernelI14__hip_bfloat16S0_LN4vllm18Fp8KVCacheDataTypeE0ES0_Li32ELi64ELi256ELb0ELi3EEvPKT_PKT0_S8_ifPKiSA_SA_iPKfiiiPfSD_PS3_PT2_iSC_SC_.has_dyn_sized_stack, or(0, .L__assert_fail.has_dyn_sized_stack)
	.set _Z39paged_attention_ll4mi_QKV_mfma16_kernelI14__hip_bfloat16S0_LN4vllm18Fp8KVCacheDataTypeE0ES0_Li32ELi64ELi256ELb0ELi3EEvPKT_PKT0_S8_ifPKiSA_SA_iPKfiiiPfSD_PS3_PT2_iSC_SC_.has_recursion, or(0, .L__assert_fail.has_recursion)
	.set _Z39paged_attention_ll4mi_QKV_mfma16_kernelI14__hip_bfloat16S0_LN4vllm18Fp8KVCacheDataTypeE0ES0_Li32ELi64ELi256ELb0ELi3EEvPKT_PKT0_S8_ifPKiSA_SA_iPKfiiiPfSD_PS3_PT2_iSC_SC_.has_indirect_call, or(0, .L__assert_fail.has_indirect_call)
	.section	.AMDGPU.csdata,"",@progbits
; Kernel info:
; codeLenInByte = 68
; TotalNumSgprs: 36
; NumVgprs: 51
; ScratchSize: 64
; MemoryBound: 0
; FloatMode: 240
; IeeeMode: 1
; LDSByteSize: 0 bytes/workgroup (compile time only)
; SGPRBlocks: 0
; VGPRBlocks: 3
; NumSGPRsForWavesPerEU: 36
; NumVGPRsForWavesPerEU: 51
; NamedBarCnt: 0
; Occupancy: 16
; WaveLimiterHint : 1
; COMPUTE_PGM_RSRC2:SCRATCH_EN: 1
; COMPUTE_PGM_RSRC2:USER_SGPR: 2
; COMPUTE_PGM_RSRC2:TRAP_HANDLER: 0
; COMPUTE_PGM_RSRC2:TGID_X_EN: 1
; COMPUTE_PGM_RSRC2:TGID_Y_EN: 0
; COMPUTE_PGM_RSRC2:TGID_Z_EN: 0
; COMPUTE_PGM_RSRC2:TIDIG_COMP_CNT: 0
	.section	.text._Z39paged_attention_ll4mi_QKV_mfma16_kernelI14__hip_bfloat16S0_LN4vllm18Fp8KVCacheDataTypeE0ES0_Li32ELi64ELi256ELb0ELi4EEvPKT_PKT0_S8_ifPKiSA_SA_iPKfiiiPfSD_PS3_PT2_iSC_SC_,"axG",@progbits,_Z39paged_attention_ll4mi_QKV_mfma16_kernelI14__hip_bfloat16S0_LN4vllm18Fp8KVCacheDataTypeE0ES0_Li32ELi64ELi256ELb0ELi4EEvPKT_PKT0_S8_ifPKiSA_SA_iPKfiiiPfSD_PS3_PT2_iSC_SC_,comdat
	.protected	_Z39paged_attention_ll4mi_QKV_mfma16_kernelI14__hip_bfloat16S0_LN4vllm18Fp8KVCacheDataTypeE0ES0_Li32ELi64ELi256ELb0ELi4EEvPKT_PKT0_S8_ifPKiSA_SA_iPKfiiiPfSD_PS3_PT2_iSC_SC_ ; -- Begin function _Z39paged_attention_ll4mi_QKV_mfma16_kernelI14__hip_bfloat16S0_LN4vllm18Fp8KVCacheDataTypeE0ES0_Li32ELi64ELi256ELb0ELi4EEvPKT_PKT0_S8_ifPKiSA_SA_iPKfiiiPfSD_PS3_PT2_iSC_SC_
	.globl	_Z39paged_attention_ll4mi_QKV_mfma16_kernelI14__hip_bfloat16S0_LN4vllm18Fp8KVCacheDataTypeE0ES0_Li32ELi64ELi256ELb0ELi4EEvPKT_PKT0_S8_ifPKiSA_SA_iPKfiiiPfSD_PS3_PT2_iSC_SC_
	.p2align	8
	.type	_Z39paged_attention_ll4mi_QKV_mfma16_kernelI14__hip_bfloat16S0_LN4vllm18Fp8KVCacheDataTypeE0ES0_Li32ELi64ELi256ELb0ELi4EEvPKT_PKT0_S8_ifPKiSA_SA_iPKfiiiPfSD_PS3_PT2_iSC_SC_,@function
_Z39paged_attention_ll4mi_QKV_mfma16_kernelI14__hip_bfloat16S0_LN4vllm18Fp8KVCacheDataTypeE0ES0_Li32ELi64ELi256ELb0ELi4EEvPKT_PKT0_S8_ifPKiSA_SA_iPKfiiiPfSD_PS3_PT2_iSC_SC_: ; @_Z39paged_attention_ll4mi_QKV_mfma16_kernelI14__hip_bfloat16S0_LN4vllm18Fp8KVCacheDataTypeE0ES0_Li32ELi64ELi256ELb0ELi4EEvPKT_PKT0_S8_ifPKiSA_SA_iPKfiiiPfSD_PS3_PT2_iSC_SC_
; %bb.0:
	s_get_pc_i64 s[2:3]
	s_add_nc_u64 s[2:3], s[2:3], __PRETTY_FUNCTION__._Z39paged_attention_ll4mi_QKV_mfma16_kernelI14__hip_bfloat16S0_LN4vllm18Fp8KVCacheDataTypeE0ES0_Li32ELi64ELi256ELb0ELi4EEvPKT_PKT0_S8_ifPKiSA_SA_iPKfiiiPfSD_PS3_PT2_iSC_SC_@rel64+4
	s_delay_alu instid0(SALU_CYCLE_1)
	v_dual_mov_b32 v0, 0xbb3 :: v_dual_mov_b32 v1, s2
	v_mov_b32_e32 v2, s3
	s_add_nc_u64 s[8:9], s[0:1], 0x90
	s_get_pc_i64 s[0:1]
	s_add_nc_u64 s[0:1], s[0:1], __assert_fail@rel64+4
	s_mov_b32 s32, 0
	s_swap_pc_i64 s[30:31], s[0:1]
	.section	.rodata,"a",@progbits
	.p2align	6, 0x0
	.amdhsa_kernel _Z39paged_attention_ll4mi_QKV_mfma16_kernelI14__hip_bfloat16S0_LN4vllm18Fp8KVCacheDataTypeE0ES0_Li32ELi64ELi256ELb0ELi4EEvPKT_PKT0_S8_ifPKiSA_SA_iPKfiiiPfSD_PS3_PT2_iSC_SC_
		.amdhsa_group_segment_fixed_size 0
		.amdhsa_private_segment_fixed_size 64
		.amdhsa_kernarg_size 400
		.amdhsa_user_sgpr_count 2
		.amdhsa_user_sgpr_dispatch_ptr 0
		.amdhsa_user_sgpr_queue_ptr 0
		.amdhsa_user_sgpr_kernarg_segment_ptr 1
		.amdhsa_user_sgpr_dispatch_id 0
		.amdhsa_user_sgpr_kernarg_preload_length 0
		.amdhsa_user_sgpr_kernarg_preload_offset 0
		.amdhsa_user_sgpr_private_segment_size 0
		.amdhsa_wavefront_size32 1
		.amdhsa_uses_dynamic_stack 0
		.amdhsa_enable_private_segment 1
		.amdhsa_system_sgpr_workgroup_id_x 1
		.amdhsa_system_sgpr_workgroup_id_y 0
		.amdhsa_system_sgpr_workgroup_id_z 0
		.amdhsa_system_sgpr_workgroup_info 0
		.amdhsa_system_vgpr_workitem_id 0
		.amdhsa_next_free_vgpr 51
		.amdhsa_next_free_sgpr 34
		.amdhsa_named_barrier_count 0
		.amdhsa_reserve_vcc 1
		.amdhsa_float_round_mode_32 0
		.amdhsa_float_round_mode_16_64 0
		.amdhsa_float_denorm_mode_32 3
		.amdhsa_float_denorm_mode_16_64 3
		.amdhsa_fp16_overflow 0
		.amdhsa_memory_ordered 1
		.amdhsa_forward_progress 1
		.amdhsa_inst_pref_size 1
		.amdhsa_round_robin_scheduling 0
		.amdhsa_exception_fp_ieee_invalid_op 0
		.amdhsa_exception_fp_denorm_src 0
		.amdhsa_exception_fp_ieee_div_zero 0
		.amdhsa_exception_fp_ieee_overflow 0
		.amdhsa_exception_fp_ieee_underflow 0
		.amdhsa_exception_fp_ieee_inexact 0
		.amdhsa_exception_int_div_zero 0
	.end_amdhsa_kernel
	.section	.text._Z39paged_attention_ll4mi_QKV_mfma16_kernelI14__hip_bfloat16S0_LN4vllm18Fp8KVCacheDataTypeE0ES0_Li32ELi64ELi256ELb0ELi4EEvPKT_PKT0_S8_ifPKiSA_SA_iPKfiiiPfSD_PS3_PT2_iSC_SC_,"axG",@progbits,_Z39paged_attention_ll4mi_QKV_mfma16_kernelI14__hip_bfloat16S0_LN4vllm18Fp8KVCacheDataTypeE0ES0_Li32ELi64ELi256ELb0ELi4EEvPKT_PKT0_S8_ifPKiSA_SA_iPKfiiiPfSD_PS3_PT2_iSC_SC_,comdat
.Lfunc_end577:
	.size	_Z39paged_attention_ll4mi_QKV_mfma16_kernelI14__hip_bfloat16S0_LN4vllm18Fp8KVCacheDataTypeE0ES0_Li32ELi64ELi256ELb0ELi4EEvPKT_PKT0_S8_ifPKiSA_SA_iPKfiiiPfSD_PS3_PT2_iSC_SC_, .Lfunc_end577-_Z39paged_attention_ll4mi_QKV_mfma16_kernelI14__hip_bfloat16S0_LN4vllm18Fp8KVCacheDataTypeE0ES0_Li32ELi64ELi256ELb0ELi4EEvPKT_PKT0_S8_ifPKiSA_SA_iPKfiiiPfSD_PS3_PT2_iSC_SC_
                                        ; -- End function
	.set _Z39paged_attention_ll4mi_QKV_mfma16_kernelI14__hip_bfloat16S0_LN4vllm18Fp8KVCacheDataTypeE0ES0_Li32ELi64ELi256ELb0ELi4EEvPKT_PKT0_S8_ifPKiSA_SA_iPKfiiiPfSD_PS3_PT2_iSC_SC_.num_vgpr, max(3, .L__assert_fail.num_vgpr)
	.set _Z39paged_attention_ll4mi_QKV_mfma16_kernelI14__hip_bfloat16S0_LN4vllm18Fp8KVCacheDataTypeE0ES0_Li32ELi64ELi256ELb0ELi4EEvPKT_PKT0_S8_ifPKiSA_SA_iPKfiiiPfSD_PS3_PT2_iSC_SC_.num_agpr, max(0, .L__assert_fail.num_agpr)
	.set _Z39paged_attention_ll4mi_QKV_mfma16_kernelI14__hip_bfloat16S0_LN4vllm18Fp8KVCacheDataTypeE0ES0_Li32ELi64ELi256ELb0ELi4EEvPKT_PKT0_S8_ifPKiSA_SA_iPKfiiiPfSD_PS3_PT2_iSC_SC_.numbered_sgpr, max(33, .L__assert_fail.numbered_sgpr)
	.set _Z39paged_attention_ll4mi_QKV_mfma16_kernelI14__hip_bfloat16S0_LN4vllm18Fp8KVCacheDataTypeE0ES0_Li32ELi64ELi256ELb0ELi4EEvPKT_PKT0_S8_ifPKiSA_SA_iPKfiiiPfSD_PS3_PT2_iSC_SC_.num_named_barrier, max(0, .L__assert_fail.num_named_barrier)
	.set _Z39paged_attention_ll4mi_QKV_mfma16_kernelI14__hip_bfloat16S0_LN4vllm18Fp8KVCacheDataTypeE0ES0_Li32ELi64ELi256ELb0ELi4EEvPKT_PKT0_S8_ifPKiSA_SA_iPKfiiiPfSD_PS3_PT2_iSC_SC_.private_seg_size, 0+max(.L__assert_fail.private_seg_size)
	.set _Z39paged_attention_ll4mi_QKV_mfma16_kernelI14__hip_bfloat16S0_LN4vllm18Fp8KVCacheDataTypeE0ES0_Li32ELi64ELi256ELb0ELi4EEvPKT_PKT0_S8_ifPKiSA_SA_iPKfiiiPfSD_PS3_PT2_iSC_SC_.uses_vcc, or(1, .L__assert_fail.uses_vcc)
	.set _Z39paged_attention_ll4mi_QKV_mfma16_kernelI14__hip_bfloat16S0_LN4vllm18Fp8KVCacheDataTypeE0ES0_Li32ELi64ELi256ELb0ELi4EEvPKT_PKT0_S8_ifPKiSA_SA_iPKfiiiPfSD_PS3_PT2_iSC_SC_.uses_flat_scratch, or(0, .L__assert_fail.uses_flat_scratch)
	.set _Z39paged_attention_ll4mi_QKV_mfma16_kernelI14__hip_bfloat16S0_LN4vllm18Fp8KVCacheDataTypeE0ES0_Li32ELi64ELi256ELb0ELi4EEvPKT_PKT0_S8_ifPKiSA_SA_iPKfiiiPfSD_PS3_PT2_iSC_SC_.has_dyn_sized_stack, or(0, .L__assert_fail.has_dyn_sized_stack)
	.set _Z39paged_attention_ll4mi_QKV_mfma16_kernelI14__hip_bfloat16S0_LN4vllm18Fp8KVCacheDataTypeE0ES0_Li32ELi64ELi256ELb0ELi4EEvPKT_PKT0_S8_ifPKiSA_SA_iPKfiiiPfSD_PS3_PT2_iSC_SC_.has_recursion, or(0, .L__assert_fail.has_recursion)
	.set _Z39paged_attention_ll4mi_QKV_mfma16_kernelI14__hip_bfloat16S0_LN4vllm18Fp8KVCacheDataTypeE0ES0_Li32ELi64ELi256ELb0ELi4EEvPKT_PKT0_S8_ifPKiSA_SA_iPKfiiiPfSD_PS3_PT2_iSC_SC_.has_indirect_call, or(0, .L__assert_fail.has_indirect_call)
	.section	.AMDGPU.csdata,"",@progbits
; Kernel info:
; codeLenInByte = 68
; TotalNumSgprs: 36
; NumVgprs: 51
; ScratchSize: 64
; MemoryBound: 0
; FloatMode: 240
; IeeeMode: 1
; LDSByteSize: 0 bytes/workgroup (compile time only)
; SGPRBlocks: 0
; VGPRBlocks: 3
; NumSGPRsForWavesPerEU: 36
; NumVGPRsForWavesPerEU: 51
; NamedBarCnt: 0
; Occupancy: 16
; WaveLimiterHint : 1
; COMPUTE_PGM_RSRC2:SCRATCH_EN: 1
; COMPUTE_PGM_RSRC2:USER_SGPR: 2
; COMPUTE_PGM_RSRC2:TRAP_HANDLER: 0
; COMPUTE_PGM_RSRC2:TGID_X_EN: 1
; COMPUTE_PGM_RSRC2:TGID_Y_EN: 0
; COMPUTE_PGM_RSRC2:TGID_Z_EN: 0
; COMPUTE_PGM_RSRC2:TIDIG_COMP_CNT: 0
	.section	.text._Z38paged_attention_ll4mi_QKV_mfma4_kernelI14__hip_bfloat16S0_LN4vllm18Fp8KVCacheDataTypeE0EhLi16ELi128ELi256ELb1ELi1EEvPKT_PKT0_S8_ifPKiSA_SA_iPKfiiiPfSD_PS3_PT2_iSC_SC_,"axG",@progbits,_Z38paged_attention_ll4mi_QKV_mfma4_kernelI14__hip_bfloat16S0_LN4vllm18Fp8KVCacheDataTypeE0EhLi16ELi128ELi256ELb1ELi1EEvPKT_PKT0_S8_ifPKiSA_SA_iPKfiiiPfSD_PS3_PT2_iSC_SC_,comdat
	.protected	_Z38paged_attention_ll4mi_QKV_mfma4_kernelI14__hip_bfloat16S0_LN4vllm18Fp8KVCacheDataTypeE0EhLi16ELi128ELi256ELb1ELi1EEvPKT_PKT0_S8_ifPKiSA_SA_iPKfiiiPfSD_PS3_PT2_iSC_SC_ ; -- Begin function _Z38paged_attention_ll4mi_QKV_mfma4_kernelI14__hip_bfloat16S0_LN4vllm18Fp8KVCacheDataTypeE0EhLi16ELi128ELi256ELb1ELi1EEvPKT_PKT0_S8_ifPKiSA_SA_iPKfiiiPfSD_PS3_PT2_iSC_SC_
	.globl	_Z38paged_attention_ll4mi_QKV_mfma4_kernelI14__hip_bfloat16S0_LN4vllm18Fp8KVCacheDataTypeE0EhLi16ELi128ELi256ELb1ELi1EEvPKT_PKT0_S8_ifPKiSA_SA_iPKfiiiPfSD_PS3_PT2_iSC_SC_
	.p2align	8
	.type	_Z38paged_attention_ll4mi_QKV_mfma4_kernelI14__hip_bfloat16S0_LN4vllm18Fp8KVCacheDataTypeE0EhLi16ELi128ELi256ELb1ELi1EEvPKT_PKT0_S8_ifPKiSA_SA_iPKfiiiPfSD_PS3_PT2_iSC_SC_,@function
_Z38paged_attention_ll4mi_QKV_mfma4_kernelI14__hip_bfloat16S0_LN4vllm18Fp8KVCacheDataTypeE0EhLi16ELi128ELi256ELb1ELi1EEvPKT_PKT0_S8_ifPKiSA_SA_iPKfiiiPfSD_PS3_PT2_iSC_SC_: ; @_Z38paged_attention_ll4mi_QKV_mfma4_kernelI14__hip_bfloat16S0_LN4vllm18Fp8KVCacheDataTypeE0EhLi16ELi128ELi256ELb1ELi1EEvPKT_PKT0_S8_ifPKiSA_SA_iPKfiiiPfSD_PS3_PT2_iSC_SC_
; %bb.0:
	s_get_pc_i64 s[2:3]
	s_add_nc_u64 s[2:3], s[2:3], __PRETTY_FUNCTION__._Z38paged_attention_ll4mi_QKV_mfma4_kernelI14__hip_bfloat16S0_LN4vllm18Fp8KVCacheDataTypeE0EhLi16ELi128ELi256ELb1ELi1EEvPKT_PKT0_S8_ifPKiSA_SA_iPKfiiiPfSD_PS3_PT2_iSC_SC_@rel64+4
	s_delay_alu instid0(SALU_CYCLE_1)
	v_dual_mov_b32 v0, 0xbce :: v_dual_mov_b32 v1, s2
	v_mov_b32_e32 v2, s3
	s_add_nc_u64 s[8:9], s[0:1], 0x90
	s_get_pc_i64 s[0:1]
	s_add_nc_u64 s[0:1], s[0:1], __assert_fail@rel64+4
	s_mov_b32 s32, 0
	s_swap_pc_i64 s[30:31], s[0:1]
	.section	.rodata,"a",@progbits
	.p2align	6, 0x0
	.amdhsa_kernel _Z38paged_attention_ll4mi_QKV_mfma4_kernelI14__hip_bfloat16S0_LN4vllm18Fp8KVCacheDataTypeE0EhLi16ELi128ELi256ELb1ELi1EEvPKT_PKT0_S8_ifPKiSA_SA_iPKfiiiPfSD_PS3_PT2_iSC_SC_
		.amdhsa_group_segment_fixed_size 0
		.amdhsa_private_segment_fixed_size 64
		.amdhsa_kernarg_size 400
		.amdhsa_user_sgpr_count 2
		.amdhsa_user_sgpr_dispatch_ptr 0
		.amdhsa_user_sgpr_queue_ptr 0
		.amdhsa_user_sgpr_kernarg_segment_ptr 1
		.amdhsa_user_sgpr_dispatch_id 0
		.amdhsa_user_sgpr_kernarg_preload_length 0
		.amdhsa_user_sgpr_kernarg_preload_offset 0
		.amdhsa_user_sgpr_private_segment_size 0
		.amdhsa_wavefront_size32 1
		.amdhsa_uses_dynamic_stack 0
		.amdhsa_enable_private_segment 1
		.amdhsa_system_sgpr_workgroup_id_x 1
		.amdhsa_system_sgpr_workgroup_id_y 0
		.amdhsa_system_sgpr_workgroup_id_z 0
		.amdhsa_system_sgpr_workgroup_info 0
		.amdhsa_system_vgpr_workitem_id 0
		.amdhsa_next_free_vgpr 51
		.amdhsa_next_free_sgpr 34
		.amdhsa_named_barrier_count 0
		.amdhsa_reserve_vcc 1
		.amdhsa_float_round_mode_32 0
		.amdhsa_float_round_mode_16_64 0
		.amdhsa_float_denorm_mode_32 3
		.amdhsa_float_denorm_mode_16_64 3
		.amdhsa_fp16_overflow 0
		.amdhsa_memory_ordered 1
		.amdhsa_forward_progress 1
		.amdhsa_inst_pref_size 1
		.amdhsa_round_robin_scheduling 0
		.amdhsa_exception_fp_ieee_invalid_op 0
		.amdhsa_exception_fp_denorm_src 0
		.amdhsa_exception_fp_ieee_div_zero 0
		.amdhsa_exception_fp_ieee_overflow 0
		.amdhsa_exception_fp_ieee_underflow 0
		.amdhsa_exception_fp_ieee_inexact 0
		.amdhsa_exception_int_div_zero 0
	.end_amdhsa_kernel
	.section	.text._Z38paged_attention_ll4mi_QKV_mfma4_kernelI14__hip_bfloat16S0_LN4vllm18Fp8KVCacheDataTypeE0EhLi16ELi128ELi256ELb1ELi1EEvPKT_PKT0_S8_ifPKiSA_SA_iPKfiiiPfSD_PS3_PT2_iSC_SC_,"axG",@progbits,_Z38paged_attention_ll4mi_QKV_mfma4_kernelI14__hip_bfloat16S0_LN4vllm18Fp8KVCacheDataTypeE0EhLi16ELi128ELi256ELb1ELi1EEvPKT_PKT0_S8_ifPKiSA_SA_iPKfiiiPfSD_PS3_PT2_iSC_SC_,comdat
.Lfunc_end578:
	.size	_Z38paged_attention_ll4mi_QKV_mfma4_kernelI14__hip_bfloat16S0_LN4vllm18Fp8KVCacheDataTypeE0EhLi16ELi128ELi256ELb1ELi1EEvPKT_PKT0_S8_ifPKiSA_SA_iPKfiiiPfSD_PS3_PT2_iSC_SC_, .Lfunc_end578-_Z38paged_attention_ll4mi_QKV_mfma4_kernelI14__hip_bfloat16S0_LN4vllm18Fp8KVCacheDataTypeE0EhLi16ELi128ELi256ELb1ELi1EEvPKT_PKT0_S8_ifPKiSA_SA_iPKfiiiPfSD_PS3_PT2_iSC_SC_
                                        ; -- End function
	.set _Z38paged_attention_ll4mi_QKV_mfma4_kernelI14__hip_bfloat16S0_LN4vllm18Fp8KVCacheDataTypeE0EhLi16ELi128ELi256ELb1ELi1EEvPKT_PKT0_S8_ifPKiSA_SA_iPKfiiiPfSD_PS3_PT2_iSC_SC_.num_vgpr, max(3, .L__assert_fail.num_vgpr)
	.set _Z38paged_attention_ll4mi_QKV_mfma4_kernelI14__hip_bfloat16S0_LN4vllm18Fp8KVCacheDataTypeE0EhLi16ELi128ELi256ELb1ELi1EEvPKT_PKT0_S8_ifPKiSA_SA_iPKfiiiPfSD_PS3_PT2_iSC_SC_.num_agpr, max(0, .L__assert_fail.num_agpr)
	.set _Z38paged_attention_ll4mi_QKV_mfma4_kernelI14__hip_bfloat16S0_LN4vllm18Fp8KVCacheDataTypeE0EhLi16ELi128ELi256ELb1ELi1EEvPKT_PKT0_S8_ifPKiSA_SA_iPKfiiiPfSD_PS3_PT2_iSC_SC_.numbered_sgpr, max(33, .L__assert_fail.numbered_sgpr)
	.set _Z38paged_attention_ll4mi_QKV_mfma4_kernelI14__hip_bfloat16S0_LN4vllm18Fp8KVCacheDataTypeE0EhLi16ELi128ELi256ELb1ELi1EEvPKT_PKT0_S8_ifPKiSA_SA_iPKfiiiPfSD_PS3_PT2_iSC_SC_.num_named_barrier, max(0, .L__assert_fail.num_named_barrier)
	.set _Z38paged_attention_ll4mi_QKV_mfma4_kernelI14__hip_bfloat16S0_LN4vllm18Fp8KVCacheDataTypeE0EhLi16ELi128ELi256ELb1ELi1EEvPKT_PKT0_S8_ifPKiSA_SA_iPKfiiiPfSD_PS3_PT2_iSC_SC_.private_seg_size, 0+max(.L__assert_fail.private_seg_size)
	.set _Z38paged_attention_ll4mi_QKV_mfma4_kernelI14__hip_bfloat16S0_LN4vllm18Fp8KVCacheDataTypeE0EhLi16ELi128ELi256ELb1ELi1EEvPKT_PKT0_S8_ifPKiSA_SA_iPKfiiiPfSD_PS3_PT2_iSC_SC_.uses_vcc, or(1, .L__assert_fail.uses_vcc)
	.set _Z38paged_attention_ll4mi_QKV_mfma4_kernelI14__hip_bfloat16S0_LN4vllm18Fp8KVCacheDataTypeE0EhLi16ELi128ELi256ELb1ELi1EEvPKT_PKT0_S8_ifPKiSA_SA_iPKfiiiPfSD_PS3_PT2_iSC_SC_.uses_flat_scratch, or(0, .L__assert_fail.uses_flat_scratch)
	.set _Z38paged_attention_ll4mi_QKV_mfma4_kernelI14__hip_bfloat16S0_LN4vllm18Fp8KVCacheDataTypeE0EhLi16ELi128ELi256ELb1ELi1EEvPKT_PKT0_S8_ifPKiSA_SA_iPKfiiiPfSD_PS3_PT2_iSC_SC_.has_dyn_sized_stack, or(0, .L__assert_fail.has_dyn_sized_stack)
	.set _Z38paged_attention_ll4mi_QKV_mfma4_kernelI14__hip_bfloat16S0_LN4vllm18Fp8KVCacheDataTypeE0EhLi16ELi128ELi256ELb1ELi1EEvPKT_PKT0_S8_ifPKiSA_SA_iPKfiiiPfSD_PS3_PT2_iSC_SC_.has_recursion, or(0, .L__assert_fail.has_recursion)
	.set _Z38paged_attention_ll4mi_QKV_mfma4_kernelI14__hip_bfloat16S0_LN4vllm18Fp8KVCacheDataTypeE0EhLi16ELi128ELi256ELb1ELi1EEvPKT_PKT0_S8_ifPKiSA_SA_iPKfiiiPfSD_PS3_PT2_iSC_SC_.has_indirect_call, or(0, .L__assert_fail.has_indirect_call)
	.section	.AMDGPU.csdata,"",@progbits
; Kernel info:
; codeLenInByte = 68
; TotalNumSgprs: 36
; NumVgprs: 51
; ScratchSize: 64
; MemoryBound: 0
; FloatMode: 240
; IeeeMode: 1
; LDSByteSize: 0 bytes/workgroup (compile time only)
; SGPRBlocks: 0
; VGPRBlocks: 3
; NumSGPRsForWavesPerEU: 36
; NumVGPRsForWavesPerEU: 51
; NamedBarCnt: 0
; Occupancy: 16
; WaveLimiterHint : 1
; COMPUTE_PGM_RSRC2:SCRATCH_EN: 1
; COMPUTE_PGM_RSRC2:USER_SGPR: 2
; COMPUTE_PGM_RSRC2:TRAP_HANDLER: 0
; COMPUTE_PGM_RSRC2:TGID_X_EN: 1
; COMPUTE_PGM_RSRC2:TGID_Y_EN: 0
; COMPUTE_PGM_RSRC2:TGID_Z_EN: 0
; COMPUTE_PGM_RSRC2:TIDIG_COMP_CNT: 0
	.section	.text._Z38paged_attention_ll4mi_QKV_mfma4_kernelI14__hip_bfloat16S0_LN4vllm18Fp8KVCacheDataTypeE0EhLi16ELi128ELi256ELb1ELi2EEvPKT_PKT0_S8_ifPKiSA_SA_iPKfiiiPfSD_PS3_PT2_iSC_SC_,"axG",@progbits,_Z38paged_attention_ll4mi_QKV_mfma4_kernelI14__hip_bfloat16S0_LN4vllm18Fp8KVCacheDataTypeE0EhLi16ELi128ELi256ELb1ELi2EEvPKT_PKT0_S8_ifPKiSA_SA_iPKfiiiPfSD_PS3_PT2_iSC_SC_,comdat
	.protected	_Z38paged_attention_ll4mi_QKV_mfma4_kernelI14__hip_bfloat16S0_LN4vllm18Fp8KVCacheDataTypeE0EhLi16ELi128ELi256ELb1ELi2EEvPKT_PKT0_S8_ifPKiSA_SA_iPKfiiiPfSD_PS3_PT2_iSC_SC_ ; -- Begin function _Z38paged_attention_ll4mi_QKV_mfma4_kernelI14__hip_bfloat16S0_LN4vllm18Fp8KVCacheDataTypeE0EhLi16ELi128ELi256ELb1ELi2EEvPKT_PKT0_S8_ifPKiSA_SA_iPKfiiiPfSD_PS3_PT2_iSC_SC_
	.globl	_Z38paged_attention_ll4mi_QKV_mfma4_kernelI14__hip_bfloat16S0_LN4vllm18Fp8KVCacheDataTypeE0EhLi16ELi128ELi256ELb1ELi2EEvPKT_PKT0_S8_ifPKiSA_SA_iPKfiiiPfSD_PS3_PT2_iSC_SC_
	.p2align	8
	.type	_Z38paged_attention_ll4mi_QKV_mfma4_kernelI14__hip_bfloat16S0_LN4vllm18Fp8KVCacheDataTypeE0EhLi16ELi128ELi256ELb1ELi2EEvPKT_PKT0_S8_ifPKiSA_SA_iPKfiiiPfSD_PS3_PT2_iSC_SC_,@function
_Z38paged_attention_ll4mi_QKV_mfma4_kernelI14__hip_bfloat16S0_LN4vllm18Fp8KVCacheDataTypeE0EhLi16ELi128ELi256ELb1ELi2EEvPKT_PKT0_S8_ifPKiSA_SA_iPKfiiiPfSD_PS3_PT2_iSC_SC_: ; @_Z38paged_attention_ll4mi_QKV_mfma4_kernelI14__hip_bfloat16S0_LN4vllm18Fp8KVCacheDataTypeE0EhLi16ELi128ELi256ELb1ELi2EEvPKT_PKT0_S8_ifPKiSA_SA_iPKfiiiPfSD_PS3_PT2_iSC_SC_
; %bb.0:
	s_get_pc_i64 s[2:3]
	s_add_nc_u64 s[2:3], s[2:3], __PRETTY_FUNCTION__._Z38paged_attention_ll4mi_QKV_mfma4_kernelI14__hip_bfloat16S0_LN4vllm18Fp8KVCacheDataTypeE0EhLi16ELi128ELi256ELb1ELi2EEvPKT_PKT0_S8_ifPKiSA_SA_iPKfiiiPfSD_PS3_PT2_iSC_SC_@rel64+4
	s_delay_alu instid0(SALU_CYCLE_1)
	v_dual_mov_b32 v0, 0xbce :: v_dual_mov_b32 v1, s2
	v_mov_b32_e32 v2, s3
	s_add_nc_u64 s[8:9], s[0:1], 0x90
	s_get_pc_i64 s[0:1]
	s_add_nc_u64 s[0:1], s[0:1], __assert_fail@rel64+4
	s_mov_b32 s32, 0
	s_swap_pc_i64 s[30:31], s[0:1]
	.section	.rodata,"a",@progbits
	.p2align	6, 0x0
	.amdhsa_kernel _Z38paged_attention_ll4mi_QKV_mfma4_kernelI14__hip_bfloat16S0_LN4vllm18Fp8KVCacheDataTypeE0EhLi16ELi128ELi256ELb1ELi2EEvPKT_PKT0_S8_ifPKiSA_SA_iPKfiiiPfSD_PS3_PT2_iSC_SC_
		.amdhsa_group_segment_fixed_size 0
		.amdhsa_private_segment_fixed_size 64
		.amdhsa_kernarg_size 400
		.amdhsa_user_sgpr_count 2
		.amdhsa_user_sgpr_dispatch_ptr 0
		.amdhsa_user_sgpr_queue_ptr 0
		.amdhsa_user_sgpr_kernarg_segment_ptr 1
		.amdhsa_user_sgpr_dispatch_id 0
		.amdhsa_user_sgpr_kernarg_preload_length 0
		.amdhsa_user_sgpr_kernarg_preload_offset 0
		.amdhsa_user_sgpr_private_segment_size 0
		.amdhsa_wavefront_size32 1
		.amdhsa_uses_dynamic_stack 0
		.amdhsa_enable_private_segment 1
		.amdhsa_system_sgpr_workgroup_id_x 1
		.amdhsa_system_sgpr_workgroup_id_y 0
		.amdhsa_system_sgpr_workgroup_id_z 0
		.amdhsa_system_sgpr_workgroup_info 0
		.amdhsa_system_vgpr_workitem_id 0
		.amdhsa_next_free_vgpr 51
		.amdhsa_next_free_sgpr 34
		.amdhsa_named_barrier_count 0
		.amdhsa_reserve_vcc 1
		.amdhsa_float_round_mode_32 0
		.amdhsa_float_round_mode_16_64 0
		.amdhsa_float_denorm_mode_32 3
		.amdhsa_float_denorm_mode_16_64 3
		.amdhsa_fp16_overflow 0
		.amdhsa_memory_ordered 1
		.amdhsa_forward_progress 1
		.amdhsa_inst_pref_size 1
		.amdhsa_round_robin_scheduling 0
		.amdhsa_exception_fp_ieee_invalid_op 0
		.amdhsa_exception_fp_denorm_src 0
		.amdhsa_exception_fp_ieee_div_zero 0
		.amdhsa_exception_fp_ieee_overflow 0
		.amdhsa_exception_fp_ieee_underflow 0
		.amdhsa_exception_fp_ieee_inexact 0
		.amdhsa_exception_int_div_zero 0
	.end_amdhsa_kernel
	.section	.text._Z38paged_attention_ll4mi_QKV_mfma4_kernelI14__hip_bfloat16S0_LN4vllm18Fp8KVCacheDataTypeE0EhLi16ELi128ELi256ELb1ELi2EEvPKT_PKT0_S8_ifPKiSA_SA_iPKfiiiPfSD_PS3_PT2_iSC_SC_,"axG",@progbits,_Z38paged_attention_ll4mi_QKV_mfma4_kernelI14__hip_bfloat16S0_LN4vllm18Fp8KVCacheDataTypeE0EhLi16ELi128ELi256ELb1ELi2EEvPKT_PKT0_S8_ifPKiSA_SA_iPKfiiiPfSD_PS3_PT2_iSC_SC_,comdat
.Lfunc_end579:
	.size	_Z38paged_attention_ll4mi_QKV_mfma4_kernelI14__hip_bfloat16S0_LN4vllm18Fp8KVCacheDataTypeE0EhLi16ELi128ELi256ELb1ELi2EEvPKT_PKT0_S8_ifPKiSA_SA_iPKfiiiPfSD_PS3_PT2_iSC_SC_, .Lfunc_end579-_Z38paged_attention_ll4mi_QKV_mfma4_kernelI14__hip_bfloat16S0_LN4vllm18Fp8KVCacheDataTypeE0EhLi16ELi128ELi256ELb1ELi2EEvPKT_PKT0_S8_ifPKiSA_SA_iPKfiiiPfSD_PS3_PT2_iSC_SC_
                                        ; -- End function
	.set _Z38paged_attention_ll4mi_QKV_mfma4_kernelI14__hip_bfloat16S0_LN4vllm18Fp8KVCacheDataTypeE0EhLi16ELi128ELi256ELb1ELi2EEvPKT_PKT0_S8_ifPKiSA_SA_iPKfiiiPfSD_PS3_PT2_iSC_SC_.num_vgpr, max(3, .L__assert_fail.num_vgpr)
	.set _Z38paged_attention_ll4mi_QKV_mfma4_kernelI14__hip_bfloat16S0_LN4vllm18Fp8KVCacheDataTypeE0EhLi16ELi128ELi256ELb1ELi2EEvPKT_PKT0_S8_ifPKiSA_SA_iPKfiiiPfSD_PS3_PT2_iSC_SC_.num_agpr, max(0, .L__assert_fail.num_agpr)
	.set _Z38paged_attention_ll4mi_QKV_mfma4_kernelI14__hip_bfloat16S0_LN4vllm18Fp8KVCacheDataTypeE0EhLi16ELi128ELi256ELb1ELi2EEvPKT_PKT0_S8_ifPKiSA_SA_iPKfiiiPfSD_PS3_PT2_iSC_SC_.numbered_sgpr, max(33, .L__assert_fail.numbered_sgpr)
	.set _Z38paged_attention_ll4mi_QKV_mfma4_kernelI14__hip_bfloat16S0_LN4vllm18Fp8KVCacheDataTypeE0EhLi16ELi128ELi256ELb1ELi2EEvPKT_PKT0_S8_ifPKiSA_SA_iPKfiiiPfSD_PS3_PT2_iSC_SC_.num_named_barrier, max(0, .L__assert_fail.num_named_barrier)
	.set _Z38paged_attention_ll4mi_QKV_mfma4_kernelI14__hip_bfloat16S0_LN4vllm18Fp8KVCacheDataTypeE0EhLi16ELi128ELi256ELb1ELi2EEvPKT_PKT0_S8_ifPKiSA_SA_iPKfiiiPfSD_PS3_PT2_iSC_SC_.private_seg_size, 0+max(.L__assert_fail.private_seg_size)
	.set _Z38paged_attention_ll4mi_QKV_mfma4_kernelI14__hip_bfloat16S0_LN4vllm18Fp8KVCacheDataTypeE0EhLi16ELi128ELi256ELb1ELi2EEvPKT_PKT0_S8_ifPKiSA_SA_iPKfiiiPfSD_PS3_PT2_iSC_SC_.uses_vcc, or(1, .L__assert_fail.uses_vcc)
	.set _Z38paged_attention_ll4mi_QKV_mfma4_kernelI14__hip_bfloat16S0_LN4vllm18Fp8KVCacheDataTypeE0EhLi16ELi128ELi256ELb1ELi2EEvPKT_PKT0_S8_ifPKiSA_SA_iPKfiiiPfSD_PS3_PT2_iSC_SC_.uses_flat_scratch, or(0, .L__assert_fail.uses_flat_scratch)
	.set _Z38paged_attention_ll4mi_QKV_mfma4_kernelI14__hip_bfloat16S0_LN4vllm18Fp8KVCacheDataTypeE0EhLi16ELi128ELi256ELb1ELi2EEvPKT_PKT0_S8_ifPKiSA_SA_iPKfiiiPfSD_PS3_PT2_iSC_SC_.has_dyn_sized_stack, or(0, .L__assert_fail.has_dyn_sized_stack)
	.set _Z38paged_attention_ll4mi_QKV_mfma4_kernelI14__hip_bfloat16S0_LN4vllm18Fp8KVCacheDataTypeE0EhLi16ELi128ELi256ELb1ELi2EEvPKT_PKT0_S8_ifPKiSA_SA_iPKfiiiPfSD_PS3_PT2_iSC_SC_.has_recursion, or(0, .L__assert_fail.has_recursion)
	.set _Z38paged_attention_ll4mi_QKV_mfma4_kernelI14__hip_bfloat16S0_LN4vllm18Fp8KVCacheDataTypeE0EhLi16ELi128ELi256ELb1ELi2EEvPKT_PKT0_S8_ifPKiSA_SA_iPKfiiiPfSD_PS3_PT2_iSC_SC_.has_indirect_call, or(0, .L__assert_fail.has_indirect_call)
	.section	.AMDGPU.csdata,"",@progbits
; Kernel info:
; codeLenInByte = 68
; TotalNumSgprs: 36
; NumVgprs: 51
; ScratchSize: 64
; MemoryBound: 0
; FloatMode: 240
; IeeeMode: 1
; LDSByteSize: 0 bytes/workgroup (compile time only)
; SGPRBlocks: 0
; VGPRBlocks: 3
; NumSGPRsForWavesPerEU: 36
; NumVGPRsForWavesPerEU: 51
; NamedBarCnt: 0
; Occupancy: 16
; WaveLimiterHint : 1
; COMPUTE_PGM_RSRC2:SCRATCH_EN: 1
; COMPUTE_PGM_RSRC2:USER_SGPR: 2
; COMPUTE_PGM_RSRC2:TRAP_HANDLER: 0
; COMPUTE_PGM_RSRC2:TGID_X_EN: 1
; COMPUTE_PGM_RSRC2:TGID_Y_EN: 0
; COMPUTE_PGM_RSRC2:TGID_Z_EN: 0
; COMPUTE_PGM_RSRC2:TIDIG_COMP_CNT: 0
	.section	.text._Z38paged_attention_ll4mi_QKV_mfma4_kernelI14__hip_bfloat16S0_LN4vllm18Fp8KVCacheDataTypeE0EhLi16ELi128ELi256ELb1ELi3EEvPKT_PKT0_S8_ifPKiSA_SA_iPKfiiiPfSD_PS3_PT2_iSC_SC_,"axG",@progbits,_Z38paged_attention_ll4mi_QKV_mfma4_kernelI14__hip_bfloat16S0_LN4vllm18Fp8KVCacheDataTypeE0EhLi16ELi128ELi256ELb1ELi3EEvPKT_PKT0_S8_ifPKiSA_SA_iPKfiiiPfSD_PS3_PT2_iSC_SC_,comdat
	.protected	_Z38paged_attention_ll4mi_QKV_mfma4_kernelI14__hip_bfloat16S0_LN4vllm18Fp8KVCacheDataTypeE0EhLi16ELi128ELi256ELb1ELi3EEvPKT_PKT0_S8_ifPKiSA_SA_iPKfiiiPfSD_PS3_PT2_iSC_SC_ ; -- Begin function _Z38paged_attention_ll4mi_QKV_mfma4_kernelI14__hip_bfloat16S0_LN4vllm18Fp8KVCacheDataTypeE0EhLi16ELi128ELi256ELb1ELi3EEvPKT_PKT0_S8_ifPKiSA_SA_iPKfiiiPfSD_PS3_PT2_iSC_SC_
	.globl	_Z38paged_attention_ll4mi_QKV_mfma4_kernelI14__hip_bfloat16S0_LN4vllm18Fp8KVCacheDataTypeE0EhLi16ELi128ELi256ELb1ELi3EEvPKT_PKT0_S8_ifPKiSA_SA_iPKfiiiPfSD_PS3_PT2_iSC_SC_
	.p2align	8
	.type	_Z38paged_attention_ll4mi_QKV_mfma4_kernelI14__hip_bfloat16S0_LN4vllm18Fp8KVCacheDataTypeE0EhLi16ELi128ELi256ELb1ELi3EEvPKT_PKT0_S8_ifPKiSA_SA_iPKfiiiPfSD_PS3_PT2_iSC_SC_,@function
_Z38paged_attention_ll4mi_QKV_mfma4_kernelI14__hip_bfloat16S0_LN4vllm18Fp8KVCacheDataTypeE0EhLi16ELi128ELi256ELb1ELi3EEvPKT_PKT0_S8_ifPKiSA_SA_iPKfiiiPfSD_PS3_PT2_iSC_SC_: ; @_Z38paged_attention_ll4mi_QKV_mfma4_kernelI14__hip_bfloat16S0_LN4vllm18Fp8KVCacheDataTypeE0EhLi16ELi128ELi256ELb1ELi3EEvPKT_PKT0_S8_ifPKiSA_SA_iPKfiiiPfSD_PS3_PT2_iSC_SC_
; %bb.0:
	s_get_pc_i64 s[2:3]
	s_add_nc_u64 s[2:3], s[2:3], __PRETTY_FUNCTION__._Z38paged_attention_ll4mi_QKV_mfma4_kernelI14__hip_bfloat16S0_LN4vllm18Fp8KVCacheDataTypeE0EhLi16ELi128ELi256ELb1ELi3EEvPKT_PKT0_S8_ifPKiSA_SA_iPKfiiiPfSD_PS3_PT2_iSC_SC_@rel64+4
	s_delay_alu instid0(SALU_CYCLE_1)
	v_dual_mov_b32 v0, 0xbce :: v_dual_mov_b32 v1, s2
	v_mov_b32_e32 v2, s3
	s_add_nc_u64 s[8:9], s[0:1], 0x90
	s_get_pc_i64 s[0:1]
	s_add_nc_u64 s[0:1], s[0:1], __assert_fail@rel64+4
	s_mov_b32 s32, 0
	s_swap_pc_i64 s[30:31], s[0:1]
	.section	.rodata,"a",@progbits
	.p2align	6, 0x0
	.amdhsa_kernel _Z38paged_attention_ll4mi_QKV_mfma4_kernelI14__hip_bfloat16S0_LN4vllm18Fp8KVCacheDataTypeE0EhLi16ELi128ELi256ELb1ELi3EEvPKT_PKT0_S8_ifPKiSA_SA_iPKfiiiPfSD_PS3_PT2_iSC_SC_
		.amdhsa_group_segment_fixed_size 0
		.amdhsa_private_segment_fixed_size 64
		.amdhsa_kernarg_size 400
		.amdhsa_user_sgpr_count 2
		.amdhsa_user_sgpr_dispatch_ptr 0
		.amdhsa_user_sgpr_queue_ptr 0
		.amdhsa_user_sgpr_kernarg_segment_ptr 1
		.amdhsa_user_sgpr_dispatch_id 0
		.amdhsa_user_sgpr_kernarg_preload_length 0
		.amdhsa_user_sgpr_kernarg_preload_offset 0
		.amdhsa_user_sgpr_private_segment_size 0
		.amdhsa_wavefront_size32 1
		.amdhsa_uses_dynamic_stack 0
		.amdhsa_enable_private_segment 1
		.amdhsa_system_sgpr_workgroup_id_x 1
		.amdhsa_system_sgpr_workgroup_id_y 0
		.amdhsa_system_sgpr_workgroup_id_z 0
		.amdhsa_system_sgpr_workgroup_info 0
		.amdhsa_system_vgpr_workitem_id 0
		.amdhsa_next_free_vgpr 51
		.amdhsa_next_free_sgpr 34
		.amdhsa_named_barrier_count 0
		.amdhsa_reserve_vcc 1
		.amdhsa_float_round_mode_32 0
		.amdhsa_float_round_mode_16_64 0
		.amdhsa_float_denorm_mode_32 3
		.amdhsa_float_denorm_mode_16_64 3
		.amdhsa_fp16_overflow 0
		.amdhsa_memory_ordered 1
		.amdhsa_forward_progress 1
		.amdhsa_inst_pref_size 1
		.amdhsa_round_robin_scheduling 0
		.amdhsa_exception_fp_ieee_invalid_op 0
		.amdhsa_exception_fp_denorm_src 0
		.amdhsa_exception_fp_ieee_div_zero 0
		.amdhsa_exception_fp_ieee_overflow 0
		.amdhsa_exception_fp_ieee_underflow 0
		.amdhsa_exception_fp_ieee_inexact 0
		.amdhsa_exception_int_div_zero 0
	.end_amdhsa_kernel
	.section	.text._Z38paged_attention_ll4mi_QKV_mfma4_kernelI14__hip_bfloat16S0_LN4vllm18Fp8KVCacheDataTypeE0EhLi16ELi128ELi256ELb1ELi3EEvPKT_PKT0_S8_ifPKiSA_SA_iPKfiiiPfSD_PS3_PT2_iSC_SC_,"axG",@progbits,_Z38paged_attention_ll4mi_QKV_mfma4_kernelI14__hip_bfloat16S0_LN4vllm18Fp8KVCacheDataTypeE0EhLi16ELi128ELi256ELb1ELi3EEvPKT_PKT0_S8_ifPKiSA_SA_iPKfiiiPfSD_PS3_PT2_iSC_SC_,comdat
.Lfunc_end580:
	.size	_Z38paged_attention_ll4mi_QKV_mfma4_kernelI14__hip_bfloat16S0_LN4vllm18Fp8KVCacheDataTypeE0EhLi16ELi128ELi256ELb1ELi3EEvPKT_PKT0_S8_ifPKiSA_SA_iPKfiiiPfSD_PS3_PT2_iSC_SC_, .Lfunc_end580-_Z38paged_attention_ll4mi_QKV_mfma4_kernelI14__hip_bfloat16S0_LN4vllm18Fp8KVCacheDataTypeE0EhLi16ELi128ELi256ELb1ELi3EEvPKT_PKT0_S8_ifPKiSA_SA_iPKfiiiPfSD_PS3_PT2_iSC_SC_
                                        ; -- End function
	.set _Z38paged_attention_ll4mi_QKV_mfma4_kernelI14__hip_bfloat16S0_LN4vllm18Fp8KVCacheDataTypeE0EhLi16ELi128ELi256ELb1ELi3EEvPKT_PKT0_S8_ifPKiSA_SA_iPKfiiiPfSD_PS3_PT2_iSC_SC_.num_vgpr, max(3, .L__assert_fail.num_vgpr)
	.set _Z38paged_attention_ll4mi_QKV_mfma4_kernelI14__hip_bfloat16S0_LN4vllm18Fp8KVCacheDataTypeE0EhLi16ELi128ELi256ELb1ELi3EEvPKT_PKT0_S8_ifPKiSA_SA_iPKfiiiPfSD_PS3_PT2_iSC_SC_.num_agpr, max(0, .L__assert_fail.num_agpr)
	.set _Z38paged_attention_ll4mi_QKV_mfma4_kernelI14__hip_bfloat16S0_LN4vllm18Fp8KVCacheDataTypeE0EhLi16ELi128ELi256ELb1ELi3EEvPKT_PKT0_S8_ifPKiSA_SA_iPKfiiiPfSD_PS3_PT2_iSC_SC_.numbered_sgpr, max(33, .L__assert_fail.numbered_sgpr)
	.set _Z38paged_attention_ll4mi_QKV_mfma4_kernelI14__hip_bfloat16S0_LN4vllm18Fp8KVCacheDataTypeE0EhLi16ELi128ELi256ELb1ELi3EEvPKT_PKT0_S8_ifPKiSA_SA_iPKfiiiPfSD_PS3_PT2_iSC_SC_.num_named_barrier, max(0, .L__assert_fail.num_named_barrier)
	.set _Z38paged_attention_ll4mi_QKV_mfma4_kernelI14__hip_bfloat16S0_LN4vllm18Fp8KVCacheDataTypeE0EhLi16ELi128ELi256ELb1ELi3EEvPKT_PKT0_S8_ifPKiSA_SA_iPKfiiiPfSD_PS3_PT2_iSC_SC_.private_seg_size, 0+max(.L__assert_fail.private_seg_size)
	.set _Z38paged_attention_ll4mi_QKV_mfma4_kernelI14__hip_bfloat16S0_LN4vllm18Fp8KVCacheDataTypeE0EhLi16ELi128ELi256ELb1ELi3EEvPKT_PKT0_S8_ifPKiSA_SA_iPKfiiiPfSD_PS3_PT2_iSC_SC_.uses_vcc, or(1, .L__assert_fail.uses_vcc)
	.set _Z38paged_attention_ll4mi_QKV_mfma4_kernelI14__hip_bfloat16S0_LN4vllm18Fp8KVCacheDataTypeE0EhLi16ELi128ELi256ELb1ELi3EEvPKT_PKT0_S8_ifPKiSA_SA_iPKfiiiPfSD_PS3_PT2_iSC_SC_.uses_flat_scratch, or(0, .L__assert_fail.uses_flat_scratch)
	.set _Z38paged_attention_ll4mi_QKV_mfma4_kernelI14__hip_bfloat16S0_LN4vllm18Fp8KVCacheDataTypeE0EhLi16ELi128ELi256ELb1ELi3EEvPKT_PKT0_S8_ifPKiSA_SA_iPKfiiiPfSD_PS3_PT2_iSC_SC_.has_dyn_sized_stack, or(0, .L__assert_fail.has_dyn_sized_stack)
	.set _Z38paged_attention_ll4mi_QKV_mfma4_kernelI14__hip_bfloat16S0_LN4vllm18Fp8KVCacheDataTypeE0EhLi16ELi128ELi256ELb1ELi3EEvPKT_PKT0_S8_ifPKiSA_SA_iPKfiiiPfSD_PS3_PT2_iSC_SC_.has_recursion, or(0, .L__assert_fail.has_recursion)
	.set _Z38paged_attention_ll4mi_QKV_mfma4_kernelI14__hip_bfloat16S0_LN4vllm18Fp8KVCacheDataTypeE0EhLi16ELi128ELi256ELb1ELi3EEvPKT_PKT0_S8_ifPKiSA_SA_iPKfiiiPfSD_PS3_PT2_iSC_SC_.has_indirect_call, or(0, .L__assert_fail.has_indirect_call)
	.section	.AMDGPU.csdata,"",@progbits
; Kernel info:
; codeLenInByte = 68
; TotalNumSgprs: 36
; NumVgprs: 51
; ScratchSize: 64
; MemoryBound: 0
; FloatMode: 240
; IeeeMode: 1
; LDSByteSize: 0 bytes/workgroup (compile time only)
; SGPRBlocks: 0
; VGPRBlocks: 3
; NumSGPRsForWavesPerEU: 36
; NumVGPRsForWavesPerEU: 51
; NamedBarCnt: 0
; Occupancy: 16
; WaveLimiterHint : 1
; COMPUTE_PGM_RSRC2:SCRATCH_EN: 1
; COMPUTE_PGM_RSRC2:USER_SGPR: 2
; COMPUTE_PGM_RSRC2:TRAP_HANDLER: 0
; COMPUTE_PGM_RSRC2:TGID_X_EN: 1
; COMPUTE_PGM_RSRC2:TGID_Y_EN: 0
; COMPUTE_PGM_RSRC2:TGID_Z_EN: 0
; COMPUTE_PGM_RSRC2:TIDIG_COMP_CNT: 0
	.section	.text._Z38paged_attention_ll4mi_QKV_mfma4_kernelI14__hip_bfloat16S0_LN4vllm18Fp8KVCacheDataTypeE0EhLi16ELi128ELi256ELb1ELi4EEvPKT_PKT0_S8_ifPKiSA_SA_iPKfiiiPfSD_PS3_PT2_iSC_SC_,"axG",@progbits,_Z38paged_attention_ll4mi_QKV_mfma4_kernelI14__hip_bfloat16S0_LN4vllm18Fp8KVCacheDataTypeE0EhLi16ELi128ELi256ELb1ELi4EEvPKT_PKT0_S8_ifPKiSA_SA_iPKfiiiPfSD_PS3_PT2_iSC_SC_,comdat
	.protected	_Z38paged_attention_ll4mi_QKV_mfma4_kernelI14__hip_bfloat16S0_LN4vllm18Fp8KVCacheDataTypeE0EhLi16ELi128ELi256ELb1ELi4EEvPKT_PKT0_S8_ifPKiSA_SA_iPKfiiiPfSD_PS3_PT2_iSC_SC_ ; -- Begin function _Z38paged_attention_ll4mi_QKV_mfma4_kernelI14__hip_bfloat16S0_LN4vllm18Fp8KVCacheDataTypeE0EhLi16ELi128ELi256ELb1ELi4EEvPKT_PKT0_S8_ifPKiSA_SA_iPKfiiiPfSD_PS3_PT2_iSC_SC_
	.globl	_Z38paged_attention_ll4mi_QKV_mfma4_kernelI14__hip_bfloat16S0_LN4vllm18Fp8KVCacheDataTypeE0EhLi16ELi128ELi256ELb1ELi4EEvPKT_PKT0_S8_ifPKiSA_SA_iPKfiiiPfSD_PS3_PT2_iSC_SC_
	.p2align	8
	.type	_Z38paged_attention_ll4mi_QKV_mfma4_kernelI14__hip_bfloat16S0_LN4vllm18Fp8KVCacheDataTypeE0EhLi16ELi128ELi256ELb1ELi4EEvPKT_PKT0_S8_ifPKiSA_SA_iPKfiiiPfSD_PS3_PT2_iSC_SC_,@function
_Z38paged_attention_ll4mi_QKV_mfma4_kernelI14__hip_bfloat16S0_LN4vllm18Fp8KVCacheDataTypeE0EhLi16ELi128ELi256ELb1ELi4EEvPKT_PKT0_S8_ifPKiSA_SA_iPKfiiiPfSD_PS3_PT2_iSC_SC_: ; @_Z38paged_attention_ll4mi_QKV_mfma4_kernelI14__hip_bfloat16S0_LN4vllm18Fp8KVCacheDataTypeE0EhLi16ELi128ELi256ELb1ELi4EEvPKT_PKT0_S8_ifPKiSA_SA_iPKfiiiPfSD_PS3_PT2_iSC_SC_
; %bb.0:
	s_get_pc_i64 s[2:3]
	s_add_nc_u64 s[2:3], s[2:3], __PRETTY_FUNCTION__._Z38paged_attention_ll4mi_QKV_mfma4_kernelI14__hip_bfloat16S0_LN4vllm18Fp8KVCacheDataTypeE0EhLi16ELi128ELi256ELb1ELi4EEvPKT_PKT0_S8_ifPKiSA_SA_iPKfiiiPfSD_PS3_PT2_iSC_SC_@rel64+4
	s_delay_alu instid0(SALU_CYCLE_1)
	v_dual_mov_b32 v0, 0xbce :: v_dual_mov_b32 v1, s2
	v_mov_b32_e32 v2, s3
	s_add_nc_u64 s[8:9], s[0:1], 0x90
	s_get_pc_i64 s[0:1]
	s_add_nc_u64 s[0:1], s[0:1], __assert_fail@rel64+4
	s_mov_b32 s32, 0
	s_swap_pc_i64 s[30:31], s[0:1]
	.section	.rodata,"a",@progbits
	.p2align	6, 0x0
	.amdhsa_kernel _Z38paged_attention_ll4mi_QKV_mfma4_kernelI14__hip_bfloat16S0_LN4vllm18Fp8KVCacheDataTypeE0EhLi16ELi128ELi256ELb1ELi4EEvPKT_PKT0_S8_ifPKiSA_SA_iPKfiiiPfSD_PS3_PT2_iSC_SC_
		.amdhsa_group_segment_fixed_size 0
		.amdhsa_private_segment_fixed_size 64
		.amdhsa_kernarg_size 400
		.amdhsa_user_sgpr_count 2
		.amdhsa_user_sgpr_dispatch_ptr 0
		.amdhsa_user_sgpr_queue_ptr 0
		.amdhsa_user_sgpr_kernarg_segment_ptr 1
		.amdhsa_user_sgpr_dispatch_id 0
		.amdhsa_user_sgpr_kernarg_preload_length 0
		.amdhsa_user_sgpr_kernarg_preload_offset 0
		.amdhsa_user_sgpr_private_segment_size 0
		.amdhsa_wavefront_size32 1
		.amdhsa_uses_dynamic_stack 0
		.amdhsa_enable_private_segment 1
		.amdhsa_system_sgpr_workgroup_id_x 1
		.amdhsa_system_sgpr_workgroup_id_y 0
		.amdhsa_system_sgpr_workgroup_id_z 0
		.amdhsa_system_sgpr_workgroup_info 0
		.amdhsa_system_vgpr_workitem_id 0
		.amdhsa_next_free_vgpr 51
		.amdhsa_next_free_sgpr 34
		.amdhsa_named_barrier_count 0
		.amdhsa_reserve_vcc 1
		.amdhsa_float_round_mode_32 0
		.amdhsa_float_round_mode_16_64 0
		.amdhsa_float_denorm_mode_32 3
		.amdhsa_float_denorm_mode_16_64 3
		.amdhsa_fp16_overflow 0
		.amdhsa_memory_ordered 1
		.amdhsa_forward_progress 1
		.amdhsa_inst_pref_size 1
		.amdhsa_round_robin_scheduling 0
		.amdhsa_exception_fp_ieee_invalid_op 0
		.amdhsa_exception_fp_denorm_src 0
		.amdhsa_exception_fp_ieee_div_zero 0
		.amdhsa_exception_fp_ieee_overflow 0
		.amdhsa_exception_fp_ieee_underflow 0
		.amdhsa_exception_fp_ieee_inexact 0
		.amdhsa_exception_int_div_zero 0
	.end_amdhsa_kernel
	.section	.text._Z38paged_attention_ll4mi_QKV_mfma4_kernelI14__hip_bfloat16S0_LN4vllm18Fp8KVCacheDataTypeE0EhLi16ELi128ELi256ELb1ELi4EEvPKT_PKT0_S8_ifPKiSA_SA_iPKfiiiPfSD_PS3_PT2_iSC_SC_,"axG",@progbits,_Z38paged_attention_ll4mi_QKV_mfma4_kernelI14__hip_bfloat16S0_LN4vllm18Fp8KVCacheDataTypeE0EhLi16ELi128ELi256ELb1ELi4EEvPKT_PKT0_S8_ifPKiSA_SA_iPKfiiiPfSD_PS3_PT2_iSC_SC_,comdat
.Lfunc_end581:
	.size	_Z38paged_attention_ll4mi_QKV_mfma4_kernelI14__hip_bfloat16S0_LN4vllm18Fp8KVCacheDataTypeE0EhLi16ELi128ELi256ELb1ELi4EEvPKT_PKT0_S8_ifPKiSA_SA_iPKfiiiPfSD_PS3_PT2_iSC_SC_, .Lfunc_end581-_Z38paged_attention_ll4mi_QKV_mfma4_kernelI14__hip_bfloat16S0_LN4vllm18Fp8KVCacheDataTypeE0EhLi16ELi128ELi256ELb1ELi4EEvPKT_PKT0_S8_ifPKiSA_SA_iPKfiiiPfSD_PS3_PT2_iSC_SC_
                                        ; -- End function
	.set _Z38paged_attention_ll4mi_QKV_mfma4_kernelI14__hip_bfloat16S0_LN4vllm18Fp8KVCacheDataTypeE0EhLi16ELi128ELi256ELb1ELi4EEvPKT_PKT0_S8_ifPKiSA_SA_iPKfiiiPfSD_PS3_PT2_iSC_SC_.num_vgpr, max(3, .L__assert_fail.num_vgpr)
	.set _Z38paged_attention_ll4mi_QKV_mfma4_kernelI14__hip_bfloat16S0_LN4vllm18Fp8KVCacheDataTypeE0EhLi16ELi128ELi256ELb1ELi4EEvPKT_PKT0_S8_ifPKiSA_SA_iPKfiiiPfSD_PS3_PT2_iSC_SC_.num_agpr, max(0, .L__assert_fail.num_agpr)
	.set _Z38paged_attention_ll4mi_QKV_mfma4_kernelI14__hip_bfloat16S0_LN4vllm18Fp8KVCacheDataTypeE0EhLi16ELi128ELi256ELb1ELi4EEvPKT_PKT0_S8_ifPKiSA_SA_iPKfiiiPfSD_PS3_PT2_iSC_SC_.numbered_sgpr, max(33, .L__assert_fail.numbered_sgpr)
	.set _Z38paged_attention_ll4mi_QKV_mfma4_kernelI14__hip_bfloat16S0_LN4vllm18Fp8KVCacheDataTypeE0EhLi16ELi128ELi256ELb1ELi4EEvPKT_PKT0_S8_ifPKiSA_SA_iPKfiiiPfSD_PS3_PT2_iSC_SC_.num_named_barrier, max(0, .L__assert_fail.num_named_barrier)
	.set _Z38paged_attention_ll4mi_QKV_mfma4_kernelI14__hip_bfloat16S0_LN4vllm18Fp8KVCacheDataTypeE0EhLi16ELi128ELi256ELb1ELi4EEvPKT_PKT0_S8_ifPKiSA_SA_iPKfiiiPfSD_PS3_PT2_iSC_SC_.private_seg_size, 0+max(.L__assert_fail.private_seg_size)
	.set _Z38paged_attention_ll4mi_QKV_mfma4_kernelI14__hip_bfloat16S0_LN4vllm18Fp8KVCacheDataTypeE0EhLi16ELi128ELi256ELb1ELi4EEvPKT_PKT0_S8_ifPKiSA_SA_iPKfiiiPfSD_PS3_PT2_iSC_SC_.uses_vcc, or(1, .L__assert_fail.uses_vcc)
	.set _Z38paged_attention_ll4mi_QKV_mfma4_kernelI14__hip_bfloat16S0_LN4vllm18Fp8KVCacheDataTypeE0EhLi16ELi128ELi256ELb1ELi4EEvPKT_PKT0_S8_ifPKiSA_SA_iPKfiiiPfSD_PS3_PT2_iSC_SC_.uses_flat_scratch, or(0, .L__assert_fail.uses_flat_scratch)
	.set _Z38paged_attention_ll4mi_QKV_mfma4_kernelI14__hip_bfloat16S0_LN4vllm18Fp8KVCacheDataTypeE0EhLi16ELi128ELi256ELb1ELi4EEvPKT_PKT0_S8_ifPKiSA_SA_iPKfiiiPfSD_PS3_PT2_iSC_SC_.has_dyn_sized_stack, or(0, .L__assert_fail.has_dyn_sized_stack)
	.set _Z38paged_attention_ll4mi_QKV_mfma4_kernelI14__hip_bfloat16S0_LN4vllm18Fp8KVCacheDataTypeE0EhLi16ELi128ELi256ELb1ELi4EEvPKT_PKT0_S8_ifPKiSA_SA_iPKfiiiPfSD_PS3_PT2_iSC_SC_.has_recursion, or(0, .L__assert_fail.has_recursion)
	.set _Z38paged_attention_ll4mi_QKV_mfma4_kernelI14__hip_bfloat16S0_LN4vllm18Fp8KVCacheDataTypeE0EhLi16ELi128ELi256ELb1ELi4EEvPKT_PKT0_S8_ifPKiSA_SA_iPKfiiiPfSD_PS3_PT2_iSC_SC_.has_indirect_call, or(0, .L__assert_fail.has_indirect_call)
	.section	.AMDGPU.csdata,"",@progbits
; Kernel info:
; codeLenInByte = 68
; TotalNumSgprs: 36
; NumVgprs: 51
; ScratchSize: 64
; MemoryBound: 0
; FloatMode: 240
; IeeeMode: 1
; LDSByteSize: 0 bytes/workgroup (compile time only)
; SGPRBlocks: 0
; VGPRBlocks: 3
; NumSGPRsForWavesPerEU: 36
; NumVGPRsForWavesPerEU: 51
; NamedBarCnt: 0
; Occupancy: 16
; WaveLimiterHint : 1
; COMPUTE_PGM_RSRC2:SCRATCH_EN: 1
; COMPUTE_PGM_RSRC2:USER_SGPR: 2
; COMPUTE_PGM_RSRC2:TRAP_HANDLER: 0
; COMPUTE_PGM_RSRC2:TGID_X_EN: 1
; COMPUTE_PGM_RSRC2:TGID_Y_EN: 0
; COMPUTE_PGM_RSRC2:TGID_Z_EN: 0
; COMPUTE_PGM_RSRC2:TIDIG_COMP_CNT: 0
	.section	.text._Z39paged_attention_ll4mi_QKV_mfma16_kernelI14__hip_bfloat16S0_LN4vllm18Fp8KVCacheDataTypeE0EhLi16ELi128ELi256ELb1ELi5EEvPKT_PKT0_S8_ifPKiSA_SA_iPKfiiiPfSD_PS3_PT2_iSC_SC_,"axG",@progbits,_Z39paged_attention_ll4mi_QKV_mfma16_kernelI14__hip_bfloat16S0_LN4vllm18Fp8KVCacheDataTypeE0EhLi16ELi128ELi256ELb1ELi5EEvPKT_PKT0_S8_ifPKiSA_SA_iPKfiiiPfSD_PS3_PT2_iSC_SC_,comdat
	.protected	_Z39paged_attention_ll4mi_QKV_mfma16_kernelI14__hip_bfloat16S0_LN4vllm18Fp8KVCacheDataTypeE0EhLi16ELi128ELi256ELb1ELi5EEvPKT_PKT0_S8_ifPKiSA_SA_iPKfiiiPfSD_PS3_PT2_iSC_SC_ ; -- Begin function _Z39paged_attention_ll4mi_QKV_mfma16_kernelI14__hip_bfloat16S0_LN4vllm18Fp8KVCacheDataTypeE0EhLi16ELi128ELi256ELb1ELi5EEvPKT_PKT0_S8_ifPKiSA_SA_iPKfiiiPfSD_PS3_PT2_iSC_SC_
	.globl	_Z39paged_attention_ll4mi_QKV_mfma16_kernelI14__hip_bfloat16S0_LN4vllm18Fp8KVCacheDataTypeE0EhLi16ELi128ELi256ELb1ELi5EEvPKT_PKT0_S8_ifPKiSA_SA_iPKfiiiPfSD_PS3_PT2_iSC_SC_
	.p2align	8
	.type	_Z39paged_attention_ll4mi_QKV_mfma16_kernelI14__hip_bfloat16S0_LN4vllm18Fp8KVCacheDataTypeE0EhLi16ELi128ELi256ELb1ELi5EEvPKT_PKT0_S8_ifPKiSA_SA_iPKfiiiPfSD_PS3_PT2_iSC_SC_,@function
_Z39paged_attention_ll4mi_QKV_mfma16_kernelI14__hip_bfloat16S0_LN4vllm18Fp8KVCacheDataTypeE0EhLi16ELi128ELi256ELb1ELi5EEvPKT_PKT0_S8_ifPKiSA_SA_iPKfiiiPfSD_PS3_PT2_iSC_SC_: ; @_Z39paged_attention_ll4mi_QKV_mfma16_kernelI14__hip_bfloat16S0_LN4vllm18Fp8KVCacheDataTypeE0EhLi16ELi128ELi256ELb1ELi5EEvPKT_PKT0_S8_ifPKiSA_SA_iPKfiiiPfSD_PS3_PT2_iSC_SC_
; %bb.0:
	s_get_pc_i64 s[2:3]
	s_add_nc_u64 s[2:3], s[2:3], __PRETTY_FUNCTION__._Z39paged_attention_ll4mi_QKV_mfma16_kernelI14__hip_bfloat16S0_LN4vllm18Fp8KVCacheDataTypeE0EhLi16ELi128ELi256ELb1ELi5EEvPKT_PKT0_S8_ifPKiSA_SA_iPKfiiiPfSD_PS3_PT2_iSC_SC_@rel64+4
	s_delay_alu instid0(SALU_CYCLE_1)
	v_dual_mov_b32 v0, 0xbb3 :: v_dual_mov_b32 v1, s2
	v_mov_b32_e32 v2, s3
	s_add_nc_u64 s[8:9], s[0:1], 0x90
	s_get_pc_i64 s[0:1]
	s_add_nc_u64 s[0:1], s[0:1], __assert_fail@rel64+4
	s_mov_b32 s32, 0
	s_swap_pc_i64 s[30:31], s[0:1]
	.section	.rodata,"a",@progbits
	.p2align	6, 0x0
	.amdhsa_kernel _Z39paged_attention_ll4mi_QKV_mfma16_kernelI14__hip_bfloat16S0_LN4vllm18Fp8KVCacheDataTypeE0EhLi16ELi128ELi256ELb1ELi5EEvPKT_PKT0_S8_ifPKiSA_SA_iPKfiiiPfSD_PS3_PT2_iSC_SC_
		.amdhsa_group_segment_fixed_size 0
		.amdhsa_private_segment_fixed_size 64
		.amdhsa_kernarg_size 400
		.amdhsa_user_sgpr_count 2
		.amdhsa_user_sgpr_dispatch_ptr 0
		.amdhsa_user_sgpr_queue_ptr 0
		.amdhsa_user_sgpr_kernarg_segment_ptr 1
		.amdhsa_user_sgpr_dispatch_id 0
		.amdhsa_user_sgpr_kernarg_preload_length 0
		.amdhsa_user_sgpr_kernarg_preload_offset 0
		.amdhsa_user_sgpr_private_segment_size 0
		.amdhsa_wavefront_size32 1
		.amdhsa_uses_dynamic_stack 0
		.amdhsa_enable_private_segment 1
		.amdhsa_system_sgpr_workgroup_id_x 1
		.amdhsa_system_sgpr_workgroup_id_y 0
		.amdhsa_system_sgpr_workgroup_id_z 0
		.amdhsa_system_sgpr_workgroup_info 0
		.amdhsa_system_vgpr_workitem_id 0
		.amdhsa_next_free_vgpr 51
		.amdhsa_next_free_sgpr 34
		.amdhsa_named_barrier_count 0
		.amdhsa_reserve_vcc 1
		.amdhsa_float_round_mode_32 0
		.amdhsa_float_round_mode_16_64 0
		.amdhsa_float_denorm_mode_32 3
		.amdhsa_float_denorm_mode_16_64 3
		.amdhsa_fp16_overflow 0
		.amdhsa_memory_ordered 1
		.amdhsa_forward_progress 1
		.amdhsa_inst_pref_size 1
		.amdhsa_round_robin_scheduling 0
		.amdhsa_exception_fp_ieee_invalid_op 0
		.amdhsa_exception_fp_denorm_src 0
		.amdhsa_exception_fp_ieee_div_zero 0
		.amdhsa_exception_fp_ieee_overflow 0
		.amdhsa_exception_fp_ieee_underflow 0
		.amdhsa_exception_fp_ieee_inexact 0
		.amdhsa_exception_int_div_zero 0
	.end_amdhsa_kernel
	.section	.text._Z39paged_attention_ll4mi_QKV_mfma16_kernelI14__hip_bfloat16S0_LN4vllm18Fp8KVCacheDataTypeE0EhLi16ELi128ELi256ELb1ELi5EEvPKT_PKT0_S8_ifPKiSA_SA_iPKfiiiPfSD_PS3_PT2_iSC_SC_,"axG",@progbits,_Z39paged_attention_ll4mi_QKV_mfma16_kernelI14__hip_bfloat16S0_LN4vllm18Fp8KVCacheDataTypeE0EhLi16ELi128ELi256ELb1ELi5EEvPKT_PKT0_S8_ifPKiSA_SA_iPKfiiiPfSD_PS3_PT2_iSC_SC_,comdat
.Lfunc_end582:
	.size	_Z39paged_attention_ll4mi_QKV_mfma16_kernelI14__hip_bfloat16S0_LN4vllm18Fp8KVCacheDataTypeE0EhLi16ELi128ELi256ELb1ELi5EEvPKT_PKT0_S8_ifPKiSA_SA_iPKfiiiPfSD_PS3_PT2_iSC_SC_, .Lfunc_end582-_Z39paged_attention_ll4mi_QKV_mfma16_kernelI14__hip_bfloat16S0_LN4vllm18Fp8KVCacheDataTypeE0EhLi16ELi128ELi256ELb1ELi5EEvPKT_PKT0_S8_ifPKiSA_SA_iPKfiiiPfSD_PS3_PT2_iSC_SC_
                                        ; -- End function
	.set _Z39paged_attention_ll4mi_QKV_mfma16_kernelI14__hip_bfloat16S0_LN4vllm18Fp8KVCacheDataTypeE0EhLi16ELi128ELi256ELb1ELi5EEvPKT_PKT0_S8_ifPKiSA_SA_iPKfiiiPfSD_PS3_PT2_iSC_SC_.num_vgpr, max(3, .L__assert_fail.num_vgpr)
	.set _Z39paged_attention_ll4mi_QKV_mfma16_kernelI14__hip_bfloat16S0_LN4vllm18Fp8KVCacheDataTypeE0EhLi16ELi128ELi256ELb1ELi5EEvPKT_PKT0_S8_ifPKiSA_SA_iPKfiiiPfSD_PS3_PT2_iSC_SC_.num_agpr, max(0, .L__assert_fail.num_agpr)
	.set _Z39paged_attention_ll4mi_QKV_mfma16_kernelI14__hip_bfloat16S0_LN4vllm18Fp8KVCacheDataTypeE0EhLi16ELi128ELi256ELb1ELi5EEvPKT_PKT0_S8_ifPKiSA_SA_iPKfiiiPfSD_PS3_PT2_iSC_SC_.numbered_sgpr, max(33, .L__assert_fail.numbered_sgpr)
	.set _Z39paged_attention_ll4mi_QKV_mfma16_kernelI14__hip_bfloat16S0_LN4vllm18Fp8KVCacheDataTypeE0EhLi16ELi128ELi256ELb1ELi5EEvPKT_PKT0_S8_ifPKiSA_SA_iPKfiiiPfSD_PS3_PT2_iSC_SC_.num_named_barrier, max(0, .L__assert_fail.num_named_barrier)
	.set _Z39paged_attention_ll4mi_QKV_mfma16_kernelI14__hip_bfloat16S0_LN4vllm18Fp8KVCacheDataTypeE0EhLi16ELi128ELi256ELb1ELi5EEvPKT_PKT0_S8_ifPKiSA_SA_iPKfiiiPfSD_PS3_PT2_iSC_SC_.private_seg_size, 0+max(.L__assert_fail.private_seg_size)
	.set _Z39paged_attention_ll4mi_QKV_mfma16_kernelI14__hip_bfloat16S0_LN4vllm18Fp8KVCacheDataTypeE0EhLi16ELi128ELi256ELb1ELi5EEvPKT_PKT0_S8_ifPKiSA_SA_iPKfiiiPfSD_PS3_PT2_iSC_SC_.uses_vcc, or(1, .L__assert_fail.uses_vcc)
	.set _Z39paged_attention_ll4mi_QKV_mfma16_kernelI14__hip_bfloat16S0_LN4vllm18Fp8KVCacheDataTypeE0EhLi16ELi128ELi256ELb1ELi5EEvPKT_PKT0_S8_ifPKiSA_SA_iPKfiiiPfSD_PS3_PT2_iSC_SC_.uses_flat_scratch, or(0, .L__assert_fail.uses_flat_scratch)
	.set _Z39paged_attention_ll4mi_QKV_mfma16_kernelI14__hip_bfloat16S0_LN4vllm18Fp8KVCacheDataTypeE0EhLi16ELi128ELi256ELb1ELi5EEvPKT_PKT0_S8_ifPKiSA_SA_iPKfiiiPfSD_PS3_PT2_iSC_SC_.has_dyn_sized_stack, or(0, .L__assert_fail.has_dyn_sized_stack)
	.set _Z39paged_attention_ll4mi_QKV_mfma16_kernelI14__hip_bfloat16S0_LN4vllm18Fp8KVCacheDataTypeE0EhLi16ELi128ELi256ELb1ELi5EEvPKT_PKT0_S8_ifPKiSA_SA_iPKfiiiPfSD_PS3_PT2_iSC_SC_.has_recursion, or(0, .L__assert_fail.has_recursion)
	.set _Z39paged_attention_ll4mi_QKV_mfma16_kernelI14__hip_bfloat16S0_LN4vllm18Fp8KVCacheDataTypeE0EhLi16ELi128ELi256ELb1ELi5EEvPKT_PKT0_S8_ifPKiSA_SA_iPKfiiiPfSD_PS3_PT2_iSC_SC_.has_indirect_call, or(0, .L__assert_fail.has_indirect_call)
	.section	.AMDGPU.csdata,"",@progbits
; Kernel info:
; codeLenInByte = 68
; TotalNumSgprs: 36
; NumVgprs: 51
; ScratchSize: 64
; MemoryBound: 0
; FloatMode: 240
; IeeeMode: 1
; LDSByteSize: 0 bytes/workgroup (compile time only)
; SGPRBlocks: 0
; VGPRBlocks: 3
; NumSGPRsForWavesPerEU: 36
; NumVGPRsForWavesPerEU: 51
; NamedBarCnt: 0
; Occupancy: 16
; WaveLimiterHint : 1
; COMPUTE_PGM_RSRC2:SCRATCH_EN: 1
; COMPUTE_PGM_RSRC2:USER_SGPR: 2
; COMPUTE_PGM_RSRC2:TRAP_HANDLER: 0
; COMPUTE_PGM_RSRC2:TGID_X_EN: 1
; COMPUTE_PGM_RSRC2:TGID_Y_EN: 0
; COMPUTE_PGM_RSRC2:TGID_Z_EN: 0
; COMPUTE_PGM_RSRC2:TIDIG_COMP_CNT: 0
	.section	.text._Z39paged_attention_ll4mi_QKV_mfma16_kernelI14__hip_bfloat16S0_LN4vllm18Fp8KVCacheDataTypeE0EhLi16ELi128ELi256ELb1ELi6EEvPKT_PKT0_S8_ifPKiSA_SA_iPKfiiiPfSD_PS3_PT2_iSC_SC_,"axG",@progbits,_Z39paged_attention_ll4mi_QKV_mfma16_kernelI14__hip_bfloat16S0_LN4vllm18Fp8KVCacheDataTypeE0EhLi16ELi128ELi256ELb1ELi6EEvPKT_PKT0_S8_ifPKiSA_SA_iPKfiiiPfSD_PS3_PT2_iSC_SC_,comdat
	.protected	_Z39paged_attention_ll4mi_QKV_mfma16_kernelI14__hip_bfloat16S0_LN4vllm18Fp8KVCacheDataTypeE0EhLi16ELi128ELi256ELb1ELi6EEvPKT_PKT0_S8_ifPKiSA_SA_iPKfiiiPfSD_PS3_PT2_iSC_SC_ ; -- Begin function _Z39paged_attention_ll4mi_QKV_mfma16_kernelI14__hip_bfloat16S0_LN4vllm18Fp8KVCacheDataTypeE0EhLi16ELi128ELi256ELb1ELi6EEvPKT_PKT0_S8_ifPKiSA_SA_iPKfiiiPfSD_PS3_PT2_iSC_SC_
	.globl	_Z39paged_attention_ll4mi_QKV_mfma16_kernelI14__hip_bfloat16S0_LN4vllm18Fp8KVCacheDataTypeE0EhLi16ELi128ELi256ELb1ELi6EEvPKT_PKT0_S8_ifPKiSA_SA_iPKfiiiPfSD_PS3_PT2_iSC_SC_
	.p2align	8
	.type	_Z39paged_attention_ll4mi_QKV_mfma16_kernelI14__hip_bfloat16S0_LN4vllm18Fp8KVCacheDataTypeE0EhLi16ELi128ELi256ELb1ELi6EEvPKT_PKT0_S8_ifPKiSA_SA_iPKfiiiPfSD_PS3_PT2_iSC_SC_,@function
_Z39paged_attention_ll4mi_QKV_mfma16_kernelI14__hip_bfloat16S0_LN4vllm18Fp8KVCacheDataTypeE0EhLi16ELi128ELi256ELb1ELi6EEvPKT_PKT0_S8_ifPKiSA_SA_iPKfiiiPfSD_PS3_PT2_iSC_SC_: ; @_Z39paged_attention_ll4mi_QKV_mfma16_kernelI14__hip_bfloat16S0_LN4vllm18Fp8KVCacheDataTypeE0EhLi16ELi128ELi256ELb1ELi6EEvPKT_PKT0_S8_ifPKiSA_SA_iPKfiiiPfSD_PS3_PT2_iSC_SC_
; %bb.0:
	s_get_pc_i64 s[2:3]
	s_add_nc_u64 s[2:3], s[2:3], __PRETTY_FUNCTION__._Z39paged_attention_ll4mi_QKV_mfma16_kernelI14__hip_bfloat16S0_LN4vllm18Fp8KVCacheDataTypeE0EhLi16ELi128ELi256ELb1ELi6EEvPKT_PKT0_S8_ifPKiSA_SA_iPKfiiiPfSD_PS3_PT2_iSC_SC_@rel64+4
	s_delay_alu instid0(SALU_CYCLE_1)
	v_dual_mov_b32 v0, 0xbb3 :: v_dual_mov_b32 v1, s2
	v_mov_b32_e32 v2, s3
	s_add_nc_u64 s[8:9], s[0:1], 0x90
	s_get_pc_i64 s[0:1]
	s_add_nc_u64 s[0:1], s[0:1], __assert_fail@rel64+4
	s_mov_b32 s32, 0
	s_swap_pc_i64 s[30:31], s[0:1]
	.section	.rodata,"a",@progbits
	.p2align	6, 0x0
	.amdhsa_kernel _Z39paged_attention_ll4mi_QKV_mfma16_kernelI14__hip_bfloat16S0_LN4vllm18Fp8KVCacheDataTypeE0EhLi16ELi128ELi256ELb1ELi6EEvPKT_PKT0_S8_ifPKiSA_SA_iPKfiiiPfSD_PS3_PT2_iSC_SC_
		.amdhsa_group_segment_fixed_size 0
		.amdhsa_private_segment_fixed_size 64
		.amdhsa_kernarg_size 400
		.amdhsa_user_sgpr_count 2
		.amdhsa_user_sgpr_dispatch_ptr 0
		.amdhsa_user_sgpr_queue_ptr 0
		.amdhsa_user_sgpr_kernarg_segment_ptr 1
		.amdhsa_user_sgpr_dispatch_id 0
		.amdhsa_user_sgpr_kernarg_preload_length 0
		.amdhsa_user_sgpr_kernarg_preload_offset 0
		.amdhsa_user_sgpr_private_segment_size 0
		.amdhsa_wavefront_size32 1
		.amdhsa_uses_dynamic_stack 0
		.amdhsa_enable_private_segment 1
		.amdhsa_system_sgpr_workgroup_id_x 1
		.amdhsa_system_sgpr_workgroup_id_y 0
		.amdhsa_system_sgpr_workgroup_id_z 0
		.amdhsa_system_sgpr_workgroup_info 0
		.amdhsa_system_vgpr_workitem_id 0
		.amdhsa_next_free_vgpr 51
		.amdhsa_next_free_sgpr 34
		.amdhsa_named_barrier_count 0
		.amdhsa_reserve_vcc 1
		.amdhsa_float_round_mode_32 0
		.amdhsa_float_round_mode_16_64 0
		.amdhsa_float_denorm_mode_32 3
		.amdhsa_float_denorm_mode_16_64 3
		.amdhsa_fp16_overflow 0
		.amdhsa_memory_ordered 1
		.amdhsa_forward_progress 1
		.amdhsa_inst_pref_size 1
		.amdhsa_round_robin_scheduling 0
		.amdhsa_exception_fp_ieee_invalid_op 0
		.amdhsa_exception_fp_denorm_src 0
		.amdhsa_exception_fp_ieee_div_zero 0
		.amdhsa_exception_fp_ieee_overflow 0
		.amdhsa_exception_fp_ieee_underflow 0
		.amdhsa_exception_fp_ieee_inexact 0
		.amdhsa_exception_int_div_zero 0
	.end_amdhsa_kernel
	.section	.text._Z39paged_attention_ll4mi_QKV_mfma16_kernelI14__hip_bfloat16S0_LN4vllm18Fp8KVCacheDataTypeE0EhLi16ELi128ELi256ELb1ELi6EEvPKT_PKT0_S8_ifPKiSA_SA_iPKfiiiPfSD_PS3_PT2_iSC_SC_,"axG",@progbits,_Z39paged_attention_ll4mi_QKV_mfma16_kernelI14__hip_bfloat16S0_LN4vllm18Fp8KVCacheDataTypeE0EhLi16ELi128ELi256ELb1ELi6EEvPKT_PKT0_S8_ifPKiSA_SA_iPKfiiiPfSD_PS3_PT2_iSC_SC_,comdat
.Lfunc_end583:
	.size	_Z39paged_attention_ll4mi_QKV_mfma16_kernelI14__hip_bfloat16S0_LN4vllm18Fp8KVCacheDataTypeE0EhLi16ELi128ELi256ELb1ELi6EEvPKT_PKT0_S8_ifPKiSA_SA_iPKfiiiPfSD_PS3_PT2_iSC_SC_, .Lfunc_end583-_Z39paged_attention_ll4mi_QKV_mfma16_kernelI14__hip_bfloat16S0_LN4vllm18Fp8KVCacheDataTypeE0EhLi16ELi128ELi256ELb1ELi6EEvPKT_PKT0_S8_ifPKiSA_SA_iPKfiiiPfSD_PS3_PT2_iSC_SC_
                                        ; -- End function
	.set _Z39paged_attention_ll4mi_QKV_mfma16_kernelI14__hip_bfloat16S0_LN4vllm18Fp8KVCacheDataTypeE0EhLi16ELi128ELi256ELb1ELi6EEvPKT_PKT0_S8_ifPKiSA_SA_iPKfiiiPfSD_PS3_PT2_iSC_SC_.num_vgpr, max(3, .L__assert_fail.num_vgpr)
	.set _Z39paged_attention_ll4mi_QKV_mfma16_kernelI14__hip_bfloat16S0_LN4vllm18Fp8KVCacheDataTypeE0EhLi16ELi128ELi256ELb1ELi6EEvPKT_PKT0_S8_ifPKiSA_SA_iPKfiiiPfSD_PS3_PT2_iSC_SC_.num_agpr, max(0, .L__assert_fail.num_agpr)
	.set _Z39paged_attention_ll4mi_QKV_mfma16_kernelI14__hip_bfloat16S0_LN4vllm18Fp8KVCacheDataTypeE0EhLi16ELi128ELi256ELb1ELi6EEvPKT_PKT0_S8_ifPKiSA_SA_iPKfiiiPfSD_PS3_PT2_iSC_SC_.numbered_sgpr, max(33, .L__assert_fail.numbered_sgpr)
	.set _Z39paged_attention_ll4mi_QKV_mfma16_kernelI14__hip_bfloat16S0_LN4vllm18Fp8KVCacheDataTypeE0EhLi16ELi128ELi256ELb1ELi6EEvPKT_PKT0_S8_ifPKiSA_SA_iPKfiiiPfSD_PS3_PT2_iSC_SC_.num_named_barrier, max(0, .L__assert_fail.num_named_barrier)
	.set _Z39paged_attention_ll4mi_QKV_mfma16_kernelI14__hip_bfloat16S0_LN4vllm18Fp8KVCacheDataTypeE0EhLi16ELi128ELi256ELb1ELi6EEvPKT_PKT0_S8_ifPKiSA_SA_iPKfiiiPfSD_PS3_PT2_iSC_SC_.private_seg_size, 0+max(.L__assert_fail.private_seg_size)
	.set _Z39paged_attention_ll4mi_QKV_mfma16_kernelI14__hip_bfloat16S0_LN4vllm18Fp8KVCacheDataTypeE0EhLi16ELi128ELi256ELb1ELi6EEvPKT_PKT0_S8_ifPKiSA_SA_iPKfiiiPfSD_PS3_PT2_iSC_SC_.uses_vcc, or(1, .L__assert_fail.uses_vcc)
	.set _Z39paged_attention_ll4mi_QKV_mfma16_kernelI14__hip_bfloat16S0_LN4vllm18Fp8KVCacheDataTypeE0EhLi16ELi128ELi256ELb1ELi6EEvPKT_PKT0_S8_ifPKiSA_SA_iPKfiiiPfSD_PS3_PT2_iSC_SC_.uses_flat_scratch, or(0, .L__assert_fail.uses_flat_scratch)
	.set _Z39paged_attention_ll4mi_QKV_mfma16_kernelI14__hip_bfloat16S0_LN4vllm18Fp8KVCacheDataTypeE0EhLi16ELi128ELi256ELb1ELi6EEvPKT_PKT0_S8_ifPKiSA_SA_iPKfiiiPfSD_PS3_PT2_iSC_SC_.has_dyn_sized_stack, or(0, .L__assert_fail.has_dyn_sized_stack)
	.set _Z39paged_attention_ll4mi_QKV_mfma16_kernelI14__hip_bfloat16S0_LN4vllm18Fp8KVCacheDataTypeE0EhLi16ELi128ELi256ELb1ELi6EEvPKT_PKT0_S8_ifPKiSA_SA_iPKfiiiPfSD_PS3_PT2_iSC_SC_.has_recursion, or(0, .L__assert_fail.has_recursion)
	.set _Z39paged_attention_ll4mi_QKV_mfma16_kernelI14__hip_bfloat16S0_LN4vllm18Fp8KVCacheDataTypeE0EhLi16ELi128ELi256ELb1ELi6EEvPKT_PKT0_S8_ifPKiSA_SA_iPKfiiiPfSD_PS3_PT2_iSC_SC_.has_indirect_call, or(0, .L__assert_fail.has_indirect_call)
	.section	.AMDGPU.csdata,"",@progbits
; Kernel info:
; codeLenInByte = 68
; TotalNumSgprs: 36
; NumVgprs: 51
; ScratchSize: 64
; MemoryBound: 0
; FloatMode: 240
; IeeeMode: 1
; LDSByteSize: 0 bytes/workgroup (compile time only)
; SGPRBlocks: 0
; VGPRBlocks: 3
; NumSGPRsForWavesPerEU: 36
; NumVGPRsForWavesPerEU: 51
; NamedBarCnt: 0
; Occupancy: 16
; WaveLimiterHint : 1
; COMPUTE_PGM_RSRC2:SCRATCH_EN: 1
; COMPUTE_PGM_RSRC2:USER_SGPR: 2
; COMPUTE_PGM_RSRC2:TRAP_HANDLER: 0
; COMPUTE_PGM_RSRC2:TGID_X_EN: 1
; COMPUTE_PGM_RSRC2:TGID_Y_EN: 0
; COMPUTE_PGM_RSRC2:TGID_Z_EN: 0
; COMPUTE_PGM_RSRC2:TIDIG_COMP_CNT: 0
	.section	.text._Z39paged_attention_ll4mi_QKV_mfma16_kernelI14__hip_bfloat16S0_LN4vllm18Fp8KVCacheDataTypeE0EhLi16ELi128ELi256ELb1ELi7EEvPKT_PKT0_S8_ifPKiSA_SA_iPKfiiiPfSD_PS3_PT2_iSC_SC_,"axG",@progbits,_Z39paged_attention_ll4mi_QKV_mfma16_kernelI14__hip_bfloat16S0_LN4vllm18Fp8KVCacheDataTypeE0EhLi16ELi128ELi256ELb1ELi7EEvPKT_PKT0_S8_ifPKiSA_SA_iPKfiiiPfSD_PS3_PT2_iSC_SC_,comdat
	.protected	_Z39paged_attention_ll4mi_QKV_mfma16_kernelI14__hip_bfloat16S0_LN4vllm18Fp8KVCacheDataTypeE0EhLi16ELi128ELi256ELb1ELi7EEvPKT_PKT0_S8_ifPKiSA_SA_iPKfiiiPfSD_PS3_PT2_iSC_SC_ ; -- Begin function _Z39paged_attention_ll4mi_QKV_mfma16_kernelI14__hip_bfloat16S0_LN4vllm18Fp8KVCacheDataTypeE0EhLi16ELi128ELi256ELb1ELi7EEvPKT_PKT0_S8_ifPKiSA_SA_iPKfiiiPfSD_PS3_PT2_iSC_SC_
	.globl	_Z39paged_attention_ll4mi_QKV_mfma16_kernelI14__hip_bfloat16S0_LN4vllm18Fp8KVCacheDataTypeE0EhLi16ELi128ELi256ELb1ELi7EEvPKT_PKT0_S8_ifPKiSA_SA_iPKfiiiPfSD_PS3_PT2_iSC_SC_
	.p2align	8
	.type	_Z39paged_attention_ll4mi_QKV_mfma16_kernelI14__hip_bfloat16S0_LN4vllm18Fp8KVCacheDataTypeE0EhLi16ELi128ELi256ELb1ELi7EEvPKT_PKT0_S8_ifPKiSA_SA_iPKfiiiPfSD_PS3_PT2_iSC_SC_,@function
_Z39paged_attention_ll4mi_QKV_mfma16_kernelI14__hip_bfloat16S0_LN4vllm18Fp8KVCacheDataTypeE0EhLi16ELi128ELi256ELb1ELi7EEvPKT_PKT0_S8_ifPKiSA_SA_iPKfiiiPfSD_PS3_PT2_iSC_SC_: ; @_Z39paged_attention_ll4mi_QKV_mfma16_kernelI14__hip_bfloat16S0_LN4vllm18Fp8KVCacheDataTypeE0EhLi16ELi128ELi256ELb1ELi7EEvPKT_PKT0_S8_ifPKiSA_SA_iPKfiiiPfSD_PS3_PT2_iSC_SC_
; %bb.0:
	s_get_pc_i64 s[2:3]
	s_add_nc_u64 s[2:3], s[2:3], __PRETTY_FUNCTION__._Z39paged_attention_ll4mi_QKV_mfma16_kernelI14__hip_bfloat16S0_LN4vllm18Fp8KVCacheDataTypeE0EhLi16ELi128ELi256ELb1ELi7EEvPKT_PKT0_S8_ifPKiSA_SA_iPKfiiiPfSD_PS3_PT2_iSC_SC_@rel64+4
	s_delay_alu instid0(SALU_CYCLE_1)
	v_dual_mov_b32 v0, 0xbb3 :: v_dual_mov_b32 v1, s2
	v_mov_b32_e32 v2, s3
	s_add_nc_u64 s[8:9], s[0:1], 0x90
	s_get_pc_i64 s[0:1]
	s_add_nc_u64 s[0:1], s[0:1], __assert_fail@rel64+4
	s_mov_b32 s32, 0
	s_swap_pc_i64 s[30:31], s[0:1]
	.section	.rodata,"a",@progbits
	.p2align	6, 0x0
	.amdhsa_kernel _Z39paged_attention_ll4mi_QKV_mfma16_kernelI14__hip_bfloat16S0_LN4vllm18Fp8KVCacheDataTypeE0EhLi16ELi128ELi256ELb1ELi7EEvPKT_PKT0_S8_ifPKiSA_SA_iPKfiiiPfSD_PS3_PT2_iSC_SC_
		.amdhsa_group_segment_fixed_size 0
		.amdhsa_private_segment_fixed_size 64
		.amdhsa_kernarg_size 400
		.amdhsa_user_sgpr_count 2
		.amdhsa_user_sgpr_dispatch_ptr 0
		.amdhsa_user_sgpr_queue_ptr 0
		.amdhsa_user_sgpr_kernarg_segment_ptr 1
		.amdhsa_user_sgpr_dispatch_id 0
		.amdhsa_user_sgpr_kernarg_preload_length 0
		.amdhsa_user_sgpr_kernarg_preload_offset 0
		.amdhsa_user_sgpr_private_segment_size 0
		.amdhsa_wavefront_size32 1
		.amdhsa_uses_dynamic_stack 0
		.amdhsa_enable_private_segment 1
		.amdhsa_system_sgpr_workgroup_id_x 1
		.amdhsa_system_sgpr_workgroup_id_y 0
		.amdhsa_system_sgpr_workgroup_id_z 0
		.amdhsa_system_sgpr_workgroup_info 0
		.amdhsa_system_vgpr_workitem_id 0
		.amdhsa_next_free_vgpr 51
		.amdhsa_next_free_sgpr 34
		.amdhsa_named_barrier_count 0
		.amdhsa_reserve_vcc 1
		.amdhsa_float_round_mode_32 0
		.amdhsa_float_round_mode_16_64 0
		.amdhsa_float_denorm_mode_32 3
		.amdhsa_float_denorm_mode_16_64 3
		.amdhsa_fp16_overflow 0
		.amdhsa_memory_ordered 1
		.amdhsa_forward_progress 1
		.amdhsa_inst_pref_size 1
		.amdhsa_round_robin_scheduling 0
		.amdhsa_exception_fp_ieee_invalid_op 0
		.amdhsa_exception_fp_denorm_src 0
		.amdhsa_exception_fp_ieee_div_zero 0
		.amdhsa_exception_fp_ieee_overflow 0
		.amdhsa_exception_fp_ieee_underflow 0
		.amdhsa_exception_fp_ieee_inexact 0
		.amdhsa_exception_int_div_zero 0
	.end_amdhsa_kernel
	.section	.text._Z39paged_attention_ll4mi_QKV_mfma16_kernelI14__hip_bfloat16S0_LN4vllm18Fp8KVCacheDataTypeE0EhLi16ELi128ELi256ELb1ELi7EEvPKT_PKT0_S8_ifPKiSA_SA_iPKfiiiPfSD_PS3_PT2_iSC_SC_,"axG",@progbits,_Z39paged_attention_ll4mi_QKV_mfma16_kernelI14__hip_bfloat16S0_LN4vllm18Fp8KVCacheDataTypeE0EhLi16ELi128ELi256ELb1ELi7EEvPKT_PKT0_S8_ifPKiSA_SA_iPKfiiiPfSD_PS3_PT2_iSC_SC_,comdat
.Lfunc_end584:
	.size	_Z39paged_attention_ll4mi_QKV_mfma16_kernelI14__hip_bfloat16S0_LN4vllm18Fp8KVCacheDataTypeE0EhLi16ELi128ELi256ELb1ELi7EEvPKT_PKT0_S8_ifPKiSA_SA_iPKfiiiPfSD_PS3_PT2_iSC_SC_, .Lfunc_end584-_Z39paged_attention_ll4mi_QKV_mfma16_kernelI14__hip_bfloat16S0_LN4vllm18Fp8KVCacheDataTypeE0EhLi16ELi128ELi256ELb1ELi7EEvPKT_PKT0_S8_ifPKiSA_SA_iPKfiiiPfSD_PS3_PT2_iSC_SC_
                                        ; -- End function
	.set _Z39paged_attention_ll4mi_QKV_mfma16_kernelI14__hip_bfloat16S0_LN4vllm18Fp8KVCacheDataTypeE0EhLi16ELi128ELi256ELb1ELi7EEvPKT_PKT0_S8_ifPKiSA_SA_iPKfiiiPfSD_PS3_PT2_iSC_SC_.num_vgpr, max(3, .L__assert_fail.num_vgpr)
	.set _Z39paged_attention_ll4mi_QKV_mfma16_kernelI14__hip_bfloat16S0_LN4vllm18Fp8KVCacheDataTypeE0EhLi16ELi128ELi256ELb1ELi7EEvPKT_PKT0_S8_ifPKiSA_SA_iPKfiiiPfSD_PS3_PT2_iSC_SC_.num_agpr, max(0, .L__assert_fail.num_agpr)
	.set _Z39paged_attention_ll4mi_QKV_mfma16_kernelI14__hip_bfloat16S0_LN4vllm18Fp8KVCacheDataTypeE0EhLi16ELi128ELi256ELb1ELi7EEvPKT_PKT0_S8_ifPKiSA_SA_iPKfiiiPfSD_PS3_PT2_iSC_SC_.numbered_sgpr, max(33, .L__assert_fail.numbered_sgpr)
	.set _Z39paged_attention_ll4mi_QKV_mfma16_kernelI14__hip_bfloat16S0_LN4vllm18Fp8KVCacheDataTypeE0EhLi16ELi128ELi256ELb1ELi7EEvPKT_PKT0_S8_ifPKiSA_SA_iPKfiiiPfSD_PS3_PT2_iSC_SC_.num_named_barrier, max(0, .L__assert_fail.num_named_barrier)
	.set _Z39paged_attention_ll4mi_QKV_mfma16_kernelI14__hip_bfloat16S0_LN4vllm18Fp8KVCacheDataTypeE0EhLi16ELi128ELi256ELb1ELi7EEvPKT_PKT0_S8_ifPKiSA_SA_iPKfiiiPfSD_PS3_PT2_iSC_SC_.private_seg_size, 0+max(.L__assert_fail.private_seg_size)
	.set _Z39paged_attention_ll4mi_QKV_mfma16_kernelI14__hip_bfloat16S0_LN4vllm18Fp8KVCacheDataTypeE0EhLi16ELi128ELi256ELb1ELi7EEvPKT_PKT0_S8_ifPKiSA_SA_iPKfiiiPfSD_PS3_PT2_iSC_SC_.uses_vcc, or(1, .L__assert_fail.uses_vcc)
	.set _Z39paged_attention_ll4mi_QKV_mfma16_kernelI14__hip_bfloat16S0_LN4vllm18Fp8KVCacheDataTypeE0EhLi16ELi128ELi256ELb1ELi7EEvPKT_PKT0_S8_ifPKiSA_SA_iPKfiiiPfSD_PS3_PT2_iSC_SC_.uses_flat_scratch, or(0, .L__assert_fail.uses_flat_scratch)
	.set _Z39paged_attention_ll4mi_QKV_mfma16_kernelI14__hip_bfloat16S0_LN4vllm18Fp8KVCacheDataTypeE0EhLi16ELi128ELi256ELb1ELi7EEvPKT_PKT0_S8_ifPKiSA_SA_iPKfiiiPfSD_PS3_PT2_iSC_SC_.has_dyn_sized_stack, or(0, .L__assert_fail.has_dyn_sized_stack)
	.set _Z39paged_attention_ll4mi_QKV_mfma16_kernelI14__hip_bfloat16S0_LN4vllm18Fp8KVCacheDataTypeE0EhLi16ELi128ELi256ELb1ELi7EEvPKT_PKT0_S8_ifPKiSA_SA_iPKfiiiPfSD_PS3_PT2_iSC_SC_.has_recursion, or(0, .L__assert_fail.has_recursion)
	.set _Z39paged_attention_ll4mi_QKV_mfma16_kernelI14__hip_bfloat16S0_LN4vllm18Fp8KVCacheDataTypeE0EhLi16ELi128ELi256ELb1ELi7EEvPKT_PKT0_S8_ifPKiSA_SA_iPKfiiiPfSD_PS3_PT2_iSC_SC_.has_indirect_call, or(0, .L__assert_fail.has_indirect_call)
	.section	.AMDGPU.csdata,"",@progbits
; Kernel info:
; codeLenInByte = 68
; TotalNumSgprs: 36
; NumVgprs: 51
; ScratchSize: 64
; MemoryBound: 0
; FloatMode: 240
; IeeeMode: 1
; LDSByteSize: 0 bytes/workgroup (compile time only)
; SGPRBlocks: 0
; VGPRBlocks: 3
; NumSGPRsForWavesPerEU: 36
; NumVGPRsForWavesPerEU: 51
; NamedBarCnt: 0
; Occupancy: 16
; WaveLimiterHint : 1
; COMPUTE_PGM_RSRC2:SCRATCH_EN: 1
; COMPUTE_PGM_RSRC2:USER_SGPR: 2
; COMPUTE_PGM_RSRC2:TRAP_HANDLER: 0
; COMPUTE_PGM_RSRC2:TGID_X_EN: 1
; COMPUTE_PGM_RSRC2:TGID_Y_EN: 0
; COMPUTE_PGM_RSRC2:TGID_Z_EN: 0
; COMPUTE_PGM_RSRC2:TIDIG_COMP_CNT: 0
	.section	.text._Z39paged_attention_ll4mi_QKV_mfma16_kernelI14__hip_bfloat16S0_LN4vllm18Fp8KVCacheDataTypeE0EhLi16ELi128ELi256ELb1ELi8EEvPKT_PKT0_S8_ifPKiSA_SA_iPKfiiiPfSD_PS3_PT2_iSC_SC_,"axG",@progbits,_Z39paged_attention_ll4mi_QKV_mfma16_kernelI14__hip_bfloat16S0_LN4vllm18Fp8KVCacheDataTypeE0EhLi16ELi128ELi256ELb1ELi8EEvPKT_PKT0_S8_ifPKiSA_SA_iPKfiiiPfSD_PS3_PT2_iSC_SC_,comdat
	.protected	_Z39paged_attention_ll4mi_QKV_mfma16_kernelI14__hip_bfloat16S0_LN4vllm18Fp8KVCacheDataTypeE0EhLi16ELi128ELi256ELb1ELi8EEvPKT_PKT0_S8_ifPKiSA_SA_iPKfiiiPfSD_PS3_PT2_iSC_SC_ ; -- Begin function _Z39paged_attention_ll4mi_QKV_mfma16_kernelI14__hip_bfloat16S0_LN4vllm18Fp8KVCacheDataTypeE0EhLi16ELi128ELi256ELb1ELi8EEvPKT_PKT0_S8_ifPKiSA_SA_iPKfiiiPfSD_PS3_PT2_iSC_SC_
	.globl	_Z39paged_attention_ll4mi_QKV_mfma16_kernelI14__hip_bfloat16S0_LN4vllm18Fp8KVCacheDataTypeE0EhLi16ELi128ELi256ELb1ELi8EEvPKT_PKT0_S8_ifPKiSA_SA_iPKfiiiPfSD_PS3_PT2_iSC_SC_
	.p2align	8
	.type	_Z39paged_attention_ll4mi_QKV_mfma16_kernelI14__hip_bfloat16S0_LN4vllm18Fp8KVCacheDataTypeE0EhLi16ELi128ELi256ELb1ELi8EEvPKT_PKT0_S8_ifPKiSA_SA_iPKfiiiPfSD_PS3_PT2_iSC_SC_,@function
_Z39paged_attention_ll4mi_QKV_mfma16_kernelI14__hip_bfloat16S0_LN4vllm18Fp8KVCacheDataTypeE0EhLi16ELi128ELi256ELb1ELi8EEvPKT_PKT0_S8_ifPKiSA_SA_iPKfiiiPfSD_PS3_PT2_iSC_SC_: ; @_Z39paged_attention_ll4mi_QKV_mfma16_kernelI14__hip_bfloat16S0_LN4vllm18Fp8KVCacheDataTypeE0EhLi16ELi128ELi256ELb1ELi8EEvPKT_PKT0_S8_ifPKiSA_SA_iPKfiiiPfSD_PS3_PT2_iSC_SC_
; %bb.0:
	s_get_pc_i64 s[2:3]
	s_add_nc_u64 s[2:3], s[2:3], __PRETTY_FUNCTION__._Z39paged_attention_ll4mi_QKV_mfma16_kernelI14__hip_bfloat16S0_LN4vllm18Fp8KVCacheDataTypeE0EhLi16ELi128ELi256ELb1ELi8EEvPKT_PKT0_S8_ifPKiSA_SA_iPKfiiiPfSD_PS3_PT2_iSC_SC_@rel64+4
	s_delay_alu instid0(SALU_CYCLE_1)
	v_dual_mov_b32 v0, 0xbb3 :: v_dual_mov_b32 v1, s2
	v_mov_b32_e32 v2, s3
	s_add_nc_u64 s[8:9], s[0:1], 0x90
	s_get_pc_i64 s[0:1]
	s_add_nc_u64 s[0:1], s[0:1], __assert_fail@rel64+4
	s_mov_b32 s32, 0
	s_swap_pc_i64 s[30:31], s[0:1]
	.section	.rodata,"a",@progbits
	.p2align	6, 0x0
	.amdhsa_kernel _Z39paged_attention_ll4mi_QKV_mfma16_kernelI14__hip_bfloat16S0_LN4vllm18Fp8KVCacheDataTypeE0EhLi16ELi128ELi256ELb1ELi8EEvPKT_PKT0_S8_ifPKiSA_SA_iPKfiiiPfSD_PS3_PT2_iSC_SC_
		.amdhsa_group_segment_fixed_size 0
		.amdhsa_private_segment_fixed_size 64
		.amdhsa_kernarg_size 400
		.amdhsa_user_sgpr_count 2
		.amdhsa_user_sgpr_dispatch_ptr 0
		.amdhsa_user_sgpr_queue_ptr 0
		.amdhsa_user_sgpr_kernarg_segment_ptr 1
		.amdhsa_user_sgpr_dispatch_id 0
		.amdhsa_user_sgpr_kernarg_preload_length 0
		.amdhsa_user_sgpr_kernarg_preload_offset 0
		.amdhsa_user_sgpr_private_segment_size 0
		.amdhsa_wavefront_size32 1
		.amdhsa_uses_dynamic_stack 0
		.amdhsa_enable_private_segment 1
		.amdhsa_system_sgpr_workgroup_id_x 1
		.amdhsa_system_sgpr_workgroup_id_y 0
		.amdhsa_system_sgpr_workgroup_id_z 0
		.amdhsa_system_sgpr_workgroup_info 0
		.amdhsa_system_vgpr_workitem_id 0
		.amdhsa_next_free_vgpr 51
		.amdhsa_next_free_sgpr 34
		.amdhsa_named_barrier_count 0
		.amdhsa_reserve_vcc 1
		.amdhsa_float_round_mode_32 0
		.amdhsa_float_round_mode_16_64 0
		.amdhsa_float_denorm_mode_32 3
		.amdhsa_float_denorm_mode_16_64 3
		.amdhsa_fp16_overflow 0
		.amdhsa_memory_ordered 1
		.amdhsa_forward_progress 1
		.amdhsa_inst_pref_size 1
		.amdhsa_round_robin_scheduling 0
		.amdhsa_exception_fp_ieee_invalid_op 0
		.amdhsa_exception_fp_denorm_src 0
		.amdhsa_exception_fp_ieee_div_zero 0
		.amdhsa_exception_fp_ieee_overflow 0
		.amdhsa_exception_fp_ieee_underflow 0
		.amdhsa_exception_fp_ieee_inexact 0
		.amdhsa_exception_int_div_zero 0
	.end_amdhsa_kernel
	.section	.text._Z39paged_attention_ll4mi_QKV_mfma16_kernelI14__hip_bfloat16S0_LN4vllm18Fp8KVCacheDataTypeE0EhLi16ELi128ELi256ELb1ELi8EEvPKT_PKT0_S8_ifPKiSA_SA_iPKfiiiPfSD_PS3_PT2_iSC_SC_,"axG",@progbits,_Z39paged_attention_ll4mi_QKV_mfma16_kernelI14__hip_bfloat16S0_LN4vllm18Fp8KVCacheDataTypeE0EhLi16ELi128ELi256ELb1ELi8EEvPKT_PKT0_S8_ifPKiSA_SA_iPKfiiiPfSD_PS3_PT2_iSC_SC_,comdat
.Lfunc_end585:
	.size	_Z39paged_attention_ll4mi_QKV_mfma16_kernelI14__hip_bfloat16S0_LN4vllm18Fp8KVCacheDataTypeE0EhLi16ELi128ELi256ELb1ELi8EEvPKT_PKT0_S8_ifPKiSA_SA_iPKfiiiPfSD_PS3_PT2_iSC_SC_, .Lfunc_end585-_Z39paged_attention_ll4mi_QKV_mfma16_kernelI14__hip_bfloat16S0_LN4vllm18Fp8KVCacheDataTypeE0EhLi16ELi128ELi256ELb1ELi8EEvPKT_PKT0_S8_ifPKiSA_SA_iPKfiiiPfSD_PS3_PT2_iSC_SC_
                                        ; -- End function
	.set _Z39paged_attention_ll4mi_QKV_mfma16_kernelI14__hip_bfloat16S0_LN4vllm18Fp8KVCacheDataTypeE0EhLi16ELi128ELi256ELb1ELi8EEvPKT_PKT0_S8_ifPKiSA_SA_iPKfiiiPfSD_PS3_PT2_iSC_SC_.num_vgpr, max(3, .L__assert_fail.num_vgpr)
	.set _Z39paged_attention_ll4mi_QKV_mfma16_kernelI14__hip_bfloat16S0_LN4vllm18Fp8KVCacheDataTypeE0EhLi16ELi128ELi256ELb1ELi8EEvPKT_PKT0_S8_ifPKiSA_SA_iPKfiiiPfSD_PS3_PT2_iSC_SC_.num_agpr, max(0, .L__assert_fail.num_agpr)
	.set _Z39paged_attention_ll4mi_QKV_mfma16_kernelI14__hip_bfloat16S0_LN4vllm18Fp8KVCacheDataTypeE0EhLi16ELi128ELi256ELb1ELi8EEvPKT_PKT0_S8_ifPKiSA_SA_iPKfiiiPfSD_PS3_PT2_iSC_SC_.numbered_sgpr, max(33, .L__assert_fail.numbered_sgpr)
	.set _Z39paged_attention_ll4mi_QKV_mfma16_kernelI14__hip_bfloat16S0_LN4vllm18Fp8KVCacheDataTypeE0EhLi16ELi128ELi256ELb1ELi8EEvPKT_PKT0_S8_ifPKiSA_SA_iPKfiiiPfSD_PS3_PT2_iSC_SC_.num_named_barrier, max(0, .L__assert_fail.num_named_barrier)
	.set _Z39paged_attention_ll4mi_QKV_mfma16_kernelI14__hip_bfloat16S0_LN4vllm18Fp8KVCacheDataTypeE0EhLi16ELi128ELi256ELb1ELi8EEvPKT_PKT0_S8_ifPKiSA_SA_iPKfiiiPfSD_PS3_PT2_iSC_SC_.private_seg_size, 0+max(.L__assert_fail.private_seg_size)
	.set _Z39paged_attention_ll4mi_QKV_mfma16_kernelI14__hip_bfloat16S0_LN4vllm18Fp8KVCacheDataTypeE0EhLi16ELi128ELi256ELb1ELi8EEvPKT_PKT0_S8_ifPKiSA_SA_iPKfiiiPfSD_PS3_PT2_iSC_SC_.uses_vcc, or(1, .L__assert_fail.uses_vcc)
	.set _Z39paged_attention_ll4mi_QKV_mfma16_kernelI14__hip_bfloat16S0_LN4vllm18Fp8KVCacheDataTypeE0EhLi16ELi128ELi256ELb1ELi8EEvPKT_PKT0_S8_ifPKiSA_SA_iPKfiiiPfSD_PS3_PT2_iSC_SC_.uses_flat_scratch, or(0, .L__assert_fail.uses_flat_scratch)
	.set _Z39paged_attention_ll4mi_QKV_mfma16_kernelI14__hip_bfloat16S0_LN4vllm18Fp8KVCacheDataTypeE0EhLi16ELi128ELi256ELb1ELi8EEvPKT_PKT0_S8_ifPKiSA_SA_iPKfiiiPfSD_PS3_PT2_iSC_SC_.has_dyn_sized_stack, or(0, .L__assert_fail.has_dyn_sized_stack)
	.set _Z39paged_attention_ll4mi_QKV_mfma16_kernelI14__hip_bfloat16S0_LN4vllm18Fp8KVCacheDataTypeE0EhLi16ELi128ELi256ELb1ELi8EEvPKT_PKT0_S8_ifPKiSA_SA_iPKfiiiPfSD_PS3_PT2_iSC_SC_.has_recursion, or(0, .L__assert_fail.has_recursion)
	.set _Z39paged_attention_ll4mi_QKV_mfma16_kernelI14__hip_bfloat16S0_LN4vllm18Fp8KVCacheDataTypeE0EhLi16ELi128ELi256ELb1ELi8EEvPKT_PKT0_S8_ifPKiSA_SA_iPKfiiiPfSD_PS3_PT2_iSC_SC_.has_indirect_call, or(0, .L__assert_fail.has_indirect_call)
	.section	.AMDGPU.csdata,"",@progbits
; Kernel info:
; codeLenInByte = 68
; TotalNumSgprs: 36
; NumVgprs: 51
; ScratchSize: 64
; MemoryBound: 0
; FloatMode: 240
; IeeeMode: 1
; LDSByteSize: 0 bytes/workgroup (compile time only)
; SGPRBlocks: 0
; VGPRBlocks: 3
; NumSGPRsForWavesPerEU: 36
; NumVGPRsForWavesPerEU: 51
; NamedBarCnt: 0
; Occupancy: 16
; WaveLimiterHint : 1
; COMPUTE_PGM_RSRC2:SCRATCH_EN: 1
; COMPUTE_PGM_RSRC2:USER_SGPR: 2
; COMPUTE_PGM_RSRC2:TRAP_HANDLER: 0
; COMPUTE_PGM_RSRC2:TGID_X_EN: 1
; COMPUTE_PGM_RSRC2:TGID_Y_EN: 0
; COMPUTE_PGM_RSRC2:TGID_Z_EN: 0
; COMPUTE_PGM_RSRC2:TIDIG_COMP_CNT: 0
	.section	.text._Z39paged_attention_ll4mi_QKV_mfma16_kernelI14__hip_bfloat16S0_LN4vllm18Fp8KVCacheDataTypeE0EhLi16ELi128ELi256ELb1ELi9EEvPKT_PKT0_S8_ifPKiSA_SA_iPKfiiiPfSD_PS3_PT2_iSC_SC_,"axG",@progbits,_Z39paged_attention_ll4mi_QKV_mfma16_kernelI14__hip_bfloat16S0_LN4vllm18Fp8KVCacheDataTypeE0EhLi16ELi128ELi256ELb1ELi9EEvPKT_PKT0_S8_ifPKiSA_SA_iPKfiiiPfSD_PS3_PT2_iSC_SC_,comdat
	.protected	_Z39paged_attention_ll4mi_QKV_mfma16_kernelI14__hip_bfloat16S0_LN4vllm18Fp8KVCacheDataTypeE0EhLi16ELi128ELi256ELb1ELi9EEvPKT_PKT0_S8_ifPKiSA_SA_iPKfiiiPfSD_PS3_PT2_iSC_SC_ ; -- Begin function _Z39paged_attention_ll4mi_QKV_mfma16_kernelI14__hip_bfloat16S0_LN4vllm18Fp8KVCacheDataTypeE0EhLi16ELi128ELi256ELb1ELi9EEvPKT_PKT0_S8_ifPKiSA_SA_iPKfiiiPfSD_PS3_PT2_iSC_SC_
	.globl	_Z39paged_attention_ll4mi_QKV_mfma16_kernelI14__hip_bfloat16S0_LN4vllm18Fp8KVCacheDataTypeE0EhLi16ELi128ELi256ELb1ELi9EEvPKT_PKT0_S8_ifPKiSA_SA_iPKfiiiPfSD_PS3_PT2_iSC_SC_
	.p2align	8
	.type	_Z39paged_attention_ll4mi_QKV_mfma16_kernelI14__hip_bfloat16S0_LN4vllm18Fp8KVCacheDataTypeE0EhLi16ELi128ELi256ELb1ELi9EEvPKT_PKT0_S8_ifPKiSA_SA_iPKfiiiPfSD_PS3_PT2_iSC_SC_,@function
_Z39paged_attention_ll4mi_QKV_mfma16_kernelI14__hip_bfloat16S0_LN4vllm18Fp8KVCacheDataTypeE0EhLi16ELi128ELi256ELb1ELi9EEvPKT_PKT0_S8_ifPKiSA_SA_iPKfiiiPfSD_PS3_PT2_iSC_SC_: ; @_Z39paged_attention_ll4mi_QKV_mfma16_kernelI14__hip_bfloat16S0_LN4vllm18Fp8KVCacheDataTypeE0EhLi16ELi128ELi256ELb1ELi9EEvPKT_PKT0_S8_ifPKiSA_SA_iPKfiiiPfSD_PS3_PT2_iSC_SC_
; %bb.0:
	s_get_pc_i64 s[2:3]
	s_add_nc_u64 s[2:3], s[2:3], __PRETTY_FUNCTION__._Z39paged_attention_ll4mi_QKV_mfma16_kernelI14__hip_bfloat16S0_LN4vllm18Fp8KVCacheDataTypeE0EhLi16ELi128ELi256ELb1ELi9EEvPKT_PKT0_S8_ifPKiSA_SA_iPKfiiiPfSD_PS3_PT2_iSC_SC_@rel64+4
	s_delay_alu instid0(SALU_CYCLE_1)
	v_dual_mov_b32 v0, 0xbb3 :: v_dual_mov_b32 v1, s2
	v_mov_b32_e32 v2, s3
	s_add_nc_u64 s[8:9], s[0:1], 0x90
	s_get_pc_i64 s[0:1]
	s_add_nc_u64 s[0:1], s[0:1], __assert_fail@rel64+4
	s_mov_b32 s32, 0
	s_swap_pc_i64 s[30:31], s[0:1]
	.section	.rodata,"a",@progbits
	.p2align	6, 0x0
	.amdhsa_kernel _Z39paged_attention_ll4mi_QKV_mfma16_kernelI14__hip_bfloat16S0_LN4vllm18Fp8KVCacheDataTypeE0EhLi16ELi128ELi256ELb1ELi9EEvPKT_PKT0_S8_ifPKiSA_SA_iPKfiiiPfSD_PS3_PT2_iSC_SC_
		.amdhsa_group_segment_fixed_size 0
		.amdhsa_private_segment_fixed_size 64
		.amdhsa_kernarg_size 400
		.amdhsa_user_sgpr_count 2
		.amdhsa_user_sgpr_dispatch_ptr 0
		.amdhsa_user_sgpr_queue_ptr 0
		.amdhsa_user_sgpr_kernarg_segment_ptr 1
		.amdhsa_user_sgpr_dispatch_id 0
		.amdhsa_user_sgpr_kernarg_preload_length 0
		.amdhsa_user_sgpr_kernarg_preload_offset 0
		.amdhsa_user_sgpr_private_segment_size 0
		.amdhsa_wavefront_size32 1
		.amdhsa_uses_dynamic_stack 0
		.amdhsa_enable_private_segment 1
		.amdhsa_system_sgpr_workgroup_id_x 1
		.amdhsa_system_sgpr_workgroup_id_y 0
		.amdhsa_system_sgpr_workgroup_id_z 0
		.amdhsa_system_sgpr_workgroup_info 0
		.amdhsa_system_vgpr_workitem_id 0
		.amdhsa_next_free_vgpr 51
		.amdhsa_next_free_sgpr 34
		.amdhsa_named_barrier_count 0
		.amdhsa_reserve_vcc 1
		.amdhsa_float_round_mode_32 0
		.amdhsa_float_round_mode_16_64 0
		.amdhsa_float_denorm_mode_32 3
		.amdhsa_float_denorm_mode_16_64 3
		.amdhsa_fp16_overflow 0
		.amdhsa_memory_ordered 1
		.amdhsa_forward_progress 1
		.amdhsa_inst_pref_size 1
		.amdhsa_round_robin_scheduling 0
		.amdhsa_exception_fp_ieee_invalid_op 0
		.amdhsa_exception_fp_denorm_src 0
		.amdhsa_exception_fp_ieee_div_zero 0
		.amdhsa_exception_fp_ieee_overflow 0
		.amdhsa_exception_fp_ieee_underflow 0
		.amdhsa_exception_fp_ieee_inexact 0
		.amdhsa_exception_int_div_zero 0
	.end_amdhsa_kernel
	.section	.text._Z39paged_attention_ll4mi_QKV_mfma16_kernelI14__hip_bfloat16S0_LN4vllm18Fp8KVCacheDataTypeE0EhLi16ELi128ELi256ELb1ELi9EEvPKT_PKT0_S8_ifPKiSA_SA_iPKfiiiPfSD_PS3_PT2_iSC_SC_,"axG",@progbits,_Z39paged_attention_ll4mi_QKV_mfma16_kernelI14__hip_bfloat16S0_LN4vllm18Fp8KVCacheDataTypeE0EhLi16ELi128ELi256ELb1ELi9EEvPKT_PKT0_S8_ifPKiSA_SA_iPKfiiiPfSD_PS3_PT2_iSC_SC_,comdat
.Lfunc_end586:
	.size	_Z39paged_attention_ll4mi_QKV_mfma16_kernelI14__hip_bfloat16S0_LN4vllm18Fp8KVCacheDataTypeE0EhLi16ELi128ELi256ELb1ELi9EEvPKT_PKT0_S8_ifPKiSA_SA_iPKfiiiPfSD_PS3_PT2_iSC_SC_, .Lfunc_end586-_Z39paged_attention_ll4mi_QKV_mfma16_kernelI14__hip_bfloat16S0_LN4vllm18Fp8KVCacheDataTypeE0EhLi16ELi128ELi256ELb1ELi9EEvPKT_PKT0_S8_ifPKiSA_SA_iPKfiiiPfSD_PS3_PT2_iSC_SC_
                                        ; -- End function
	.set _Z39paged_attention_ll4mi_QKV_mfma16_kernelI14__hip_bfloat16S0_LN4vllm18Fp8KVCacheDataTypeE0EhLi16ELi128ELi256ELb1ELi9EEvPKT_PKT0_S8_ifPKiSA_SA_iPKfiiiPfSD_PS3_PT2_iSC_SC_.num_vgpr, max(3, .L__assert_fail.num_vgpr)
	.set _Z39paged_attention_ll4mi_QKV_mfma16_kernelI14__hip_bfloat16S0_LN4vllm18Fp8KVCacheDataTypeE0EhLi16ELi128ELi256ELb1ELi9EEvPKT_PKT0_S8_ifPKiSA_SA_iPKfiiiPfSD_PS3_PT2_iSC_SC_.num_agpr, max(0, .L__assert_fail.num_agpr)
	.set _Z39paged_attention_ll4mi_QKV_mfma16_kernelI14__hip_bfloat16S0_LN4vllm18Fp8KVCacheDataTypeE0EhLi16ELi128ELi256ELb1ELi9EEvPKT_PKT0_S8_ifPKiSA_SA_iPKfiiiPfSD_PS3_PT2_iSC_SC_.numbered_sgpr, max(33, .L__assert_fail.numbered_sgpr)
	.set _Z39paged_attention_ll4mi_QKV_mfma16_kernelI14__hip_bfloat16S0_LN4vllm18Fp8KVCacheDataTypeE0EhLi16ELi128ELi256ELb1ELi9EEvPKT_PKT0_S8_ifPKiSA_SA_iPKfiiiPfSD_PS3_PT2_iSC_SC_.num_named_barrier, max(0, .L__assert_fail.num_named_barrier)
	.set _Z39paged_attention_ll4mi_QKV_mfma16_kernelI14__hip_bfloat16S0_LN4vllm18Fp8KVCacheDataTypeE0EhLi16ELi128ELi256ELb1ELi9EEvPKT_PKT0_S8_ifPKiSA_SA_iPKfiiiPfSD_PS3_PT2_iSC_SC_.private_seg_size, 0+max(.L__assert_fail.private_seg_size)
	.set _Z39paged_attention_ll4mi_QKV_mfma16_kernelI14__hip_bfloat16S0_LN4vllm18Fp8KVCacheDataTypeE0EhLi16ELi128ELi256ELb1ELi9EEvPKT_PKT0_S8_ifPKiSA_SA_iPKfiiiPfSD_PS3_PT2_iSC_SC_.uses_vcc, or(1, .L__assert_fail.uses_vcc)
	.set _Z39paged_attention_ll4mi_QKV_mfma16_kernelI14__hip_bfloat16S0_LN4vllm18Fp8KVCacheDataTypeE0EhLi16ELi128ELi256ELb1ELi9EEvPKT_PKT0_S8_ifPKiSA_SA_iPKfiiiPfSD_PS3_PT2_iSC_SC_.uses_flat_scratch, or(0, .L__assert_fail.uses_flat_scratch)
	.set _Z39paged_attention_ll4mi_QKV_mfma16_kernelI14__hip_bfloat16S0_LN4vllm18Fp8KVCacheDataTypeE0EhLi16ELi128ELi256ELb1ELi9EEvPKT_PKT0_S8_ifPKiSA_SA_iPKfiiiPfSD_PS3_PT2_iSC_SC_.has_dyn_sized_stack, or(0, .L__assert_fail.has_dyn_sized_stack)
	.set _Z39paged_attention_ll4mi_QKV_mfma16_kernelI14__hip_bfloat16S0_LN4vllm18Fp8KVCacheDataTypeE0EhLi16ELi128ELi256ELb1ELi9EEvPKT_PKT0_S8_ifPKiSA_SA_iPKfiiiPfSD_PS3_PT2_iSC_SC_.has_recursion, or(0, .L__assert_fail.has_recursion)
	.set _Z39paged_attention_ll4mi_QKV_mfma16_kernelI14__hip_bfloat16S0_LN4vllm18Fp8KVCacheDataTypeE0EhLi16ELi128ELi256ELb1ELi9EEvPKT_PKT0_S8_ifPKiSA_SA_iPKfiiiPfSD_PS3_PT2_iSC_SC_.has_indirect_call, or(0, .L__assert_fail.has_indirect_call)
	.section	.AMDGPU.csdata,"",@progbits
; Kernel info:
; codeLenInByte = 68
; TotalNumSgprs: 36
; NumVgprs: 51
; ScratchSize: 64
; MemoryBound: 0
; FloatMode: 240
; IeeeMode: 1
; LDSByteSize: 0 bytes/workgroup (compile time only)
; SGPRBlocks: 0
; VGPRBlocks: 3
; NumSGPRsForWavesPerEU: 36
; NumVGPRsForWavesPerEU: 51
; NamedBarCnt: 0
; Occupancy: 16
; WaveLimiterHint : 1
; COMPUTE_PGM_RSRC2:SCRATCH_EN: 1
; COMPUTE_PGM_RSRC2:USER_SGPR: 2
; COMPUTE_PGM_RSRC2:TRAP_HANDLER: 0
; COMPUTE_PGM_RSRC2:TGID_X_EN: 1
; COMPUTE_PGM_RSRC2:TGID_Y_EN: 0
; COMPUTE_PGM_RSRC2:TGID_Z_EN: 0
; COMPUTE_PGM_RSRC2:TIDIG_COMP_CNT: 0
	.section	.text._Z39paged_attention_ll4mi_QKV_mfma16_kernelI14__hip_bfloat16S0_LN4vllm18Fp8KVCacheDataTypeE0EhLi16ELi128ELi256ELb1ELi10EEvPKT_PKT0_S8_ifPKiSA_SA_iPKfiiiPfSD_PS3_PT2_iSC_SC_,"axG",@progbits,_Z39paged_attention_ll4mi_QKV_mfma16_kernelI14__hip_bfloat16S0_LN4vllm18Fp8KVCacheDataTypeE0EhLi16ELi128ELi256ELb1ELi10EEvPKT_PKT0_S8_ifPKiSA_SA_iPKfiiiPfSD_PS3_PT2_iSC_SC_,comdat
	.protected	_Z39paged_attention_ll4mi_QKV_mfma16_kernelI14__hip_bfloat16S0_LN4vllm18Fp8KVCacheDataTypeE0EhLi16ELi128ELi256ELb1ELi10EEvPKT_PKT0_S8_ifPKiSA_SA_iPKfiiiPfSD_PS3_PT2_iSC_SC_ ; -- Begin function _Z39paged_attention_ll4mi_QKV_mfma16_kernelI14__hip_bfloat16S0_LN4vllm18Fp8KVCacheDataTypeE0EhLi16ELi128ELi256ELb1ELi10EEvPKT_PKT0_S8_ifPKiSA_SA_iPKfiiiPfSD_PS3_PT2_iSC_SC_
	.globl	_Z39paged_attention_ll4mi_QKV_mfma16_kernelI14__hip_bfloat16S0_LN4vllm18Fp8KVCacheDataTypeE0EhLi16ELi128ELi256ELb1ELi10EEvPKT_PKT0_S8_ifPKiSA_SA_iPKfiiiPfSD_PS3_PT2_iSC_SC_
	.p2align	8
	.type	_Z39paged_attention_ll4mi_QKV_mfma16_kernelI14__hip_bfloat16S0_LN4vllm18Fp8KVCacheDataTypeE0EhLi16ELi128ELi256ELb1ELi10EEvPKT_PKT0_S8_ifPKiSA_SA_iPKfiiiPfSD_PS3_PT2_iSC_SC_,@function
_Z39paged_attention_ll4mi_QKV_mfma16_kernelI14__hip_bfloat16S0_LN4vllm18Fp8KVCacheDataTypeE0EhLi16ELi128ELi256ELb1ELi10EEvPKT_PKT0_S8_ifPKiSA_SA_iPKfiiiPfSD_PS3_PT2_iSC_SC_: ; @_Z39paged_attention_ll4mi_QKV_mfma16_kernelI14__hip_bfloat16S0_LN4vllm18Fp8KVCacheDataTypeE0EhLi16ELi128ELi256ELb1ELi10EEvPKT_PKT0_S8_ifPKiSA_SA_iPKfiiiPfSD_PS3_PT2_iSC_SC_
; %bb.0:
	s_get_pc_i64 s[2:3]
	s_add_nc_u64 s[2:3], s[2:3], __PRETTY_FUNCTION__._Z39paged_attention_ll4mi_QKV_mfma16_kernelI14__hip_bfloat16S0_LN4vllm18Fp8KVCacheDataTypeE0EhLi16ELi128ELi256ELb1ELi10EEvPKT_PKT0_S8_ifPKiSA_SA_iPKfiiiPfSD_PS3_PT2_iSC_SC_@rel64+4
	s_delay_alu instid0(SALU_CYCLE_1)
	v_dual_mov_b32 v0, 0xbb3 :: v_dual_mov_b32 v1, s2
	v_mov_b32_e32 v2, s3
	s_add_nc_u64 s[8:9], s[0:1], 0x90
	s_get_pc_i64 s[0:1]
	s_add_nc_u64 s[0:1], s[0:1], __assert_fail@rel64+4
	s_mov_b32 s32, 0
	s_swap_pc_i64 s[30:31], s[0:1]
	.section	.rodata,"a",@progbits
	.p2align	6, 0x0
	.amdhsa_kernel _Z39paged_attention_ll4mi_QKV_mfma16_kernelI14__hip_bfloat16S0_LN4vllm18Fp8KVCacheDataTypeE0EhLi16ELi128ELi256ELb1ELi10EEvPKT_PKT0_S8_ifPKiSA_SA_iPKfiiiPfSD_PS3_PT2_iSC_SC_
		.amdhsa_group_segment_fixed_size 0
		.amdhsa_private_segment_fixed_size 64
		.amdhsa_kernarg_size 400
		.amdhsa_user_sgpr_count 2
		.amdhsa_user_sgpr_dispatch_ptr 0
		.amdhsa_user_sgpr_queue_ptr 0
		.amdhsa_user_sgpr_kernarg_segment_ptr 1
		.amdhsa_user_sgpr_dispatch_id 0
		.amdhsa_user_sgpr_kernarg_preload_length 0
		.amdhsa_user_sgpr_kernarg_preload_offset 0
		.amdhsa_user_sgpr_private_segment_size 0
		.amdhsa_wavefront_size32 1
		.amdhsa_uses_dynamic_stack 0
		.amdhsa_enable_private_segment 1
		.amdhsa_system_sgpr_workgroup_id_x 1
		.amdhsa_system_sgpr_workgroup_id_y 0
		.amdhsa_system_sgpr_workgroup_id_z 0
		.amdhsa_system_sgpr_workgroup_info 0
		.amdhsa_system_vgpr_workitem_id 0
		.amdhsa_next_free_vgpr 51
		.amdhsa_next_free_sgpr 34
		.amdhsa_named_barrier_count 0
		.amdhsa_reserve_vcc 1
		.amdhsa_float_round_mode_32 0
		.amdhsa_float_round_mode_16_64 0
		.amdhsa_float_denorm_mode_32 3
		.amdhsa_float_denorm_mode_16_64 3
		.amdhsa_fp16_overflow 0
		.amdhsa_memory_ordered 1
		.amdhsa_forward_progress 1
		.amdhsa_inst_pref_size 1
		.amdhsa_round_robin_scheduling 0
		.amdhsa_exception_fp_ieee_invalid_op 0
		.amdhsa_exception_fp_denorm_src 0
		.amdhsa_exception_fp_ieee_div_zero 0
		.amdhsa_exception_fp_ieee_overflow 0
		.amdhsa_exception_fp_ieee_underflow 0
		.amdhsa_exception_fp_ieee_inexact 0
		.amdhsa_exception_int_div_zero 0
	.end_amdhsa_kernel
	.section	.text._Z39paged_attention_ll4mi_QKV_mfma16_kernelI14__hip_bfloat16S0_LN4vllm18Fp8KVCacheDataTypeE0EhLi16ELi128ELi256ELb1ELi10EEvPKT_PKT0_S8_ifPKiSA_SA_iPKfiiiPfSD_PS3_PT2_iSC_SC_,"axG",@progbits,_Z39paged_attention_ll4mi_QKV_mfma16_kernelI14__hip_bfloat16S0_LN4vllm18Fp8KVCacheDataTypeE0EhLi16ELi128ELi256ELb1ELi10EEvPKT_PKT0_S8_ifPKiSA_SA_iPKfiiiPfSD_PS3_PT2_iSC_SC_,comdat
.Lfunc_end587:
	.size	_Z39paged_attention_ll4mi_QKV_mfma16_kernelI14__hip_bfloat16S0_LN4vllm18Fp8KVCacheDataTypeE0EhLi16ELi128ELi256ELb1ELi10EEvPKT_PKT0_S8_ifPKiSA_SA_iPKfiiiPfSD_PS3_PT2_iSC_SC_, .Lfunc_end587-_Z39paged_attention_ll4mi_QKV_mfma16_kernelI14__hip_bfloat16S0_LN4vllm18Fp8KVCacheDataTypeE0EhLi16ELi128ELi256ELb1ELi10EEvPKT_PKT0_S8_ifPKiSA_SA_iPKfiiiPfSD_PS3_PT2_iSC_SC_
                                        ; -- End function
	.set _Z39paged_attention_ll4mi_QKV_mfma16_kernelI14__hip_bfloat16S0_LN4vllm18Fp8KVCacheDataTypeE0EhLi16ELi128ELi256ELb1ELi10EEvPKT_PKT0_S8_ifPKiSA_SA_iPKfiiiPfSD_PS3_PT2_iSC_SC_.num_vgpr, max(3, .L__assert_fail.num_vgpr)
	.set _Z39paged_attention_ll4mi_QKV_mfma16_kernelI14__hip_bfloat16S0_LN4vllm18Fp8KVCacheDataTypeE0EhLi16ELi128ELi256ELb1ELi10EEvPKT_PKT0_S8_ifPKiSA_SA_iPKfiiiPfSD_PS3_PT2_iSC_SC_.num_agpr, max(0, .L__assert_fail.num_agpr)
	.set _Z39paged_attention_ll4mi_QKV_mfma16_kernelI14__hip_bfloat16S0_LN4vllm18Fp8KVCacheDataTypeE0EhLi16ELi128ELi256ELb1ELi10EEvPKT_PKT0_S8_ifPKiSA_SA_iPKfiiiPfSD_PS3_PT2_iSC_SC_.numbered_sgpr, max(33, .L__assert_fail.numbered_sgpr)
	.set _Z39paged_attention_ll4mi_QKV_mfma16_kernelI14__hip_bfloat16S0_LN4vllm18Fp8KVCacheDataTypeE0EhLi16ELi128ELi256ELb1ELi10EEvPKT_PKT0_S8_ifPKiSA_SA_iPKfiiiPfSD_PS3_PT2_iSC_SC_.num_named_barrier, max(0, .L__assert_fail.num_named_barrier)
	.set _Z39paged_attention_ll4mi_QKV_mfma16_kernelI14__hip_bfloat16S0_LN4vllm18Fp8KVCacheDataTypeE0EhLi16ELi128ELi256ELb1ELi10EEvPKT_PKT0_S8_ifPKiSA_SA_iPKfiiiPfSD_PS3_PT2_iSC_SC_.private_seg_size, 0+max(.L__assert_fail.private_seg_size)
	.set _Z39paged_attention_ll4mi_QKV_mfma16_kernelI14__hip_bfloat16S0_LN4vllm18Fp8KVCacheDataTypeE0EhLi16ELi128ELi256ELb1ELi10EEvPKT_PKT0_S8_ifPKiSA_SA_iPKfiiiPfSD_PS3_PT2_iSC_SC_.uses_vcc, or(1, .L__assert_fail.uses_vcc)
	.set _Z39paged_attention_ll4mi_QKV_mfma16_kernelI14__hip_bfloat16S0_LN4vllm18Fp8KVCacheDataTypeE0EhLi16ELi128ELi256ELb1ELi10EEvPKT_PKT0_S8_ifPKiSA_SA_iPKfiiiPfSD_PS3_PT2_iSC_SC_.uses_flat_scratch, or(0, .L__assert_fail.uses_flat_scratch)
	.set _Z39paged_attention_ll4mi_QKV_mfma16_kernelI14__hip_bfloat16S0_LN4vllm18Fp8KVCacheDataTypeE0EhLi16ELi128ELi256ELb1ELi10EEvPKT_PKT0_S8_ifPKiSA_SA_iPKfiiiPfSD_PS3_PT2_iSC_SC_.has_dyn_sized_stack, or(0, .L__assert_fail.has_dyn_sized_stack)
	.set _Z39paged_attention_ll4mi_QKV_mfma16_kernelI14__hip_bfloat16S0_LN4vllm18Fp8KVCacheDataTypeE0EhLi16ELi128ELi256ELb1ELi10EEvPKT_PKT0_S8_ifPKiSA_SA_iPKfiiiPfSD_PS3_PT2_iSC_SC_.has_recursion, or(0, .L__assert_fail.has_recursion)
	.set _Z39paged_attention_ll4mi_QKV_mfma16_kernelI14__hip_bfloat16S0_LN4vllm18Fp8KVCacheDataTypeE0EhLi16ELi128ELi256ELb1ELi10EEvPKT_PKT0_S8_ifPKiSA_SA_iPKfiiiPfSD_PS3_PT2_iSC_SC_.has_indirect_call, or(0, .L__assert_fail.has_indirect_call)
	.section	.AMDGPU.csdata,"",@progbits
; Kernel info:
; codeLenInByte = 68
; TotalNumSgprs: 36
; NumVgprs: 51
; ScratchSize: 64
; MemoryBound: 0
; FloatMode: 240
; IeeeMode: 1
; LDSByteSize: 0 bytes/workgroup (compile time only)
; SGPRBlocks: 0
; VGPRBlocks: 3
; NumSGPRsForWavesPerEU: 36
; NumVGPRsForWavesPerEU: 51
; NamedBarCnt: 0
; Occupancy: 16
; WaveLimiterHint : 1
; COMPUTE_PGM_RSRC2:SCRATCH_EN: 1
; COMPUTE_PGM_RSRC2:USER_SGPR: 2
; COMPUTE_PGM_RSRC2:TRAP_HANDLER: 0
; COMPUTE_PGM_RSRC2:TGID_X_EN: 1
; COMPUTE_PGM_RSRC2:TGID_Y_EN: 0
; COMPUTE_PGM_RSRC2:TGID_Z_EN: 0
; COMPUTE_PGM_RSRC2:TIDIG_COMP_CNT: 0
	.section	.text._Z39paged_attention_ll4mi_QKV_mfma16_kernelI14__hip_bfloat16S0_LN4vllm18Fp8KVCacheDataTypeE0EhLi16ELi128ELi256ELb1ELi11EEvPKT_PKT0_S8_ifPKiSA_SA_iPKfiiiPfSD_PS3_PT2_iSC_SC_,"axG",@progbits,_Z39paged_attention_ll4mi_QKV_mfma16_kernelI14__hip_bfloat16S0_LN4vllm18Fp8KVCacheDataTypeE0EhLi16ELi128ELi256ELb1ELi11EEvPKT_PKT0_S8_ifPKiSA_SA_iPKfiiiPfSD_PS3_PT2_iSC_SC_,comdat
	.protected	_Z39paged_attention_ll4mi_QKV_mfma16_kernelI14__hip_bfloat16S0_LN4vllm18Fp8KVCacheDataTypeE0EhLi16ELi128ELi256ELb1ELi11EEvPKT_PKT0_S8_ifPKiSA_SA_iPKfiiiPfSD_PS3_PT2_iSC_SC_ ; -- Begin function _Z39paged_attention_ll4mi_QKV_mfma16_kernelI14__hip_bfloat16S0_LN4vllm18Fp8KVCacheDataTypeE0EhLi16ELi128ELi256ELb1ELi11EEvPKT_PKT0_S8_ifPKiSA_SA_iPKfiiiPfSD_PS3_PT2_iSC_SC_
	.globl	_Z39paged_attention_ll4mi_QKV_mfma16_kernelI14__hip_bfloat16S0_LN4vllm18Fp8KVCacheDataTypeE0EhLi16ELi128ELi256ELb1ELi11EEvPKT_PKT0_S8_ifPKiSA_SA_iPKfiiiPfSD_PS3_PT2_iSC_SC_
	.p2align	8
	.type	_Z39paged_attention_ll4mi_QKV_mfma16_kernelI14__hip_bfloat16S0_LN4vllm18Fp8KVCacheDataTypeE0EhLi16ELi128ELi256ELb1ELi11EEvPKT_PKT0_S8_ifPKiSA_SA_iPKfiiiPfSD_PS3_PT2_iSC_SC_,@function
_Z39paged_attention_ll4mi_QKV_mfma16_kernelI14__hip_bfloat16S0_LN4vllm18Fp8KVCacheDataTypeE0EhLi16ELi128ELi256ELb1ELi11EEvPKT_PKT0_S8_ifPKiSA_SA_iPKfiiiPfSD_PS3_PT2_iSC_SC_: ; @_Z39paged_attention_ll4mi_QKV_mfma16_kernelI14__hip_bfloat16S0_LN4vllm18Fp8KVCacheDataTypeE0EhLi16ELi128ELi256ELb1ELi11EEvPKT_PKT0_S8_ifPKiSA_SA_iPKfiiiPfSD_PS3_PT2_iSC_SC_
; %bb.0:
	s_get_pc_i64 s[2:3]
	s_add_nc_u64 s[2:3], s[2:3], __PRETTY_FUNCTION__._Z39paged_attention_ll4mi_QKV_mfma16_kernelI14__hip_bfloat16S0_LN4vllm18Fp8KVCacheDataTypeE0EhLi16ELi128ELi256ELb1ELi11EEvPKT_PKT0_S8_ifPKiSA_SA_iPKfiiiPfSD_PS3_PT2_iSC_SC_@rel64+4
	s_delay_alu instid0(SALU_CYCLE_1)
	v_dual_mov_b32 v0, 0xbb3 :: v_dual_mov_b32 v1, s2
	v_mov_b32_e32 v2, s3
	s_add_nc_u64 s[8:9], s[0:1], 0x90
	s_get_pc_i64 s[0:1]
	s_add_nc_u64 s[0:1], s[0:1], __assert_fail@rel64+4
	s_mov_b32 s32, 0
	s_swap_pc_i64 s[30:31], s[0:1]
	.section	.rodata,"a",@progbits
	.p2align	6, 0x0
	.amdhsa_kernel _Z39paged_attention_ll4mi_QKV_mfma16_kernelI14__hip_bfloat16S0_LN4vllm18Fp8KVCacheDataTypeE0EhLi16ELi128ELi256ELb1ELi11EEvPKT_PKT0_S8_ifPKiSA_SA_iPKfiiiPfSD_PS3_PT2_iSC_SC_
		.amdhsa_group_segment_fixed_size 0
		.amdhsa_private_segment_fixed_size 64
		.amdhsa_kernarg_size 400
		.amdhsa_user_sgpr_count 2
		.amdhsa_user_sgpr_dispatch_ptr 0
		.amdhsa_user_sgpr_queue_ptr 0
		.amdhsa_user_sgpr_kernarg_segment_ptr 1
		.amdhsa_user_sgpr_dispatch_id 0
		.amdhsa_user_sgpr_kernarg_preload_length 0
		.amdhsa_user_sgpr_kernarg_preload_offset 0
		.amdhsa_user_sgpr_private_segment_size 0
		.amdhsa_wavefront_size32 1
		.amdhsa_uses_dynamic_stack 0
		.amdhsa_enable_private_segment 1
		.amdhsa_system_sgpr_workgroup_id_x 1
		.amdhsa_system_sgpr_workgroup_id_y 0
		.amdhsa_system_sgpr_workgroup_id_z 0
		.amdhsa_system_sgpr_workgroup_info 0
		.amdhsa_system_vgpr_workitem_id 0
		.amdhsa_next_free_vgpr 51
		.amdhsa_next_free_sgpr 34
		.amdhsa_named_barrier_count 0
		.amdhsa_reserve_vcc 1
		.amdhsa_float_round_mode_32 0
		.amdhsa_float_round_mode_16_64 0
		.amdhsa_float_denorm_mode_32 3
		.amdhsa_float_denorm_mode_16_64 3
		.amdhsa_fp16_overflow 0
		.amdhsa_memory_ordered 1
		.amdhsa_forward_progress 1
		.amdhsa_inst_pref_size 1
		.amdhsa_round_robin_scheduling 0
		.amdhsa_exception_fp_ieee_invalid_op 0
		.amdhsa_exception_fp_denorm_src 0
		.amdhsa_exception_fp_ieee_div_zero 0
		.amdhsa_exception_fp_ieee_overflow 0
		.amdhsa_exception_fp_ieee_underflow 0
		.amdhsa_exception_fp_ieee_inexact 0
		.amdhsa_exception_int_div_zero 0
	.end_amdhsa_kernel
	.section	.text._Z39paged_attention_ll4mi_QKV_mfma16_kernelI14__hip_bfloat16S0_LN4vllm18Fp8KVCacheDataTypeE0EhLi16ELi128ELi256ELb1ELi11EEvPKT_PKT0_S8_ifPKiSA_SA_iPKfiiiPfSD_PS3_PT2_iSC_SC_,"axG",@progbits,_Z39paged_attention_ll4mi_QKV_mfma16_kernelI14__hip_bfloat16S0_LN4vllm18Fp8KVCacheDataTypeE0EhLi16ELi128ELi256ELb1ELi11EEvPKT_PKT0_S8_ifPKiSA_SA_iPKfiiiPfSD_PS3_PT2_iSC_SC_,comdat
.Lfunc_end588:
	.size	_Z39paged_attention_ll4mi_QKV_mfma16_kernelI14__hip_bfloat16S0_LN4vllm18Fp8KVCacheDataTypeE0EhLi16ELi128ELi256ELb1ELi11EEvPKT_PKT0_S8_ifPKiSA_SA_iPKfiiiPfSD_PS3_PT2_iSC_SC_, .Lfunc_end588-_Z39paged_attention_ll4mi_QKV_mfma16_kernelI14__hip_bfloat16S0_LN4vllm18Fp8KVCacheDataTypeE0EhLi16ELi128ELi256ELb1ELi11EEvPKT_PKT0_S8_ifPKiSA_SA_iPKfiiiPfSD_PS3_PT2_iSC_SC_
                                        ; -- End function
	.set _Z39paged_attention_ll4mi_QKV_mfma16_kernelI14__hip_bfloat16S0_LN4vllm18Fp8KVCacheDataTypeE0EhLi16ELi128ELi256ELb1ELi11EEvPKT_PKT0_S8_ifPKiSA_SA_iPKfiiiPfSD_PS3_PT2_iSC_SC_.num_vgpr, max(3, .L__assert_fail.num_vgpr)
	.set _Z39paged_attention_ll4mi_QKV_mfma16_kernelI14__hip_bfloat16S0_LN4vllm18Fp8KVCacheDataTypeE0EhLi16ELi128ELi256ELb1ELi11EEvPKT_PKT0_S8_ifPKiSA_SA_iPKfiiiPfSD_PS3_PT2_iSC_SC_.num_agpr, max(0, .L__assert_fail.num_agpr)
	.set _Z39paged_attention_ll4mi_QKV_mfma16_kernelI14__hip_bfloat16S0_LN4vllm18Fp8KVCacheDataTypeE0EhLi16ELi128ELi256ELb1ELi11EEvPKT_PKT0_S8_ifPKiSA_SA_iPKfiiiPfSD_PS3_PT2_iSC_SC_.numbered_sgpr, max(33, .L__assert_fail.numbered_sgpr)
	.set _Z39paged_attention_ll4mi_QKV_mfma16_kernelI14__hip_bfloat16S0_LN4vllm18Fp8KVCacheDataTypeE0EhLi16ELi128ELi256ELb1ELi11EEvPKT_PKT0_S8_ifPKiSA_SA_iPKfiiiPfSD_PS3_PT2_iSC_SC_.num_named_barrier, max(0, .L__assert_fail.num_named_barrier)
	.set _Z39paged_attention_ll4mi_QKV_mfma16_kernelI14__hip_bfloat16S0_LN4vllm18Fp8KVCacheDataTypeE0EhLi16ELi128ELi256ELb1ELi11EEvPKT_PKT0_S8_ifPKiSA_SA_iPKfiiiPfSD_PS3_PT2_iSC_SC_.private_seg_size, 0+max(.L__assert_fail.private_seg_size)
	.set _Z39paged_attention_ll4mi_QKV_mfma16_kernelI14__hip_bfloat16S0_LN4vllm18Fp8KVCacheDataTypeE0EhLi16ELi128ELi256ELb1ELi11EEvPKT_PKT0_S8_ifPKiSA_SA_iPKfiiiPfSD_PS3_PT2_iSC_SC_.uses_vcc, or(1, .L__assert_fail.uses_vcc)
	.set _Z39paged_attention_ll4mi_QKV_mfma16_kernelI14__hip_bfloat16S0_LN4vllm18Fp8KVCacheDataTypeE0EhLi16ELi128ELi256ELb1ELi11EEvPKT_PKT0_S8_ifPKiSA_SA_iPKfiiiPfSD_PS3_PT2_iSC_SC_.uses_flat_scratch, or(0, .L__assert_fail.uses_flat_scratch)
	.set _Z39paged_attention_ll4mi_QKV_mfma16_kernelI14__hip_bfloat16S0_LN4vllm18Fp8KVCacheDataTypeE0EhLi16ELi128ELi256ELb1ELi11EEvPKT_PKT0_S8_ifPKiSA_SA_iPKfiiiPfSD_PS3_PT2_iSC_SC_.has_dyn_sized_stack, or(0, .L__assert_fail.has_dyn_sized_stack)
	.set _Z39paged_attention_ll4mi_QKV_mfma16_kernelI14__hip_bfloat16S0_LN4vllm18Fp8KVCacheDataTypeE0EhLi16ELi128ELi256ELb1ELi11EEvPKT_PKT0_S8_ifPKiSA_SA_iPKfiiiPfSD_PS3_PT2_iSC_SC_.has_recursion, or(0, .L__assert_fail.has_recursion)
	.set _Z39paged_attention_ll4mi_QKV_mfma16_kernelI14__hip_bfloat16S0_LN4vllm18Fp8KVCacheDataTypeE0EhLi16ELi128ELi256ELb1ELi11EEvPKT_PKT0_S8_ifPKiSA_SA_iPKfiiiPfSD_PS3_PT2_iSC_SC_.has_indirect_call, or(0, .L__assert_fail.has_indirect_call)
	.section	.AMDGPU.csdata,"",@progbits
; Kernel info:
; codeLenInByte = 68
; TotalNumSgprs: 36
; NumVgprs: 51
; ScratchSize: 64
; MemoryBound: 0
; FloatMode: 240
; IeeeMode: 1
; LDSByteSize: 0 bytes/workgroup (compile time only)
; SGPRBlocks: 0
; VGPRBlocks: 3
; NumSGPRsForWavesPerEU: 36
; NumVGPRsForWavesPerEU: 51
; NamedBarCnt: 0
; Occupancy: 16
; WaveLimiterHint : 1
; COMPUTE_PGM_RSRC2:SCRATCH_EN: 1
; COMPUTE_PGM_RSRC2:USER_SGPR: 2
; COMPUTE_PGM_RSRC2:TRAP_HANDLER: 0
; COMPUTE_PGM_RSRC2:TGID_X_EN: 1
; COMPUTE_PGM_RSRC2:TGID_Y_EN: 0
; COMPUTE_PGM_RSRC2:TGID_Z_EN: 0
; COMPUTE_PGM_RSRC2:TIDIG_COMP_CNT: 0
	.section	.text._Z39paged_attention_ll4mi_QKV_mfma16_kernelI14__hip_bfloat16S0_LN4vllm18Fp8KVCacheDataTypeE0EhLi16ELi128ELi256ELb1ELi12EEvPKT_PKT0_S8_ifPKiSA_SA_iPKfiiiPfSD_PS3_PT2_iSC_SC_,"axG",@progbits,_Z39paged_attention_ll4mi_QKV_mfma16_kernelI14__hip_bfloat16S0_LN4vllm18Fp8KVCacheDataTypeE0EhLi16ELi128ELi256ELb1ELi12EEvPKT_PKT0_S8_ifPKiSA_SA_iPKfiiiPfSD_PS3_PT2_iSC_SC_,comdat
	.protected	_Z39paged_attention_ll4mi_QKV_mfma16_kernelI14__hip_bfloat16S0_LN4vllm18Fp8KVCacheDataTypeE0EhLi16ELi128ELi256ELb1ELi12EEvPKT_PKT0_S8_ifPKiSA_SA_iPKfiiiPfSD_PS3_PT2_iSC_SC_ ; -- Begin function _Z39paged_attention_ll4mi_QKV_mfma16_kernelI14__hip_bfloat16S0_LN4vllm18Fp8KVCacheDataTypeE0EhLi16ELi128ELi256ELb1ELi12EEvPKT_PKT0_S8_ifPKiSA_SA_iPKfiiiPfSD_PS3_PT2_iSC_SC_
	.globl	_Z39paged_attention_ll4mi_QKV_mfma16_kernelI14__hip_bfloat16S0_LN4vllm18Fp8KVCacheDataTypeE0EhLi16ELi128ELi256ELb1ELi12EEvPKT_PKT0_S8_ifPKiSA_SA_iPKfiiiPfSD_PS3_PT2_iSC_SC_
	.p2align	8
	.type	_Z39paged_attention_ll4mi_QKV_mfma16_kernelI14__hip_bfloat16S0_LN4vllm18Fp8KVCacheDataTypeE0EhLi16ELi128ELi256ELb1ELi12EEvPKT_PKT0_S8_ifPKiSA_SA_iPKfiiiPfSD_PS3_PT2_iSC_SC_,@function
_Z39paged_attention_ll4mi_QKV_mfma16_kernelI14__hip_bfloat16S0_LN4vllm18Fp8KVCacheDataTypeE0EhLi16ELi128ELi256ELb1ELi12EEvPKT_PKT0_S8_ifPKiSA_SA_iPKfiiiPfSD_PS3_PT2_iSC_SC_: ; @_Z39paged_attention_ll4mi_QKV_mfma16_kernelI14__hip_bfloat16S0_LN4vllm18Fp8KVCacheDataTypeE0EhLi16ELi128ELi256ELb1ELi12EEvPKT_PKT0_S8_ifPKiSA_SA_iPKfiiiPfSD_PS3_PT2_iSC_SC_
; %bb.0:
	s_get_pc_i64 s[2:3]
	s_add_nc_u64 s[2:3], s[2:3], __PRETTY_FUNCTION__._Z39paged_attention_ll4mi_QKV_mfma16_kernelI14__hip_bfloat16S0_LN4vllm18Fp8KVCacheDataTypeE0EhLi16ELi128ELi256ELb1ELi12EEvPKT_PKT0_S8_ifPKiSA_SA_iPKfiiiPfSD_PS3_PT2_iSC_SC_@rel64+4
	s_delay_alu instid0(SALU_CYCLE_1)
	v_dual_mov_b32 v0, 0xbb3 :: v_dual_mov_b32 v1, s2
	v_mov_b32_e32 v2, s3
	s_add_nc_u64 s[8:9], s[0:1], 0x90
	s_get_pc_i64 s[0:1]
	s_add_nc_u64 s[0:1], s[0:1], __assert_fail@rel64+4
	s_mov_b32 s32, 0
	s_swap_pc_i64 s[30:31], s[0:1]
	.section	.rodata,"a",@progbits
	.p2align	6, 0x0
	.amdhsa_kernel _Z39paged_attention_ll4mi_QKV_mfma16_kernelI14__hip_bfloat16S0_LN4vllm18Fp8KVCacheDataTypeE0EhLi16ELi128ELi256ELb1ELi12EEvPKT_PKT0_S8_ifPKiSA_SA_iPKfiiiPfSD_PS3_PT2_iSC_SC_
		.amdhsa_group_segment_fixed_size 0
		.amdhsa_private_segment_fixed_size 64
		.amdhsa_kernarg_size 400
		.amdhsa_user_sgpr_count 2
		.amdhsa_user_sgpr_dispatch_ptr 0
		.amdhsa_user_sgpr_queue_ptr 0
		.amdhsa_user_sgpr_kernarg_segment_ptr 1
		.amdhsa_user_sgpr_dispatch_id 0
		.amdhsa_user_sgpr_kernarg_preload_length 0
		.amdhsa_user_sgpr_kernarg_preload_offset 0
		.amdhsa_user_sgpr_private_segment_size 0
		.amdhsa_wavefront_size32 1
		.amdhsa_uses_dynamic_stack 0
		.amdhsa_enable_private_segment 1
		.amdhsa_system_sgpr_workgroup_id_x 1
		.amdhsa_system_sgpr_workgroup_id_y 0
		.amdhsa_system_sgpr_workgroup_id_z 0
		.amdhsa_system_sgpr_workgroup_info 0
		.amdhsa_system_vgpr_workitem_id 0
		.amdhsa_next_free_vgpr 51
		.amdhsa_next_free_sgpr 34
		.amdhsa_named_barrier_count 0
		.amdhsa_reserve_vcc 1
		.amdhsa_float_round_mode_32 0
		.amdhsa_float_round_mode_16_64 0
		.amdhsa_float_denorm_mode_32 3
		.amdhsa_float_denorm_mode_16_64 3
		.amdhsa_fp16_overflow 0
		.amdhsa_memory_ordered 1
		.amdhsa_forward_progress 1
		.amdhsa_inst_pref_size 1
		.amdhsa_round_robin_scheduling 0
		.amdhsa_exception_fp_ieee_invalid_op 0
		.amdhsa_exception_fp_denorm_src 0
		.amdhsa_exception_fp_ieee_div_zero 0
		.amdhsa_exception_fp_ieee_overflow 0
		.amdhsa_exception_fp_ieee_underflow 0
		.amdhsa_exception_fp_ieee_inexact 0
		.amdhsa_exception_int_div_zero 0
	.end_amdhsa_kernel
	.section	.text._Z39paged_attention_ll4mi_QKV_mfma16_kernelI14__hip_bfloat16S0_LN4vllm18Fp8KVCacheDataTypeE0EhLi16ELi128ELi256ELb1ELi12EEvPKT_PKT0_S8_ifPKiSA_SA_iPKfiiiPfSD_PS3_PT2_iSC_SC_,"axG",@progbits,_Z39paged_attention_ll4mi_QKV_mfma16_kernelI14__hip_bfloat16S0_LN4vllm18Fp8KVCacheDataTypeE0EhLi16ELi128ELi256ELb1ELi12EEvPKT_PKT0_S8_ifPKiSA_SA_iPKfiiiPfSD_PS3_PT2_iSC_SC_,comdat
.Lfunc_end589:
	.size	_Z39paged_attention_ll4mi_QKV_mfma16_kernelI14__hip_bfloat16S0_LN4vllm18Fp8KVCacheDataTypeE0EhLi16ELi128ELi256ELb1ELi12EEvPKT_PKT0_S8_ifPKiSA_SA_iPKfiiiPfSD_PS3_PT2_iSC_SC_, .Lfunc_end589-_Z39paged_attention_ll4mi_QKV_mfma16_kernelI14__hip_bfloat16S0_LN4vllm18Fp8KVCacheDataTypeE0EhLi16ELi128ELi256ELb1ELi12EEvPKT_PKT0_S8_ifPKiSA_SA_iPKfiiiPfSD_PS3_PT2_iSC_SC_
                                        ; -- End function
	.set _Z39paged_attention_ll4mi_QKV_mfma16_kernelI14__hip_bfloat16S0_LN4vllm18Fp8KVCacheDataTypeE0EhLi16ELi128ELi256ELb1ELi12EEvPKT_PKT0_S8_ifPKiSA_SA_iPKfiiiPfSD_PS3_PT2_iSC_SC_.num_vgpr, max(3, .L__assert_fail.num_vgpr)
	.set _Z39paged_attention_ll4mi_QKV_mfma16_kernelI14__hip_bfloat16S0_LN4vllm18Fp8KVCacheDataTypeE0EhLi16ELi128ELi256ELb1ELi12EEvPKT_PKT0_S8_ifPKiSA_SA_iPKfiiiPfSD_PS3_PT2_iSC_SC_.num_agpr, max(0, .L__assert_fail.num_agpr)
	.set _Z39paged_attention_ll4mi_QKV_mfma16_kernelI14__hip_bfloat16S0_LN4vllm18Fp8KVCacheDataTypeE0EhLi16ELi128ELi256ELb1ELi12EEvPKT_PKT0_S8_ifPKiSA_SA_iPKfiiiPfSD_PS3_PT2_iSC_SC_.numbered_sgpr, max(33, .L__assert_fail.numbered_sgpr)
	.set _Z39paged_attention_ll4mi_QKV_mfma16_kernelI14__hip_bfloat16S0_LN4vllm18Fp8KVCacheDataTypeE0EhLi16ELi128ELi256ELb1ELi12EEvPKT_PKT0_S8_ifPKiSA_SA_iPKfiiiPfSD_PS3_PT2_iSC_SC_.num_named_barrier, max(0, .L__assert_fail.num_named_barrier)
	.set _Z39paged_attention_ll4mi_QKV_mfma16_kernelI14__hip_bfloat16S0_LN4vllm18Fp8KVCacheDataTypeE0EhLi16ELi128ELi256ELb1ELi12EEvPKT_PKT0_S8_ifPKiSA_SA_iPKfiiiPfSD_PS3_PT2_iSC_SC_.private_seg_size, 0+max(.L__assert_fail.private_seg_size)
	.set _Z39paged_attention_ll4mi_QKV_mfma16_kernelI14__hip_bfloat16S0_LN4vllm18Fp8KVCacheDataTypeE0EhLi16ELi128ELi256ELb1ELi12EEvPKT_PKT0_S8_ifPKiSA_SA_iPKfiiiPfSD_PS3_PT2_iSC_SC_.uses_vcc, or(1, .L__assert_fail.uses_vcc)
	.set _Z39paged_attention_ll4mi_QKV_mfma16_kernelI14__hip_bfloat16S0_LN4vllm18Fp8KVCacheDataTypeE0EhLi16ELi128ELi256ELb1ELi12EEvPKT_PKT0_S8_ifPKiSA_SA_iPKfiiiPfSD_PS3_PT2_iSC_SC_.uses_flat_scratch, or(0, .L__assert_fail.uses_flat_scratch)
	.set _Z39paged_attention_ll4mi_QKV_mfma16_kernelI14__hip_bfloat16S0_LN4vllm18Fp8KVCacheDataTypeE0EhLi16ELi128ELi256ELb1ELi12EEvPKT_PKT0_S8_ifPKiSA_SA_iPKfiiiPfSD_PS3_PT2_iSC_SC_.has_dyn_sized_stack, or(0, .L__assert_fail.has_dyn_sized_stack)
	.set _Z39paged_attention_ll4mi_QKV_mfma16_kernelI14__hip_bfloat16S0_LN4vllm18Fp8KVCacheDataTypeE0EhLi16ELi128ELi256ELb1ELi12EEvPKT_PKT0_S8_ifPKiSA_SA_iPKfiiiPfSD_PS3_PT2_iSC_SC_.has_recursion, or(0, .L__assert_fail.has_recursion)
	.set _Z39paged_attention_ll4mi_QKV_mfma16_kernelI14__hip_bfloat16S0_LN4vllm18Fp8KVCacheDataTypeE0EhLi16ELi128ELi256ELb1ELi12EEvPKT_PKT0_S8_ifPKiSA_SA_iPKfiiiPfSD_PS3_PT2_iSC_SC_.has_indirect_call, or(0, .L__assert_fail.has_indirect_call)
	.section	.AMDGPU.csdata,"",@progbits
; Kernel info:
; codeLenInByte = 68
; TotalNumSgprs: 36
; NumVgprs: 51
; ScratchSize: 64
; MemoryBound: 0
; FloatMode: 240
; IeeeMode: 1
; LDSByteSize: 0 bytes/workgroup (compile time only)
; SGPRBlocks: 0
; VGPRBlocks: 3
; NumSGPRsForWavesPerEU: 36
; NumVGPRsForWavesPerEU: 51
; NamedBarCnt: 0
; Occupancy: 16
; WaveLimiterHint : 1
; COMPUTE_PGM_RSRC2:SCRATCH_EN: 1
; COMPUTE_PGM_RSRC2:USER_SGPR: 2
; COMPUTE_PGM_RSRC2:TRAP_HANDLER: 0
; COMPUTE_PGM_RSRC2:TGID_X_EN: 1
; COMPUTE_PGM_RSRC2:TGID_Y_EN: 0
; COMPUTE_PGM_RSRC2:TGID_Z_EN: 0
; COMPUTE_PGM_RSRC2:TIDIG_COMP_CNT: 0
	.section	.text._Z39paged_attention_ll4mi_QKV_mfma16_kernelI14__hip_bfloat16S0_LN4vllm18Fp8KVCacheDataTypeE0EhLi16ELi128ELi256ELb1ELi13EEvPKT_PKT0_S8_ifPKiSA_SA_iPKfiiiPfSD_PS3_PT2_iSC_SC_,"axG",@progbits,_Z39paged_attention_ll4mi_QKV_mfma16_kernelI14__hip_bfloat16S0_LN4vllm18Fp8KVCacheDataTypeE0EhLi16ELi128ELi256ELb1ELi13EEvPKT_PKT0_S8_ifPKiSA_SA_iPKfiiiPfSD_PS3_PT2_iSC_SC_,comdat
	.protected	_Z39paged_attention_ll4mi_QKV_mfma16_kernelI14__hip_bfloat16S0_LN4vllm18Fp8KVCacheDataTypeE0EhLi16ELi128ELi256ELb1ELi13EEvPKT_PKT0_S8_ifPKiSA_SA_iPKfiiiPfSD_PS3_PT2_iSC_SC_ ; -- Begin function _Z39paged_attention_ll4mi_QKV_mfma16_kernelI14__hip_bfloat16S0_LN4vllm18Fp8KVCacheDataTypeE0EhLi16ELi128ELi256ELb1ELi13EEvPKT_PKT0_S8_ifPKiSA_SA_iPKfiiiPfSD_PS3_PT2_iSC_SC_
	.globl	_Z39paged_attention_ll4mi_QKV_mfma16_kernelI14__hip_bfloat16S0_LN4vllm18Fp8KVCacheDataTypeE0EhLi16ELi128ELi256ELb1ELi13EEvPKT_PKT0_S8_ifPKiSA_SA_iPKfiiiPfSD_PS3_PT2_iSC_SC_
	.p2align	8
	.type	_Z39paged_attention_ll4mi_QKV_mfma16_kernelI14__hip_bfloat16S0_LN4vllm18Fp8KVCacheDataTypeE0EhLi16ELi128ELi256ELb1ELi13EEvPKT_PKT0_S8_ifPKiSA_SA_iPKfiiiPfSD_PS3_PT2_iSC_SC_,@function
_Z39paged_attention_ll4mi_QKV_mfma16_kernelI14__hip_bfloat16S0_LN4vllm18Fp8KVCacheDataTypeE0EhLi16ELi128ELi256ELb1ELi13EEvPKT_PKT0_S8_ifPKiSA_SA_iPKfiiiPfSD_PS3_PT2_iSC_SC_: ; @_Z39paged_attention_ll4mi_QKV_mfma16_kernelI14__hip_bfloat16S0_LN4vllm18Fp8KVCacheDataTypeE0EhLi16ELi128ELi256ELb1ELi13EEvPKT_PKT0_S8_ifPKiSA_SA_iPKfiiiPfSD_PS3_PT2_iSC_SC_
; %bb.0:
	s_get_pc_i64 s[2:3]
	s_add_nc_u64 s[2:3], s[2:3], __PRETTY_FUNCTION__._Z39paged_attention_ll4mi_QKV_mfma16_kernelI14__hip_bfloat16S0_LN4vllm18Fp8KVCacheDataTypeE0EhLi16ELi128ELi256ELb1ELi13EEvPKT_PKT0_S8_ifPKiSA_SA_iPKfiiiPfSD_PS3_PT2_iSC_SC_@rel64+4
	s_delay_alu instid0(SALU_CYCLE_1)
	v_dual_mov_b32 v0, 0xbb3 :: v_dual_mov_b32 v1, s2
	v_mov_b32_e32 v2, s3
	s_add_nc_u64 s[8:9], s[0:1], 0x90
	s_get_pc_i64 s[0:1]
	s_add_nc_u64 s[0:1], s[0:1], __assert_fail@rel64+4
	s_mov_b32 s32, 0
	s_swap_pc_i64 s[30:31], s[0:1]
	.section	.rodata,"a",@progbits
	.p2align	6, 0x0
	.amdhsa_kernel _Z39paged_attention_ll4mi_QKV_mfma16_kernelI14__hip_bfloat16S0_LN4vllm18Fp8KVCacheDataTypeE0EhLi16ELi128ELi256ELb1ELi13EEvPKT_PKT0_S8_ifPKiSA_SA_iPKfiiiPfSD_PS3_PT2_iSC_SC_
		.amdhsa_group_segment_fixed_size 0
		.amdhsa_private_segment_fixed_size 64
		.amdhsa_kernarg_size 400
		.amdhsa_user_sgpr_count 2
		.amdhsa_user_sgpr_dispatch_ptr 0
		.amdhsa_user_sgpr_queue_ptr 0
		.amdhsa_user_sgpr_kernarg_segment_ptr 1
		.amdhsa_user_sgpr_dispatch_id 0
		.amdhsa_user_sgpr_kernarg_preload_length 0
		.amdhsa_user_sgpr_kernarg_preload_offset 0
		.amdhsa_user_sgpr_private_segment_size 0
		.amdhsa_wavefront_size32 1
		.amdhsa_uses_dynamic_stack 0
		.amdhsa_enable_private_segment 1
		.amdhsa_system_sgpr_workgroup_id_x 1
		.amdhsa_system_sgpr_workgroup_id_y 0
		.amdhsa_system_sgpr_workgroup_id_z 0
		.amdhsa_system_sgpr_workgroup_info 0
		.amdhsa_system_vgpr_workitem_id 0
		.amdhsa_next_free_vgpr 51
		.amdhsa_next_free_sgpr 34
		.amdhsa_named_barrier_count 0
		.amdhsa_reserve_vcc 1
		.amdhsa_float_round_mode_32 0
		.amdhsa_float_round_mode_16_64 0
		.amdhsa_float_denorm_mode_32 3
		.amdhsa_float_denorm_mode_16_64 3
		.amdhsa_fp16_overflow 0
		.amdhsa_memory_ordered 1
		.amdhsa_forward_progress 1
		.amdhsa_inst_pref_size 1
		.amdhsa_round_robin_scheduling 0
		.amdhsa_exception_fp_ieee_invalid_op 0
		.amdhsa_exception_fp_denorm_src 0
		.amdhsa_exception_fp_ieee_div_zero 0
		.amdhsa_exception_fp_ieee_overflow 0
		.amdhsa_exception_fp_ieee_underflow 0
		.amdhsa_exception_fp_ieee_inexact 0
		.amdhsa_exception_int_div_zero 0
	.end_amdhsa_kernel
	.section	.text._Z39paged_attention_ll4mi_QKV_mfma16_kernelI14__hip_bfloat16S0_LN4vllm18Fp8KVCacheDataTypeE0EhLi16ELi128ELi256ELb1ELi13EEvPKT_PKT0_S8_ifPKiSA_SA_iPKfiiiPfSD_PS3_PT2_iSC_SC_,"axG",@progbits,_Z39paged_attention_ll4mi_QKV_mfma16_kernelI14__hip_bfloat16S0_LN4vllm18Fp8KVCacheDataTypeE0EhLi16ELi128ELi256ELb1ELi13EEvPKT_PKT0_S8_ifPKiSA_SA_iPKfiiiPfSD_PS3_PT2_iSC_SC_,comdat
.Lfunc_end590:
	.size	_Z39paged_attention_ll4mi_QKV_mfma16_kernelI14__hip_bfloat16S0_LN4vllm18Fp8KVCacheDataTypeE0EhLi16ELi128ELi256ELb1ELi13EEvPKT_PKT0_S8_ifPKiSA_SA_iPKfiiiPfSD_PS3_PT2_iSC_SC_, .Lfunc_end590-_Z39paged_attention_ll4mi_QKV_mfma16_kernelI14__hip_bfloat16S0_LN4vllm18Fp8KVCacheDataTypeE0EhLi16ELi128ELi256ELb1ELi13EEvPKT_PKT0_S8_ifPKiSA_SA_iPKfiiiPfSD_PS3_PT2_iSC_SC_
                                        ; -- End function
	.set _Z39paged_attention_ll4mi_QKV_mfma16_kernelI14__hip_bfloat16S0_LN4vllm18Fp8KVCacheDataTypeE0EhLi16ELi128ELi256ELb1ELi13EEvPKT_PKT0_S8_ifPKiSA_SA_iPKfiiiPfSD_PS3_PT2_iSC_SC_.num_vgpr, max(3, .L__assert_fail.num_vgpr)
	.set _Z39paged_attention_ll4mi_QKV_mfma16_kernelI14__hip_bfloat16S0_LN4vllm18Fp8KVCacheDataTypeE0EhLi16ELi128ELi256ELb1ELi13EEvPKT_PKT0_S8_ifPKiSA_SA_iPKfiiiPfSD_PS3_PT2_iSC_SC_.num_agpr, max(0, .L__assert_fail.num_agpr)
	.set _Z39paged_attention_ll4mi_QKV_mfma16_kernelI14__hip_bfloat16S0_LN4vllm18Fp8KVCacheDataTypeE0EhLi16ELi128ELi256ELb1ELi13EEvPKT_PKT0_S8_ifPKiSA_SA_iPKfiiiPfSD_PS3_PT2_iSC_SC_.numbered_sgpr, max(33, .L__assert_fail.numbered_sgpr)
	.set _Z39paged_attention_ll4mi_QKV_mfma16_kernelI14__hip_bfloat16S0_LN4vllm18Fp8KVCacheDataTypeE0EhLi16ELi128ELi256ELb1ELi13EEvPKT_PKT0_S8_ifPKiSA_SA_iPKfiiiPfSD_PS3_PT2_iSC_SC_.num_named_barrier, max(0, .L__assert_fail.num_named_barrier)
	.set _Z39paged_attention_ll4mi_QKV_mfma16_kernelI14__hip_bfloat16S0_LN4vllm18Fp8KVCacheDataTypeE0EhLi16ELi128ELi256ELb1ELi13EEvPKT_PKT0_S8_ifPKiSA_SA_iPKfiiiPfSD_PS3_PT2_iSC_SC_.private_seg_size, 0+max(.L__assert_fail.private_seg_size)
	.set _Z39paged_attention_ll4mi_QKV_mfma16_kernelI14__hip_bfloat16S0_LN4vllm18Fp8KVCacheDataTypeE0EhLi16ELi128ELi256ELb1ELi13EEvPKT_PKT0_S8_ifPKiSA_SA_iPKfiiiPfSD_PS3_PT2_iSC_SC_.uses_vcc, or(1, .L__assert_fail.uses_vcc)
	.set _Z39paged_attention_ll4mi_QKV_mfma16_kernelI14__hip_bfloat16S0_LN4vllm18Fp8KVCacheDataTypeE0EhLi16ELi128ELi256ELb1ELi13EEvPKT_PKT0_S8_ifPKiSA_SA_iPKfiiiPfSD_PS3_PT2_iSC_SC_.uses_flat_scratch, or(0, .L__assert_fail.uses_flat_scratch)
	.set _Z39paged_attention_ll4mi_QKV_mfma16_kernelI14__hip_bfloat16S0_LN4vllm18Fp8KVCacheDataTypeE0EhLi16ELi128ELi256ELb1ELi13EEvPKT_PKT0_S8_ifPKiSA_SA_iPKfiiiPfSD_PS3_PT2_iSC_SC_.has_dyn_sized_stack, or(0, .L__assert_fail.has_dyn_sized_stack)
	.set _Z39paged_attention_ll4mi_QKV_mfma16_kernelI14__hip_bfloat16S0_LN4vllm18Fp8KVCacheDataTypeE0EhLi16ELi128ELi256ELb1ELi13EEvPKT_PKT0_S8_ifPKiSA_SA_iPKfiiiPfSD_PS3_PT2_iSC_SC_.has_recursion, or(0, .L__assert_fail.has_recursion)
	.set _Z39paged_attention_ll4mi_QKV_mfma16_kernelI14__hip_bfloat16S0_LN4vllm18Fp8KVCacheDataTypeE0EhLi16ELi128ELi256ELb1ELi13EEvPKT_PKT0_S8_ifPKiSA_SA_iPKfiiiPfSD_PS3_PT2_iSC_SC_.has_indirect_call, or(0, .L__assert_fail.has_indirect_call)
	.section	.AMDGPU.csdata,"",@progbits
; Kernel info:
; codeLenInByte = 68
; TotalNumSgprs: 36
; NumVgprs: 51
; ScratchSize: 64
; MemoryBound: 0
; FloatMode: 240
; IeeeMode: 1
; LDSByteSize: 0 bytes/workgroup (compile time only)
; SGPRBlocks: 0
; VGPRBlocks: 3
; NumSGPRsForWavesPerEU: 36
; NumVGPRsForWavesPerEU: 51
; NamedBarCnt: 0
; Occupancy: 16
; WaveLimiterHint : 1
; COMPUTE_PGM_RSRC2:SCRATCH_EN: 1
; COMPUTE_PGM_RSRC2:USER_SGPR: 2
; COMPUTE_PGM_RSRC2:TRAP_HANDLER: 0
; COMPUTE_PGM_RSRC2:TGID_X_EN: 1
; COMPUTE_PGM_RSRC2:TGID_Y_EN: 0
; COMPUTE_PGM_RSRC2:TGID_Z_EN: 0
; COMPUTE_PGM_RSRC2:TIDIG_COMP_CNT: 0
	.section	.text._Z39paged_attention_ll4mi_QKV_mfma16_kernelI14__hip_bfloat16S0_LN4vllm18Fp8KVCacheDataTypeE0EhLi16ELi128ELi256ELb1ELi14EEvPKT_PKT0_S8_ifPKiSA_SA_iPKfiiiPfSD_PS3_PT2_iSC_SC_,"axG",@progbits,_Z39paged_attention_ll4mi_QKV_mfma16_kernelI14__hip_bfloat16S0_LN4vllm18Fp8KVCacheDataTypeE0EhLi16ELi128ELi256ELb1ELi14EEvPKT_PKT0_S8_ifPKiSA_SA_iPKfiiiPfSD_PS3_PT2_iSC_SC_,comdat
	.protected	_Z39paged_attention_ll4mi_QKV_mfma16_kernelI14__hip_bfloat16S0_LN4vllm18Fp8KVCacheDataTypeE0EhLi16ELi128ELi256ELb1ELi14EEvPKT_PKT0_S8_ifPKiSA_SA_iPKfiiiPfSD_PS3_PT2_iSC_SC_ ; -- Begin function _Z39paged_attention_ll4mi_QKV_mfma16_kernelI14__hip_bfloat16S0_LN4vllm18Fp8KVCacheDataTypeE0EhLi16ELi128ELi256ELb1ELi14EEvPKT_PKT0_S8_ifPKiSA_SA_iPKfiiiPfSD_PS3_PT2_iSC_SC_
	.globl	_Z39paged_attention_ll4mi_QKV_mfma16_kernelI14__hip_bfloat16S0_LN4vllm18Fp8KVCacheDataTypeE0EhLi16ELi128ELi256ELb1ELi14EEvPKT_PKT0_S8_ifPKiSA_SA_iPKfiiiPfSD_PS3_PT2_iSC_SC_
	.p2align	8
	.type	_Z39paged_attention_ll4mi_QKV_mfma16_kernelI14__hip_bfloat16S0_LN4vllm18Fp8KVCacheDataTypeE0EhLi16ELi128ELi256ELb1ELi14EEvPKT_PKT0_S8_ifPKiSA_SA_iPKfiiiPfSD_PS3_PT2_iSC_SC_,@function
_Z39paged_attention_ll4mi_QKV_mfma16_kernelI14__hip_bfloat16S0_LN4vllm18Fp8KVCacheDataTypeE0EhLi16ELi128ELi256ELb1ELi14EEvPKT_PKT0_S8_ifPKiSA_SA_iPKfiiiPfSD_PS3_PT2_iSC_SC_: ; @_Z39paged_attention_ll4mi_QKV_mfma16_kernelI14__hip_bfloat16S0_LN4vllm18Fp8KVCacheDataTypeE0EhLi16ELi128ELi256ELb1ELi14EEvPKT_PKT0_S8_ifPKiSA_SA_iPKfiiiPfSD_PS3_PT2_iSC_SC_
; %bb.0:
	s_get_pc_i64 s[2:3]
	s_add_nc_u64 s[2:3], s[2:3], __PRETTY_FUNCTION__._Z39paged_attention_ll4mi_QKV_mfma16_kernelI14__hip_bfloat16S0_LN4vllm18Fp8KVCacheDataTypeE0EhLi16ELi128ELi256ELb1ELi14EEvPKT_PKT0_S8_ifPKiSA_SA_iPKfiiiPfSD_PS3_PT2_iSC_SC_@rel64+4
	s_delay_alu instid0(SALU_CYCLE_1)
	v_dual_mov_b32 v0, 0xbb3 :: v_dual_mov_b32 v1, s2
	v_mov_b32_e32 v2, s3
	s_add_nc_u64 s[8:9], s[0:1], 0x90
	s_get_pc_i64 s[0:1]
	s_add_nc_u64 s[0:1], s[0:1], __assert_fail@rel64+4
	s_mov_b32 s32, 0
	s_swap_pc_i64 s[30:31], s[0:1]
	.section	.rodata,"a",@progbits
	.p2align	6, 0x0
	.amdhsa_kernel _Z39paged_attention_ll4mi_QKV_mfma16_kernelI14__hip_bfloat16S0_LN4vllm18Fp8KVCacheDataTypeE0EhLi16ELi128ELi256ELb1ELi14EEvPKT_PKT0_S8_ifPKiSA_SA_iPKfiiiPfSD_PS3_PT2_iSC_SC_
		.amdhsa_group_segment_fixed_size 0
		.amdhsa_private_segment_fixed_size 64
		.amdhsa_kernarg_size 400
		.amdhsa_user_sgpr_count 2
		.amdhsa_user_sgpr_dispatch_ptr 0
		.amdhsa_user_sgpr_queue_ptr 0
		.amdhsa_user_sgpr_kernarg_segment_ptr 1
		.amdhsa_user_sgpr_dispatch_id 0
		.amdhsa_user_sgpr_kernarg_preload_length 0
		.amdhsa_user_sgpr_kernarg_preload_offset 0
		.amdhsa_user_sgpr_private_segment_size 0
		.amdhsa_wavefront_size32 1
		.amdhsa_uses_dynamic_stack 0
		.amdhsa_enable_private_segment 1
		.amdhsa_system_sgpr_workgroup_id_x 1
		.amdhsa_system_sgpr_workgroup_id_y 0
		.amdhsa_system_sgpr_workgroup_id_z 0
		.amdhsa_system_sgpr_workgroup_info 0
		.amdhsa_system_vgpr_workitem_id 0
		.amdhsa_next_free_vgpr 51
		.amdhsa_next_free_sgpr 34
		.amdhsa_named_barrier_count 0
		.amdhsa_reserve_vcc 1
		.amdhsa_float_round_mode_32 0
		.amdhsa_float_round_mode_16_64 0
		.amdhsa_float_denorm_mode_32 3
		.amdhsa_float_denorm_mode_16_64 3
		.amdhsa_fp16_overflow 0
		.amdhsa_memory_ordered 1
		.amdhsa_forward_progress 1
		.amdhsa_inst_pref_size 1
		.amdhsa_round_robin_scheduling 0
		.amdhsa_exception_fp_ieee_invalid_op 0
		.amdhsa_exception_fp_denorm_src 0
		.amdhsa_exception_fp_ieee_div_zero 0
		.amdhsa_exception_fp_ieee_overflow 0
		.amdhsa_exception_fp_ieee_underflow 0
		.amdhsa_exception_fp_ieee_inexact 0
		.amdhsa_exception_int_div_zero 0
	.end_amdhsa_kernel
	.section	.text._Z39paged_attention_ll4mi_QKV_mfma16_kernelI14__hip_bfloat16S0_LN4vllm18Fp8KVCacheDataTypeE0EhLi16ELi128ELi256ELb1ELi14EEvPKT_PKT0_S8_ifPKiSA_SA_iPKfiiiPfSD_PS3_PT2_iSC_SC_,"axG",@progbits,_Z39paged_attention_ll4mi_QKV_mfma16_kernelI14__hip_bfloat16S0_LN4vllm18Fp8KVCacheDataTypeE0EhLi16ELi128ELi256ELb1ELi14EEvPKT_PKT0_S8_ifPKiSA_SA_iPKfiiiPfSD_PS3_PT2_iSC_SC_,comdat
.Lfunc_end591:
	.size	_Z39paged_attention_ll4mi_QKV_mfma16_kernelI14__hip_bfloat16S0_LN4vllm18Fp8KVCacheDataTypeE0EhLi16ELi128ELi256ELb1ELi14EEvPKT_PKT0_S8_ifPKiSA_SA_iPKfiiiPfSD_PS3_PT2_iSC_SC_, .Lfunc_end591-_Z39paged_attention_ll4mi_QKV_mfma16_kernelI14__hip_bfloat16S0_LN4vllm18Fp8KVCacheDataTypeE0EhLi16ELi128ELi256ELb1ELi14EEvPKT_PKT0_S8_ifPKiSA_SA_iPKfiiiPfSD_PS3_PT2_iSC_SC_
                                        ; -- End function
	.set _Z39paged_attention_ll4mi_QKV_mfma16_kernelI14__hip_bfloat16S0_LN4vllm18Fp8KVCacheDataTypeE0EhLi16ELi128ELi256ELb1ELi14EEvPKT_PKT0_S8_ifPKiSA_SA_iPKfiiiPfSD_PS3_PT2_iSC_SC_.num_vgpr, max(3, .L__assert_fail.num_vgpr)
	.set _Z39paged_attention_ll4mi_QKV_mfma16_kernelI14__hip_bfloat16S0_LN4vllm18Fp8KVCacheDataTypeE0EhLi16ELi128ELi256ELb1ELi14EEvPKT_PKT0_S8_ifPKiSA_SA_iPKfiiiPfSD_PS3_PT2_iSC_SC_.num_agpr, max(0, .L__assert_fail.num_agpr)
	.set _Z39paged_attention_ll4mi_QKV_mfma16_kernelI14__hip_bfloat16S0_LN4vllm18Fp8KVCacheDataTypeE0EhLi16ELi128ELi256ELb1ELi14EEvPKT_PKT0_S8_ifPKiSA_SA_iPKfiiiPfSD_PS3_PT2_iSC_SC_.numbered_sgpr, max(33, .L__assert_fail.numbered_sgpr)
	.set _Z39paged_attention_ll4mi_QKV_mfma16_kernelI14__hip_bfloat16S0_LN4vllm18Fp8KVCacheDataTypeE0EhLi16ELi128ELi256ELb1ELi14EEvPKT_PKT0_S8_ifPKiSA_SA_iPKfiiiPfSD_PS3_PT2_iSC_SC_.num_named_barrier, max(0, .L__assert_fail.num_named_barrier)
	.set _Z39paged_attention_ll4mi_QKV_mfma16_kernelI14__hip_bfloat16S0_LN4vllm18Fp8KVCacheDataTypeE0EhLi16ELi128ELi256ELb1ELi14EEvPKT_PKT0_S8_ifPKiSA_SA_iPKfiiiPfSD_PS3_PT2_iSC_SC_.private_seg_size, 0+max(.L__assert_fail.private_seg_size)
	.set _Z39paged_attention_ll4mi_QKV_mfma16_kernelI14__hip_bfloat16S0_LN4vllm18Fp8KVCacheDataTypeE0EhLi16ELi128ELi256ELb1ELi14EEvPKT_PKT0_S8_ifPKiSA_SA_iPKfiiiPfSD_PS3_PT2_iSC_SC_.uses_vcc, or(1, .L__assert_fail.uses_vcc)
	.set _Z39paged_attention_ll4mi_QKV_mfma16_kernelI14__hip_bfloat16S0_LN4vllm18Fp8KVCacheDataTypeE0EhLi16ELi128ELi256ELb1ELi14EEvPKT_PKT0_S8_ifPKiSA_SA_iPKfiiiPfSD_PS3_PT2_iSC_SC_.uses_flat_scratch, or(0, .L__assert_fail.uses_flat_scratch)
	.set _Z39paged_attention_ll4mi_QKV_mfma16_kernelI14__hip_bfloat16S0_LN4vllm18Fp8KVCacheDataTypeE0EhLi16ELi128ELi256ELb1ELi14EEvPKT_PKT0_S8_ifPKiSA_SA_iPKfiiiPfSD_PS3_PT2_iSC_SC_.has_dyn_sized_stack, or(0, .L__assert_fail.has_dyn_sized_stack)
	.set _Z39paged_attention_ll4mi_QKV_mfma16_kernelI14__hip_bfloat16S0_LN4vllm18Fp8KVCacheDataTypeE0EhLi16ELi128ELi256ELb1ELi14EEvPKT_PKT0_S8_ifPKiSA_SA_iPKfiiiPfSD_PS3_PT2_iSC_SC_.has_recursion, or(0, .L__assert_fail.has_recursion)
	.set _Z39paged_attention_ll4mi_QKV_mfma16_kernelI14__hip_bfloat16S0_LN4vllm18Fp8KVCacheDataTypeE0EhLi16ELi128ELi256ELb1ELi14EEvPKT_PKT0_S8_ifPKiSA_SA_iPKfiiiPfSD_PS3_PT2_iSC_SC_.has_indirect_call, or(0, .L__assert_fail.has_indirect_call)
	.section	.AMDGPU.csdata,"",@progbits
; Kernel info:
; codeLenInByte = 68
; TotalNumSgprs: 36
; NumVgprs: 51
; ScratchSize: 64
; MemoryBound: 0
; FloatMode: 240
; IeeeMode: 1
; LDSByteSize: 0 bytes/workgroup (compile time only)
; SGPRBlocks: 0
; VGPRBlocks: 3
; NumSGPRsForWavesPerEU: 36
; NumVGPRsForWavesPerEU: 51
; NamedBarCnt: 0
; Occupancy: 16
; WaveLimiterHint : 1
; COMPUTE_PGM_RSRC2:SCRATCH_EN: 1
; COMPUTE_PGM_RSRC2:USER_SGPR: 2
; COMPUTE_PGM_RSRC2:TRAP_HANDLER: 0
; COMPUTE_PGM_RSRC2:TGID_X_EN: 1
; COMPUTE_PGM_RSRC2:TGID_Y_EN: 0
; COMPUTE_PGM_RSRC2:TGID_Z_EN: 0
; COMPUTE_PGM_RSRC2:TIDIG_COMP_CNT: 0
	.section	.text._Z39paged_attention_ll4mi_QKV_mfma16_kernelI14__hip_bfloat16S0_LN4vllm18Fp8KVCacheDataTypeE0EhLi16ELi128ELi256ELb1ELi15EEvPKT_PKT0_S8_ifPKiSA_SA_iPKfiiiPfSD_PS3_PT2_iSC_SC_,"axG",@progbits,_Z39paged_attention_ll4mi_QKV_mfma16_kernelI14__hip_bfloat16S0_LN4vllm18Fp8KVCacheDataTypeE0EhLi16ELi128ELi256ELb1ELi15EEvPKT_PKT0_S8_ifPKiSA_SA_iPKfiiiPfSD_PS3_PT2_iSC_SC_,comdat
	.protected	_Z39paged_attention_ll4mi_QKV_mfma16_kernelI14__hip_bfloat16S0_LN4vllm18Fp8KVCacheDataTypeE0EhLi16ELi128ELi256ELb1ELi15EEvPKT_PKT0_S8_ifPKiSA_SA_iPKfiiiPfSD_PS3_PT2_iSC_SC_ ; -- Begin function _Z39paged_attention_ll4mi_QKV_mfma16_kernelI14__hip_bfloat16S0_LN4vllm18Fp8KVCacheDataTypeE0EhLi16ELi128ELi256ELb1ELi15EEvPKT_PKT0_S8_ifPKiSA_SA_iPKfiiiPfSD_PS3_PT2_iSC_SC_
	.globl	_Z39paged_attention_ll4mi_QKV_mfma16_kernelI14__hip_bfloat16S0_LN4vllm18Fp8KVCacheDataTypeE0EhLi16ELi128ELi256ELb1ELi15EEvPKT_PKT0_S8_ifPKiSA_SA_iPKfiiiPfSD_PS3_PT2_iSC_SC_
	.p2align	8
	.type	_Z39paged_attention_ll4mi_QKV_mfma16_kernelI14__hip_bfloat16S0_LN4vllm18Fp8KVCacheDataTypeE0EhLi16ELi128ELi256ELb1ELi15EEvPKT_PKT0_S8_ifPKiSA_SA_iPKfiiiPfSD_PS3_PT2_iSC_SC_,@function
_Z39paged_attention_ll4mi_QKV_mfma16_kernelI14__hip_bfloat16S0_LN4vllm18Fp8KVCacheDataTypeE0EhLi16ELi128ELi256ELb1ELi15EEvPKT_PKT0_S8_ifPKiSA_SA_iPKfiiiPfSD_PS3_PT2_iSC_SC_: ; @_Z39paged_attention_ll4mi_QKV_mfma16_kernelI14__hip_bfloat16S0_LN4vllm18Fp8KVCacheDataTypeE0EhLi16ELi128ELi256ELb1ELi15EEvPKT_PKT0_S8_ifPKiSA_SA_iPKfiiiPfSD_PS3_PT2_iSC_SC_
; %bb.0:
	s_get_pc_i64 s[2:3]
	s_add_nc_u64 s[2:3], s[2:3], __PRETTY_FUNCTION__._Z39paged_attention_ll4mi_QKV_mfma16_kernelI14__hip_bfloat16S0_LN4vllm18Fp8KVCacheDataTypeE0EhLi16ELi128ELi256ELb1ELi15EEvPKT_PKT0_S8_ifPKiSA_SA_iPKfiiiPfSD_PS3_PT2_iSC_SC_@rel64+4
	s_delay_alu instid0(SALU_CYCLE_1)
	v_dual_mov_b32 v0, 0xbb3 :: v_dual_mov_b32 v1, s2
	v_mov_b32_e32 v2, s3
	s_add_nc_u64 s[8:9], s[0:1], 0x90
	s_get_pc_i64 s[0:1]
	s_add_nc_u64 s[0:1], s[0:1], __assert_fail@rel64+4
	s_mov_b32 s32, 0
	s_swap_pc_i64 s[30:31], s[0:1]
	.section	.rodata,"a",@progbits
	.p2align	6, 0x0
	.amdhsa_kernel _Z39paged_attention_ll4mi_QKV_mfma16_kernelI14__hip_bfloat16S0_LN4vllm18Fp8KVCacheDataTypeE0EhLi16ELi128ELi256ELb1ELi15EEvPKT_PKT0_S8_ifPKiSA_SA_iPKfiiiPfSD_PS3_PT2_iSC_SC_
		.amdhsa_group_segment_fixed_size 0
		.amdhsa_private_segment_fixed_size 64
		.amdhsa_kernarg_size 400
		.amdhsa_user_sgpr_count 2
		.amdhsa_user_sgpr_dispatch_ptr 0
		.amdhsa_user_sgpr_queue_ptr 0
		.amdhsa_user_sgpr_kernarg_segment_ptr 1
		.amdhsa_user_sgpr_dispatch_id 0
		.amdhsa_user_sgpr_kernarg_preload_length 0
		.amdhsa_user_sgpr_kernarg_preload_offset 0
		.amdhsa_user_sgpr_private_segment_size 0
		.amdhsa_wavefront_size32 1
		.amdhsa_uses_dynamic_stack 0
		.amdhsa_enable_private_segment 1
		.amdhsa_system_sgpr_workgroup_id_x 1
		.amdhsa_system_sgpr_workgroup_id_y 0
		.amdhsa_system_sgpr_workgroup_id_z 0
		.amdhsa_system_sgpr_workgroup_info 0
		.amdhsa_system_vgpr_workitem_id 0
		.amdhsa_next_free_vgpr 51
		.amdhsa_next_free_sgpr 34
		.amdhsa_named_barrier_count 0
		.amdhsa_reserve_vcc 1
		.amdhsa_float_round_mode_32 0
		.amdhsa_float_round_mode_16_64 0
		.amdhsa_float_denorm_mode_32 3
		.amdhsa_float_denorm_mode_16_64 3
		.amdhsa_fp16_overflow 0
		.amdhsa_memory_ordered 1
		.amdhsa_forward_progress 1
		.amdhsa_inst_pref_size 1
		.amdhsa_round_robin_scheduling 0
		.amdhsa_exception_fp_ieee_invalid_op 0
		.amdhsa_exception_fp_denorm_src 0
		.amdhsa_exception_fp_ieee_div_zero 0
		.amdhsa_exception_fp_ieee_overflow 0
		.amdhsa_exception_fp_ieee_underflow 0
		.amdhsa_exception_fp_ieee_inexact 0
		.amdhsa_exception_int_div_zero 0
	.end_amdhsa_kernel
	.section	.text._Z39paged_attention_ll4mi_QKV_mfma16_kernelI14__hip_bfloat16S0_LN4vllm18Fp8KVCacheDataTypeE0EhLi16ELi128ELi256ELb1ELi15EEvPKT_PKT0_S8_ifPKiSA_SA_iPKfiiiPfSD_PS3_PT2_iSC_SC_,"axG",@progbits,_Z39paged_attention_ll4mi_QKV_mfma16_kernelI14__hip_bfloat16S0_LN4vllm18Fp8KVCacheDataTypeE0EhLi16ELi128ELi256ELb1ELi15EEvPKT_PKT0_S8_ifPKiSA_SA_iPKfiiiPfSD_PS3_PT2_iSC_SC_,comdat
.Lfunc_end592:
	.size	_Z39paged_attention_ll4mi_QKV_mfma16_kernelI14__hip_bfloat16S0_LN4vllm18Fp8KVCacheDataTypeE0EhLi16ELi128ELi256ELb1ELi15EEvPKT_PKT0_S8_ifPKiSA_SA_iPKfiiiPfSD_PS3_PT2_iSC_SC_, .Lfunc_end592-_Z39paged_attention_ll4mi_QKV_mfma16_kernelI14__hip_bfloat16S0_LN4vllm18Fp8KVCacheDataTypeE0EhLi16ELi128ELi256ELb1ELi15EEvPKT_PKT0_S8_ifPKiSA_SA_iPKfiiiPfSD_PS3_PT2_iSC_SC_
                                        ; -- End function
	.set _Z39paged_attention_ll4mi_QKV_mfma16_kernelI14__hip_bfloat16S0_LN4vllm18Fp8KVCacheDataTypeE0EhLi16ELi128ELi256ELb1ELi15EEvPKT_PKT0_S8_ifPKiSA_SA_iPKfiiiPfSD_PS3_PT2_iSC_SC_.num_vgpr, max(3, .L__assert_fail.num_vgpr)
	.set _Z39paged_attention_ll4mi_QKV_mfma16_kernelI14__hip_bfloat16S0_LN4vllm18Fp8KVCacheDataTypeE0EhLi16ELi128ELi256ELb1ELi15EEvPKT_PKT0_S8_ifPKiSA_SA_iPKfiiiPfSD_PS3_PT2_iSC_SC_.num_agpr, max(0, .L__assert_fail.num_agpr)
	.set _Z39paged_attention_ll4mi_QKV_mfma16_kernelI14__hip_bfloat16S0_LN4vllm18Fp8KVCacheDataTypeE0EhLi16ELi128ELi256ELb1ELi15EEvPKT_PKT0_S8_ifPKiSA_SA_iPKfiiiPfSD_PS3_PT2_iSC_SC_.numbered_sgpr, max(33, .L__assert_fail.numbered_sgpr)
	.set _Z39paged_attention_ll4mi_QKV_mfma16_kernelI14__hip_bfloat16S0_LN4vllm18Fp8KVCacheDataTypeE0EhLi16ELi128ELi256ELb1ELi15EEvPKT_PKT0_S8_ifPKiSA_SA_iPKfiiiPfSD_PS3_PT2_iSC_SC_.num_named_barrier, max(0, .L__assert_fail.num_named_barrier)
	.set _Z39paged_attention_ll4mi_QKV_mfma16_kernelI14__hip_bfloat16S0_LN4vllm18Fp8KVCacheDataTypeE0EhLi16ELi128ELi256ELb1ELi15EEvPKT_PKT0_S8_ifPKiSA_SA_iPKfiiiPfSD_PS3_PT2_iSC_SC_.private_seg_size, 0+max(.L__assert_fail.private_seg_size)
	.set _Z39paged_attention_ll4mi_QKV_mfma16_kernelI14__hip_bfloat16S0_LN4vllm18Fp8KVCacheDataTypeE0EhLi16ELi128ELi256ELb1ELi15EEvPKT_PKT0_S8_ifPKiSA_SA_iPKfiiiPfSD_PS3_PT2_iSC_SC_.uses_vcc, or(1, .L__assert_fail.uses_vcc)
	.set _Z39paged_attention_ll4mi_QKV_mfma16_kernelI14__hip_bfloat16S0_LN4vllm18Fp8KVCacheDataTypeE0EhLi16ELi128ELi256ELb1ELi15EEvPKT_PKT0_S8_ifPKiSA_SA_iPKfiiiPfSD_PS3_PT2_iSC_SC_.uses_flat_scratch, or(0, .L__assert_fail.uses_flat_scratch)
	.set _Z39paged_attention_ll4mi_QKV_mfma16_kernelI14__hip_bfloat16S0_LN4vllm18Fp8KVCacheDataTypeE0EhLi16ELi128ELi256ELb1ELi15EEvPKT_PKT0_S8_ifPKiSA_SA_iPKfiiiPfSD_PS3_PT2_iSC_SC_.has_dyn_sized_stack, or(0, .L__assert_fail.has_dyn_sized_stack)
	.set _Z39paged_attention_ll4mi_QKV_mfma16_kernelI14__hip_bfloat16S0_LN4vllm18Fp8KVCacheDataTypeE0EhLi16ELi128ELi256ELb1ELi15EEvPKT_PKT0_S8_ifPKiSA_SA_iPKfiiiPfSD_PS3_PT2_iSC_SC_.has_recursion, or(0, .L__assert_fail.has_recursion)
	.set _Z39paged_attention_ll4mi_QKV_mfma16_kernelI14__hip_bfloat16S0_LN4vllm18Fp8KVCacheDataTypeE0EhLi16ELi128ELi256ELb1ELi15EEvPKT_PKT0_S8_ifPKiSA_SA_iPKfiiiPfSD_PS3_PT2_iSC_SC_.has_indirect_call, or(0, .L__assert_fail.has_indirect_call)
	.section	.AMDGPU.csdata,"",@progbits
; Kernel info:
; codeLenInByte = 68
; TotalNumSgprs: 36
; NumVgprs: 51
; ScratchSize: 64
; MemoryBound: 0
; FloatMode: 240
; IeeeMode: 1
; LDSByteSize: 0 bytes/workgroup (compile time only)
; SGPRBlocks: 0
; VGPRBlocks: 3
; NumSGPRsForWavesPerEU: 36
; NumVGPRsForWavesPerEU: 51
; NamedBarCnt: 0
; Occupancy: 16
; WaveLimiterHint : 1
; COMPUTE_PGM_RSRC2:SCRATCH_EN: 1
; COMPUTE_PGM_RSRC2:USER_SGPR: 2
; COMPUTE_PGM_RSRC2:TRAP_HANDLER: 0
; COMPUTE_PGM_RSRC2:TGID_X_EN: 1
; COMPUTE_PGM_RSRC2:TGID_Y_EN: 0
; COMPUTE_PGM_RSRC2:TGID_Z_EN: 0
; COMPUTE_PGM_RSRC2:TIDIG_COMP_CNT: 0
	.section	.text._Z39paged_attention_ll4mi_QKV_mfma16_kernelI14__hip_bfloat16S0_LN4vllm18Fp8KVCacheDataTypeE0EhLi16ELi128ELi256ELb1ELi16EEvPKT_PKT0_S8_ifPKiSA_SA_iPKfiiiPfSD_PS3_PT2_iSC_SC_,"axG",@progbits,_Z39paged_attention_ll4mi_QKV_mfma16_kernelI14__hip_bfloat16S0_LN4vllm18Fp8KVCacheDataTypeE0EhLi16ELi128ELi256ELb1ELi16EEvPKT_PKT0_S8_ifPKiSA_SA_iPKfiiiPfSD_PS3_PT2_iSC_SC_,comdat
	.protected	_Z39paged_attention_ll4mi_QKV_mfma16_kernelI14__hip_bfloat16S0_LN4vllm18Fp8KVCacheDataTypeE0EhLi16ELi128ELi256ELb1ELi16EEvPKT_PKT0_S8_ifPKiSA_SA_iPKfiiiPfSD_PS3_PT2_iSC_SC_ ; -- Begin function _Z39paged_attention_ll4mi_QKV_mfma16_kernelI14__hip_bfloat16S0_LN4vllm18Fp8KVCacheDataTypeE0EhLi16ELi128ELi256ELb1ELi16EEvPKT_PKT0_S8_ifPKiSA_SA_iPKfiiiPfSD_PS3_PT2_iSC_SC_
	.globl	_Z39paged_attention_ll4mi_QKV_mfma16_kernelI14__hip_bfloat16S0_LN4vllm18Fp8KVCacheDataTypeE0EhLi16ELi128ELi256ELb1ELi16EEvPKT_PKT0_S8_ifPKiSA_SA_iPKfiiiPfSD_PS3_PT2_iSC_SC_
	.p2align	8
	.type	_Z39paged_attention_ll4mi_QKV_mfma16_kernelI14__hip_bfloat16S0_LN4vllm18Fp8KVCacheDataTypeE0EhLi16ELi128ELi256ELb1ELi16EEvPKT_PKT0_S8_ifPKiSA_SA_iPKfiiiPfSD_PS3_PT2_iSC_SC_,@function
_Z39paged_attention_ll4mi_QKV_mfma16_kernelI14__hip_bfloat16S0_LN4vllm18Fp8KVCacheDataTypeE0EhLi16ELi128ELi256ELb1ELi16EEvPKT_PKT0_S8_ifPKiSA_SA_iPKfiiiPfSD_PS3_PT2_iSC_SC_: ; @_Z39paged_attention_ll4mi_QKV_mfma16_kernelI14__hip_bfloat16S0_LN4vllm18Fp8KVCacheDataTypeE0EhLi16ELi128ELi256ELb1ELi16EEvPKT_PKT0_S8_ifPKiSA_SA_iPKfiiiPfSD_PS3_PT2_iSC_SC_
; %bb.0:
	s_get_pc_i64 s[2:3]
	s_add_nc_u64 s[2:3], s[2:3], __PRETTY_FUNCTION__._Z39paged_attention_ll4mi_QKV_mfma16_kernelI14__hip_bfloat16S0_LN4vllm18Fp8KVCacheDataTypeE0EhLi16ELi128ELi256ELb1ELi16EEvPKT_PKT0_S8_ifPKiSA_SA_iPKfiiiPfSD_PS3_PT2_iSC_SC_@rel64+4
	s_delay_alu instid0(SALU_CYCLE_1)
	v_dual_mov_b32 v0, 0xbb3 :: v_dual_mov_b32 v1, s2
	v_mov_b32_e32 v2, s3
	s_add_nc_u64 s[8:9], s[0:1], 0x90
	s_get_pc_i64 s[0:1]
	s_add_nc_u64 s[0:1], s[0:1], __assert_fail@rel64+4
	s_mov_b32 s32, 0
	s_swap_pc_i64 s[30:31], s[0:1]
	.section	.rodata,"a",@progbits
	.p2align	6, 0x0
	.amdhsa_kernel _Z39paged_attention_ll4mi_QKV_mfma16_kernelI14__hip_bfloat16S0_LN4vllm18Fp8KVCacheDataTypeE0EhLi16ELi128ELi256ELb1ELi16EEvPKT_PKT0_S8_ifPKiSA_SA_iPKfiiiPfSD_PS3_PT2_iSC_SC_
		.amdhsa_group_segment_fixed_size 0
		.amdhsa_private_segment_fixed_size 64
		.amdhsa_kernarg_size 400
		.amdhsa_user_sgpr_count 2
		.amdhsa_user_sgpr_dispatch_ptr 0
		.amdhsa_user_sgpr_queue_ptr 0
		.amdhsa_user_sgpr_kernarg_segment_ptr 1
		.amdhsa_user_sgpr_dispatch_id 0
		.amdhsa_user_sgpr_kernarg_preload_length 0
		.amdhsa_user_sgpr_kernarg_preload_offset 0
		.amdhsa_user_sgpr_private_segment_size 0
		.amdhsa_wavefront_size32 1
		.amdhsa_uses_dynamic_stack 0
		.amdhsa_enable_private_segment 1
		.amdhsa_system_sgpr_workgroup_id_x 1
		.amdhsa_system_sgpr_workgroup_id_y 0
		.amdhsa_system_sgpr_workgroup_id_z 0
		.amdhsa_system_sgpr_workgroup_info 0
		.amdhsa_system_vgpr_workitem_id 0
		.amdhsa_next_free_vgpr 51
		.amdhsa_next_free_sgpr 34
		.amdhsa_named_barrier_count 0
		.amdhsa_reserve_vcc 1
		.amdhsa_float_round_mode_32 0
		.amdhsa_float_round_mode_16_64 0
		.amdhsa_float_denorm_mode_32 3
		.amdhsa_float_denorm_mode_16_64 3
		.amdhsa_fp16_overflow 0
		.amdhsa_memory_ordered 1
		.amdhsa_forward_progress 1
		.amdhsa_inst_pref_size 1
		.amdhsa_round_robin_scheduling 0
		.amdhsa_exception_fp_ieee_invalid_op 0
		.amdhsa_exception_fp_denorm_src 0
		.amdhsa_exception_fp_ieee_div_zero 0
		.amdhsa_exception_fp_ieee_overflow 0
		.amdhsa_exception_fp_ieee_underflow 0
		.amdhsa_exception_fp_ieee_inexact 0
		.amdhsa_exception_int_div_zero 0
	.end_amdhsa_kernel
	.section	.text._Z39paged_attention_ll4mi_QKV_mfma16_kernelI14__hip_bfloat16S0_LN4vllm18Fp8KVCacheDataTypeE0EhLi16ELi128ELi256ELb1ELi16EEvPKT_PKT0_S8_ifPKiSA_SA_iPKfiiiPfSD_PS3_PT2_iSC_SC_,"axG",@progbits,_Z39paged_attention_ll4mi_QKV_mfma16_kernelI14__hip_bfloat16S0_LN4vllm18Fp8KVCacheDataTypeE0EhLi16ELi128ELi256ELb1ELi16EEvPKT_PKT0_S8_ifPKiSA_SA_iPKfiiiPfSD_PS3_PT2_iSC_SC_,comdat
.Lfunc_end593:
	.size	_Z39paged_attention_ll4mi_QKV_mfma16_kernelI14__hip_bfloat16S0_LN4vllm18Fp8KVCacheDataTypeE0EhLi16ELi128ELi256ELb1ELi16EEvPKT_PKT0_S8_ifPKiSA_SA_iPKfiiiPfSD_PS3_PT2_iSC_SC_, .Lfunc_end593-_Z39paged_attention_ll4mi_QKV_mfma16_kernelI14__hip_bfloat16S0_LN4vllm18Fp8KVCacheDataTypeE0EhLi16ELi128ELi256ELb1ELi16EEvPKT_PKT0_S8_ifPKiSA_SA_iPKfiiiPfSD_PS3_PT2_iSC_SC_
                                        ; -- End function
	.set _Z39paged_attention_ll4mi_QKV_mfma16_kernelI14__hip_bfloat16S0_LN4vllm18Fp8KVCacheDataTypeE0EhLi16ELi128ELi256ELb1ELi16EEvPKT_PKT0_S8_ifPKiSA_SA_iPKfiiiPfSD_PS3_PT2_iSC_SC_.num_vgpr, max(3, .L__assert_fail.num_vgpr)
	.set _Z39paged_attention_ll4mi_QKV_mfma16_kernelI14__hip_bfloat16S0_LN4vllm18Fp8KVCacheDataTypeE0EhLi16ELi128ELi256ELb1ELi16EEvPKT_PKT0_S8_ifPKiSA_SA_iPKfiiiPfSD_PS3_PT2_iSC_SC_.num_agpr, max(0, .L__assert_fail.num_agpr)
	.set _Z39paged_attention_ll4mi_QKV_mfma16_kernelI14__hip_bfloat16S0_LN4vllm18Fp8KVCacheDataTypeE0EhLi16ELi128ELi256ELb1ELi16EEvPKT_PKT0_S8_ifPKiSA_SA_iPKfiiiPfSD_PS3_PT2_iSC_SC_.numbered_sgpr, max(33, .L__assert_fail.numbered_sgpr)
	.set _Z39paged_attention_ll4mi_QKV_mfma16_kernelI14__hip_bfloat16S0_LN4vllm18Fp8KVCacheDataTypeE0EhLi16ELi128ELi256ELb1ELi16EEvPKT_PKT0_S8_ifPKiSA_SA_iPKfiiiPfSD_PS3_PT2_iSC_SC_.num_named_barrier, max(0, .L__assert_fail.num_named_barrier)
	.set _Z39paged_attention_ll4mi_QKV_mfma16_kernelI14__hip_bfloat16S0_LN4vllm18Fp8KVCacheDataTypeE0EhLi16ELi128ELi256ELb1ELi16EEvPKT_PKT0_S8_ifPKiSA_SA_iPKfiiiPfSD_PS3_PT2_iSC_SC_.private_seg_size, 0+max(.L__assert_fail.private_seg_size)
	.set _Z39paged_attention_ll4mi_QKV_mfma16_kernelI14__hip_bfloat16S0_LN4vllm18Fp8KVCacheDataTypeE0EhLi16ELi128ELi256ELb1ELi16EEvPKT_PKT0_S8_ifPKiSA_SA_iPKfiiiPfSD_PS3_PT2_iSC_SC_.uses_vcc, or(1, .L__assert_fail.uses_vcc)
	.set _Z39paged_attention_ll4mi_QKV_mfma16_kernelI14__hip_bfloat16S0_LN4vllm18Fp8KVCacheDataTypeE0EhLi16ELi128ELi256ELb1ELi16EEvPKT_PKT0_S8_ifPKiSA_SA_iPKfiiiPfSD_PS3_PT2_iSC_SC_.uses_flat_scratch, or(0, .L__assert_fail.uses_flat_scratch)
	.set _Z39paged_attention_ll4mi_QKV_mfma16_kernelI14__hip_bfloat16S0_LN4vllm18Fp8KVCacheDataTypeE0EhLi16ELi128ELi256ELb1ELi16EEvPKT_PKT0_S8_ifPKiSA_SA_iPKfiiiPfSD_PS3_PT2_iSC_SC_.has_dyn_sized_stack, or(0, .L__assert_fail.has_dyn_sized_stack)
	.set _Z39paged_attention_ll4mi_QKV_mfma16_kernelI14__hip_bfloat16S0_LN4vllm18Fp8KVCacheDataTypeE0EhLi16ELi128ELi256ELb1ELi16EEvPKT_PKT0_S8_ifPKiSA_SA_iPKfiiiPfSD_PS3_PT2_iSC_SC_.has_recursion, or(0, .L__assert_fail.has_recursion)
	.set _Z39paged_attention_ll4mi_QKV_mfma16_kernelI14__hip_bfloat16S0_LN4vllm18Fp8KVCacheDataTypeE0EhLi16ELi128ELi256ELb1ELi16EEvPKT_PKT0_S8_ifPKiSA_SA_iPKfiiiPfSD_PS3_PT2_iSC_SC_.has_indirect_call, or(0, .L__assert_fail.has_indirect_call)
	.section	.AMDGPU.csdata,"",@progbits
; Kernel info:
; codeLenInByte = 68
; TotalNumSgprs: 36
; NumVgprs: 51
; ScratchSize: 64
; MemoryBound: 0
; FloatMode: 240
; IeeeMode: 1
; LDSByteSize: 0 bytes/workgroup (compile time only)
; SGPRBlocks: 0
; VGPRBlocks: 3
; NumSGPRsForWavesPerEU: 36
; NumVGPRsForWavesPerEU: 51
; NamedBarCnt: 0
; Occupancy: 16
; WaveLimiterHint : 1
; COMPUTE_PGM_RSRC2:SCRATCH_EN: 1
; COMPUTE_PGM_RSRC2:USER_SGPR: 2
; COMPUTE_PGM_RSRC2:TRAP_HANDLER: 0
; COMPUTE_PGM_RSRC2:TGID_X_EN: 1
; COMPUTE_PGM_RSRC2:TGID_Y_EN: 0
; COMPUTE_PGM_RSRC2:TGID_Z_EN: 0
; COMPUTE_PGM_RSRC2:TIDIG_COMP_CNT: 0
	.section	.text._Z35paged_attention_ll4mi_reduce_kernelI14__hip_bfloat16hLi128ELi128ELi256ELi1EEvPT0_PKfS4_PKT_PKiS9_iS4_,"axG",@progbits,_Z35paged_attention_ll4mi_reduce_kernelI14__hip_bfloat16hLi128ELi128ELi256ELi1EEvPT0_PKfS4_PKT_PKiS9_iS4_,comdat
	.protected	_Z35paged_attention_ll4mi_reduce_kernelI14__hip_bfloat16hLi128ELi128ELi256ELi1EEvPT0_PKfS4_PKT_PKiS9_iS4_ ; -- Begin function _Z35paged_attention_ll4mi_reduce_kernelI14__hip_bfloat16hLi128ELi128ELi256ELi1EEvPT0_PKfS4_PKT_PKiS9_iS4_
	.globl	_Z35paged_attention_ll4mi_reduce_kernelI14__hip_bfloat16hLi128ELi128ELi256ELi1EEvPT0_PKfS4_PKT_PKiS9_iS4_
	.p2align	8
	.type	_Z35paged_attention_ll4mi_reduce_kernelI14__hip_bfloat16hLi128ELi128ELi256ELi1EEvPT0_PKfS4_PKT_PKiS9_iS4_,@function
_Z35paged_attention_ll4mi_reduce_kernelI14__hip_bfloat16hLi128ELi128ELi256ELi1EEvPT0_PKfS4_PKT_PKiS9_iS4_: ; @_Z35paged_attention_ll4mi_reduce_kernelI14__hip_bfloat16hLi128ELi128ELi256ELi1EEvPT0_PKfS4_PKT_PKiS9_iS4_
; %bb.0:
	s_get_pc_i64 s[2:3]
	s_add_nc_u64 s[2:3], s[2:3], __PRETTY_FUNCTION__._Z35paged_attention_ll4mi_reduce_kernelI14__hip_bfloat16hLi128ELi128ELi256ELi1EEvPT0_PKfS4_PKT_PKiS9_iS4_@rel64+4
	s_delay_alu instid0(SALU_CYCLE_1)
	v_dual_mov_b32 v0, 0xbdd :: v_dual_mov_b32 v1, s2
	v_mov_b32_e32 v2, s3
	s_add_nc_u64 s[8:9], s[0:1], 64
	s_get_pc_i64 s[0:1]
	s_add_nc_u64 s[0:1], s[0:1], __assert_fail@rel64+4
	s_mov_b32 s32, 0
	s_swap_pc_i64 s[30:31], s[0:1]
	.section	.rodata,"a",@progbits
	.p2align	6, 0x0
	.amdhsa_kernel _Z35paged_attention_ll4mi_reduce_kernelI14__hip_bfloat16hLi128ELi128ELi256ELi1EEvPT0_PKfS4_PKT_PKiS9_iS4_
		.amdhsa_group_segment_fixed_size 0
		.amdhsa_private_segment_fixed_size 64
		.amdhsa_kernarg_size 320
		.amdhsa_user_sgpr_count 2
		.amdhsa_user_sgpr_dispatch_ptr 0
		.amdhsa_user_sgpr_queue_ptr 0
		.amdhsa_user_sgpr_kernarg_segment_ptr 1
		.amdhsa_user_sgpr_dispatch_id 0
		.amdhsa_user_sgpr_kernarg_preload_length 0
		.amdhsa_user_sgpr_kernarg_preload_offset 0
		.amdhsa_user_sgpr_private_segment_size 0
		.amdhsa_wavefront_size32 1
		.amdhsa_uses_dynamic_stack 0
		.amdhsa_enable_private_segment 1
		.amdhsa_system_sgpr_workgroup_id_x 1
		.amdhsa_system_sgpr_workgroup_id_y 0
		.amdhsa_system_sgpr_workgroup_id_z 0
		.amdhsa_system_sgpr_workgroup_info 0
		.amdhsa_system_vgpr_workitem_id 0
		.amdhsa_next_free_vgpr 51
		.amdhsa_next_free_sgpr 34
		.amdhsa_named_barrier_count 0
		.amdhsa_reserve_vcc 1
		.amdhsa_float_round_mode_32 0
		.amdhsa_float_round_mode_16_64 0
		.amdhsa_float_denorm_mode_32 3
		.amdhsa_float_denorm_mode_16_64 3
		.amdhsa_fp16_overflow 0
		.amdhsa_memory_ordered 1
		.amdhsa_forward_progress 1
		.amdhsa_inst_pref_size 1
		.amdhsa_round_robin_scheduling 0
		.amdhsa_exception_fp_ieee_invalid_op 0
		.amdhsa_exception_fp_denorm_src 0
		.amdhsa_exception_fp_ieee_div_zero 0
		.amdhsa_exception_fp_ieee_overflow 0
		.amdhsa_exception_fp_ieee_underflow 0
		.amdhsa_exception_fp_ieee_inexact 0
		.amdhsa_exception_int_div_zero 0
	.end_amdhsa_kernel
	.section	.text._Z35paged_attention_ll4mi_reduce_kernelI14__hip_bfloat16hLi128ELi128ELi256ELi1EEvPT0_PKfS4_PKT_PKiS9_iS4_,"axG",@progbits,_Z35paged_attention_ll4mi_reduce_kernelI14__hip_bfloat16hLi128ELi128ELi256ELi1EEvPT0_PKfS4_PKT_PKiS9_iS4_,comdat
.Lfunc_end594:
	.size	_Z35paged_attention_ll4mi_reduce_kernelI14__hip_bfloat16hLi128ELi128ELi256ELi1EEvPT0_PKfS4_PKT_PKiS9_iS4_, .Lfunc_end594-_Z35paged_attention_ll4mi_reduce_kernelI14__hip_bfloat16hLi128ELi128ELi256ELi1EEvPT0_PKfS4_PKT_PKiS9_iS4_
                                        ; -- End function
	.set _Z35paged_attention_ll4mi_reduce_kernelI14__hip_bfloat16hLi128ELi128ELi256ELi1EEvPT0_PKfS4_PKT_PKiS9_iS4_.num_vgpr, max(3, .L__assert_fail.num_vgpr)
	.set _Z35paged_attention_ll4mi_reduce_kernelI14__hip_bfloat16hLi128ELi128ELi256ELi1EEvPT0_PKfS4_PKT_PKiS9_iS4_.num_agpr, max(0, .L__assert_fail.num_agpr)
	.set _Z35paged_attention_ll4mi_reduce_kernelI14__hip_bfloat16hLi128ELi128ELi256ELi1EEvPT0_PKfS4_PKT_PKiS9_iS4_.numbered_sgpr, max(33, .L__assert_fail.numbered_sgpr)
	.set _Z35paged_attention_ll4mi_reduce_kernelI14__hip_bfloat16hLi128ELi128ELi256ELi1EEvPT0_PKfS4_PKT_PKiS9_iS4_.num_named_barrier, max(0, .L__assert_fail.num_named_barrier)
	.set _Z35paged_attention_ll4mi_reduce_kernelI14__hip_bfloat16hLi128ELi128ELi256ELi1EEvPT0_PKfS4_PKT_PKiS9_iS4_.private_seg_size, 0+max(.L__assert_fail.private_seg_size)
	.set _Z35paged_attention_ll4mi_reduce_kernelI14__hip_bfloat16hLi128ELi128ELi256ELi1EEvPT0_PKfS4_PKT_PKiS9_iS4_.uses_vcc, or(1, .L__assert_fail.uses_vcc)
	.set _Z35paged_attention_ll4mi_reduce_kernelI14__hip_bfloat16hLi128ELi128ELi256ELi1EEvPT0_PKfS4_PKT_PKiS9_iS4_.uses_flat_scratch, or(0, .L__assert_fail.uses_flat_scratch)
	.set _Z35paged_attention_ll4mi_reduce_kernelI14__hip_bfloat16hLi128ELi128ELi256ELi1EEvPT0_PKfS4_PKT_PKiS9_iS4_.has_dyn_sized_stack, or(0, .L__assert_fail.has_dyn_sized_stack)
	.set _Z35paged_attention_ll4mi_reduce_kernelI14__hip_bfloat16hLi128ELi128ELi256ELi1EEvPT0_PKfS4_PKT_PKiS9_iS4_.has_recursion, or(0, .L__assert_fail.has_recursion)
	.set _Z35paged_attention_ll4mi_reduce_kernelI14__hip_bfloat16hLi128ELi128ELi256ELi1EEvPT0_PKfS4_PKT_PKiS9_iS4_.has_indirect_call, or(0, .L__assert_fail.has_indirect_call)
	.section	.AMDGPU.csdata,"",@progbits
; Kernel info:
; codeLenInByte = 64
; TotalNumSgprs: 36
; NumVgprs: 51
; ScratchSize: 64
; MemoryBound: 0
; FloatMode: 240
; IeeeMode: 1
; LDSByteSize: 0 bytes/workgroup (compile time only)
; SGPRBlocks: 0
; VGPRBlocks: 3
; NumSGPRsForWavesPerEU: 36
; NumVGPRsForWavesPerEU: 51
; NamedBarCnt: 0
; Occupancy: 16
; WaveLimiterHint : 1
; COMPUTE_PGM_RSRC2:SCRATCH_EN: 1
; COMPUTE_PGM_RSRC2:USER_SGPR: 2
; COMPUTE_PGM_RSRC2:TRAP_HANDLER: 0
; COMPUTE_PGM_RSRC2:TGID_X_EN: 1
; COMPUTE_PGM_RSRC2:TGID_Y_EN: 0
; COMPUTE_PGM_RSRC2:TGID_Z_EN: 0
; COMPUTE_PGM_RSRC2:TIDIG_COMP_CNT: 0
	.section	.text._Z35paged_attention_ll4mi_reduce_kernelI14__hip_bfloat16hLi128ELi128ELi256ELi2EEvPT0_PKfS4_PKT_PKiS9_iS4_,"axG",@progbits,_Z35paged_attention_ll4mi_reduce_kernelI14__hip_bfloat16hLi128ELi128ELi256ELi2EEvPT0_PKfS4_PKT_PKiS9_iS4_,comdat
	.protected	_Z35paged_attention_ll4mi_reduce_kernelI14__hip_bfloat16hLi128ELi128ELi256ELi2EEvPT0_PKfS4_PKT_PKiS9_iS4_ ; -- Begin function _Z35paged_attention_ll4mi_reduce_kernelI14__hip_bfloat16hLi128ELi128ELi256ELi2EEvPT0_PKfS4_PKT_PKiS9_iS4_
	.globl	_Z35paged_attention_ll4mi_reduce_kernelI14__hip_bfloat16hLi128ELi128ELi256ELi2EEvPT0_PKfS4_PKT_PKiS9_iS4_
	.p2align	8
	.type	_Z35paged_attention_ll4mi_reduce_kernelI14__hip_bfloat16hLi128ELi128ELi256ELi2EEvPT0_PKfS4_PKT_PKiS9_iS4_,@function
_Z35paged_attention_ll4mi_reduce_kernelI14__hip_bfloat16hLi128ELi128ELi256ELi2EEvPT0_PKfS4_PKT_PKiS9_iS4_: ; @_Z35paged_attention_ll4mi_reduce_kernelI14__hip_bfloat16hLi128ELi128ELi256ELi2EEvPT0_PKfS4_PKT_PKiS9_iS4_
; %bb.0:
	s_get_pc_i64 s[2:3]
	s_add_nc_u64 s[2:3], s[2:3], __PRETTY_FUNCTION__._Z35paged_attention_ll4mi_reduce_kernelI14__hip_bfloat16hLi128ELi128ELi256ELi2EEvPT0_PKfS4_PKT_PKiS9_iS4_@rel64+4
	s_delay_alu instid0(SALU_CYCLE_1)
	v_dual_mov_b32 v0, 0xbdd :: v_dual_mov_b32 v1, s2
	v_mov_b32_e32 v2, s3
	s_add_nc_u64 s[8:9], s[0:1], 64
	s_get_pc_i64 s[0:1]
	s_add_nc_u64 s[0:1], s[0:1], __assert_fail@rel64+4
	s_mov_b32 s32, 0
	s_swap_pc_i64 s[30:31], s[0:1]
	.section	.rodata,"a",@progbits
	.p2align	6, 0x0
	.amdhsa_kernel _Z35paged_attention_ll4mi_reduce_kernelI14__hip_bfloat16hLi128ELi128ELi256ELi2EEvPT0_PKfS4_PKT_PKiS9_iS4_
		.amdhsa_group_segment_fixed_size 0
		.amdhsa_private_segment_fixed_size 64
		.amdhsa_kernarg_size 320
		.amdhsa_user_sgpr_count 2
		.amdhsa_user_sgpr_dispatch_ptr 0
		.amdhsa_user_sgpr_queue_ptr 0
		.amdhsa_user_sgpr_kernarg_segment_ptr 1
		.amdhsa_user_sgpr_dispatch_id 0
		.amdhsa_user_sgpr_kernarg_preload_length 0
		.amdhsa_user_sgpr_kernarg_preload_offset 0
		.amdhsa_user_sgpr_private_segment_size 0
		.amdhsa_wavefront_size32 1
		.amdhsa_uses_dynamic_stack 0
		.amdhsa_enable_private_segment 1
		.amdhsa_system_sgpr_workgroup_id_x 1
		.amdhsa_system_sgpr_workgroup_id_y 0
		.amdhsa_system_sgpr_workgroup_id_z 0
		.amdhsa_system_sgpr_workgroup_info 0
		.amdhsa_system_vgpr_workitem_id 0
		.amdhsa_next_free_vgpr 51
		.amdhsa_next_free_sgpr 34
		.amdhsa_named_barrier_count 0
		.amdhsa_reserve_vcc 1
		.amdhsa_float_round_mode_32 0
		.amdhsa_float_round_mode_16_64 0
		.amdhsa_float_denorm_mode_32 3
		.amdhsa_float_denorm_mode_16_64 3
		.amdhsa_fp16_overflow 0
		.amdhsa_memory_ordered 1
		.amdhsa_forward_progress 1
		.amdhsa_inst_pref_size 1
		.amdhsa_round_robin_scheduling 0
		.amdhsa_exception_fp_ieee_invalid_op 0
		.amdhsa_exception_fp_denorm_src 0
		.amdhsa_exception_fp_ieee_div_zero 0
		.amdhsa_exception_fp_ieee_overflow 0
		.amdhsa_exception_fp_ieee_underflow 0
		.amdhsa_exception_fp_ieee_inexact 0
		.amdhsa_exception_int_div_zero 0
	.end_amdhsa_kernel
	.section	.text._Z35paged_attention_ll4mi_reduce_kernelI14__hip_bfloat16hLi128ELi128ELi256ELi2EEvPT0_PKfS4_PKT_PKiS9_iS4_,"axG",@progbits,_Z35paged_attention_ll4mi_reduce_kernelI14__hip_bfloat16hLi128ELi128ELi256ELi2EEvPT0_PKfS4_PKT_PKiS9_iS4_,comdat
.Lfunc_end595:
	.size	_Z35paged_attention_ll4mi_reduce_kernelI14__hip_bfloat16hLi128ELi128ELi256ELi2EEvPT0_PKfS4_PKT_PKiS9_iS4_, .Lfunc_end595-_Z35paged_attention_ll4mi_reduce_kernelI14__hip_bfloat16hLi128ELi128ELi256ELi2EEvPT0_PKfS4_PKT_PKiS9_iS4_
                                        ; -- End function
	.set _Z35paged_attention_ll4mi_reduce_kernelI14__hip_bfloat16hLi128ELi128ELi256ELi2EEvPT0_PKfS4_PKT_PKiS9_iS4_.num_vgpr, max(3, .L__assert_fail.num_vgpr)
	.set _Z35paged_attention_ll4mi_reduce_kernelI14__hip_bfloat16hLi128ELi128ELi256ELi2EEvPT0_PKfS4_PKT_PKiS9_iS4_.num_agpr, max(0, .L__assert_fail.num_agpr)
	.set _Z35paged_attention_ll4mi_reduce_kernelI14__hip_bfloat16hLi128ELi128ELi256ELi2EEvPT0_PKfS4_PKT_PKiS9_iS4_.numbered_sgpr, max(33, .L__assert_fail.numbered_sgpr)
	.set _Z35paged_attention_ll4mi_reduce_kernelI14__hip_bfloat16hLi128ELi128ELi256ELi2EEvPT0_PKfS4_PKT_PKiS9_iS4_.num_named_barrier, max(0, .L__assert_fail.num_named_barrier)
	.set _Z35paged_attention_ll4mi_reduce_kernelI14__hip_bfloat16hLi128ELi128ELi256ELi2EEvPT0_PKfS4_PKT_PKiS9_iS4_.private_seg_size, 0+max(.L__assert_fail.private_seg_size)
	.set _Z35paged_attention_ll4mi_reduce_kernelI14__hip_bfloat16hLi128ELi128ELi256ELi2EEvPT0_PKfS4_PKT_PKiS9_iS4_.uses_vcc, or(1, .L__assert_fail.uses_vcc)
	.set _Z35paged_attention_ll4mi_reduce_kernelI14__hip_bfloat16hLi128ELi128ELi256ELi2EEvPT0_PKfS4_PKT_PKiS9_iS4_.uses_flat_scratch, or(0, .L__assert_fail.uses_flat_scratch)
	.set _Z35paged_attention_ll4mi_reduce_kernelI14__hip_bfloat16hLi128ELi128ELi256ELi2EEvPT0_PKfS4_PKT_PKiS9_iS4_.has_dyn_sized_stack, or(0, .L__assert_fail.has_dyn_sized_stack)
	.set _Z35paged_attention_ll4mi_reduce_kernelI14__hip_bfloat16hLi128ELi128ELi256ELi2EEvPT0_PKfS4_PKT_PKiS9_iS4_.has_recursion, or(0, .L__assert_fail.has_recursion)
	.set _Z35paged_attention_ll4mi_reduce_kernelI14__hip_bfloat16hLi128ELi128ELi256ELi2EEvPT0_PKfS4_PKT_PKiS9_iS4_.has_indirect_call, or(0, .L__assert_fail.has_indirect_call)
	.section	.AMDGPU.csdata,"",@progbits
; Kernel info:
; codeLenInByte = 64
; TotalNumSgprs: 36
; NumVgprs: 51
; ScratchSize: 64
; MemoryBound: 0
; FloatMode: 240
; IeeeMode: 1
; LDSByteSize: 0 bytes/workgroup (compile time only)
; SGPRBlocks: 0
; VGPRBlocks: 3
; NumSGPRsForWavesPerEU: 36
; NumVGPRsForWavesPerEU: 51
; NamedBarCnt: 0
; Occupancy: 16
; WaveLimiterHint : 1
; COMPUTE_PGM_RSRC2:SCRATCH_EN: 1
; COMPUTE_PGM_RSRC2:USER_SGPR: 2
; COMPUTE_PGM_RSRC2:TRAP_HANDLER: 0
; COMPUTE_PGM_RSRC2:TGID_X_EN: 1
; COMPUTE_PGM_RSRC2:TGID_Y_EN: 0
; COMPUTE_PGM_RSRC2:TGID_Z_EN: 0
; COMPUTE_PGM_RSRC2:TIDIG_COMP_CNT: 0
	.section	.text._Z35paged_attention_ll4mi_reduce_kernelI14__hip_bfloat16hLi128ELi128ELi256ELi3EEvPT0_PKfS4_PKT_PKiS9_iS4_,"axG",@progbits,_Z35paged_attention_ll4mi_reduce_kernelI14__hip_bfloat16hLi128ELi128ELi256ELi3EEvPT0_PKfS4_PKT_PKiS9_iS4_,comdat
	.protected	_Z35paged_attention_ll4mi_reduce_kernelI14__hip_bfloat16hLi128ELi128ELi256ELi3EEvPT0_PKfS4_PKT_PKiS9_iS4_ ; -- Begin function _Z35paged_attention_ll4mi_reduce_kernelI14__hip_bfloat16hLi128ELi128ELi256ELi3EEvPT0_PKfS4_PKT_PKiS9_iS4_
	.globl	_Z35paged_attention_ll4mi_reduce_kernelI14__hip_bfloat16hLi128ELi128ELi256ELi3EEvPT0_PKfS4_PKT_PKiS9_iS4_
	.p2align	8
	.type	_Z35paged_attention_ll4mi_reduce_kernelI14__hip_bfloat16hLi128ELi128ELi256ELi3EEvPT0_PKfS4_PKT_PKiS9_iS4_,@function
_Z35paged_attention_ll4mi_reduce_kernelI14__hip_bfloat16hLi128ELi128ELi256ELi3EEvPT0_PKfS4_PKT_PKiS9_iS4_: ; @_Z35paged_attention_ll4mi_reduce_kernelI14__hip_bfloat16hLi128ELi128ELi256ELi3EEvPT0_PKfS4_PKT_PKiS9_iS4_
; %bb.0:
	s_get_pc_i64 s[2:3]
	s_add_nc_u64 s[2:3], s[2:3], __PRETTY_FUNCTION__._Z35paged_attention_ll4mi_reduce_kernelI14__hip_bfloat16hLi128ELi128ELi256ELi3EEvPT0_PKfS4_PKT_PKiS9_iS4_@rel64+4
	s_delay_alu instid0(SALU_CYCLE_1)
	v_dual_mov_b32 v0, 0xbdd :: v_dual_mov_b32 v1, s2
	v_mov_b32_e32 v2, s3
	s_add_nc_u64 s[8:9], s[0:1], 64
	s_get_pc_i64 s[0:1]
	s_add_nc_u64 s[0:1], s[0:1], __assert_fail@rel64+4
	s_mov_b32 s32, 0
	s_swap_pc_i64 s[30:31], s[0:1]
	.section	.rodata,"a",@progbits
	.p2align	6, 0x0
	.amdhsa_kernel _Z35paged_attention_ll4mi_reduce_kernelI14__hip_bfloat16hLi128ELi128ELi256ELi3EEvPT0_PKfS4_PKT_PKiS9_iS4_
		.amdhsa_group_segment_fixed_size 0
		.amdhsa_private_segment_fixed_size 64
		.amdhsa_kernarg_size 320
		.amdhsa_user_sgpr_count 2
		.amdhsa_user_sgpr_dispatch_ptr 0
		.amdhsa_user_sgpr_queue_ptr 0
		.amdhsa_user_sgpr_kernarg_segment_ptr 1
		.amdhsa_user_sgpr_dispatch_id 0
		.amdhsa_user_sgpr_kernarg_preload_length 0
		.amdhsa_user_sgpr_kernarg_preload_offset 0
		.amdhsa_user_sgpr_private_segment_size 0
		.amdhsa_wavefront_size32 1
		.amdhsa_uses_dynamic_stack 0
		.amdhsa_enable_private_segment 1
		.amdhsa_system_sgpr_workgroup_id_x 1
		.amdhsa_system_sgpr_workgroup_id_y 0
		.amdhsa_system_sgpr_workgroup_id_z 0
		.amdhsa_system_sgpr_workgroup_info 0
		.amdhsa_system_vgpr_workitem_id 0
		.amdhsa_next_free_vgpr 51
		.amdhsa_next_free_sgpr 34
		.amdhsa_named_barrier_count 0
		.amdhsa_reserve_vcc 1
		.amdhsa_float_round_mode_32 0
		.amdhsa_float_round_mode_16_64 0
		.amdhsa_float_denorm_mode_32 3
		.amdhsa_float_denorm_mode_16_64 3
		.amdhsa_fp16_overflow 0
		.amdhsa_memory_ordered 1
		.amdhsa_forward_progress 1
		.amdhsa_inst_pref_size 1
		.amdhsa_round_robin_scheduling 0
		.amdhsa_exception_fp_ieee_invalid_op 0
		.amdhsa_exception_fp_denorm_src 0
		.amdhsa_exception_fp_ieee_div_zero 0
		.amdhsa_exception_fp_ieee_overflow 0
		.amdhsa_exception_fp_ieee_underflow 0
		.amdhsa_exception_fp_ieee_inexact 0
		.amdhsa_exception_int_div_zero 0
	.end_amdhsa_kernel
	.section	.text._Z35paged_attention_ll4mi_reduce_kernelI14__hip_bfloat16hLi128ELi128ELi256ELi3EEvPT0_PKfS4_PKT_PKiS9_iS4_,"axG",@progbits,_Z35paged_attention_ll4mi_reduce_kernelI14__hip_bfloat16hLi128ELi128ELi256ELi3EEvPT0_PKfS4_PKT_PKiS9_iS4_,comdat
.Lfunc_end596:
	.size	_Z35paged_attention_ll4mi_reduce_kernelI14__hip_bfloat16hLi128ELi128ELi256ELi3EEvPT0_PKfS4_PKT_PKiS9_iS4_, .Lfunc_end596-_Z35paged_attention_ll4mi_reduce_kernelI14__hip_bfloat16hLi128ELi128ELi256ELi3EEvPT0_PKfS4_PKT_PKiS9_iS4_
                                        ; -- End function
	.set _Z35paged_attention_ll4mi_reduce_kernelI14__hip_bfloat16hLi128ELi128ELi256ELi3EEvPT0_PKfS4_PKT_PKiS9_iS4_.num_vgpr, max(3, .L__assert_fail.num_vgpr)
	.set _Z35paged_attention_ll4mi_reduce_kernelI14__hip_bfloat16hLi128ELi128ELi256ELi3EEvPT0_PKfS4_PKT_PKiS9_iS4_.num_agpr, max(0, .L__assert_fail.num_agpr)
	.set _Z35paged_attention_ll4mi_reduce_kernelI14__hip_bfloat16hLi128ELi128ELi256ELi3EEvPT0_PKfS4_PKT_PKiS9_iS4_.numbered_sgpr, max(33, .L__assert_fail.numbered_sgpr)
	.set _Z35paged_attention_ll4mi_reduce_kernelI14__hip_bfloat16hLi128ELi128ELi256ELi3EEvPT0_PKfS4_PKT_PKiS9_iS4_.num_named_barrier, max(0, .L__assert_fail.num_named_barrier)
	.set _Z35paged_attention_ll4mi_reduce_kernelI14__hip_bfloat16hLi128ELi128ELi256ELi3EEvPT0_PKfS4_PKT_PKiS9_iS4_.private_seg_size, 0+max(.L__assert_fail.private_seg_size)
	.set _Z35paged_attention_ll4mi_reduce_kernelI14__hip_bfloat16hLi128ELi128ELi256ELi3EEvPT0_PKfS4_PKT_PKiS9_iS4_.uses_vcc, or(1, .L__assert_fail.uses_vcc)
	.set _Z35paged_attention_ll4mi_reduce_kernelI14__hip_bfloat16hLi128ELi128ELi256ELi3EEvPT0_PKfS4_PKT_PKiS9_iS4_.uses_flat_scratch, or(0, .L__assert_fail.uses_flat_scratch)
	.set _Z35paged_attention_ll4mi_reduce_kernelI14__hip_bfloat16hLi128ELi128ELi256ELi3EEvPT0_PKfS4_PKT_PKiS9_iS4_.has_dyn_sized_stack, or(0, .L__assert_fail.has_dyn_sized_stack)
	.set _Z35paged_attention_ll4mi_reduce_kernelI14__hip_bfloat16hLi128ELi128ELi256ELi3EEvPT0_PKfS4_PKT_PKiS9_iS4_.has_recursion, or(0, .L__assert_fail.has_recursion)
	.set _Z35paged_attention_ll4mi_reduce_kernelI14__hip_bfloat16hLi128ELi128ELi256ELi3EEvPT0_PKfS4_PKT_PKiS9_iS4_.has_indirect_call, or(0, .L__assert_fail.has_indirect_call)
	.section	.AMDGPU.csdata,"",@progbits
; Kernel info:
; codeLenInByte = 64
; TotalNumSgprs: 36
; NumVgprs: 51
; ScratchSize: 64
; MemoryBound: 0
; FloatMode: 240
; IeeeMode: 1
; LDSByteSize: 0 bytes/workgroup (compile time only)
; SGPRBlocks: 0
; VGPRBlocks: 3
; NumSGPRsForWavesPerEU: 36
; NumVGPRsForWavesPerEU: 51
; NamedBarCnt: 0
; Occupancy: 16
; WaveLimiterHint : 1
; COMPUTE_PGM_RSRC2:SCRATCH_EN: 1
; COMPUTE_PGM_RSRC2:USER_SGPR: 2
; COMPUTE_PGM_RSRC2:TRAP_HANDLER: 0
; COMPUTE_PGM_RSRC2:TGID_X_EN: 1
; COMPUTE_PGM_RSRC2:TGID_Y_EN: 0
; COMPUTE_PGM_RSRC2:TGID_Z_EN: 0
; COMPUTE_PGM_RSRC2:TIDIG_COMP_CNT: 0
	.section	.text._Z35paged_attention_ll4mi_reduce_kernelI14__hip_bfloat16hLi128ELi128ELi256ELi4EEvPT0_PKfS4_PKT_PKiS9_iS4_,"axG",@progbits,_Z35paged_attention_ll4mi_reduce_kernelI14__hip_bfloat16hLi128ELi128ELi256ELi4EEvPT0_PKfS4_PKT_PKiS9_iS4_,comdat
	.protected	_Z35paged_attention_ll4mi_reduce_kernelI14__hip_bfloat16hLi128ELi128ELi256ELi4EEvPT0_PKfS4_PKT_PKiS9_iS4_ ; -- Begin function _Z35paged_attention_ll4mi_reduce_kernelI14__hip_bfloat16hLi128ELi128ELi256ELi4EEvPT0_PKfS4_PKT_PKiS9_iS4_
	.globl	_Z35paged_attention_ll4mi_reduce_kernelI14__hip_bfloat16hLi128ELi128ELi256ELi4EEvPT0_PKfS4_PKT_PKiS9_iS4_
	.p2align	8
	.type	_Z35paged_attention_ll4mi_reduce_kernelI14__hip_bfloat16hLi128ELi128ELi256ELi4EEvPT0_PKfS4_PKT_PKiS9_iS4_,@function
_Z35paged_attention_ll4mi_reduce_kernelI14__hip_bfloat16hLi128ELi128ELi256ELi4EEvPT0_PKfS4_PKT_PKiS9_iS4_: ; @_Z35paged_attention_ll4mi_reduce_kernelI14__hip_bfloat16hLi128ELi128ELi256ELi4EEvPT0_PKfS4_PKT_PKiS9_iS4_
; %bb.0:
	s_get_pc_i64 s[2:3]
	s_add_nc_u64 s[2:3], s[2:3], __PRETTY_FUNCTION__._Z35paged_attention_ll4mi_reduce_kernelI14__hip_bfloat16hLi128ELi128ELi256ELi4EEvPT0_PKfS4_PKT_PKiS9_iS4_@rel64+4
	s_delay_alu instid0(SALU_CYCLE_1)
	v_dual_mov_b32 v0, 0xbdd :: v_dual_mov_b32 v1, s2
	v_mov_b32_e32 v2, s3
	s_add_nc_u64 s[8:9], s[0:1], 64
	s_get_pc_i64 s[0:1]
	s_add_nc_u64 s[0:1], s[0:1], __assert_fail@rel64+4
	s_mov_b32 s32, 0
	s_swap_pc_i64 s[30:31], s[0:1]
	.section	.rodata,"a",@progbits
	.p2align	6, 0x0
	.amdhsa_kernel _Z35paged_attention_ll4mi_reduce_kernelI14__hip_bfloat16hLi128ELi128ELi256ELi4EEvPT0_PKfS4_PKT_PKiS9_iS4_
		.amdhsa_group_segment_fixed_size 0
		.amdhsa_private_segment_fixed_size 64
		.amdhsa_kernarg_size 320
		.amdhsa_user_sgpr_count 2
		.amdhsa_user_sgpr_dispatch_ptr 0
		.amdhsa_user_sgpr_queue_ptr 0
		.amdhsa_user_sgpr_kernarg_segment_ptr 1
		.amdhsa_user_sgpr_dispatch_id 0
		.amdhsa_user_sgpr_kernarg_preload_length 0
		.amdhsa_user_sgpr_kernarg_preload_offset 0
		.amdhsa_user_sgpr_private_segment_size 0
		.amdhsa_wavefront_size32 1
		.amdhsa_uses_dynamic_stack 0
		.amdhsa_enable_private_segment 1
		.amdhsa_system_sgpr_workgroup_id_x 1
		.amdhsa_system_sgpr_workgroup_id_y 0
		.amdhsa_system_sgpr_workgroup_id_z 0
		.amdhsa_system_sgpr_workgroup_info 0
		.amdhsa_system_vgpr_workitem_id 0
		.amdhsa_next_free_vgpr 51
		.amdhsa_next_free_sgpr 34
		.amdhsa_named_barrier_count 0
		.amdhsa_reserve_vcc 1
		.amdhsa_float_round_mode_32 0
		.amdhsa_float_round_mode_16_64 0
		.amdhsa_float_denorm_mode_32 3
		.amdhsa_float_denorm_mode_16_64 3
		.amdhsa_fp16_overflow 0
		.amdhsa_memory_ordered 1
		.amdhsa_forward_progress 1
		.amdhsa_inst_pref_size 1
		.amdhsa_round_robin_scheduling 0
		.amdhsa_exception_fp_ieee_invalid_op 0
		.amdhsa_exception_fp_denorm_src 0
		.amdhsa_exception_fp_ieee_div_zero 0
		.amdhsa_exception_fp_ieee_overflow 0
		.amdhsa_exception_fp_ieee_underflow 0
		.amdhsa_exception_fp_ieee_inexact 0
		.amdhsa_exception_int_div_zero 0
	.end_amdhsa_kernel
	.section	.text._Z35paged_attention_ll4mi_reduce_kernelI14__hip_bfloat16hLi128ELi128ELi256ELi4EEvPT0_PKfS4_PKT_PKiS9_iS4_,"axG",@progbits,_Z35paged_attention_ll4mi_reduce_kernelI14__hip_bfloat16hLi128ELi128ELi256ELi4EEvPT0_PKfS4_PKT_PKiS9_iS4_,comdat
.Lfunc_end597:
	.size	_Z35paged_attention_ll4mi_reduce_kernelI14__hip_bfloat16hLi128ELi128ELi256ELi4EEvPT0_PKfS4_PKT_PKiS9_iS4_, .Lfunc_end597-_Z35paged_attention_ll4mi_reduce_kernelI14__hip_bfloat16hLi128ELi128ELi256ELi4EEvPT0_PKfS4_PKT_PKiS9_iS4_
                                        ; -- End function
	.set _Z35paged_attention_ll4mi_reduce_kernelI14__hip_bfloat16hLi128ELi128ELi256ELi4EEvPT0_PKfS4_PKT_PKiS9_iS4_.num_vgpr, max(3, .L__assert_fail.num_vgpr)
	.set _Z35paged_attention_ll4mi_reduce_kernelI14__hip_bfloat16hLi128ELi128ELi256ELi4EEvPT0_PKfS4_PKT_PKiS9_iS4_.num_agpr, max(0, .L__assert_fail.num_agpr)
	.set _Z35paged_attention_ll4mi_reduce_kernelI14__hip_bfloat16hLi128ELi128ELi256ELi4EEvPT0_PKfS4_PKT_PKiS9_iS4_.numbered_sgpr, max(33, .L__assert_fail.numbered_sgpr)
	.set _Z35paged_attention_ll4mi_reduce_kernelI14__hip_bfloat16hLi128ELi128ELi256ELi4EEvPT0_PKfS4_PKT_PKiS9_iS4_.num_named_barrier, max(0, .L__assert_fail.num_named_barrier)
	.set _Z35paged_attention_ll4mi_reduce_kernelI14__hip_bfloat16hLi128ELi128ELi256ELi4EEvPT0_PKfS4_PKT_PKiS9_iS4_.private_seg_size, 0+max(.L__assert_fail.private_seg_size)
	.set _Z35paged_attention_ll4mi_reduce_kernelI14__hip_bfloat16hLi128ELi128ELi256ELi4EEvPT0_PKfS4_PKT_PKiS9_iS4_.uses_vcc, or(1, .L__assert_fail.uses_vcc)
	.set _Z35paged_attention_ll4mi_reduce_kernelI14__hip_bfloat16hLi128ELi128ELi256ELi4EEvPT0_PKfS4_PKT_PKiS9_iS4_.uses_flat_scratch, or(0, .L__assert_fail.uses_flat_scratch)
	.set _Z35paged_attention_ll4mi_reduce_kernelI14__hip_bfloat16hLi128ELi128ELi256ELi4EEvPT0_PKfS4_PKT_PKiS9_iS4_.has_dyn_sized_stack, or(0, .L__assert_fail.has_dyn_sized_stack)
	.set _Z35paged_attention_ll4mi_reduce_kernelI14__hip_bfloat16hLi128ELi128ELi256ELi4EEvPT0_PKfS4_PKT_PKiS9_iS4_.has_recursion, or(0, .L__assert_fail.has_recursion)
	.set _Z35paged_attention_ll4mi_reduce_kernelI14__hip_bfloat16hLi128ELi128ELi256ELi4EEvPT0_PKfS4_PKT_PKiS9_iS4_.has_indirect_call, or(0, .L__assert_fail.has_indirect_call)
	.section	.AMDGPU.csdata,"",@progbits
; Kernel info:
; codeLenInByte = 64
; TotalNumSgprs: 36
; NumVgprs: 51
; ScratchSize: 64
; MemoryBound: 0
; FloatMode: 240
; IeeeMode: 1
; LDSByteSize: 0 bytes/workgroup (compile time only)
; SGPRBlocks: 0
; VGPRBlocks: 3
; NumSGPRsForWavesPerEU: 36
; NumVGPRsForWavesPerEU: 51
; NamedBarCnt: 0
; Occupancy: 16
; WaveLimiterHint : 1
; COMPUTE_PGM_RSRC2:SCRATCH_EN: 1
; COMPUTE_PGM_RSRC2:USER_SGPR: 2
; COMPUTE_PGM_RSRC2:TRAP_HANDLER: 0
; COMPUTE_PGM_RSRC2:TGID_X_EN: 1
; COMPUTE_PGM_RSRC2:TGID_Y_EN: 0
; COMPUTE_PGM_RSRC2:TGID_Z_EN: 0
; COMPUTE_PGM_RSRC2:TIDIG_COMP_CNT: 0
	.section	.text._Z35paged_attention_ll4mi_reduce_kernelI14__hip_bfloat16hLi128ELi128ELi256ELi5EEvPT0_PKfS4_PKT_PKiS9_iS4_,"axG",@progbits,_Z35paged_attention_ll4mi_reduce_kernelI14__hip_bfloat16hLi128ELi128ELi256ELi5EEvPT0_PKfS4_PKT_PKiS9_iS4_,comdat
	.protected	_Z35paged_attention_ll4mi_reduce_kernelI14__hip_bfloat16hLi128ELi128ELi256ELi5EEvPT0_PKfS4_PKT_PKiS9_iS4_ ; -- Begin function _Z35paged_attention_ll4mi_reduce_kernelI14__hip_bfloat16hLi128ELi128ELi256ELi5EEvPT0_PKfS4_PKT_PKiS9_iS4_
	.globl	_Z35paged_attention_ll4mi_reduce_kernelI14__hip_bfloat16hLi128ELi128ELi256ELi5EEvPT0_PKfS4_PKT_PKiS9_iS4_
	.p2align	8
	.type	_Z35paged_attention_ll4mi_reduce_kernelI14__hip_bfloat16hLi128ELi128ELi256ELi5EEvPT0_PKfS4_PKT_PKiS9_iS4_,@function
_Z35paged_attention_ll4mi_reduce_kernelI14__hip_bfloat16hLi128ELi128ELi256ELi5EEvPT0_PKfS4_PKT_PKiS9_iS4_: ; @_Z35paged_attention_ll4mi_reduce_kernelI14__hip_bfloat16hLi128ELi128ELi256ELi5EEvPT0_PKfS4_PKT_PKiS9_iS4_
; %bb.0:
	s_get_pc_i64 s[2:3]
	s_add_nc_u64 s[2:3], s[2:3], __PRETTY_FUNCTION__._Z35paged_attention_ll4mi_reduce_kernelI14__hip_bfloat16hLi128ELi128ELi256ELi5EEvPT0_PKfS4_PKT_PKiS9_iS4_@rel64+4
	s_delay_alu instid0(SALU_CYCLE_1)
	v_dual_mov_b32 v0, 0xbdd :: v_dual_mov_b32 v1, s2
	v_mov_b32_e32 v2, s3
	s_add_nc_u64 s[8:9], s[0:1], 64
	s_get_pc_i64 s[0:1]
	s_add_nc_u64 s[0:1], s[0:1], __assert_fail@rel64+4
	s_mov_b32 s32, 0
	s_swap_pc_i64 s[30:31], s[0:1]
	.section	.rodata,"a",@progbits
	.p2align	6, 0x0
	.amdhsa_kernel _Z35paged_attention_ll4mi_reduce_kernelI14__hip_bfloat16hLi128ELi128ELi256ELi5EEvPT0_PKfS4_PKT_PKiS9_iS4_
		.amdhsa_group_segment_fixed_size 0
		.amdhsa_private_segment_fixed_size 64
		.amdhsa_kernarg_size 320
		.amdhsa_user_sgpr_count 2
		.amdhsa_user_sgpr_dispatch_ptr 0
		.amdhsa_user_sgpr_queue_ptr 0
		.amdhsa_user_sgpr_kernarg_segment_ptr 1
		.amdhsa_user_sgpr_dispatch_id 0
		.amdhsa_user_sgpr_kernarg_preload_length 0
		.amdhsa_user_sgpr_kernarg_preload_offset 0
		.amdhsa_user_sgpr_private_segment_size 0
		.amdhsa_wavefront_size32 1
		.amdhsa_uses_dynamic_stack 0
		.amdhsa_enable_private_segment 1
		.amdhsa_system_sgpr_workgroup_id_x 1
		.amdhsa_system_sgpr_workgroup_id_y 0
		.amdhsa_system_sgpr_workgroup_id_z 0
		.amdhsa_system_sgpr_workgroup_info 0
		.amdhsa_system_vgpr_workitem_id 0
		.amdhsa_next_free_vgpr 51
		.amdhsa_next_free_sgpr 34
		.amdhsa_named_barrier_count 0
		.amdhsa_reserve_vcc 1
		.amdhsa_float_round_mode_32 0
		.amdhsa_float_round_mode_16_64 0
		.amdhsa_float_denorm_mode_32 3
		.amdhsa_float_denorm_mode_16_64 3
		.amdhsa_fp16_overflow 0
		.amdhsa_memory_ordered 1
		.amdhsa_forward_progress 1
		.amdhsa_inst_pref_size 1
		.amdhsa_round_robin_scheduling 0
		.amdhsa_exception_fp_ieee_invalid_op 0
		.amdhsa_exception_fp_denorm_src 0
		.amdhsa_exception_fp_ieee_div_zero 0
		.amdhsa_exception_fp_ieee_overflow 0
		.amdhsa_exception_fp_ieee_underflow 0
		.amdhsa_exception_fp_ieee_inexact 0
		.amdhsa_exception_int_div_zero 0
	.end_amdhsa_kernel
	.section	.text._Z35paged_attention_ll4mi_reduce_kernelI14__hip_bfloat16hLi128ELi128ELi256ELi5EEvPT0_PKfS4_PKT_PKiS9_iS4_,"axG",@progbits,_Z35paged_attention_ll4mi_reduce_kernelI14__hip_bfloat16hLi128ELi128ELi256ELi5EEvPT0_PKfS4_PKT_PKiS9_iS4_,comdat
.Lfunc_end598:
	.size	_Z35paged_attention_ll4mi_reduce_kernelI14__hip_bfloat16hLi128ELi128ELi256ELi5EEvPT0_PKfS4_PKT_PKiS9_iS4_, .Lfunc_end598-_Z35paged_attention_ll4mi_reduce_kernelI14__hip_bfloat16hLi128ELi128ELi256ELi5EEvPT0_PKfS4_PKT_PKiS9_iS4_
                                        ; -- End function
	.set _Z35paged_attention_ll4mi_reduce_kernelI14__hip_bfloat16hLi128ELi128ELi256ELi5EEvPT0_PKfS4_PKT_PKiS9_iS4_.num_vgpr, max(3, .L__assert_fail.num_vgpr)
	.set _Z35paged_attention_ll4mi_reduce_kernelI14__hip_bfloat16hLi128ELi128ELi256ELi5EEvPT0_PKfS4_PKT_PKiS9_iS4_.num_agpr, max(0, .L__assert_fail.num_agpr)
	.set _Z35paged_attention_ll4mi_reduce_kernelI14__hip_bfloat16hLi128ELi128ELi256ELi5EEvPT0_PKfS4_PKT_PKiS9_iS4_.numbered_sgpr, max(33, .L__assert_fail.numbered_sgpr)
	.set _Z35paged_attention_ll4mi_reduce_kernelI14__hip_bfloat16hLi128ELi128ELi256ELi5EEvPT0_PKfS4_PKT_PKiS9_iS4_.num_named_barrier, max(0, .L__assert_fail.num_named_barrier)
	.set _Z35paged_attention_ll4mi_reduce_kernelI14__hip_bfloat16hLi128ELi128ELi256ELi5EEvPT0_PKfS4_PKT_PKiS9_iS4_.private_seg_size, 0+max(.L__assert_fail.private_seg_size)
	.set _Z35paged_attention_ll4mi_reduce_kernelI14__hip_bfloat16hLi128ELi128ELi256ELi5EEvPT0_PKfS4_PKT_PKiS9_iS4_.uses_vcc, or(1, .L__assert_fail.uses_vcc)
	.set _Z35paged_attention_ll4mi_reduce_kernelI14__hip_bfloat16hLi128ELi128ELi256ELi5EEvPT0_PKfS4_PKT_PKiS9_iS4_.uses_flat_scratch, or(0, .L__assert_fail.uses_flat_scratch)
	.set _Z35paged_attention_ll4mi_reduce_kernelI14__hip_bfloat16hLi128ELi128ELi256ELi5EEvPT0_PKfS4_PKT_PKiS9_iS4_.has_dyn_sized_stack, or(0, .L__assert_fail.has_dyn_sized_stack)
	.set _Z35paged_attention_ll4mi_reduce_kernelI14__hip_bfloat16hLi128ELi128ELi256ELi5EEvPT0_PKfS4_PKT_PKiS9_iS4_.has_recursion, or(0, .L__assert_fail.has_recursion)
	.set _Z35paged_attention_ll4mi_reduce_kernelI14__hip_bfloat16hLi128ELi128ELi256ELi5EEvPT0_PKfS4_PKT_PKiS9_iS4_.has_indirect_call, or(0, .L__assert_fail.has_indirect_call)
	.section	.AMDGPU.csdata,"",@progbits
; Kernel info:
; codeLenInByte = 64
; TotalNumSgprs: 36
; NumVgprs: 51
; ScratchSize: 64
; MemoryBound: 0
; FloatMode: 240
; IeeeMode: 1
; LDSByteSize: 0 bytes/workgroup (compile time only)
; SGPRBlocks: 0
; VGPRBlocks: 3
; NumSGPRsForWavesPerEU: 36
; NumVGPRsForWavesPerEU: 51
; NamedBarCnt: 0
; Occupancy: 16
; WaveLimiterHint : 1
; COMPUTE_PGM_RSRC2:SCRATCH_EN: 1
; COMPUTE_PGM_RSRC2:USER_SGPR: 2
; COMPUTE_PGM_RSRC2:TRAP_HANDLER: 0
; COMPUTE_PGM_RSRC2:TGID_X_EN: 1
; COMPUTE_PGM_RSRC2:TGID_Y_EN: 0
; COMPUTE_PGM_RSRC2:TGID_Z_EN: 0
; COMPUTE_PGM_RSRC2:TIDIG_COMP_CNT: 0
	.section	.text._Z35paged_attention_ll4mi_reduce_kernelI14__hip_bfloat16hLi128ELi128ELi256ELi6EEvPT0_PKfS4_PKT_PKiS9_iS4_,"axG",@progbits,_Z35paged_attention_ll4mi_reduce_kernelI14__hip_bfloat16hLi128ELi128ELi256ELi6EEvPT0_PKfS4_PKT_PKiS9_iS4_,comdat
	.protected	_Z35paged_attention_ll4mi_reduce_kernelI14__hip_bfloat16hLi128ELi128ELi256ELi6EEvPT0_PKfS4_PKT_PKiS9_iS4_ ; -- Begin function _Z35paged_attention_ll4mi_reduce_kernelI14__hip_bfloat16hLi128ELi128ELi256ELi6EEvPT0_PKfS4_PKT_PKiS9_iS4_
	.globl	_Z35paged_attention_ll4mi_reduce_kernelI14__hip_bfloat16hLi128ELi128ELi256ELi6EEvPT0_PKfS4_PKT_PKiS9_iS4_
	.p2align	8
	.type	_Z35paged_attention_ll4mi_reduce_kernelI14__hip_bfloat16hLi128ELi128ELi256ELi6EEvPT0_PKfS4_PKT_PKiS9_iS4_,@function
_Z35paged_attention_ll4mi_reduce_kernelI14__hip_bfloat16hLi128ELi128ELi256ELi6EEvPT0_PKfS4_PKT_PKiS9_iS4_: ; @_Z35paged_attention_ll4mi_reduce_kernelI14__hip_bfloat16hLi128ELi128ELi256ELi6EEvPT0_PKfS4_PKT_PKiS9_iS4_
; %bb.0:
	s_get_pc_i64 s[2:3]
	s_add_nc_u64 s[2:3], s[2:3], __PRETTY_FUNCTION__._Z35paged_attention_ll4mi_reduce_kernelI14__hip_bfloat16hLi128ELi128ELi256ELi6EEvPT0_PKfS4_PKT_PKiS9_iS4_@rel64+4
	s_delay_alu instid0(SALU_CYCLE_1)
	v_dual_mov_b32 v0, 0xbdd :: v_dual_mov_b32 v1, s2
	v_mov_b32_e32 v2, s3
	s_add_nc_u64 s[8:9], s[0:1], 64
	s_get_pc_i64 s[0:1]
	s_add_nc_u64 s[0:1], s[0:1], __assert_fail@rel64+4
	s_mov_b32 s32, 0
	s_swap_pc_i64 s[30:31], s[0:1]
	.section	.rodata,"a",@progbits
	.p2align	6, 0x0
	.amdhsa_kernel _Z35paged_attention_ll4mi_reduce_kernelI14__hip_bfloat16hLi128ELi128ELi256ELi6EEvPT0_PKfS4_PKT_PKiS9_iS4_
		.amdhsa_group_segment_fixed_size 0
		.amdhsa_private_segment_fixed_size 64
		.amdhsa_kernarg_size 320
		.amdhsa_user_sgpr_count 2
		.amdhsa_user_sgpr_dispatch_ptr 0
		.amdhsa_user_sgpr_queue_ptr 0
		.amdhsa_user_sgpr_kernarg_segment_ptr 1
		.amdhsa_user_sgpr_dispatch_id 0
		.amdhsa_user_sgpr_kernarg_preload_length 0
		.amdhsa_user_sgpr_kernarg_preload_offset 0
		.amdhsa_user_sgpr_private_segment_size 0
		.amdhsa_wavefront_size32 1
		.amdhsa_uses_dynamic_stack 0
		.amdhsa_enable_private_segment 1
		.amdhsa_system_sgpr_workgroup_id_x 1
		.amdhsa_system_sgpr_workgroup_id_y 0
		.amdhsa_system_sgpr_workgroup_id_z 0
		.amdhsa_system_sgpr_workgroup_info 0
		.amdhsa_system_vgpr_workitem_id 0
		.amdhsa_next_free_vgpr 51
		.amdhsa_next_free_sgpr 34
		.amdhsa_named_barrier_count 0
		.amdhsa_reserve_vcc 1
		.amdhsa_float_round_mode_32 0
		.amdhsa_float_round_mode_16_64 0
		.amdhsa_float_denorm_mode_32 3
		.amdhsa_float_denorm_mode_16_64 3
		.amdhsa_fp16_overflow 0
		.amdhsa_memory_ordered 1
		.amdhsa_forward_progress 1
		.amdhsa_inst_pref_size 1
		.amdhsa_round_robin_scheduling 0
		.amdhsa_exception_fp_ieee_invalid_op 0
		.amdhsa_exception_fp_denorm_src 0
		.amdhsa_exception_fp_ieee_div_zero 0
		.amdhsa_exception_fp_ieee_overflow 0
		.amdhsa_exception_fp_ieee_underflow 0
		.amdhsa_exception_fp_ieee_inexact 0
		.amdhsa_exception_int_div_zero 0
	.end_amdhsa_kernel
	.section	.text._Z35paged_attention_ll4mi_reduce_kernelI14__hip_bfloat16hLi128ELi128ELi256ELi6EEvPT0_PKfS4_PKT_PKiS9_iS4_,"axG",@progbits,_Z35paged_attention_ll4mi_reduce_kernelI14__hip_bfloat16hLi128ELi128ELi256ELi6EEvPT0_PKfS4_PKT_PKiS9_iS4_,comdat
.Lfunc_end599:
	.size	_Z35paged_attention_ll4mi_reduce_kernelI14__hip_bfloat16hLi128ELi128ELi256ELi6EEvPT0_PKfS4_PKT_PKiS9_iS4_, .Lfunc_end599-_Z35paged_attention_ll4mi_reduce_kernelI14__hip_bfloat16hLi128ELi128ELi256ELi6EEvPT0_PKfS4_PKT_PKiS9_iS4_
                                        ; -- End function
	.set _Z35paged_attention_ll4mi_reduce_kernelI14__hip_bfloat16hLi128ELi128ELi256ELi6EEvPT0_PKfS4_PKT_PKiS9_iS4_.num_vgpr, max(3, .L__assert_fail.num_vgpr)
	.set _Z35paged_attention_ll4mi_reduce_kernelI14__hip_bfloat16hLi128ELi128ELi256ELi6EEvPT0_PKfS4_PKT_PKiS9_iS4_.num_agpr, max(0, .L__assert_fail.num_agpr)
	.set _Z35paged_attention_ll4mi_reduce_kernelI14__hip_bfloat16hLi128ELi128ELi256ELi6EEvPT0_PKfS4_PKT_PKiS9_iS4_.numbered_sgpr, max(33, .L__assert_fail.numbered_sgpr)
	.set _Z35paged_attention_ll4mi_reduce_kernelI14__hip_bfloat16hLi128ELi128ELi256ELi6EEvPT0_PKfS4_PKT_PKiS9_iS4_.num_named_barrier, max(0, .L__assert_fail.num_named_barrier)
	.set _Z35paged_attention_ll4mi_reduce_kernelI14__hip_bfloat16hLi128ELi128ELi256ELi6EEvPT0_PKfS4_PKT_PKiS9_iS4_.private_seg_size, 0+max(.L__assert_fail.private_seg_size)
	.set _Z35paged_attention_ll4mi_reduce_kernelI14__hip_bfloat16hLi128ELi128ELi256ELi6EEvPT0_PKfS4_PKT_PKiS9_iS4_.uses_vcc, or(1, .L__assert_fail.uses_vcc)
	.set _Z35paged_attention_ll4mi_reduce_kernelI14__hip_bfloat16hLi128ELi128ELi256ELi6EEvPT0_PKfS4_PKT_PKiS9_iS4_.uses_flat_scratch, or(0, .L__assert_fail.uses_flat_scratch)
	.set _Z35paged_attention_ll4mi_reduce_kernelI14__hip_bfloat16hLi128ELi128ELi256ELi6EEvPT0_PKfS4_PKT_PKiS9_iS4_.has_dyn_sized_stack, or(0, .L__assert_fail.has_dyn_sized_stack)
	.set _Z35paged_attention_ll4mi_reduce_kernelI14__hip_bfloat16hLi128ELi128ELi256ELi6EEvPT0_PKfS4_PKT_PKiS9_iS4_.has_recursion, or(0, .L__assert_fail.has_recursion)
	.set _Z35paged_attention_ll4mi_reduce_kernelI14__hip_bfloat16hLi128ELi128ELi256ELi6EEvPT0_PKfS4_PKT_PKiS9_iS4_.has_indirect_call, or(0, .L__assert_fail.has_indirect_call)
	.section	.AMDGPU.csdata,"",@progbits
; Kernel info:
; codeLenInByte = 64
; TotalNumSgprs: 36
; NumVgprs: 51
; ScratchSize: 64
; MemoryBound: 0
; FloatMode: 240
; IeeeMode: 1
; LDSByteSize: 0 bytes/workgroup (compile time only)
; SGPRBlocks: 0
; VGPRBlocks: 3
; NumSGPRsForWavesPerEU: 36
; NumVGPRsForWavesPerEU: 51
; NamedBarCnt: 0
; Occupancy: 16
; WaveLimiterHint : 1
; COMPUTE_PGM_RSRC2:SCRATCH_EN: 1
; COMPUTE_PGM_RSRC2:USER_SGPR: 2
; COMPUTE_PGM_RSRC2:TRAP_HANDLER: 0
; COMPUTE_PGM_RSRC2:TGID_X_EN: 1
; COMPUTE_PGM_RSRC2:TGID_Y_EN: 0
; COMPUTE_PGM_RSRC2:TGID_Z_EN: 0
; COMPUTE_PGM_RSRC2:TIDIG_COMP_CNT: 0
	.section	.text._Z35paged_attention_ll4mi_reduce_kernelI14__hip_bfloat16hLi128ELi128ELi256ELi7EEvPT0_PKfS4_PKT_PKiS9_iS4_,"axG",@progbits,_Z35paged_attention_ll4mi_reduce_kernelI14__hip_bfloat16hLi128ELi128ELi256ELi7EEvPT0_PKfS4_PKT_PKiS9_iS4_,comdat
	.protected	_Z35paged_attention_ll4mi_reduce_kernelI14__hip_bfloat16hLi128ELi128ELi256ELi7EEvPT0_PKfS4_PKT_PKiS9_iS4_ ; -- Begin function _Z35paged_attention_ll4mi_reduce_kernelI14__hip_bfloat16hLi128ELi128ELi256ELi7EEvPT0_PKfS4_PKT_PKiS9_iS4_
	.globl	_Z35paged_attention_ll4mi_reduce_kernelI14__hip_bfloat16hLi128ELi128ELi256ELi7EEvPT0_PKfS4_PKT_PKiS9_iS4_
	.p2align	8
	.type	_Z35paged_attention_ll4mi_reduce_kernelI14__hip_bfloat16hLi128ELi128ELi256ELi7EEvPT0_PKfS4_PKT_PKiS9_iS4_,@function
_Z35paged_attention_ll4mi_reduce_kernelI14__hip_bfloat16hLi128ELi128ELi256ELi7EEvPT0_PKfS4_PKT_PKiS9_iS4_: ; @_Z35paged_attention_ll4mi_reduce_kernelI14__hip_bfloat16hLi128ELi128ELi256ELi7EEvPT0_PKfS4_PKT_PKiS9_iS4_
; %bb.0:
	s_get_pc_i64 s[2:3]
	s_add_nc_u64 s[2:3], s[2:3], __PRETTY_FUNCTION__._Z35paged_attention_ll4mi_reduce_kernelI14__hip_bfloat16hLi128ELi128ELi256ELi7EEvPT0_PKfS4_PKT_PKiS9_iS4_@rel64+4
	s_delay_alu instid0(SALU_CYCLE_1)
	v_dual_mov_b32 v0, 0xbdd :: v_dual_mov_b32 v1, s2
	v_mov_b32_e32 v2, s3
	s_add_nc_u64 s[8:9], s[0:1], 64
	s_get_pc_i64 s[0:1]
	s_add_nc_u64 s[0:1], s[0:1], __assert_fail@rel64+4
	s_mov_b32 s32, 0
	s_swap_pc_i64 s[30:31], s[0:1]
	.section	.rodata,"a",@progbits
	.p2align	6, 0x0
	.amdhsa_kernel _Z35paged_attention_ll4mi_reduce_kernelI14__hip_bfloat16hLi128ELi128ELi256ELi7EEvPT0_PKfS4_PKT_PKiS9_iS4_
		.amdhsa_group_segment_fixed_size 0
		.amdhsa_private_segment_fixed_size 64
		.amdhsa_kernarg_size 320
		.amdhsa_user_sgpr_count 2
		.amdhsa_user_sgpr_dispatch_ptr 0
		.amdhsa_user_sgpr_queue_ptr 0
		.amdhsa_user_sgpr_kernarg_segment_ptr 1
		.amdhsa_user_sgpr_dispatch_id 0
		.amdhsa_user_sgpr_kernarg_preload_length 0
		.amdhsa_user_sgpr_kernarg_preload_offset 0
		.amdhsa_user_sgpr_private_segment_size 0
		.amdhsa_wavefront_size32 1
		.amdhsa_uses_dynamic_stack 0
		.amdhsa_enable_private_segment 1
		.amdhsa_system_sgpr_workgroup_id_x 1
		.amdhsa_system_sgpr_workgroup_id_y 0
		.amdhsa_system_sgpr_workgroup_id_z 0
		.amdhsa_system_sgpr_workgroup_info 0
		.amdhsa_system_vgpr_workitem_id 0
		.amdhsa_next_free_vgpr 51
		.amdhsa_next_free_sgpr 34
		.amdhsa_named_barrier_count 0
		.amdhsa_reserve_vcc 1
		.amdhsa_float_round_mode_32 0
		.amdhsa_float_round_mode_16_64 0
		.amdhsa_float_denorm_mode_32 3
		.amdhsa_float_denorm_mode_16_64 3
		.amdhsa_fp16_overflow 0
		.amdhsa_memory_ordered 1
		.amdhsa_forward_progress 1
		.amdhsa_inst_pref_size 1
		.amdhsa_round_robin_scheduling 0
		.amdhsa_exception_fp_ieee_invalid_op 0
		.amdhsa_exception_fp_denorm_src 0
		.amdhsa_exception_fp_ieee_div_zero 0
		.amdhsa_exception_fp_ieee_overflow 0
		.amdhsa_exception_fp_ieee_underflow 0
		.amdhsa_exception_fp_ieee_inexact 0
		.amdhsa_exception_int_div_zero 0
	.end_amdhsa_kernel
	.section	.text._Z35paged_attention_ll4mi_reduce_kernelI14__hip_bfloat16hLi128ELi128ELi256ELi7EEvPT0_PKfS4_PKT_PKiS9_iS4_,"axG",@progbits,_Z35paged_attention_ll4mi_reduce_kernelI14__hip_bfloat16hLi128ELi128ELi256ELi7EEvPT0_PKfS4_PKT_PKiS9_iS4_,comdat
.Lfunc_end600:
	.size	_Z35paged_attention_ll4mi_reduce_kernelI14__hip_bfloat16hLi128ELi128ELi256ELi7EEvPT0_PKfS4_PKT_PKiS9_iS4_, .Lfunc_end600-_Z35paged_attention_ll4mi_reduce_kernelI14__hip_bfloat16hLi128ELi128ELi256ELi7EEvPT0_PKfS4_PKT_PKiS9_iS4_
                                        ; -- End function
	.set _Z35paged_attention_ll4mi_reduce_kernelI14__hip_bfloat16hLi128ELi128ELi256ELi7EEvPT0_PKfS4_PKT_PKiS9_iS4_.num_vgpr, max(3, .L__assert_fail.num_vgpr)
	.set _Z35paged_attention_ll4mi_reduce_kernelI14__hip_bfloat16hLi128ELi128ELi256ELi7EEvPT0_PKfS4_PKT_PKiS9_iS4_.num_agpr, max(0, .L__assert_fail.num_agpr)
	.set _Z35paged_attention_ll4mi_reduce_kernelI14__hip_bfloat16hLi128ELi128ELi256ELi7EEvPT0_PKfS4_PKT_PKiS9_iS4_.numbered_sgpr, max(33, .L__assert_fail.numbered_sgpr)
	.set _Z35paged_attention_ll4mi_reduce_kernelI14__hip_bfloat16hLi128ELi128ELi256ELi7EEvPT0_PKfS4_PKT_PKiS9_iS4_.num_named_barrier, max(0, .L__assert_fail.num_named_barrier)
	.set _Z35paged_attention_ll4mi_reduce_kernelI14__hip_bfloat16hLi128ELi128ELi256ELi7EEvPT0_PKfS4_PKT_PKiS9_iS4_.private_seg_size, 0+max(.L__assert_fail.private_seg_size)
	.set _Z35paged_attention_ll4mi_reduce_kernelI14__hip_bfloat16hLi128ELi128ELi256ELi7EEvPT0_PKfS4_PKT_PKiS9_iS4_.uses_vcc, or(1, .L__assert_fail.uses_vcc)
	.set _Z35paged_attention_ll4mi_reduce_kernelI14__hip_bfloat16hLi128ELi128ELi256ELi7EEvPT0_PKfS4_PKT_PKiS9_iS4_.uses_flat_scratch, or(0, .L__assert_fail.uses_flat_scratch)
	.set _Z35paged_attention_ll4mi_reduce_kernelI14__hip_bfloat16hLi128ELi128ELi256ELi7EEvPT0_PKfS4_PKT_PKiS9_iS4_.has_dyn_sized_stack, or(0, .L__assert_fail.has_dyn_sized_stack)
	.set _Z35paged_attention_ll4mi_reduce_kernelI14__hip_bfloat16hLi128ELi128ELi256ELi7EEvPT0_PKfS4_PKT_PKiS9_iS4_.has_recursion, or(0, .L__assert_fail.has_recursion)
	.set _Z35paged_attention_ll4mi_reduce_kernelI14__hip_bfloat16hLi128ELi128ELi256ELi7EEvPT0_PKfS4_PKT_PKiS9_iS4_.has_indirect_call, or(0, .L__assert_fail.has_indirect_call)
	.section	.AMDGPU.csdata,"",@progbits
; Kernel info:
; codeLenInByte = 64
; TotalNumSgprs: 36
; NumVgprs: 51
; ScratchSize: 64
; MemoryBound: 0
; FloatMode: 240
; IeeeMode: 1
; LDSByteSize: 0 bytes/workgroup (compile time only)
; SGPRBlocks: 0
; VGPRBlocks: 3
; NumSGPRsForWavesPerEU: 36
; NumVGPRsForWavesPerEU: 51
; NamedBarCnt: 0
; Occupancy: 16
; WaveLimiterHint : 1
; COMPUTE_PGM_RSRC2:SCRATCH_EN: 1
; COMPUTE_PGM_RSRC2:USER_SGPR: 2
; COMPUTE_PGM_RSRC2:TRAP_HANDLER: 0
; COMPUTE_PGM_RSRC2:TGID_X_EN: 1
; COMPUTE_PGM_RSRC2:TGID_Y_EN: 0
; COMPUTE_PGM_RSRC2:TGID_Z_EN: 0
; COMPUTE_PGM_RSRC2:TIDIG_COMP_CNT: 0
	.section	.text._Z35paged_attention_ll4mi_reduce_kernelI14__hip_bfloat16hLi128ELi128ELi256ELi8EEvPT0_PKfS4_PKT_PKiS9_iS4_,"axG",@progbits,_Z35paged_attention_ll4mi_reduce_kernelI14__hip_bfloat16hLi128ELi128ELi256ELi8EEvPT0_PKfS4_PKT_PKiS9_iS4_,comdat
	.protected	_Z35paged_attention_ll4mi_reduce_kernelI14__hip_bfloat16hLi128ELi128ELi256ELi8EEvPT0_PKfS4_PKT_PKiS9_iS4_ ; -- Begin function _Z35paged_attention_ll4mi_reduce_kernelI14__hip_bfloat16hLi128ELi128ELi256ELi8EEvPT0_PKfS4_PKT_PKiS9_iS4_
	.globl	_Z35paged_attention_ll4mi_reduce_kernelI14__hip_bfloat16hLi128ELi128ELi256ELi8EEvPT0_PKfS4_PKT_PKiS9_iS4_
	.p2align	8
	.type	_Z35paged_attention_ll4mi_reduce_kernelI14__hip_bfloat16hLi128ELi128ELi256ELi8EEvPT0_PKfS4_PKT_PKiS9_iS4_,@function
_Z35paged_attention_ll4mi_reduce_kernelI14__hip_bfloat16hLi128ELi128ELi256ELi8EEvPT0_PKfS4_PKT_PKiS9_iS4_: ; @_Z35paged_attention_ll4mi_reduce_kernelI14__hip_bfloat16hLi128ELi128ELi256ELi8EEvPT0_PKfS4_PKT_PKiS9_iS4_
; %bb.0:
	s_get_pc_i64 s[2:3]
	s_add_nc_u64 s[2:3], s[2:3], __PRETTY_FUNCTION__._Z35paged_attention_ll4mi_reduce_kernelI14__hip_bfloat16hLi128ELi128ELi256ELi8EEvPT0_PKfS4_PKT_PKiS9_iS4_@rel64+4
	s_delay_alu instid0(SALU_CYCLE_1)
	v_dual_mov_b32 v0, 0xbdd :: v_dual_mov_b32 v1, s2
	v_mov_b32_e32 v2, s3
	s_add_nc_u64 s[8:9], s[0:1], 64
	s_get_pc_i64 s[0:1]
	s_add_nc_u64 s[0:1], s[0:1], __assert_fail@rel64+4
	s_mov_b32 s32, 0
	s_swap_pc_i64 s[30:31], s[0:1]
	.section	.rodata,"a",@progbits
	.p2align	6, 0x0
	.amdhsa_kernel _Z35paged_attention_ll4mi_reduce_kernelI14__hip_bfloat16hLi128ELi128ELi256ELi8EEvPT0_PKfS4_PKT_PKiS9_iS4_
		.amdhsa_group_segment_fixed_size 0
		.amdhsa_private_segment_fixed_size 64
		.amdhsa_kernarg_size 320
		.amdhsa_user_sgpr_count 2
		.amdhsa_user_sgpr_dispatch_ptr 0
		.amdhsa_user_sgpr_queue_ptr 0
		.amdhsa_user_sgpr_kernarg_segment_ptr 1
		.amdhsa_user_sgpr_dispatch_id 0
		.amdhsa_user_sgpr_kernarg_preload_length 0
		.amdhsa_user_sgpr_kernarg_preload_offset 0
		.amdhsa_user_sgpr_private_segment_size 0
		.amdhsa_wavefront_size32 1
		.amdhsa_uses_dynamic_stack 0
		.amdhsa_enable_private_segment 1
		.amdhsa_system_sgpr_workgroup_id_x 1
		.amdhsa_system_sgpr_workgroup_id_y 0
		.amdhsa_system_sgpr_workgroup_id_z 0
		.amdhsa_system_sgpr_workgroup_info 0
		.amdhsa_system_vgpr_workitem_id 0
		.amdhsa_next_free_vgpr 51
		.amdhsa_next_free_sgpr 34
		.amdhsa_named_barrier_count 0
		.amdhsa_reserve_vcc 1
		.amdhsa_float_round_mode_32 0
		.amdhsa_float_round_mode_16_64 0
		.amdhsa_float_denorm_mode_32 3
		.amdhsa_float_denorm_mode_16_64 3
		.amdhsa_fp16_overflow 0
		.amdhsa_memory_ordered 1
		.amdhsa_forward_progress 1
		.amdhsa_inst_pref_size 1
		.amdhsa_round_robin_scheduling 0
		.amdhsa_exception_fp_ieee_invalid_op 0
		.amdhsa_exception_fp_denorm_src 0
		.amdhsa_exception_fp_ieee_div_zero 0
		.amdhsa_exception_fp_ieee_overflow 0
		.amdhsa_exception_fp_ieee_underflow 0
		.amdhsa_exception_fp_ieee_inexact 0
		.amdhsa_exception_int_div_zero 0
	.end_amdhsa_kernel
	.section	.text._Z35paged_attention_ll4mi_reduce_kernelI14__hip_bfloat16hLi128ELi128ELi256ELi8EEvPT0_PKfS4_PKT_PKiS9_iS4_,"axG",@progbits,_Z35paged_attention_ll4mi_reduce_kernelI14__hip_bfloat16hLi128ELi128ELi256ELi8EEvPT0_PKfS4_PKT_PKiS9_iS4_,comdat
.Lfunc_end601:
	.size	_Z35paged_attention_ll4mi_reduce_kernelI14__hip_bfloat16hLi128ELi128ELi256ELi8EEvPT0_PKfS4_PKT_PKiS9_iS4_, .Lfunc_end601-_Z35paged_attention_ll4mi_reduce_kernelI14__hip_bfloat16hLi128ELi128ELi256ELi8EEvPT0_PKfS4_PKT_PKiS9_iS4_
                                        ; -- End function
	.set _Z35paged_attention_ll4mi_reduce_kernelI14__hip_bfloat16hLi128ELi128ELi256ELi8EEvPT0_PKfS4_PKT_PKiS9_iS4_.num_vgpr, max(3, .L__assert_fail.num_vgpr)
	.set _Z35paged_attention_ll4mi_reduce_kernelI14__hip_bfloat16hLi128ELi128ELi256ELi8EEvPT0_PKfS4_PKT_PKiS9_iS4_.num_agpr, max(0, .L__assert_fail.num_agpr)
	.set _Z35paged_attention_ll4mi_reduce_kernelI14__hip_bfloat16hLi128ELi128ELi256ELi8EEvPT0_PKfS4_PKT_PKiS9_iS4_.numbered_sgpr, max(33, .L__assert_fail.numbered_sgpr)
	.set _Z35paged_attention_ll4mi_reduce_kernelI14__hip_bfloat16hLi128ELi128ELi256ELi8EEvPT0_PKfS4_PKT_PKiS9_iS4_.num_named_barrier, max(0, .L__assert_fail.num_named_barrier)
	.set _Z35paged_attention_ll4mi_reduce_kernelI14__hip_bfloat16hLi128ELi128ELi256ELi8EEvPT0_PKfS4_PKT_PKiS9_iS4_.private_seg_size, 0+max(.L__assert_fail.private_seg_size)
	.set _Z35paged_attention_ll4mi_reduce_kernelI14__hip_bfloat16hLi128ELi128ELi256ELi8EEvPT0_PKfS4_PKT_PKiS9_iS4_.uses_vcc, or(1, .L__assert_fail.uses_vcc)
	.set _Z35paged_attention_ll4mi_reduce_kernelI14__hip_bfloat16hLi128ELi128ELi256ELi8EEvPT0_PKfS4_PKT_PKiS9_iS4_.uses_flat_scratch, or(0, .L__assert_fail.uses_flat_scratch)
	.set _Z35paged_attention_ll4mi_reduce_kernelI14__hip_bfloat16hLi128ELi128ELi256ELi8EEvPT0_PKfS4_PKT_PKiS9_iS4_.has_dyn_sized_stack, or(0, .L__assert_fail.has_dyn_sized_stack)
	.set _Z35paged_attention_ll4mi_reduce_kernelI14__hip_bfloat16hLi128ELi128ELi256ELi8EEvPT0_PKfS4_PKT_PKiS9_iS4_.has_recursion, or(0, .L__assert_fail.has_recursion)
	.set _Z35paged_attention_ll4mi_reduce_kernelI14__hip_bfloat16hLi128ELi128ELi256ELi8EEvPT0_PKfS4_PKT_PKiS9_iS4_.has_indirect_call, or(0, .L__assert_fail.has_indirect_call)
	.section	.AMDGPU.csdata,"",@progbits
; Kernel info:
; codeLenInByte = 64
; TotalNumSgprs: 36
; NumVgprs: 51
; ScratchSize: 64
; MemoryBound: 0
; FloatMode: 240
; IeeeMode: 1
; LDSByteSize: 0 bytes/workgroup (compile time only)
; SGPRBlocks: 0
; VGPRBlocks: 3
; NumSGPRsForWavesPerEU: 36
; NumVGPRsForWavesPerEU: 51
; NamedBarCnt: 0
; Occupancy: 16
; WaveLimiterHint : 1
; COMPUTE_PGM_RSRC2:SCRATCH_EN: 1
; COMPUTE_PGM_RSRC2:USER_SGPR: 2
; COMPUTE_PGM_RSRC2:TRAP_HANDLER: 0
; COMPUTE_PGM_RSRC2:TGID_X_EN: 1
; COMPUTE_PGM_RSRC2:TGID_Y_EN: 0
; COMPUTE_PGM_RSRC2:TGID_Z_EN: 0
; COMPUTE_PGM_RSRC2:TIDIG_COMP_CNT: 0
	.section	.text._Z39paged_attention_ll4mi_QKV_mfma16_kernelI14__hip_bfloat16S0_LN4vllm18Fp8KVCacheDataTypeE0EhLi16ELi128ELi256ELb1ELi1EEvPKT_PKT0_S8_ifPKiSA_SA_iPKfiiiPfSD_PS3_PT2_iSC_SC_,"axG",@progbits,_Z39paged_attention_ll4mi_QKV_mfma16_kernelI14__hip_bfloat16S0_LN4vllm18Fp8KVCacheDataTypeE0EhLi16ELi128ELi256ELb1ELi1EEvPKT_PKT0_S8_ifPKiSA_SA_iPKfiiiPfSD_PS3_PT2_iSC_SC_,comdat
	.protected	_Z39paged_attention_ll4mi_QKV_mfma16_kernelI14__hip_bfloat16S0_LN4vllm18Fp8KVCacheDataTypeE0EhLi16ELi128ELi256ELb1ELi1EEvPKT_PKT0_S8_ifPKiSA_SA_iPKfiiiPfSD_PS3_PT2_iSC_SC_ ; -- Begin function _Z39paged_attention_ll4mi_QKV_mfma16_kernelI14__hip_bfloat16S0_LN4vllm18Fp8KVCacheDataTypeE0EhLi16ELi128ELi256ELb1ELi1EEvPKT_PKT0_S8_ifPKiSA_SA_iPKfiiiPfSD_PS3_PT2_iSC_SC_
	.globl	_Z39paged_attention_ll4mi_QKV_mfma16_kernelI14__hip_bfloat16S0_LN4vllm18Fp8KVCacheDataTypeE0EhLi16ELi128ELi256ELb1ELi1EEvPKT_PKT0_S8_ifPKiSA_SA_iPKfiiiPfSD_PS3_PT2_iSC_SC_
	.p2align	8
	.type	_Z39paged_attention_ll4mi_QKV_mfma16_kernelI14__hip_bfloat16S0_LN4vllm18Fp8KVCacheDataTypeE0EhLi16ELi128ELi256ELb1ELi1EEvPKT_PKT0_S8_ifPKiSA_SA_iPKfiiiPfSD_PS3_PT2_iSC_SC_,@function
_Z39paged_attention_ll4mi_QKV_mfma16_kernelI14__hip_bfloat16S0_LN4vllm18Fp8KVCacheDataTypeE0EhLi16ELi128ELi256ELb1ELi1EEvPKT_PKT0_S8_ifPKiSA_SA_iPKfiiiPfSD_PS3_PT2_iSC_SC_: ; @_Z39paged_attention_ll4mi_QKV_mfma16_kernelI14__hip_bfloat16S0_LN4vllm18Fp8KVCacheDataTypeE0EhLi16ELi128ELi256ELb1ELi1EEvPKT_PKT0_S8_ifPKiSA_SA_iPKfiiiPfSD_PS3_PT2_iSC_SC_
; %bb.0:
	s_get_pc_i64 s[2:3]
	s_add_nc_u64 s[2:3], s[2:3], __PRETTY_FUNCTION__._Z39paged_attention_ll4mi_QKV_mfma16_kernelI14__hip_bfloat16S0_LN4vllm18Fp8KVCacheDataTypeE0EhLi16ELi128ELi256ELb1ELi1EEvPKT_PKT0_S8_ifPKiSA_SA_iPKfiiiPfSD_PS3_PT2_iSC_SC_@rel64+4
	s_delay_alu instid0(SALU_CYCLE_1)
	v_dual_mov_b32 v0, 0xbb3 :: v_dual_mov_b32 v1, s2
	v_mov_b32_e32 v2, s3
	s_add_nc_u64 s[8:9], s[0:1], 0x90
	s_get_pc_i64 s[0:1]
	s_add_nc_u64 s[0:1], s[0:1], __assert_fail@rel64+4
	s_mov_b32 s32, 0
	s_swap_pc_i64 s[30:31], s[0:1]
	.section	.rodata,"a",@progbits
	.p2align	6, 0x0
	.amdhsa_kernel _Z39paged_attention_ll4mi_QKV_mfma16_kernelI14__hip_bfloat16S0_LN4vllm18Fp8KVCacheDataTypeE0EhLi16ELi128ELi256ELb1ELi1EEvPKT_PKT0_S8_ifPKiSA_SA_iPKfiiiPfSD_PS3_PT2_iSC_SC_
		.amdhsa_group_segment_fixed_size 0
		.amdhsa_private_segment_fixed_size 64
		.amdhsa_kernarg_size 400
		.amdhsa_user_sgpr_count 2
		.amdhsa_user_sgpr_dispatch_ptr 0
		.amdhsa_user_sgpr_queue_ptr 0
		.amdhsa_user_sgpr_kernarg_segment_ptr 1
		.amdhsa_user_sgpr_dispatch_id 0
		.amdhsa_user_sgpr_kernarg_preload_length 0
		.amdhsa_user_sgpr_kernarg_preload_offset 0
		.amdhsa_user_sgpr_private_segment_size 0
		.amdhsa_wavefront_size32 1
		.amdhsa_uses_dynamic_stack 0
		.amdhsa_enable_private_segment 1
		.amdhsa_system_sgpr_workgroup_id_x 1
		.amdhsa_system_sgpr_workgroup_id_y 0
		.amdhsa_system_sgpr_workgroup_id_z 0
		.amdhsa_system_sgpr_workgroup_info 0
		.amdhsa_system_vgpr_workitem_id 0
		.amdhsa_next_free_vgpr 51
		.amdhsa_next_free_sgpr 34
		.amdhsa_named_barrier_count 0
		.amdhsa_reserve_vcc 1
		.amdhsa_float_round_mode_32 0
		.amdhsa_float_round_mode_16_64 0
		.amdhsa_float_denorm_mode_32 3
		.amdhsa_float_denorm_mode_16_64 3
		.amdhsa_fp16_overflow 0
		.amdhsa_memory_ordered 1
		.amdhsa_forward_progress 1
		.amdhsa_inst_pref_size 1
		.amdhsa_round_robin_scheduling 0
		.amdhsa_exception_fp_ieee_invalid_op 0
		.amdhsa_exception_fp_denorm_src 0
		.amdhsa_exception_fp_ieee_div_zero 0
		.amdhsa_exception_fp_ieee_overflow 0
		.amdhsa_exception_fp_ieee_underflow 0
		.amdhsa_exception_fp_ieee_inexact 0
		.amdhsa_exception_int_div_zero 0
	.end_amdhsa_kernel
	.section	.text._Z39paged_attention_ll4mi_QKV_mfma16_kernelI14__hip_bfloat16S0_LN4vllm18Fp8KVCacheDataTypeE0EhLi16ELi128ELi256ELb1ELi1EEvPKT_PKT0_S8_ifPKiSA_SA_iPKfiiiPfSD_PS3_PT2_iSC_SC_,"axG",@progbits,_Z39paged_attention_ll4mi_QKV_mfma16_kernelI14__hip_bfloat16S0_LN4vllm18Fp8KVCacheDataTypeE0EhLi16ELi128ELi256ELb1ELi1EEvPKT_PKT0_S8_ifPKiSA_SA_iPKfiiiPfSD_PS3_PT2_iSC_SC_,comdat
.Lfunc_end602:
	.size	_Z39paged_attention_ll4mi_QKV_mfma16_kernelI14__hip_bfloat16S0_LN4vllm18Fp8KVCacheDataTypeE0EhLi16ELi128ELi256ELb1ELi1EEvPKT_PKT0_S8_ifPKiSA_SA_iPKfiiiPfSD_PS3_PT2_iSC_SC_, .Lfunc_end602-_Z39paged_attention_ll4mi_QKV_mfma16_kernelI14__hip_bfloat16S0_LN4vllm18Fp8KVCacheDataTypeE0EhLi16ELi128ELi256ELb1ELi1EEvPKT_PKT0_S8_ifPKiSA_SA_iPKfiiiPfSD_PS3_PT2_iSC_SC_
                                        ; -- End function
	.set _Z39paged_attention_ll4mi_QKV_mfma16_kernelI14__hip_bfloat16S0_LN4vllm18Fp8KVCacheDataTypeE0EhLi16ELi128ELi256ELb1ELi1EEvPKT_PKT0_S8_ifPKiSA_SA_iPKfiiiPfSD_PS3_PT2_iSC_SC_.num_vgpr, max(3, .L__assert_fail.num_vgpr)
	.set _Z39paged_attention_ll4mi_QKV_mfma16_kernelI14__hip_bfloat16S0_LN4vllm18Fp8KVCacheDataTypeE0EhLi16ELi128ELi256ELb1ELi1EEvPKT_PKT0_S8_ifPKiSA_SA_iPKfiiiPfSD_PS3_PT2_iSC_SC_.num_agpr, max(0, .L__assert_fail.num_agpr)
	.set _Z39paged_attention_ll4mi_QKV_mfma16_kernelI14__hip_bfloat16S0_LN4vllm18Fp8KVCacheDataTypeE0EhLi16ELi128ELi256ELb1ELi1EEvPKT_PKT0_S8_ifPKiSA_SA_iPKfiiiPfSD_PS3_PT2_iSC_SC_.numbered_sgpr, max(33, .L__assert_fail.numbered_sgpr)
	.set _Z39paged_attention_ll4mi_QKV_mfma16_kernelI14__hip_bfloat16S0_LN4vllm18Fp8KVCacheDataTypeE0EhLi16ELi128ELi256ELb1ELi1EEvPKT_PKT0_S8_ifPKiSA_SA_iPKfiiiPfSD_PS3_PT2_iSC_SC_.num_named_barrier, max(0, .L__assert_fail.num_named_barrier)
	.set _Z39paged_attention_ll4mi_QKV_mfma16_kernelI14__hip_bfloat16S0_LN4vllm18Fp8KVCacheDataTypeE0EhLi16ELi128ELi256ELb1ELi1EEvPKT_PKT0_S8_ifPKiSA_SA_iPKfiiiPfSD_PS3_PT2_iSC_SC_.private_seg_size, 0+max(.L__assert_fail.private_seg_size)
	.set _Z39paged_attention_ll4mi_QKV_mfma16_kernelI14__hip_bfloat16S0_LN4vllm18Fp8KVCacheDataTypeE0EhLi16ELi128ELi256ELb1ELi1EEvPKT_PKT0_S8_ifPKiSA_SA_iPKfiiiPfSD_PS3_PT2_iSC_SC_.uses_vcc, or(1, .L__assert_fail.uses_vcc)
	.set _Z39paged_attention_ll4mi_QKV_mfma16_kernelI14__hip_bfloat16S0_LN4vllm18Fp8KVCacheDataTypeE0EhLi16ELi128ELi256ELb1ELi1EEvPKT_PKT0_S8_ifPKiSA_SA_iPKfiiiPfSD_PS3_PT2_iSC_SC_.uses_flat_scratch, or(0, .L__assert_fail.uses_flat_scratch)
	.set _Z39paged_attention_ll4mi_QKV_mfma16_kernelI14__hip_bfloat16S0_LN4vllm18Fp8KVCacheDataTypeE0EhLi16ELi128ELi256ELb1ELi1EEvPKT_PKT0_S8_ifPKiSA_SA_iPKfiiiPfSD_PS3_PT2_iSC_SC_.has_dyn_sized_stack, or(0, .L__assert_fail.has_dyn_sized_stack)
	.set _Z39paged_attention_ll4mi_QKV_mfma16_kernelI14__hip_bfloat16S0_LN4vllm18Fp8KVCacheDataTypeE0EhLi16ELi128ELi256ELb1ELi1EEvPKT_PKT0_S8_ifPKiSA_SA_iPKfiiiPfSD_PS3_PT2_iSC_SC_.has_recursion, or(0, .L__assert_fail.has_recursion)
	.set _Z39paged_attention_ll4mi_QKV_mfma16_kernelI14__hip_bfloat16S0_LN4vllm18Fp8KVCacheDataTypeE0EhLi16ELi128ELi256ELb1ELi1EEvPKT_PKT0_S8_ifPKiSA_SA_iPKfiiiPfSD_PS3_PT2_iSC_SC_.has_indirect_call, or(0, .L__assert_fail.has_indirect_call)
	.section	.AMDGPU.csdata,"",@progbits
; Kernel info:
; codeLenInByte = 68
; TotalNumSgprs: 36
; NumVgprs: 51
; ScratchSize: 64
; MemoryBound: 0
; FloatMode: 240
; IeeeMode: 1
; LDSByteSize: 0 bytes/workgroup (compile time only)
; SGPRBlocks: 0
; VGPRBlocks: 3
; NumSGPRsForWavesPerEU: 36
; NumVGPRsForWavesPerEU: 51
; NamedBarCnt: 0
; Occupancy: 16
; WaveLimiterHint : 1
; COMPUTE_PGM_RSRC2:SCRATCH_EN: 1
; COMPUTE_PGM_RSRC2:USER_SGPR: 2
; COMPUTE_PGM_RSRC2:TRAP_HANDLER: 0
; COMPUTE_PGM_RSRC2:TGID_X_EN: 1
; COMPUTE_PGM_RSRC2:TGID_Y_EN: 0
; COMPUTE_PGM_RSRC2:TGID_Z_EN: 0
; COMPUTE_PGM_RSRC2:TIDIG_COMP_CNT: 0
	.section	.text._Z39paged_attention_ll4mi_QKV_mfma16_kernelI14__hip_bfloat16S0_LN4vllm18Fp8KVCacheDataTypeE0EhLi16ELi128ELi256ELb1ELi2EEvPKT_PKT0_S8_ifPKiSA_SA_iPKfiiiPfSD_PS3_PT2_iSC_SC_,"axG",@progbits,_Z39paged_attention_ll4mi_QKV_mfma16_kernelI14__hip_bfloat16S0_LN4vllm18Fp8KVCacheDataTypeE0EhLi16ELi128ELi256ELb1ELi2EEvPKT_PKT0_S8_ifPKiSA_SA_iPKfiiiPfSD_PS3_PT2_iSC_SC_,comdat
	.protected	_Z39paged_attention_ll4mi_QKV_mfma16_kernelI14__hip_bfloat16S0_LN4vllm18Fp8KVCacheDataTypeE0EhLi16ELi128ELi256ELb1ELi2EEvPKT_PKT0_S8_ifPKiSA_SA_iPKfiiiPfSD_PS3_PT2_iSC_SC_ ; -- Begin function _Z39paged_attention_ll4mi_QKV_mfma16_kernelI14__hip_bfloat16S0_LN4vllm18Fp8KVCacheDataTypeE0EhLi16ELi128ELi256ELb1ELi2EEvPKT_PKT0_S8_ifPKiSA_SA_iPKfiiiPfSD_PS3_PT2_iSC_SC_
	.globl	_Z39paged_attention_ll4mi_QKV_mfma16_kernelI14__hip_bfloat16S0_LN4vllm18Fp8KVCacheDataTypeE0EhLi16ELi128ELi256ELb1ELi2EEvPKT_PKT0_S8_ifPKiSA_SA_iPKfiiiPfSD_PS3_PT2_iSC_SC_
	.p2align	8
	.type	_Z39paged_attention_ll4mi_QKV_mfma16_kernelI14__hip_bfloat16S0_LN4vllm18Fp8KVCacheDataTypeE0EhLi16ELi128ELi256ELb1ELi2EEvPKT_PKT0_S8_ifPKiSA_SA_iPKfiiiPfSD_PS3_PT2_iSC_SC_,@function
_Z39paged_attention_ll4mi_QKV_mfma16_kernelI14__hip_bfloat16S0_LN4vllm18Fp8KVCacheDataTypeE0EhLi16ELi128ELi256ELb1ELi2EEvPKT_PKT0_S8_ifPKiSA_SA_iPKfiiiPfSD_PS3_PT2_iSC_SC_: ; @_Z39paged_attention_ll4mi_QKV_mfma16_kernelI14__hip_bfloat16S0_LN4vllm18Fp8KVCacheDataTypeE0EhLi16ELi128ELi256ELb1ELi2EEvPKT_PKT0_S8_ifPKiSA_SA_iPKfiiiPfSD_PS3_PT2_iSC_SC_
; %bb.0:
	s_get_pc_i64 s[2:3]
	s_add_nc_u64 s[2:3], s[2:3], __PRETTY_FUNCTION__._Z39paged_attention_ll4mi_QKV_mfma16_kernelI14__hip_bfloat16S0_LN4vllm18Fp8KVCacheDataTypeE0EhLi16ELi128ELi256ELb1ELi2EEvPKT_PKT0_S8_ifPKiSA_SA_iPKfiiiPfSD_PS3_PT2_iSC_SC_@rel64+4
	s_delay_alu instid0(SALU_CYCLE_1)
	v_dual_mov_b32 v0, 0xbb3 :: v_dual_mov_b32 v1, s2
	v_mov_b32_e32 v2, s3
	s_add_nc_u64 s[8:9], s[0:1], 0x90
	s_get_pc_i64 s[0:1]
	s_add_nc_u64 s[0:1], s[0:1], __assert_fail@rel64+4
	s_mov_b32 s32, 0
	s_swap_pc_i64 s[30:31], s[0:1]
	.section	.rodata,"a",@progbits
	.p2align	6, 0x0
	.amdhsa_kernel _Z39paged_attention_ll4mi_QKV_mfma16_kernelI14__hip_bfloat16S0_LN4vllm18Fp8KVCacheDataTypeE0EhLi16ELi128ELi256ELb1ELi2EEvPKT_PKT0_S8_ifPKiSA_SA_iPKfiiiPfSD_PS3_PT2_iSC_SC_
		.amdhsa_group_segment_fixed_size 0
		.amdhsa_private_segment_fixed_size 64
		.amdhsa_kernarg_size 400
		.amdhsa_user_sgpr_count 2
		.amdhsa_user_sgpr_dispatch_ptr 0
		.amdhsa_user_sgpr_queue_ptr 0
		.amdhsa_user_sgpr_kernarg_segment_ptr 1
		.amdhsa_user_sgpr_dispatch_id 0
		.amdhsa_user_sgpr_kernarg_preload_length 0
		.amdhsa_user_sgpr_kernarg_preload_offset 0
		.amdhsa_user_sgpr_private_segment_size 0
		.amdhsa_wavefront_size32 1
		.amdhsa_uses_dynamic_stack 0
		.amdhsa_enable_private_segment 1
		.amdhsa_system_sgpr_workgroup_id_x 1
		.amdhsa_system_sgpr_workgroup_id_y 0
		.amdhsa_system_sgpr_workgroup_id_z 0
		.amdhsa_system_sgpr_workgroup_info 0
		.amdhsa_system_vgpr_workitem_id 0
		.amdhsa_next_free_vgpr 51
		.amdhsa_next_free_sgpr 34
		.amdhsa_named_barrier_count 0
		.amdhsa_reserve_vcc 1
		.amdhsa_float_round_mode_32 0
		.amdhsa_float_round_mode_16_64 0
		.amdhsa_float_denorm_mode_32 3
		.amdhsa_float_denorm_mode_16_64 3
		.amdhsa_fp16_overflow 0
		.amdhsa_memory_ordered 1
		.amdhsa_forward_progress 1
		.amdhsa_inst_pref_size 1
		.amdhsa_round_robin_scheduling 0
		.amdhsa_exception_fp_ieee_invalid_op 0
		.amdhsa_exception_fp_denorm_src 0
		.amdhsa_exception_fp_ieee_div_zero 0
		.amdhsa_exception_fp_ieee_overflow 0
		.amdhsa_exception_fp_ieee_underflow 0
		.amdhsa_exception_fp_ieee_inexact 0
		.amdhsa_exception_int_div_zero 0
	.end_amdhsa_kernel
	.section	.text._Z39paged_attention_ll4mi_QKV_mfma16_kernelI14__hip_bfloat16S0_LN4vllm18Fp8KVCacheDataTypeE0EhLi16ELi128ELi256ELb1ELi2EEvPKT_PKT0_S8_ifPKiSA_SA_iPKfiiiPfSD_PS3_PT2_iSC_SC_,"axG",@progbits,_Z39paged_attention_ll4mi_QKV_mfma16_kernelI14__hip_bfloat16S0_LN4vllm18Fp8KVCacheDataTypeE0EhLi16ELi128ELi256ELb1ELi2EEvPKT_PKT0_S8_ifPKiSA_SA_iPKfiiiPfSD_PS3_PT2_iSC_SC_,comdat
.Lfunc_end603:
	.size	_Z39paged_attention_ll4mi_QKV_mfma16_kernelI14__hip_bfloat16S0_LN4vllm18Fp8KVCacheDataTypeE0EhLi16ELi128ELi256ELb1ELi2EEvPKT_PKT0_S8_ifPKiSA_SA_iPKfiiiPfSD_PS3_PT2_iSC_SC_, .Lfunc_end603-_Z39paged_attention_ll4mi_QKV_mfma16_kernelI14__hip_bfloat16S0_LN4vllm18Fp8KVCacheDataTypeE0EhLi16ELi128ELi256ELb1ELi2EEvPKT_PKT0_S8_ifPKiSA_SA_iPKfiiiPfSD_PS3_PT2_iSC_SC_
                                        ; -- End function
	.set _Z39paged_attention_ll4mi_QKV_mfma16_kernelI14__hip_bfloat16S0_LN4vllm18Fp8KVCacheDataTypeE0EhLi16ELi128ELi256ELb1ELi2EEvPKT_PKT0_S8_ifPKiSA_SA_iPKfiiiPfSD_PS3_PT2_iSC_SC_.num_vgpr, max(3, .L__assert_fail.num_vgpr)
	.set _Z39paged_attention_ll4mi_QKV_mfma16_kernelI14__hip_bfloat16S0_LN4vllm18Fp8KVCacheDataTypeE0EhLi16ELi128ELi256ELb1ELi2EEvPKT_PKT0_S8_ifPKiSA_SA_iPKfiiiPfSD_PS3_PT2_iSC_SC_.num_agpr, max(0, .L__assert_fail.num_agpr)
	.set _Z39paged_attention_ll4mi_QKV_mfma16_kernelI14__hip_bfloat16S0_LN4vllm18Fp8KVCacheDataTypeE0EhLi16ELi128ELi256ELb1ELi2EEvPKT_PKT0_S8_ifPKiSA_SA_iPKfiiiPfSD_PS3_PT2_iSC_SC_.numbered_sgpr, max(33, .L__assert_fail.numbered_sgpr)
	.set _Z39paged_attention_ll4mi_QKV_mfma16_kernelI14__hip_bfloat16S0_LN4vllm18Fp8KVCacheDataTypeE0EhLi16ELi128ELi256ELb1ELi2EEvPKT_PKT0_S8_ifPKiSA_SA_iPKfiiiPfSD_PS3_PT2_iSC_SC_.num_named_barrier, max(0, .L__assert_fail.num_named_barrier)
	.set _Z39paged_attention_ll4mi_QKV_mfma16_kernelI14__hip_bfloat16S0_LN4vllm18Fp8KVCacheDataTypeE0EhLi16ELi128ELi256ELb1ELi2EEvPKT_PKT0_S8_ifPKiSA_SA_iPKfiiiPfSD_PS3_PT2_iSC_SC_.private_seg_size, 0+max(.L__assert_fail.private_seg_size)
	.set _Z39paged_attention_ll4mi_QKV_mfma16_kernelI14__hip_bfloat16S0_LN4vllm18Fp8KVCacheDataTypeE0EhLi16ELi128ELi256ELb1ELi2EEvPKT_PKT0_S8_ifPKiSA_SA_iPKfiiiPfSD_PS3_PT2_iSC_SC_.uses_vcc, or(1, .L__assert_fail.uses_vcc)
	.set _Z39paged_attention_ll4mi_QKV_mfma16_kernelI14__hip_bfloat16S0_LN4vllm18Fp8KVCacheDataTypeE0EhLi16ELi128ELi256ELb1ELi2EEvPKT_PKT0_S8_ifPKiSA_SA_iPKfiiiPfSD_PS3_PT2_iSC_SC_.uses_flat_scratch, or(0, .L__assert_fail.uses_flat_scratch)
	.set _Z39paged_attention_ll4mi_QKV_mfma16_kernelI14__hip_bfloat16S0_LN4vllm18Fp8KVCacheDataTypeE0EhLi16ELi128ELi256ELb1ELi2EEvPKT_PKT0_S8_ifPKiSA_SA_iPKfiiiPfSD_PS3_PT2_iSC_SC_.has_dyn_sized_stack, or(0, .L__assert_fail.has_dyn_sized_stack)
	.set _Z39paged_attention_ll4mi_QKV_mfma16_kernelI14__hip_bfloat16S0_LN4vllm18Fp8KVCacheDataTypeE0EhLi16ELi128ELi256ELb1ELi2EEvPKT_PKT0_S8_ifPKiSA_SA_iPKfiiiPfSD_PS3_PT2_iSC_SC_.has_recursion, or(0, .L__assert_fail.has_recursion)
	.set _Z39paged_attention_ll4mi_QKV_mfma16_kernelI14__hip_bfloat16S0_LN4vllm18Fp8KVCacheDataTypeE0EhLi16ELi128ELi256ELb1ELi2EEvPKT_PKT0_S8_ifPKiSA_SA_iPKfiiiPfSD_PS3_PT2_iSC_SC_.has_indirect_call, or(0, .L__assert_fail.has_indirect_call)
	.section	.AMDGPU.csdata,"",@progbits
; Kernel info:
; codeLenInByte = 68
; TotalNumSgprs: 36
; NumVgprs: 51
; ScratchSize: 64
; MemoryBound: 0
; FloatMode: 240
; IeeeMode: 1
; LDSByteSize: 0 bytes/workgroup (compile time only)
; SGPRBlocks: 0
; VGPRBlocks: 3
; NumSGPRsForWavesPerEU: 36
; NumVGPRsForWavesPerEU: 51
; NamedBarCnt: 0
; Occupancy: 16
; WaveLimiterHint : 1
; COMPUTE_PGM_RSRC2:SCRATCH_EN: 1
; COMPUTE_PGM_RSRC2:USER_SGPR: 2
; COMPUTE_PGM_RSRC2:TRAP_HANDLER: 0
; COMPUTE_PGM_RSRC2:TGID_X_EN: 1
; COMPUTE_PGM_RSRC2:TGID_Y_EN: 0
; COMPUTE_PGM_RSRC2:TGID_Z_EN: 0
; COMPUTE_PGM_RSRC2:TIDIG_COMP_CNT: 0
	.section	.text._Z39paged_attention_ll4mi_QKV_mfma16_kernelI14__hip_bfloat16S0_LN4vllm18Fp8KVCacheDataTypeE0EhLi16ELi128ELi256ELb1ELi3EEvPKT_PKT0_S8_ifPKiSA_SA_iPKfiiiPfSD_PS3_PT2_iSC_SC_,"axG",@progbits,_Z39paged_attention_ll4mi_QKV_mfma16_kernelI14__hip_bfloat16S0_LN4vllm18Fp8KVCacheDataTypeE0EhLi16ELi128ELi256ELb1ELi3EEvPKT_PKT0_S8_ifPKiSA_SA_iPKfiiiPfSD_PS3_PT2_iSC_SC_,comdat
	.protected	_Z39paged_attention_ll4mi_QKV_mfma16_kernelI14__hip_bfloat16S0_LN4vllm18Fp8KVCacheDataTypeE0EhLi16ELi128ELi256ELb1ELi3EEvPKT_PKT0_S8_ifPKiSA_SA_iPKfiiiPfSD_PS3_PT2_iSC_SC_ ; -- Begin function _Z39paged_attention_ll4mi_QKV_mfma16_kernelI14__hip_bfloat16S0_LN4vllm18Fp8KVCacheDataTypeE0EhLi16ELi128ELi256ELb1ELi3EEvPKT_PKT0_S8_ifPKiSA_SA_iPKfiiiPfSD_PS3_PT2_iSC_SC_
	.globl	_Z39paged_attention_ll4mi_QKV_mfma16_kernelI14__hip_bfloat16S0_LN4vllm18Fp8KVCacheDataTypeE0EhLi16ELi128ELi256ELb1ELi3EEvPKT_PKT0_S8_ifPKiSA_SA_iPKfiiiPfSD_PS3_PT2_iSC_SC_
	.p2align	8
	.type	_Z39paged_attention_ll4mi_QKV_mfma16_kernelI14__hip_bfloat16S0_LN4vllm18Fp8KVCacheDataTypeE0EhLi16ELi128ELi256ELb1ELi3EEvPKT_PKT0_S8_ifPKiSA_SA_iPKfiiiPfSD_PS3_PT2_iSC_SC_,@function
_Z39paged_attention_ll4mi_QKV_mfma16_kernelI14__hip_bfloat16S0_LN4vllm18Fp8KVCacheDataTypeE0EhLi16ELi128ELi256ELb1ELi3EEvPKT_PKT0_S8_ifPKiSA_SA_iPKfiiiPfSD_PS3_PT2_iSC_SC_: ; @_Z39paged_attention_ll4mi_QKV_mfma16_kernelI14__hip_bfloat16S0_LN4vllm18Fp8KVCacheDataTypeE0EhLi16ELi128ELi256ELb1ELi3EEvPKT_PKT0_S8_ifPKiSA_SA_iPKfiiiPfSD_PS3_PT2_iSC_SC_
; %bb.0:
	s_get_pc_i64 s[2:3]
	s_add_nc_u64 s[2:3], s[2:3], __PRETTY_FUNCTION__._Z39paged_attention_ll4mi_QKV_mfma16_kernelI14__hip_bfloat16S0_LN4vllm18Fp8KVCacheDataTypeE0EhLi16ELi128ELi256ELb1ELi3EEvPKT_PKT0_S8_ifPKiSA_SA_iPKfiiiPfSD_PS3_PT2_iSC_SC_@rel64+4
	s_delay_alu instid0(SALU_CYCLE_1)
	v_dual_mov_b32 v0, 0xbb3 :: v_dual_mov_b32 v1, s2
	v_mov_b32_e32 v2, s3
	s_add_nc_u64 s[8:9], s[0:1], 0x90
	s_get_pc_i64 s[0:1]
	s_add_nc_u64 s[0:1], s[0:1], __assert_fail@rel64+4
	s_mov_b32 s32, 0
	s_swap_pc_i64 s[30:31], s[0:1]
	.section	.rodata,"a",@progbits
	.p2align	6, 0x0
	.amdhsa_kernel _Z39paged_attention_ll4mi_QKV_mfma16_kernelI14__hip_bfloat16S0_LN4vllm18Fp8KVCacheDataTypeE0EhLi16ELi128ELi256ELb1ELi3EEvPKT_PKT0_S8_ifPKiSA_SA_iPKfiiiPfSD_PS3_PT2_iSC_SC_
		.amdhsa_group_segment_fixed_size 0
		.amdhsa_private_segment_fixed_size 64
		.amdhsa_kernarg_size 400
		.amdhsa_user_sgpr_count 2
		.amdhsa_user_sgpr_dispatch_ptr 0
		.amdhsa_user_sgpr_queue_ptr 0
		.amdhsa_user_sgpr_kernarg_segment_ptr 1
		.amdhsa_user_sgpr_dispatch_id 0
		.amdhsa_user_sgpr_kernarg_preload_length 0
		.amdhsa_user_sgpr_kernarg_preload_offset 0
		.amdhsa_user_sgpr_private_segment_size 0
		.amdhsa_wavefront_size32 1
		.amdhsa_uses_dynamic_stack 0
		.amdhsa_enable_private_segment 1
		.amdhsa_system_sgpr_workgroup_id_x 1
		.amdhsa_system_sgpr_workgroup_id_y 0
		.amdhsa_system_sgpr_workgroup_id_z 0
		.amdhsa_system_sgpr_workgroup_info 0
		.amdhsa_system_vgpr_workitem_id 0
		.amdhsa_next_free_vgpr 51
		.amdhsa_next_free_sgpr 34
		.amdhsa_named_barrier_count 0
		.amdhsa_reserve_vcc 1
		.amdhsa_float_round_mode_32 0
		.amdhsa_float_round_mode_16_64 0
		.amdhsa_float_denorm_mode_32 3
		.amdhsa_float_denorm_mode_16_64 3
		.amdhsa_fp16_overflow 0
		.amdhsa_memory_ordered 1
		.amdhsa_forward_progress 1
		.amdhsa_inst_pref_size 1
		.amdhsa_round_robin_scheduling 0
		.amdhsa_exception_fp_ieee_invalid_op 0
		.amdhsa_exception_fp_denorm_src 0
		.amdhsa_exception_fp_ieee_div_zero 0
		.amdhsa_exception_fp_ieee_overflow 0
		.amdhsa_exception_fp_ieee_underflow 0
		.amdhsa_exception_fp_ieee_inexact 0
		.amdhsa_exception_int_div_zero 0
	.end_amdhsa_kernel
	.section	.text._Z39paged_attention_ll4mi_QKV_mfma16_kernelI14__hip_bfloat16S0_LN4vllm18Fp8KVCacheDataTypeE0EhLi16ELi128ELi256ELb1ELi3EEvPKT_PKT0_S8_ifPKiSA_SA_iPKfiiiPfSD_PS3_PT2_iSC_SC_,"axG",@progbits,_Z39paged_attention_ll4mi_QKV_mfma16_kernelI14__hip_bfloat16S0_LN4vllm18Fp8KVCacheDataTypeE0EhLi16ELi128ELi256ELb1ELi3EEvPKT_PKT0_S8_ifPKiSA_SA_iPKfiiiPfSD_PS3_PT2_iSC_SC_,comdat
.Lfunc_end604:
	.size	_Z39paged_attention_ll4mi_QKV_mfma16_kernelI14__hip_bfloat16S0_LN4vllm18Fp8KVCacheDataTypeE0EhLi16ELi128ELi256ELb1ELi3EEvPKT_PKT0_S8_ifPKiSA_SA_iPKfiiiPfSD_PS3_PT2_iSC_SC_, .Lfunc_end604-_Z39paged_attention_ll4mi_QKV_mfma16_kernelI14__hip_bfloat16S0_LN4vllm18Fp8KVCacheDataTypeE0EhLi16ELi128ELi256ELb1ELi3EEvPKT_PKT0_S8_ifPKiSA_SA_iPKfiiiPfSD_PS3_PT2_iSC_SC_
                                        ; -- End function
	.set _Z39paged_attention_ll4mi_QKV_mfma16_kernelI14__hip_bfloat16S0_LN4vllm18Fp8KVCacheDataTypeE0EhLi16ELi128ELi256ELb1ELi3EEvPKT_PKT0_S8_ifPKiSA_SA_iPKfiiiPfSD_PS3_PT2_iSC_SC_.num_vgpr, max(3, .L__assert_fail.num_vgpr)
	.set _Z39paged_attention_ll4mi_QKV_mfma16_kernelI14__hip_bfloat16S0_LN4vllm18Fp8KVCacheDataTypeE0EhLi16ELi128ELi256ELb1ELi3EEvPKT_PKT0_S8_ifPKiSA_SA_iPKfiiiPfSD_PS3_PT2_iSC_SC_.num_agpr, max(0, .L__assert_fail.num_agpr)
	.set _Z39paged_attention_ll4mi_QKV_mfma16_kernelI14__hip_bfloat16S0_LN4vllm18Fp8KVCacheDataTypeE0EhLi16ELi128ELi256ELb1ELi3EEvPKT_PKT0_S8_ifPKiSA_SA_iPKfiiiPfSD_PS3_PT2_iSC_SC_.numbered_sgpr, max(33, .L__assert_fail.numbered_sgpr)
	.set _Z39paged_attention_ll4mi_QKV_mfma16_kernelI14__hip_bfloat16S0_LN4vllm18Fp8KVCacheDataTypeE0EhLi16ELi128ELi256ELb1ELi3EEvPKT_PKT0_S8_ifPKiSA_SA_iPKfiiiPfSD_PS3_PT2_iSC_SC_.num_named_barrier, max(0, .L__assert_fail.num_named_barrier)
	.set _Z39paged_attention_ll4mi_QKV_mfma16_kernelI14__hip_bfloat16S0_LN4vllm18Fp8KVCacheDataTypeE0EhLi16ELi128ELi256ELb1ELi3EEvPKT_PKT0_S8_ifPKiSA_SA_iPKfiiiPfSD_PS3_PT2_iSC_SC_.private_seg_size, 0+max(.L__assert_fail.private_seg_size)
	.set _Z39paged_attention_ll4mi_QKV_mfma16_kernelI14__hip_bfloat16S0_LN4vllm18Fp8KVCacheDataTypeE0EhLi16ELi128ELi256ELb1ELi3EEvPKT_PKT0_S8_ifPKiSA_SA_iPKfiiiPfSD_PS3_PT2_iSC_SC_.uses_vcc, or(1, .L__assert_fail.uses_vcc)
	.set _Z39paged_attention_ll4mi_QKV_mfma16_kernelI14__hip_bfloat16S0_LN4vllm18Fp8KVCacheDataTypeE0EhLi16ELi128ELi256ELb1ELi3EEvPKT_PKT0_S8_ifPKiSA_SA_iPKfiiiPfSD_PS3_PT2_iSC_SC_.uses_flat_scratch, or(0, .L__assert_fail.uses_flat_scratch)
	.set _Z39paged_attention_ll4mi_QKV_mfma16_kernelI14__hip_bfloat16S0_LN4vllm18Fp8KVCacheDataTypeE0EhLi16ELi128ELi256ELb1ELi3EEvPKT_PKT0_S8_ifPKiSA_SA_iPKfiiiPfSD_PS3_PT2_iSC_SC_.has_dyn_sized_stack, or(0, .L__assert_fail.has_dyn_sized_stack)
	.set _Z39paged_attention_ll4mi_QKV_mfma16_kernelI14__hip_bfloat16S0_LN4vllm18Fp8KVCacheDataTypeE0EhLi16ELi128ELi256ELb1ELi3EEvPKT_PKT0_S8_ifPKiSA_SA_iPKfiiiPfSD_PS3_PT2_iSC_SC_.has_recursion, or(0, .L__assert_fail.has_recursion)
	.set _Z39paged_attention_ll4mi_QKV_mfma16_kernelI14__hip_bfloat16S0_LN4vllm18Fp8KVCacheDataTypeE0EhLi16ELi128ELi256ELb1ELi3EEvPKT_PKT0_S8_ifPKiSA_SA_iPKfiiiPfSD_PS3_PT2_iSC_SC_.has_indirect_call, or(0, .L__assert_fail.has_indirect_call)
	.section	.AMDGPU.csdata,"",@progbits
; Kernel info:
; codeLenInByte = 68
; TotalNumSgprs: 36
; NumVgprs: 51
; ScratchSize: 64
; MemoryBound: 0
; FloatMode: 240
; IeeeMode: 1
; LDSByteSize: 0 bytes/workgroup (compile time only)
; SGPRBlocks: 0
; VGPRBlocks: 3
; NumSGPRsForWavesPerEU: 36
; NumVGPRsForWavesPerEU: 51
; NamedBarCnt: 0
; Occupancy: 16
; WaveLimiterHint : 1
; COMPUTE_PGM_RSRC2:SCRATCH_EN: 1
; COMPUTE_PGM_RSRC2:USER_SGPR: 2
; COMPUTE_PGM_RSRC2:TRAP_HANDLER: 0
; COMPUTE_PGM_RSRC2:TGID_X_EN: 1
; COMPUTE_PGM_RSRC2:TGID_Y_EN: 0
; COMPUTE_PGM_RSRC2:TGID_Z_EN: 0
; COMPUTE_PGM_RSRC2:TIDIG_COMP_CNT: 0
	.section	.text._Z39paged_attention_ll4mi_QKV_mfma16_kernelI14__hip_bfloat16S0_LN4vllm18Fp8KVCacheDataTypeE0EhLi16ELi128ELi256ELb1ELi4EEvPKT_PKT0_S8_ifPKiSA_SA_iPKfiiiPfSD_PS3_PT2_iSC_SC_,"axG",@progbits,_Z39paged_attention_ll4mi_QKV_mfma16_kernelI14__hip_bfloat16S0_LN4vllm18Fp8KVCacheDataTypeE0EhLi16ELi128ELi256ELb1ELi4EEvPKT_PKT0_S8_ifPKiSA_SA_iPKfiiiPfSD_PS3_PT2_iSC_SC_,comdat
	.protected	_Z39paged_attention_ll4mi_QKV_mfma16_kernelI14__hip_bfloat16S0_LN4vllm18Fp8KVCacheDataTypeE0EhLi16ELi128ELi256ELb1ELi4EEvPKT_PKT0_S8_ifPKiSA_SA_iPKfiiiPfSD_PS3_PT2_iSC_SC_ ; -- Begin function _Z39paged_attention_ll4mi_QKV_mfma16_kernelI14__hip_bfloat16S0_LN4vllm18Fp8KVCacheDataTypeE0EhLi16ELi128ELi256ELb1ELi4EEvPKT_PKT0_S8_ifPKiSA_SA_iPKfiiiPfSD_PS3_PT2_iSC_SC_
	.globl	_Z39paged_attention_ll4mi_QKV_mfma16_kernelI14__hip_bfloat16S0_LN4vllm18Fp8KVCacheDataTypeE0EhLi16ELi128ELi256ELb1ELi4EEvPKT_PKT0_S8_ifPKiSA_SA_iPKfiiiPfSD_PS3_PT2_iSC_SC_
	.p2align	8
	.type	_Z39paged_attention_ll4mi_QKV_mfma16_kernelI14__hip_bfloat16S0_LN4vllm18Fp8KVCacheDataTypeE0EhLi16ELi128ELi256ELb1ELi4EEvPKT_PKT0_S8_ifPKiSA_SA_iPKfiiiPfSD_PS3_PT2_iSC_SC_,@function
_Z39paged_attention_ll4mi_QKV_mfma16_kernelI14__hip_bfloat16S0_LN4vllm18Fp8KVCacheDataTypeE0EhLi16ELi128ELi256ELb1ELi4EEvPKT_PKT0_S8_ifPKiSA_SA_iPKfiiiPfSD_PS3_PT2_iSC_SC_: ; @_Z39paged_attention_ll4mi_QKV_mfma16_kernelI14__hip_bfloat16S0_LN4vllm18Fp8KVCacheDataTypeE0EhLi16ELi128ELi256ELb1ELi4EEvPKT_PKT0_S8_ifPKiSA_SA_iPKfiiiPfSD_PS3_PT2_iSC_SC_
; %bb.0:
	s_get_pc_i64 s[2:3]
	s_add_nc_u64 s[2:3], s[2:3], __PRETTY_FUNCTION__._Z39paged_attention_ll4mi_QKV_mfma16_kernelI14__hip_bfloat16S0_LN4vllm18Fp8KVCacheDataTypeE0EhLi16ELi128ELi256ELb1ELi4EEvPKT_PKT0_S8_ifPKiSA_SA_iPKfiiiPfSD_PS3_PT2_iSC_SC_@rel64+4
	s_delay_alu instid0(SALU_CYCLE_1)
	v_dual_mov_b32 v0, 0xbb3 :: v_dual_mov_b32 v1, s2
	v_mov_b32_e32 v2, s3
	s_add_nc_u64 s[8:9], s[0:1], 0x90
	s_get_pc_i64 s[0:1]
	s_add_nc_u64 s[0:1], s[0:1], __assert_fail@rel64+4
	s_mov_b32 s32, 0
	s_swap_pc_i64 s[30:31], s[0:1]
	.section	.rodata,"a",@progbits
	.p2align	6, 0x0
	.amdhsa_kernel _Z39paged_attention_ll4mi_QKV_mfma16_kernelI14__hip_bfloat16S0_LN4vllm18Fp8KVCacheDataTypeE0EhLi16ELi128ELi256ELb1ELi4EEvPKT_PKT0_S8_ifPKiSA_SA_iPKfiiiPfSD_PS3_PT2_iSC_SC_
		.amdhsa_group_segment_fixed_size 0
		.amdhsa_private_segment_fixed_size 64
		.amdhsa_kernarg_size 400
		.amdhsa_user_sgpr_count 2
		.amdhsa_user_sgpr_dispatch_ptr 0
		.amdhsa_user_sgpr_queue_ptr 0
		.amdhsa_user_sgpr_kernarg_segment_ptr 1
		.amdhsa_user_sgpr_dispatch_id 0
		.amdhsa_user_sgpr_kernarg_preload_length 0
		.amdhsa_user_sgpr_kernarg_preload_offset 0
		.amdhsa_user_sgpr_private_segment_size 0
		.amdhsa_wavefront_size32 1
		.amdhsa_uses_dynamic_stack 0
		.amdhsa_enable_private_segment 1
		.amdhsa_system_sgpr_workgroup_id_x 1
		.amdhsa_system_sgpr_workgroup_id_y 0
		.amdhsa_system_sgpr_workgroup_id_z 0
		.amdhsa_system_sgpr_workgroup_info 0
		.amdhsa_system_vgpr_workitem_id 0
		.amdhsa_next_free_vgpr 51
		.amdhsa_next_free_sgpr 34
		.amdhsa_named_barrier_count 0
		.amdhsa_reserve_vcc 1
		.amdhsa_float_round_mode_32 0
		.amdhsa_float_round_mode_16_64 0
		.amdhsa_float_denorm_mode_32 3
		.amdhsa_float_denorm_mode_16_64 3
		.amdhsa_fp16_overflow 0
		.amdhsa_memory_ordered 1
		.amdhsa_forward_progress 1
		.amdhsa_inst_pref_size 1
		.amdhsa_round_robin_scheduling 0
		.amdhsa_exception_fp_ieee_invalid_op 0
		.amdhsa_exception_fp_denorm_src 0
		.amdhsa_exception_fp_ieee_div_zero 0
		.amdhsa_exception_fp_ieee_overflow 0
		.amdhsa_exception_fp_ieee_underflow 0
		.amdhsa_exception_fp_ieee_inexact 0
		.amdhsa_exception_int_div_zero 0
	.end_amdhsa_kernel
	.section	.text._Z39paged_attention_ll4mi_QKV_mfma16_kernelI14__hip_bfloat16S0_LN4vllm18Fp8KVCacheDataTypeE0EhLi16ELi128ELi256ELb1ELi4EEvPKT_PKT0_S8_ifPKiSA_SA_iPKfiiiPfSD_PS3_PT2_iSC_SC_,"axG",@progbits,_Z39paged_attention_ll4mi_QKV_mfma16_kernelI14__hip_bfloat16S0_LN4vllm18Fp8KVCacheDataTypeE0EhLi16ELi128ELi256ELb1ELi4EEvPKT_PKT0_S8_ifPKiSA_SA_iPKfiiiPfSD_PS3_PT2_iSC_SC_,comdat
.Lfunc_end605:
	.size	_Z39paged_attention_ll4mi_QKV_mfma16_kernelI14__hip_bfloat16S0_LN4vllm18Fp8KVCacheDataTypeE0EhLi16ELi128ELi256ELb1ELi4EEvPKT_PKT0_S8_ifPKiSA_SA_iPKfiiiPfSD_PS3_PT2_iSC_SC_, .Lfunc_end605-_Z39paged_attention_ll4mi_QKV_mfma16_kernelI14__hip_bfloat16S0_LN4vllm18Fp8KVCacheDataTypeE0EhLi16ELi128ELi256ELb1ELi4EEvPKT_PKT0_S8_ifPKiSA_SA_iPKfiiiPfSD_PS3_PT2_iSC_SC_
                                        ; -- End function
	.set _Z39paged_attention_ll4mi_QKV_mfma16_kernelI14__hip_bfloat16S0_LN4vllm18Fp8KVCacheDataTypeE0EhLi16ELi128ELi256ELb1ELi4EEvPKT_PKT0_S8_ifPKiSA_SA_iPKfiiiPfSD_PS3_PT2_iSC_SC_.num_vgpr, max(3, .L__assert_fail.num_vgpr)
	.set _Z39paged_attention_ll4mi_QKV_mfma16_kernelI14__hip_bfloat16S0_LN4vllm18Fp8KVCacheDataTypeE0EhLi16ELi128ELi256ELb1ELi4EEvPKT_PKT0_S8_ifPKiSA_SA_iPKfiiiPfSD_PS3_PT2_iSC_SC_.num_agpr, max(0, .L__assert_fail.num_agpr)
	.set _Z39paged_attention_ll4mi_QKV_mfma16_kernelI14__hip_bfloat16S0_LN4vllm18Fp8KVCacheDataTypeE0EhLi16ELi128ELi256ELb1ELi4EEvPKT_PKT0_S8_ifPKiSA_SA_iPKfiiiPfSD_PS3_PT2_iSC_SC_.numbered_sgpr, max(33, .L__assert_fail.numbered_sgpr)
	.set _Z39paged_attention_ll4mi_QKV_mfma16_kernelI14__hip_bfloat16S0_LN4vllm18Fp8KVCacheDataTypeE0EhLi16ELi128ELi256ELb1ELi4EEvPKT_PKT0_S8_ifPKiSA_SA_iPKfiiiPfSD_PS3_PT2_iSC_SC_.num_named_barrier, max(0, .L__assert_fail.num_named_barrier)
	.set _Z39paged_attention_ll4mi_QKV_mfma16_kernelI14__hip_bfloat16S0_LN4vllm18Fp8KVCacheDataTypeE0EhLi16ELi128ELi256ELb1ELi4EEvPKT_PKT0_S8_ifPKiSA_SA_iPKfiiiPfSD_PS3_PT2_iSC_SC_.private_seg_size, 0+max(.L__assert_fail.private_seg_size)
	.set _Z39paged_attention_ll4mi_QKV_mfma16_kernelI14__hip_bfloat16S0_LN4vllm18Fp8KVCacheDataTypeE0EhLi16ELi128ELi256ELb1ELi4EEvPKT_PKT0_S8_ifPKiSA_SA_iPKfiiiPfSD_PS3_PT2_iSC_SC_.uses_vcc, or(1, .L__assert_fail.uses_vcc)
	.set _Z39paged_attention_ll4mi_QKV_mfma16_kernelI14__hip_bfloat16S0_LN4vllm18Fp8KVCacheDataTypeE0EhLi16ELi128ELi256ELb1ELi4EEvPKT_PKT0_S8_ifPKiSA_SA_iPKfiiiPfSD_PS3_PT2_iSC_SC_.uses_flat_scratch, or(0, .L__assert_fail.uses_flat_scratch)
	.set _Z39paged_attention_ll4mi_QKV_mfma16_kernelI14__hip_bfloat16S0_LN4vllm18Fp8KVCacheDataTypeE0EhLi16ELi128ELi256ELb1ELi4EEvPKT_PKT0_S8_ifPKiSA_SA_iPKfiiiPfSD_PS3_PT2_iSC_SC_.has_dyn_sized_stack, or(0, .L__assert_fail.has_dyn_sized_stack)
	.set _Z39paged_attention_ll4mi_QKV_mfma16_kernelI14__hip_bfloat16S0_LN4vllm18Fp8KVCacheDataTypeE0EhLi16ELi128ELi256ELb1ELi4EEvPKT_PKT0_S8_ifPKiSA_SA_iPKfiiiPfSD_PS3_PT2_iSC_SC_.has_recursion, or(0, .L__assert_fail.has_recursion)
	.set _Z39paged_attention_ll4mi_QKV_mfma16_kernelI14__hip_bfloat16S0_LN4vllm18Fp8KVCacheDataTypeE0EhLi16ELi128ELi256ELb1ELi4EEvPKT_PKT0_S8_ifPKiSA_SA_iPKfiiiPfSD_PS3_PT2_iSC_SC_.has_indirect_call, or(0, .L__assert_fail.has_indirect_call)
	.section	.AMDGPU.csdata,"",@progbits
; Kernel info:
; codeLenInByte = 68
; TotalNumSgprs: 36
; NumVgprs: 51
; ScratchSize: 64
; MemoryBound: 0
; FloatMode: 240
; IeeeMode: 1
; LDSByteSize: 0 bytes/workgroup (compile time only)
; SGPRBlocks: 0
; VGPRBlocks: 3
; NumSGPRsForWavesPerEU: 36
; NumVGPRsForWavesPerEU: 51
; NamedBarCnt: 0
; Occupancy: 16
; WaveLimiterHint : 1
; COMPUTE_PGM_RSRC2:SCRATCH_EN: 1
; COMPUTE_PGM_RSRC2:USER_SGPR: 2
; COMPUTE_PGM_RSRC2:TRAP_HANDLER: 0
; COMPUTE_PGM_RSRC2:TGID_X_EN: 1
; COMPUTE_PGM_RSRC2:TGID_Y_EN: 0
; COMPUTE_PGM_RSRC2:TGID_Z_EN: 0
; COMPUTE_PGM_RSRC2:TIDIG_COMP_CNT: 0
	.section	.text._Z35paged_attention_ll4mi_reduce_kernelI14__hip_bfloat16hLi128ELi128ELi256ELi9EEvPT0_PKfS4_PKT_PKiS9_iS4_,"axG",@progbits,_Z35paged_attention_ll4mi_reduce_kernelI14__hip_bfloat16hLi128ELi128ELi256ELi9EEvPT0_PKfS4_PKT_PKiS9_iS4_,comdat
	.protected	_Z35paged_attention_ll4mi_reduce_kernelI14__hip_bfloat16hLi128ELi128ELi256ELi9EEvPT0_PKfS4_PKT_PKiS9_iS4_ ; -- Begin function _Z35paged_attention_ll4mi_reduce_kernelI14__hip_bfloat16hLi128ELi128ELi256ELi9EEvPT0_PKfS4_PKT_PKiS9_iS4_
	.globl	_Z35paged_attention_ll4mi_reduce_kernelI14__hip_bfloat16hLi128ELi128ELi256ELi9EEvPT0_PKfS4_PKT_PKiS9_iS4_
	.p2align	8
	.type	_Z35paged_attention_ll4mi_reduce_kernelI14__hip_bfloat16hLi128ELi128ELi256ELi9EEvPT0_PKfS4_PKT_PKiS9_iS4_,@function
_Z35paged_attention_ll4mi_reduce_kernelI14__hip_bfloat16hLi128ELi128ELi256ELi9EEvPT0_PKfS4_PKT_PKiS9_iS4_: ; @_Z35paged_attention_ll4mi_reduce_kernelI14__hip_bfloat16hLi128ELi128ELi256ELi9EEvPT0_PKfS4_PKT_PKiS9_iS4_
; %bb.0:
	s_get_pc_i64 s[2:3]
	s_add_nc_u64 s[2:3], s[2:3], __PRETTY_FUNCTION__._Z35paged_attention_ll4mi_reduce_kernelI14__hip_bfloat16hLi128ELi128ELi256ELi9EEvPT0_PKfS4_PKT_PKiS9_iS4_@rel64+4
	s_delay_alu instid0(SALU_CYCLE_1)
	v_dual_mov_b32 v0, 0xbdd :: v_dual_mov_b32 v1, s2
	v_mov_b32_e32 v2, s3
	s_add_nc_u64 s[8:9], s[0:1], 64
	s_get_pc_i64 s[0:1]
	s_add_nc_u64 s[0:1], s[0:1], __assert_fail@rel64+4
	s_mov_b32 s32, 0
	s_swap_pc_i64 s[30:31], s[0:1]
	.section	.rodata,"a",@progbits
	.p2align	6, 0x0
	.amdhsa_kernel _Z35paged_attention_ll4mi_reduce_kernelI14__hip_bfloat16hLi128ELi128ELi256ELi9EEvPT0_PKfS4_PKT_PKiS9_iS4_
		.amdhsa_group_segment_fixed_size 0
		.amdhsa_private_segment_fixed_size 64
		.amdhsa_kernarg_size 320
		.amdhsa_user_sgpr_count 2
		.amdhsa_user_sgpr_dispatch_ptr 0
		.amdhsa_user_sgpr_queue_ptr 0
		.amdhsa_user_sgpr_kernarg_segment_ptr 1
		.amdhsa_user_sgpr_dispatch_id 0
		.amdhsa_user_sgpr_kernarg_preload_length 0
		.amdhsa_user_sgpr_kernarg_preload_offset 0
		.amdhsa_user_sgpr_private_segment_size 0
		.amdhsa_wavefront_size32 1
		.amdhsa_uses_dynamic_stack 0
		.amdhsa_enable_private_segment 1
		.amdhsa_system_sgpr_workgroup_id_x 1
		.amdhsa_system_sgpr_workgroup_id_y 0
		.amdhsa_system_sgpr_workgroup_id_z 0
		.amdhsa_system_sgpr_workgroup_info 0
		.amdhsa_system_vgpr_workitem_id 0
		.amdhsa_next_free_vgpr 51
		.amdhsa_next_free_sgpr 34
		.amdhsa_named_barrier_count 0
		.amdhsa_reserve_vcc 1
		.amdhsa_float_round_mode_32 0
		.amdhsa_float_round_mode_16_64 0
		.amdhsa_float_denorm_mode_32 3
		.amdhsa_float_denorm_mode_16_64 3
		.amdhsa_fp16_overflow 0
		.amdhsa_memory_ordered 1
		.amdhsa_forward_progress 1
		.amdhsa_inst_pref_size 1
		.amdhsa_round_robin_scheduling 0
		.amdhsa_exception_fp_ieee_invalid_op 0
		.amdhsa_exception_fp_denorm_src 0
		.amdhsa_exception_fp_ieee_div_zero 0
		.amdhsa_exception_fp_ieee_overflow 0
		.amdhsa_exception_fp_ieee_underflow 0
		.amdhsa_exception_fp_ieee_inexact 0
		.amdhsa_exception_int_div_zero 0
	.end_amdhsa_kernel
	.section	.text._Z35paged_attention_ll4mi_reduce_kernelI14__hip_bfloat16hLi128ELi128ELi256ELi9EEvPT0_PKfS4_PKT_PKiS9_iS4_,"axG",@progbits,_Z35paged_attention_ll4mi_reduce_kernelI14__hip_bfloat16hLi128ELi128ELi256ELi9EEvPT0_PKfS4_PKT_PKiS9_iS4_,comdat
.Lfunc_end606:
	.size	_Z35paged_attention_ll4mi_reduce_kernelI14__hip_bfloat16hLi128ELi128ELi256ELi9EEvPT0_PKfS4_PKT_PKiS9_iS4_, .Lfunc_end606-_Z35paged_attention_ll4mi_reduce_kernelI14__hip_bfloat16hLi128ELi128ELi256ELi9EEvPT0_PKfS4_PKT_PKiS9_iS4_
                                        ; -- End function
	.set _Z35paged_attention_ll4mi_reduce_kernelI14__hip_bfloat16hLi128ELi128ELi256ELi9EEvPT0_PKfS4_PKT_PKiS9_iS4_.num_vgpr, max(3, .L__assert_fail.num_vgpr)
	.set _Z35paged_attention_ll4mi_reduce_kernelI14__hip_bfloat16hLi128ELi128ELi256ELi9EEvPT0_PKfS4_PKT_PKiS9_iS4_.num_agpr, max(0, .L__assert_fail.num_agpr)
	.set _Z35paged_attention_ll4mi_reduce_kernelI14__hip_bfloat16hLi128ELi128ELi256ELi9EEvPT0_PKfS4_PKT_PKiS9_iS4_.numbered_sgpr, max(33, .L__assert_fail.numbered_sgpr)
	.set _Z35paged_attention_ll4mi_reduce_kernelI14__hip_bfloat16hLi128ELi128ELi256ELi9EEvPT0_PKfS4_PKT_PKiS9_iS4_.num_named_barrier, max(0, .L__assert_fail.num_named_barrier)
	.set _Z35paged_attention_ll4mi_reduce_kernelI14__hip_bfloat16hLi128ELi128ELi256ELi9EEvPT0_PKfS4_PKT_PKiS9_iS4_.private_seg_size, 0+max(.L__assert_fail.private_seg_size)
	.set _Z35paged_attention_ll4mi_reduce_kernelI14__hip_bfloat16hLi128ELi128ELi256ELi9EEvPT0_PKfS4_PKT_PKiS9_iS4_.uses_vcc, or(1, .L__assert_fail.uses_vcc)
	.set _Z35paged_attention_ll4mi_reduce_kernelI14__hip_bfloat16hLi128ELi128ELi256ELi9EEvPT0_PKfS4_PKT_PKiS9_iS4_.uses_flat_scratch, or(0, .L__assert_fail.uses_flat_scratch)
	.set _Z35paged_attention_ll4mi_reduce_kernelI14__hip_bfloat16hLi128ELi128ELi256ELi9EEvPT0_PKfS4_PKT_PKiS9_iS4_.has_dyn_sized_stack, or(0, .L__assert_fail.has_dyn_sized_stack)
	.set _Z35paged_attention_ll4mi_reduce_kernelI14__hip_bfloat16hLi128ELi128ELi256ELi9EEvPT0_PKfS4_PKT_PKiS9_iS4_.has_recursion, or(0, .L__assert_fail.has_recursion)
	.set _Z35paged_attention_ll4mi_reduce_kernelI14__hip_bfloat16hLi128ELi128ELi256ELi9EEvPT0_PKfS4_PKT_PKiS9_iS4_.has_indirect_call, or(0, .L__assert_fail.has_indirect_call)
	.section	.AMDGPU.csdata,"",@progbits
; Kernel info:
; codeLenInByte = 64
; TotalNumSgprs: 36
; NumVgprs: 51
; ScratchSize: 64
; MemoryBound: 0
; FloatMode: 240
; IeeeMode: 1
; LDSByteSize: 0 bytes/workgroup (compile time only)
; SGPRBlocks: 0
; VGPRBlocks: 3
; NumSGPRsForWavesPerEU: 36
; NumVGPRsForWavesPerEU: 51
; NamedBarCnt: 0
; Occupancy: 16
; WaveLimiterHint : 1
; COMPUTE_PGM_RSRC2:SCRATCH_EN: 1
; COMPUTE_PGM_RSRC2:USER_SGPR: 2
; COMPUTE_PGM_RSRC2:TRAP_HANDLER: 0
; COMPUTE_PGM_RSRC2:TGID_X_EN: 1
; COMPUTE_PGM_RSRC2:TGID_Y_EN: 0
; COMPUTE_PGM_RSRC2:TGID_Z_EN: 0
; COMPUTE_PGM_RSRC2:TIDIG_COMP_CNT: 0
	.section	.text._Z35paged_attention_ll4mi_reduce_kernelI14__hip_bfloat16hLi128ELi128ELi256ELi10EEvPT0_PKfS4_PKT_PKiS9_iS4_,"axG",@progbits,_Z35paged_attention_ll4mi_reduce_kernelI14__hip_bfloat16hLi128ELi128ELi256ELi10EEvPT0_PKfS4_PKT_PKiS9_iS4_,comdat
	.protected	_Z35paged_attention_ll4mi_reduce_kernelI14__hip_bfloat16hLi128ELi128ELi256ELi10EEvPT0_PKfS4_PKT_PKiS9_iS4_ ; -- Begin function _Z35paged_attention_ll4mi_reduce_kernelI14__hip_bfloat16hLi128ELi128ELi256ELi10EEvPT0_PKfS4_PKT_PKiS9_iS4_
	.globl	_Z35paged_attention_ll4mi_reduce_kernelI14__hip_bfloat16hLi128ELi128ELi256ELi10EEvPT0_PKfS4_PKT_PKiS9_iS4_
	.p2align	8
	.type	_Z35paged_attention_ll4mi_reduce_kernelI14__hip_bfloat16hLi128ELi128ELi256ELi10EEvPT0_PKfS4_PKT_PKiS9_iS4_,@function
_Z35paged_attention_ll4mi_reduce_kernelI14__hip_bfloat16hLi128ELi128ELi256ELi10EEvPT0_PKfS4_PKT_PKiS9_iS4_: ; @_Z35paged_attention_ll4mi_reduce_kernelI14__hip_bfloat16hLi128ELi128ELi256ELi10EEvPT0_PKfS4_PKT_PKiS9_iS4_
; %bb.0:
	s_get_pc_i64 s[2:3]
	s_add_nc_u64 s[2:3], s[2:3], __PRETTY_FUNCTION__._Z35paged_attention_ll4mi_reduce_kernelI14__hip_bfloat16hLi128ELi128ELi256ELi10EEvPT0_PKfS4_PKT_PKiS9_iS4_@rel64+4
	s_delay_alu instid0(SALU_CYCLE_1)
	v_dual_mov_b32 v0, 0xbdd :: v_dual_mov_b32 v1, s2
	v_mov_b32_e32 v2, s3
	s_add_nc_u64 s[8:9], s[0:1], 64
	s_get_pc_i64 s[0:1]
	s_add_nc_u64 s[0:1], s[0:1], __assert_fail@rel64+4
	s_mov_b32 s32, 0
	s_swap_pc_i64 s[30:31], s[0:1]
	.section	.rodata,"a",@progbits
	.p2align	6, 0x0
	.amdhsa_kernel _Z35paged_attention_ll4mi_reduce_kernelI14__hip_bfloat16hLi128ELi128ELi256ELi10EEvPT0_PKfS4_PKT_PKiS9_iS4_
		.amdhsa_group_segment_fixed_size 0
		.amdhsa_private_segment_fixed_size 64
		.amdhsa_kernarg_size 320
		.amdhsa_user_sgpr_count 2
		.amdhsa_user_sgpr_dispatch_ptr 0
		.amdhsa_user_sgpr_queue_ptr 0
		.amdhsa_user_sgpr_kernarg_segment_ptr 1
		.amdhsa_user_sgpr_dispatch_id 0
		.amdhsa_user_sgpr_kernarg_preload_length 0
		.amdhsa_user_sgpr_kernarg_preload_offset 0
		.amdhsa_user_sgpr_private_segment_size 0
		.amdhsa_wavefront_size32 1
		.amdhsa_uses_dynamic_stack 0
		.amdhsa_enable_private_segment 1
		.amdhsa_system_sgpr_workgroup_id_x 1
		.amdhsa_system_sgpr_workgroup_id_y 0
		.amdhsa_system_sgpr_workgroup_id_z 0
		.amdhsa_system_sgpr_workgroup_info 0
		.amdhsa_system_vgpr_workitem_id 0
		.amdhsa_next_free_vgpr 51
		.amdhsa_next_free_sgpr 34
		.amdhsa_named_barrier_count 0
		.amdhsa_reserve_vcc 1
		.amdhsa_float_round_mode_32 0
		.amdhsa_float_round_mode_16_64 0
		.amdhsa_float_denorm_mode_32 3
		.amdhsa_float_denorm_mode_16_64 3
		.amdhsa_fp16_overflow 0
		.amdhsa_memory_ordered 1
		.amdhsa_forward_progress 1
		.amdhsa_inst_pref_size 1
		.amdhsa_round_robin_scheduling 0
		.amdhsa_exception_fp_ieee_invalid_op 0
		.amdhsa_exception_fp_denorm_src 0
		.amdhsa_exception_fp_ieee_div_zero 0
		.amdhsa_exception_fp_ieee_overflow 0
		.amdhsa_exception_fp_ieee_underflow 0
		.amdhsa_exception_fp_ieee_inexact 0
		.amdhsa_exception_int_div_zero 0
	.end_amdhsa_kernel
	.section	.text._Z35paged_attention_ll4mi_reduce_kernelI14__hip_bfloat16hLi128ELi128ELi256ELi10EEvPT0_PKfS4_PKT_PKiS9_iS4_,"axG",@progbits,_Z35paged_attention_ll4mi_reduce_kernelI14__hip_bfloat16hLi128ELi128ELi256ELi10EEvPT0_PKfS4_PKT_PKiS9_iS4_,comdat
.Lfunc_end607:
	.size	_Z35paged_attention_ll4mi_reduce_kernelI14__hip_bfloat16hLi128ELi128ELi256ELi10EEvPT0_PKfS4_PKT_PKiS9_iS4_, .Lfunc_end607-_Z35paged_attention_ll4mi_reduce_kernelI14__hip_bfloat16hLi128ELi128ELi256ELi10EEvPT0_PKfS4_PKT_PKiS9_iS4_
                                        ; -- End function
	.set _Z35paged_attention_ll4mi_reduce_kernelI14__hip_bfloat16hLi128ELi128ELi256ELi10EEvPT0_PKfS4_PKT_PKiS9_iS4_.num_vgpr, max(3, .L__assert_fail.num_vgpr)
	.set _Z35paged_attention_ll4mi_reduce_kernelI14__hip_bfloat16hLi128ELi128ELi256ELi10EEvPT0_PKfS4_PKT_PKiS9_iS4_.num_agpr, max(0, .L__assert_fail.num_agpr)
	.set _Z35paged_attention_ll4mi_reduce_kernelI14__hip_bfloat16hLi128ELi128ELi256ELi10EEvPT0_PKfS4_PKT_PKiS9_iS4_.numbered_sgpr, max(33, .L__assert_fail.numbered_sgpr)
	.set _Z35paged_attention_ll4mi_reduce_kernelI14__hip_bfloat16hLi128ELi128ELi256ELi10EEvPT0_PKfS4_PKT_PKiS9_iS4_.num_named_barrier, max(0, .L__assert_fail.num_named_barrier)
	.set _Z35paged_attention_ll4mi_reduce_kernelI14__hip_bfloat16hLi128ELi128ELi256ELi10EEvPT0_PKfS4_PKT_PKiS9_iS4_.private_seg_size, 0+max(.L__assert_fail.private_seg_size)
	.set _Z35paged_attention_ll4mi_reduce_kernelI14__hip_bfloat16hLi128ELi128ELi256ELi10EEvPT0_PKfS4_PKT_PKiS9_iS4_.uses_vcc, or(1, .L__assert_fail.uses_vcc)
	.set _Z35paged_attention_ll4mi_reduce_kernelI14__hip_bfloat16hLi128ELi128ELi256ELi10EEvPT0_PKfS4_PKT_PKiS9_iS4_.uses_flat_scratch, or(0, .L__assert_fail.uses_flat_scratch)
	.set _Z35paged_attention_ll4mi_reduce_kernelI14__hip_bfloat16hLi128ELi128ELi256ELi10EEvPT0_PKfS4_PKT_PKiS9_iS4_.has_dyn_sized_stack, or(0, .L__assert_fail.has_dyn_sized_stack)
	.set _Z35paged_attention_ll4mi_reduce_kernelI14__hip_bfloat16hLi128ELi128ELi256ELi10EEvPT0_PKfS4_PKT_PKiS9_iS4_.has_recursion, or(0, .L__assert_fail.has_recursion)
	.set _Z35paged_attention_ll4mi_reduce_kernelI14__hip_bfloat16hLi128ELi128ELi256ELi10EEvPT0_PKfS4_PKT_PKiS9_iS4_.has_indirect_call, or(0, .L__assert_fail.has_indirect_call)
	.section	.AMDGPU.csdata,"",@progbits
; Kernel info:
; codeLenInByte = 64
; TotalNumSgprs: 36
; NumVgprs: 51
; ScratchSize: 64
; MemoryBound: 0
; FloatMode: 240
; IeeeMode: 1
; LDSByteSize: 0 bytes/workgroup (compile time only)
; SGPRBlocks: 0
; VGPRBlocks: 3
; NumSGPRsForWavesPerEU: 36
; NumVGPRsForWavesPerEU: 51
; NamedBarCnt: 0
; Occupancy: 16
; WaveLimiterHint : 1
; COMPUTE_PGM_RSRC2:SCRATCH_EN: 1
; COMPUTE_PGM_RSRC2:USER_SGPR: 2
; COMPUTE_PGM_RSRC2:TRAP_HANDLER: 0
; COMPUTE_PGM_RSRC2:TGID_X_EN: 1
; COMPUTE_PGM_RSRC2:TGID_Y_EN: 0
; COMPUTE_PGM_RSRC2:TGID_Z_EN: 0
; COMPUTE_PGM_RSRC2:TIDIG_COMP_CNT: 0
	.section	.text._Z35paged_attention_ll4mi_reduce_kernelI14__hip_bfloat16hLi128ELi128ELi256ELi11EEvPT0_PKfS4_PKT_PKiS9_iS4_,"axG",@progbits,_Z35paged_attention_ll4mi_reduce_kernelI14__hip_bfloat16hLi128ELi128ELi256ELi11EEvPT0_PKfS4_PKT_PKiS9_iS4_,comdat
	.protected	_Z35paged_attention_ll4mi_reduce_kernelI14__hip_bfloat16hLi128ELi128ELi256ELi11EEvPT0_PKfS4_PKT_PKiS9_iS4_ ; -- Begin function _Z35paged_attention_ll4mi_reduce_kernelI14__hip_bfloat16hLi128ELi128ELi256ELi11EEvPT0_PKfS4_PKT_PKiS9_iS4_
	.globl	_Z35paged_attention_ll4mi_reduce_kernelI14__hip_bfloat16hLi128ELi128ELi256ELi11EEvPT0_PKfS4_PKT_PKiS9_iS4_
	.p2align	8
	.type	_Z35paged_attention_ll4mi_reduce_kernelI14__hip_bfloat16hLi128ELi128ELi256ELi11EEvPT0_PKfS4_PKT_PKiS9_iS4_,@function
_Z35paged_attention_ll4mi_reduce_kernelI14__hip_bfloat16hLi128ELi128ELi256ELi11EEvPT0_PKfS4_PKT_PKiS9_iS4_: ; @_Z35paged_attention_ll4mi_reduce_kernelI14__hip_bfloat16hLi128ELi128ELi256ELi11EEvPT0_PKfS4_PKT_PKiS9_iS4_
; %bb.0:
	s_get_pc_i64 s[2:3]
	s_add_nc_u64 s[2:3], s[2:3], __PRETTY_FUNCTION__._Z35paged_attention_ll4mi_reduce_kernelI14__hip_bfloat16hLi128ELi128ELi256ELi11EEvPT0_PKfS4_PKT_PKiS9_iS4_@rel64+4
	s_delay_alu instid0(SALU_CYCLE_1)
	v_dual_mov_b32 v0, 0xbdd :: v_dual_mov_b32 v1, s2
	v_mov_b32_e32 v2, s3
	s_add_nc_u64 s[8:9], s[0:1], 64
	s_get_pc_i64 s[0:1]
	s_add_nc_u64 s[0:1], s[0:1], __assert_fail@rel64+4
	s_mov_b32 s32, 0
	s_swap_pc_i64 s[30:31], s[0:1]
	.section	.rodata,"a",@progbits
	.p2align	6, 0x0
	.amdhsa_kernel _Z35paged_attention_ll4mi_reduce_kernelI14__hip_bfloat16hLi128ELi128ELi256ELi11EEvPT0_PKfS4_PKT_PKiS9_iS4_
		.amdhsa_group_segment_fixed_size 0
		.amdhsa_private_segment_fixed_size 64
		.amdhsa_kernarg_size 320
		.amdhsa_user_sgpr_count 2
		.amdhsa_user_sgpr_dispatch_ptr 0
		.amdhsa_user_sgpr_queue_ptr 0
		.amdhsa_user_sgpr_kernarg_segment_ptr 1
		.amdhsa_user_sgpr_dispatch_id 0
		.amdhsa_user_sgpr_kernarg_preload_length 0
		.amdhsa_user_sgpr_kernarg_preload_offset 0
		.amdhsa_user_sgpr_private_segment_size 0
		.amdhsa_wavefront_size32 1
		.amdhsa_uses_dynamic_stack 0
		.amdhsa_enable_private_segment 1
		.amdhsa_system_sgpr_workgroup_id_x 1
		.amdhsa_system_sgpr_workgroup_id_y 0
		.amdhsa_system_sgpr_workgroup_id_z 0
		.amdhsa_system_sgpr_workgroup_info 0
		.amdhsa_system_vgpr_workitem_id 0
		.amdhsa_next_free_vgpr 51
		.amdhsa_next_free_sgpr 34
		.amdhsa_named_barrier_count 0
		.amdhsa_reserve_vcc 1
		.amdhsa_float_round_mode_32 0
		.amdhsa_float_round_mode_16_64 0
		.amdhsa_float_denorm_mode_32 3
		.amdhsa_float_denorm_mode_16_64 3
		.amdhsa_fp16_overflow 0
		.amdhsa_memory_ordered 1
		.amdhsa_forward_progress 1
		.amdhsa_inst_pref_size 1
		.amdhsa_round_robin_scheduling 0
		.amdhsa_exception_fp_ieee_invalid_op 0
		.amdhsa_exception_fp_denorm_src 0
		.amdhsa_exception_fp_ieee_div_zero 0
		.amdhsa_exception_fp_ieee_overflow 0
		.amdhsa_exception_fp_ieee_underflow 0
		.amdhsa_exception_fp_ieee_inexact 0
		.amdhsa_exception_int_div_zero 0
	.end_amdhsa_kernel
	.section	.text._Z35paged_attention_ll4mi_reduce_kernelI14__hip_bfloat16hLi128ELi128ELi256ELi11EEvPT0_PKfS4_PKT_PKiS9_iS4_,"axG",@progbits,_Z35paged_attention_ll4mi_reduce_kernelI14__hip_bfloat16hLi128ELi128ELi256ELi11EEvPT0_PKfS4_PKT_PKiS9_iS4_,comdat
.Lfunc_end608:
	.size	_Z35paged_attention_ll4mi_reduce_kernelI14__hip_bfloat16hLi128ELi128ELi256ELi11EEvPT0_PKfS4_PKT_PKiS9_iS4_, .Lfunc_end608-_Z35paged_attention_ll4mi_reduce_kernelI14__hip_bfloat16hLi128ELi128ELi256ELi11EEvPT0_PKfS4_PKT_PKiS9_iS4_
                                        ; -- End function
	.set _Z35paged_attention_ll4mi_reduce_kernelI14__hip_bfloat16hLi128ELi128ELi256ELi11EEvPT0_PKfS4_PKT_PKiS9_iS4_.num_vgpr, max(3, .L__assert_fail.num_vgpr)
	.set _Z35paged_attention_ll4mi_reduce_kernelI14__hip_bfloat16hLi128ELi128ELi256ELi11EEvPT0_PKfS4_PKT_PKiS9_iS4_.num_agpr, max(0, .L__assert_fail.num_agpr)
	.set _Z35paged_attention_ll4mi_reduce_kernelI14__hip_bfloat16hLi128ELi128ELi256ELi11EEvPT0_PKfS4_PKT_PKiS9_iS4_.numbered_sgpr, max(33, .L__assert_fail.numbered_sgpr)
	.set _Z35paged_attention_ll4mi_reduce_kernelI14__hip_bfloat16hLi128ELi128ELi256ELi11EEvPT0_PKfS4_PKT_PKiS9_iS4_.num_named_barrier, max(0, .L__assert_fail.num_named_barrier)
	.set _Z35paged_attention_ll4mi_reduce_kernelI14__hip_bfloat16hLi128ELi128ELi256ELi11EEvPT0_PKfS4_PKT_PKiS9_iS4_.private_seg_size, 0+max(.L__assert_fail.private_seg_size)
	.set _Z35paged_attention_ll4mi_reduce_kernelI14__hip_bfloat16hLi128ELi128ELi256ELi11EEvPT0_PKfS4_PKT_PKiS9_iS4_.uses_vcc, or(1, .L__assert_fail.uses_vcc)
	.set _Z35paged_attention_ll4mi_reduce_kernelI14__hip_bfloat16hLi128ELi128ELi256ELi11EEvPT0_PKfS4_PKT_PKiS9_iS4_.uses_flat_scratch, or(0, .L__assert_fail.uses_flat_scratch)
	.set _Z35paged_attention_ll4mi_reduce_kernelI14__hip_bfloat16hLi128ELi128ELi256ELi11EEvPT0_PKfS4_PKT_PKiS9_iS4_.has_dyn_sized_stack, or(0, .L__assert_fail.has_dyn_sized_stack)
	.set _Z35paged_attention_ll4mi_reduce_kernelI14__hip_bfloat16hLi128ELi128ELi256ELi11EEvPT0_PKfS4_PKT_PKiS9_iS4_.has_recursion, or(0, .L__assert_fail.has_recursion)
	.set _Z35paged_attention_ll4mi_reduce_kernelI14__hip_bfloat16hLi128ELi128ELi256ELi11EEvPT0_PKfS4_PKT_PKiS9_iS4_.has_indirect_call, or(0, .L__assert_fail.has_indirect_call)
	.section	.AMDGPU.csdata,"",@progbits
; Kernel info:
; codeLenInByte = 64
; TotalNumSgprs: 36
; NumVgprs: 51
; ScratchSize: 64
; MemoryBound: 0
; FloatMode: 240
; IeeeMode: 1
; LDSByteSize: 0 bytes/workgroup (compile time only)
; SGPRBlocks: 0
; VGPRBlocks: 3
; NumSGPRsForWavesPerEU: 36
; NumVGPRsForWavesPerEU: 51
; NamedBarCnt: 0
; Occupancy: 16
; WaveLimiterHint : 1
; COMPUTE_PGM_RSRC2:SCRATCH_EN: 1
; COMPUTE_PGM_RSRC2:USER_SGPR: 2
; COMPUTE_PGM_RSRC2:TRAP_HANDLER: 0
; COMPUTE_PGM_RSRC2:TGID_X_EN: 1
; COMPUTE_PGM_RSRC2:TGID_Y_EN: 0
; COMPUTE_PGM_RSRC2:TGID_Z_EN: 0
; COMPUTE_PGM_RSRC2:TIDIG_COMP_CNT: 0
	.section	.text._Z35paged_attention_ll4mi_reduce_kernelI14__hip_bfloat16hLi128ELi128ELi256ELi12EEvPT0_PKfS4_PKT_PKiS9_iS4_,"axG",@progbits,_Z35paged_attention_ll4mi_reduce_kernelI14__hip_bfloat16hLi128ELi128ELi256ELi12EEvPT0_PKfS4_PKT_PKiS9_iS4_,comdat
	.protected	_Z35paged_attention_ll4mi_reduce_kernelI14__hip_bfloat16hLi128ELi128ELi256ELi12EEvPT0_PKfS4_PKT_PKiS9_iS4_ ; -- Begin function _Z35paged_attention_ll4mi_reduce_kernelI14__hip_bfloat16hLi128ELi128ELi256ELi12EEvPT0_PKfS4_PKT_PKiS9_iS4_
	.globl	_Z35paged_attention_ll4mi_reduce_kernelI14__hip_bfloat16hLi128ELi128ELi256ELi12EEvPT0_PKfS4_PKT_PKiS9_iS4_
	.p2align	8
	.type	_Z35paged_attention_ll4mi_reduce_kernelI14__hip_bfloat16hLi128ELi128ELi256ELi12EEvPT0_PKfS4_PKT_PKiS9_iS4_,@function
_Z35paged_attention_ll4mi_reduce_kernelI14__hip_bfloat16hLi128ELi128ELi256ELi12EEvPT0_PKfS4_PKT_PKiS9_iS4_: ; @_Z35paged_attention_ll4mi_reduce_kernelI14__hip_bfloat16hLi128ELi128ELi256ELi12EEvPT0_PKfS4_PKT_PKiS9_iS4_
; %bb.0:
	s_get_pc_i64 s[2:3]
	s_add_nc_u64 s[2:3], s[2:3], __PRETTY_FUNCTION__._Z35paged_attention_ll4mi_reduce_kernelI14__hip_bfloat16hLi128ELi128ELi256ELi12EEvPT0_PKfS4_PKT_PKiS9_iS4_@rel64+4
	s_delay_alu instid0(SALU_CYCLE_1)
	v_dual_mov_b32 v0, 0xbdd :: v_dual_mov_b32 v1, s2
	v_mov_b32_e32 v2, s3
	s_add_nc_u64 s[8:9], s[0:1], 64
	s_get_pc_i64 s[0:1]
	s_add_nc_u64 s[0:1], s[0:1], __assert_fail@rel64+4
	s_mov_b32 s32, 0
	s_swap_pc_i64 s[30:31], s[0:1]
	.section	.rodata,"a",@progbits
	.p2align	6, 0x0
	.amdhsa_kernel _Z35paged_attention_ll4mi_reduce_kernelI14__hip_bfloat16hLi128ELi128ELi256ELi12EEvPT0_PKfS4_PKT_PKiS9_iS4_
		.amdhsa_group_segment_fixed_size 0
		.amdhsa_private_segment_fixed_size 64
		.amdhsa_kernarg_size 320
		.amdhsa_user_sgpr_count 2
		.amdhsa_user_sgpr_dispatch_ptr 0
		.amdhsa_user_sgpr_queue_ptr 0
		.amdhsa_user_sgpr_kernarg_segment_ptr 1
		.amdhsa_user_sgpr_dispatch_id 0
		.amdhsa_user_sgpr_kernarg_preload_length 0
		.amdhsa_user_sgpr_kernarg_preload_offset 0
		.amdhsa_user_sgpr_private_segment_size 0
		.amdhsa_wavefront_size32 1
		.amdhsa_uses_dynamic_stack 0
		.amdhsa_enable_private_segment 1
		.amdhsa_system_sgpr_workgroup_id_x 1
		.amdhsa_system_sgpr_workgroup_id_y 0
		.amdhsa_system_sgpr_workgroup_id_z 0
		.amdhsa_system_sgpr_workgroup_info 0
		.amdhsa_system_vgpr_workitem_id 0
		.amdhsa_next_free_vgpr 51
		.amdhsa_next_free_sgpr 34
		.amdhsa_named_barrier_count 0
		.amdhsa_reserve_vcc 1
		.amdhsa_float_round_mode_32 0
		.amdhsa_float_round_mode_16_64 0
		.amdhsa_float_denorm_mode_32 3
		.amdhsa_float_denorm_mode_16_64 3
		.amdhsa_fp16_overflow 0
		.amdhsa_memory_ordered 1
		.amdhsa_forward_progress 1
		.amdhsa_inst_pref_size 1
		.amdhsa_round_robin_scheduling 0
		.amdhsa_exception_fp_ieee_invalid_op 0
		.amdhsa_exception_fp_denorm_src 0
		.amdhsa_exception_fp_ieee_div_zero 0
		.amdhsa_exception_fp_ieee_overflow 0
		.amdhsa_exception_fp_ieee_underflow 0
		.amdhsa_exception_fp_ieee_inexact 0
		.amdhsa_exception_int_div_zero 0
	.end_amdhsa_kernel
	.section	.text._Z35paged_attention_ll4mi_reduce_kernelI14__hip_bfloat16hLi128ELi128ELi256ELi12EEvPT0_PKfS4_PKT_PKiS9_iS4_,"axG",@progbits,_Z35paged_attention_ll4mi_reduce_kernelI14__hip_bfloat16hLi128ELi128ELi256ELi12EEvPT0_PKfS4_PKT_PKiS9_iS4_,comdat
.Lfunc_end609:
	.size	_Z35paged_attention_ll4mi_reduce_kernelI14__hip_bfloat16hLi128ELi128ELi256ELi12EEvPT0_PKfS4_PKT_PKiS9_iS4_, .Lfunc_end609-_Z35paged_attention_ll4mi_reduce_kernelI14__hip_bfloat16hLi128ELi128ELi256ELi12EEvPT0_PKfS4_PKT_PKiS9_iS4_
                                        ; -- End function
	.set _Z35paged_attention_ll4mi_reduce_kernelI14__hip_bfloat16hLi128ELi128ELi256ELi12EEvPT0_PKfS4_PKT_PKiS9_iS4_.num_vgpr, max(3, .L__assert_fail.num_vgpr)
	.set _Z35paged_attention_ll4mi_reduce_kernelI14__hip_bfloat16hLi128ELi128ELi256ELi12EEvPT0_PKfS4_PKT_PKiS9_iS4_.num_agpr, max(0, .L__assert_fail.num_agpr)
	.set _Z35paged_attention_ll4mi_reduce_kernelI14__hip_bfloat16hLi128ELi128ELi256ELi12EEvPT0_PKfS4_PKT_PKiS9_iS4_.numbered_sgpr, max(33, .L__assert_fail.numbered_sgpr)
	.set _Z35paged_attention_ll4mi_reduce_kernelI14__hip_bfloat16hLi128ELi128ELi256ELi12EEvPT0_PKfS4_PKT_PKiS9_iS4_.num_named_barrier, max(0, .L__assert_fail.num_named_barrier)
	.set _Z35paged_attention_ll4mi_reduce_kernelI14__hip_bfloat16hLi128ELi128ELi256ELi12EEvPT0_PKfS4_PKT_PKiS9_iS4_.private_seg_size, 0+max(.L__assert_fail.private_seg_size)
	.set _Z35paged_attention_ll4mi_reduce_kernelI14__hip_bfloat16hLi128ELi128ELi256ELi12EEvPT0_PKfS4_PKT_PKiS9_iS4_.uses_vcc, or(1, .L__assert_fail.uses_vcc)
	.set _Z35paged_attention_ll4mi_reduce_kernelI14__hip_bfloat16hLi128ELi128ELi256ELi12EEvPT0_PKfS4_PKT_PKiS9_iS4_.uses_flat_scratch, or(0, .L__assert_fail.uses_flat_scratch)
	.set _Z35paged_attention_ll4mi_reduce_kernelI14__hip_bfloat16hLi128ELi128ELi256ELi12EEvPT0_PKfS4_PKT_PKiS9_iS4_.has_dyn_sized_stack, or(0, .L__assert_fail.has_dyn_sized_stack)
	.set _Z35paged_attention_ll4mi_reduce_kernelI14__hip_bfloat16hLi128ELi128ELi256ELi12EEvPT0_PKfS4_PKT_PKiS9_iS4_.has_recursion, or(0, .L__assert_fail.has_recursion)
	.set _Z35paged_attention_ll4mi_reduce_kernelI14__hip_bfloat16hLi128ELi128ELi256ELi12EEvPT0_PKfS4_PKT_PKiS9_iS4_.has_indirect_call, or(0, .L__assert_fail.has_indirect_call)
	.section	.AMDGPU.csdata,"",@progbits
; Kernel info:
; codeLenInByte = 64
; TotalNumSgprs: 36
; NumVgprs: 51
; ScratchSize: 64
; MemoryBound: 0
; FloatMode: 240
; IeeeMode: 1
; LDSByteSize: 0 bytes/workgroup (compile time only)
; SGPRBlocks: 0
; VGPRBlocks: 3
; NumSGPRsForWavesPerEU: 36
; NumVGPRsForWavesPerEU: 51
; NamedBarCnt: 0
; Occupancy: 16
; WaveLimiterHint : 1
; COMPUTE_PGM_RSRC2:SCRATCH_EN: 1
; COMPUTE_PGM_RSRC2:USER_SGPR: 2
; COMPUTE_PGM_RSRC2:TRAP_HANDLER: 0
; COMPUTE_PGM_RSRC2:TGID_X_EN: 1
; COMPUTE_PGM_RSRC2:TGID_Y_EN: 0
; COMPUTE_PGM_RSRC2:TGID_Z_EN: 0
; COMPUTE_PGM_RSRC2:TIDIG_COMP_CNT: 0
	.section	.text._Z35paged_attention_ll4mi_reduce_kernelI14__hip_bfloat16hLi128ELi128ELi256ELi13EEvPT0_PKfS4_PKT_PKiS9_iS4_,"axG",@progbits,_Z35paged_attention_ll4mi_reduce_kernelI14__hip_bfloat16hLi128ELi128ELi256ELi13EEvPT0_PKfS4_PKT_PKiS9_iS4_,comdat
	.protected	_Z35paged_attention_ll4mi_reduce_kernelI14__hip_bfloat16hLi128ELi128ELi256ELi13EEvPT0_PKfS4_PKT_PKiS9_iS4_ ; -- Begin function _Z35paged_attention_ll4mi_reduce_kernelI14__hip_bfloat16hLi128ELi128ELi256ELi13EEvPT0_PKfS4_PKT_PKiS9_iS4_
	.globl	_Z35paged_attention_ll4mi_reduce_kernelI14__hip_bfloat16hLi128ELi128ELi256ELi13EEvPT0_PKfS4_PKT_PKiS9_iS4_
	.p2align	8
	.type	_Z35paged_attention_ll4mi_reduce_kernelI14__hip_bfloat16hLi128ELi128ELi256ELi13EEvPT0_PKfS4_PKT_PKiS9_iS4_,@function
_Z35paged_attention_ll4mi_reduce_kernelI14__hip_bfloat16hLi128ELi128ELi256ELi13EEvPT0_PKfS4_PKT_PKiS9_iS4_: ; @_Z35paged_attention_ll4mi_reduce_kernelI14__hip_bfloat16hLi128ELi128ELi256ELi13EEvPT0_PKfS4_PKT_PKiS9_iS4_
; %bb.0:
	s_get_pc_i64 s[2:3]
	s_add_nc_u64 s[2:3], s[2:3], __PRETTY_FUNCTION__._Z35paged_attention_ll4mi_reduce_kernelI14__hip_bfloat16hLi128ELi128ELi256ELi13EEvPT0_PKfS4_PKT_PKiS9_iS4_@rel64+4
	s_delay_alu instid0(SALU_CYCLE_1)
	v_dual_mov_b32 v0, 0xbdd :: v_dual_mov_b32 v1, s2
	v_mov_b32_e32 v2, s3
	s_add_nc_u64 s[8:9], s[0:1], 64
	s_get_pc_i64 s[0:1]
	s_add_nc_u64 s[0:1], s[0:1], __assert_fail@rel64+4
	s_mov_b32 s32, 0
	s_swap_pc_i64 s[30:31], s[0:1]
	.section	.rodata,"a",@progbits
	.p2align	6, 0x0
	.amdhsa_kernel _Z35paged_attention_ll4mi_reduce_kernelI14__hip_bfloat16hLi128ELi128ELi256ELi13EEvPT0_PKfS4_PKT_PKiS9_iS4_
		.amdhsa_group_segment_fixed_size 0
		.amdhsa_private_segment_fixed_size 64
		.amdhsa_kernarg_size 320
		.amdhsa_user_sgpr_count 2
		.amdhsa_user_sgpr_dispatch_ptr 0
		.amdhsa_user_sgpr_queue_ptr 0
		.amdhsa_user_sgpr_kernarg_segment_ptr 1
		.amdhsa_user_sgpr_dispatch_id 0
		.amdhsa_user_sgpr_kernarg_preload_length 0
		.amdhsa_user_sgpr_kernarg_preload_offset 0
		.amdhsa_user_sgpr_private_segment_size 0
		.amdhsa_wavefront_size32 1
		.amdhsa_uses_dynamic_stack 0
		.amdhsa_enable_private_segment 1
		.amdhsa_system_sgpr_workgroup_id_x 1
		.amdhsa_system_sgpr_workgroup_id_y 0
		.amdhsa_system_sgpr_workgroup_id_z 0
		.amdhsa_system_sgpr_workgroup_info 0
		.amdhsa_system_vgpr_workitem_id 0
		.amdhsa_next_free_vgpr 51
		.amdhsa_next_free_sgpr 34
		.amdhsa_named_barrier_count 0
		.amdhsa_reserve_vcc 1
		.amdhsa_float_round_mode_32 0
		.amdhsa_float_round_mode_16_64 0
		.amdhsa_float_denorm_mode_32 3
		.amdhsa_float_denorm_mode_16_64 3
		.amdhsa_fp16_overflow 0
		.amdhsa_memory_ordered 1
		.amdhsa_forward_progress 1
		.amdhsa_inst_pref_size 1
		.amdhsa_round_robin_scheduling 0
		.amdhsa_exception_fp_ieee_invalid_op 0
		.amdhsa_exception_fp_denorm_src 0
		.amdhsa_exception_fp_ieee_div_zero 0
		.amdhsa_exception_fp_ieee_overflow 0
		.amdhsa_exception_fp_ieee_underflow 0
		.amdhsa_exception_fp_ieee_inexact 0
		.amdhsa_exception_int_div_zero 0
	.end_amdhsa_kernel
	.section	.text._Z35paged_attention_ll4mi_reduce_kernelI14__hip_bfloat16hLi128ELi128ELi256ELi13EEvPT0_PKfS4_PKT_PKiS9_iS4_,"axG",@progbits,_Z35paged_attention_ll4mi_reduce_kernelI14__hip_bfloat16hLi128ELi128ELi256ELi13EEvPT0_PKfS4_PKT_PKiS9_iS4_,comdat
.Lfunc_end610:
	.size	_Z35paged_attention_ll4mi_reduce_kernelI14__hip_bfloat16hLi128ELi128ELi256ELi13EEvPT0_PKfS4_PKT_PKiS9_iS4_, .Lfunc_end610-_Z35paged_attention_ll4mi_reduce_kernelI14__hip_bfloat16hLi128ELi128ELi256ELi13EEvPT0_PKfS4_PKT_PKiS9_iS4_
                                        ; -- End function
	.set _Z35paged_attention_ll4mi_reduce_kernelI14__hip_bfloat16hLi128ELi128ELi256ELi13EEvPT0_PKfS4_PKT_PKiS9_iS4_.num_vgpr, max(3, .L__assert_fail.num_vgpr)
	.set _Z35paged_attention_ll4mi_reduce_kernelI14__hip_bfloat16hLi128ELi128ELi256ELi13EEvPT0_PKfS4_PKT_PKiS9_iS4_.num_agpr, max(0, .L__assert_fail.num_agpr)
	.set _Z35paged_attention_ll4mi_reduce_kernelI14__hip_bfloat16hLi128ELi128ELi256ELi13EEvPT0_PKfS4_PKT_PKiS9_iS4_.numbered_sgpr, max(33, .L__assert_fail.numbered_sgpr)
	.set _Z35paged_attention_ll4mi_reduce_kernelI14__hip_bfloat16hLi128ELi128ELi256ELi13EEvPT0_PKfS4_PKT_PKiS9_iS4_.num_named_barrier, max(0, .L__assert_fail.num_named_barrier)
	.set _Z35paged_attention_ll4mi_reduce_kernelI14__hip_bfloat16hLi128ELi128ELi256ELi13EEvPT0_PKfS4_PKT_PKiS9_iS4_.private_seg_size, 0+max(.L__assert_fail.private_seg_size)
	.set _Z35paged_attention_ll4mi_reduce_kernelI14__hip_bfloat16hLi128ELi128ELi256ELi13EEvPT0_PKfS4_PKT_PKiS9_iS4_.uses_vcc, or(1, .L__assert_fail.uses_vcc)
	.set _Z35paged_attention_ll4mi_reduce_kernelI14__hip_bfloat16hLi128ELi128ELi256ELi13EEvPT0_PKfS4_PKT_PKiS9_iS4_.uses_flat_scratch, or(0, .L__assert_fail.uses_flat_scratch)
	.set _Z35paged_attention_ll4mi_reduce_kernelI14__hip_bfloat16hLi128ELi128ELi256ELi13EEvPT0_PKfS4_PKT_PKiS9_iS4_.has_dyn_sized_stack, or(0, .L__assert_fail.has_dyn_sized_stack)
	.set _Z35paged_attention_ll4mi_reduce_kernelI14__hip_bfloat16hLi128ELi128ELi256ELi13EEvPT0_PKfS4_PKT_PKiS9_iS4_.has_recursion, or(0, .L__assert_fail.has_recursion)
	.set _Z35paged_attention_ll4mi_reduce_kernelI14__hip_bfloat16hLi128ELi128ELi256ELi13EEvPT0_PKfS4_PKT_PKiS9_iS4_.has_indirect_call, or(0, .L__assert_fail.has_indirect_call)
	.section	.AMDGPU.csdata,"",@progbits
; Kernel info:
; codeLenInByte = 64
; TotalNumSgprs: 36
; NumVgprs: 51
; ScratchSize: 64
; MemoryBound: 0
; FloatMode: 240
; IeeeMode: 1
; LDSByteSize: 0 bytes/workgroup (compile time only)
; SGPRBlocks: 0
; VGPRBlocks: 3
; NumSGPRsForWavesPerEU: 36
; NumVGPRsForWavesPerEU: 51
; NamedBarCnt: 0
; Occupancy: 16
; WaveLimiterHint : 1
; COMPUTE_PGM_RSRC2:SCRATCH_EN: 1
; COMPUTE_PGM_RSRC2:USER_SGPR: 2
; COMPUTE_PGM_RSRC2:TRAP_HANDLER: 0
; COMPUTE_PGM_RSRC2:TGID_X_EN: 1
; COMPUTE_PGM_RSRC2:TGID_Y_EN: 0
; COMPUTE_PGM_RSRC2:TGID_Z_EN: 0
; COMPUTE_PGM_RSRC2:TIDIG_COMP_CNT: 0
	.section	.text._Z35paged_attention_ll4mi_reduce_kernelI14__hip_bfloat16hLi128ELi128ELi256ELi14EEvPT0_PKfS4_PKT_PKiS9_iS4_,"axG",@progbits,_Z35paged_attention_ll4mi_reduce_kernelI14__hip_bfloat16hLi128ELi128ELi256ELi14EEvPT0_PKfS4_PKT_PKiS9_iS4_,comdat
	.protected	_Z35paged_attention_ll4mi_reduce_kernelI14__hip_bfloat16hLi128ELi128ELi256ELi14EEvPT0_PKfS4_PKT_PKiS9_iS4_ ; -- Begin function _Z35paged_attention_ll4mi_reduce_kernelI14__hip_bfloat16hLi128ELi128ELi256ELi14EEvPT0_PKfS4_PKT_PKiS9_iS4_
	.globl	_Z35paged_attention_ll4mi_reduce_kernelI14__hip_bfloat16hLi128ELi128ELi256ELi14EEvPT0_PKfS4_PKT_PKiS9_iS4_
	.p2align	8
	.type	_Z35paged_attention_ll4mi_reduce_kernelI14__hip_bfloat16hLi128ELi128ELi256ELi14EEvPT0_PKfS4_PKT_PKiS9_iS4_,@function
_Z35paged_attention_ll4mi_reduce_kernelI14__hip_bfloat16hLi128ELi128ELi256ELi14EEvPT0_PKfS4_PKT_PKiS9_iS4_: ; @_Z35paged_attention_ll4mi_reduce_kernelI14__hip_bfloat16hLi128ELi128ELi256ELi14EEvPT0_PKfS4_PKT_PKiS9_iS4_
; %bb.0:
	s_get_pc_i64 s[2:3]
	s_add_nc_u64 s[2:3], s[2:3], __PRETTY_FUNCTION__._Z35paged_attention_ll4mi_reduce_kernelI14__hip_bfloat16hLi128ELi128ELi256ELi14EEvPT0_PKfS4_PKT_PKiS9_iS4_@rel64+4
	s_delay_alu instid0(SALU_CYCLE_1)
	v_dual_mov_b32 v0, 0xbdd :: v_dual_mov_b32 v1, s2
	v_mov_b32_e32 v2, s3
	s_add_nc_u64 s[8:9], s[0:1], 64
	s_get_pc_i64 s[0:1]
	s_add_nc_u64 s[0:1], s[0:1], __assert_fail@rel64+4
	s_mov_b32 s32, 0
	s_swap_pc_i64 s[30:31], s[0:1]
	.section	.rodata,"a",@progbits
	.p2align	6, 0x0
	.amdhsa_kernel _Z35paged_attention_ll4mi_reduce_kernelI14__hip_bfloat16hLi128ELi128ELi256ELi14EEvPT0_PKfS4_PKT_PKiS9_iS4_
		.amdhsa_group_segment_fixed_size 0
		.amdhsa_private_segment_fixed_size 64
		.amdhsa_kernarg_size 320
		.amdhsa_user_sgpr_count 2
		.amdhsa_user_sgpr_dispatch_ptr 0
		.amdhsa_user_sgpr_queue_ptr 0
		.amdhsa_user_sgpr_kernarg_segment_ptr 1
		.amdhsa_user_sgpr_dispatch_id 0
		.amdhsa_user_sgpr_kernarg_preload_length 0
		.amdhsa_user_sgpr_kernarg_preload_offset 0
		.amdhsa_user_sgpr_private_segment_size 0
		.amdhsa_wavefront_size32 1
		.amdhsa_uses_dynamic_stack 0
		.amdhsa_enable_private_segment 1
		.amdhsa_system_sgpr_workgroup_id_x 1
		.amdhsa_system_sgpr_workgroup_id_y 0
		.amdhsa_system_sgpr_workgroup_id_z 0
		.amdhsa_system_sgpr_workgroup_info 0
		.amdhsa_system_vgpr_workitem_id 0
		.amdhsa_next_free_vgpr 51
		.amdhsa_next_free_sgpr 34
		.amdhsa_named_barrier_count 0
		.amdhsa_reserve_vcc 1
		.amdhsa_float_round_mode_32 0
		.amdhsa_float_round_mode_16_64 0
		.amdhsa_float_denorm_mode_32 3
		.amdhsa_float_denorm_mode_16_64 3
		.amdhsa_fp16_overflow 0
		.amdhsa_memory_ordered 1
		.amdhsa_forward_progress 1
		.amdhsa_inst_pref_size 1
		.amdhsa_round_robin_scheduling 0
		.amdhsa_exception_fp_ieee_invalid_op 0
		.amdhsa_exception_fp_denorm_src 0
		.amdhsa_exception_fp_ieee_div_zero 0
		.amdhsa_exception_fp_ieee_overflow 0
		.amdhsa_exception_fp_ieee_underflow 0
		.amdhsa_exception_fp_ieee_inexact 0
		.amdhsa_exception_int_div_zero 0
	.end_amdhsa_kernel
	.section	.text._Z35paged_attention_ll4mi_reduce_kernelI14__hip_bfloat16hLi128ELi128ELi256ELi14EEvPT0_PKfS4_PKT_PKiS9_iS4_,"axG",@progbits,_Z35paged_attention_ll4mi_reduce_kernelI14__hip_bfloat16hLi128ELi128ELi256ELi14EEvPT0_PKfS4_PKT_PKiS9_iS4_,comdat
.Lfunc_end611:
	.size	_Z35paged_attention_ll4mi_reduce_kernelI14__hip_bfloat16hLi128ELi128ELi256ELi14EEvPT0_PKfS4_PKT_PKiS9_iS4_, .Lfunc_end611-_Z35paged_attention_ll4mi_reduce_kernelI14__hip_bfloat16hLi128ELi128ELi256ELi14EEvPT0_PKfS4_PKT_PKiS9_iS4_
                                        ; -- End function
	.set _Z35paged_attention_ll4mi_reduce_kernelI14__hip_bfloat16hLi128ELi128ELi256ELi14EEvPT0_PKfS4_PKT_PKiS9_iS4_.num_vgpr, max(3, .L__assert_fail.num_vgpr)
	.set _Z35paged_attention_ll4mi_reduce_kernelI14__hip_bfloat16hLi128ELi128ELi256ELi14EEvPT0_PKfS4_PKT_PKiS9_iS4_.num_agpr, max(0, .L__assert_fail.num_agpr)
	.set _Z35paged_attention_ll4mi_reduce_kernelI14__hip_bfloat16hLi128ELi128ELi256ELi14EEvPT0_PKfS4_PKT_PKiS9_iS4_.numbered_sgpr, max(33, .L__assert_fail.numbered_sgpr)
	.set _Z35paged_attention_ll4mi_reduce_kernelI14__hip_bfloat16hLi128ELi128ELi256ELi14EEvPT0_PKfS4_PKT_PKiS9_iS4_.num_named_barrier, max(0, .L__assert_fail.num_named_barrier)
	.set _Z35paged_attention_ll4mi_reduce_kernelI14__hip_bfloat16hLi128ELi128ELi256ELi14EEvPT0_PKfS4_PKT_PKiS9_iS4_.private_seg_size, 0+max(.L__assert_fail.private_seg_size)
	.set _Z35paged_attention_ll4mi_reduce_kernelI14__hip_bfloat16hLi128ELi128ELi256ELi14EEvPT0_PKfS4_PKT_PKiS9_iS4_.uses_vcc, or(1, .L__assert_fail.uses_vcc)
	.set _Z35paged_attention_ll4mi_reduce_kernelI14__hip_bfloat16hLi128ELi128ELi256ELi14EEvPT0_PKfS4_PKT_PKiS9_iS4_.uses_flat_scratch, or(0, .L__assert_fail.uses_flat_scratch)
	.set _Z35paged_attention_ll4mi_reduce_kernelI14__hip_bfloat16hLi128ELi128ELi256ELi14EEvPT0_PKfS4_PKT_PKiS9_iS4_.has_dyn_sized_stack, or(0, .L__assert_fail.has_dyn_sized_stack)
	.set _Z35paged_attention_ll4mi_reduce_kernelI14__hip_bfloat16hLi128ELi128ELi256ELi14EEvPT0_PKfS4_PKT_PKiS9_iS4_.has_recursion, or(0, .L__assert_fail.has_recursion)
	.set _Z35paged_attention_ll4mi_reduce_kernelI14__hip_bfloat16hLi128ELi128ELi256ELi14EEvPT0_PKfS4_PKT_PKiS9_iS4_.has_indirect_call, or(0, .L__assert_fail.has_indirect_call)
	.section	.AMDGPU.csdata,"",@progbits
; Kernel info:
; codeLenInByte = 64
; TotalNumSgprs: 36
; NumVgprs: 51
; ScratchSize: 64
; MemoryBound: 0
; FloatMode: 240
; IeeeMode: 1
; LDSByteSize: 0 bytes/workgroup (compile time only)
; SGPRBlocks: 0
; VGPRBlocks: 3
; NumSGPRsForWavesPerEU: 36
; NumVGPRsForWavesPerEU: 51
; NamedBarCnt: 0
; Occupancy: 16
; WaveLimiterHint : 1
; COMPUTE_PGM_RSRC2:SCRATCH_EN: 1
; COMPUTE_PGM_RSRC2:USER_SGPR: 2
; COMPUTE_PGM_RSRC2:TRAP_HANDLER: 0
; COMPUTE_PGM_RSRC2:TGID_X_EN: 1
; COMPUTE_PGM_RSRC2:TGID_Y_EN: 0
; COMPUTE_PGM_RSRC2:TGID_Z_EN: 0
; COMPUTE_PGM_RSRC2:TIDIG_COMP_CNT: 0
	.section	.text._Z35paged_attention_ll4mi_reduce_kernelI14__hip_bfloat16hLi128ELi128ELi256ELi15EEvPT0_PKfS4_PKT_PKiS9_iS4_,"axG",@progbits,_Z35paged_attention_ll4mi_reduce_kernelI14__hip_bfloat16hLi128ELi128ELi256ELi15EEvPT0_PKfS4_PKT_PKiS9_iS4_,comdat
	.protected	_Z35paged_attention_ll4mi_reduce_kernelI14__hip_bfloat16hLi128ELi128ELi256ELi15EEvPT0_PKfS4_PKT_PKiS9_iS4_ ; -- Begin function _Z35paged_attention_ll4mi_reduce_kernelI14__hip_bfloat16hLi128ELi128ELi256ELi15EEvPT0_PKfS4_PKT_PKiS9_iS4_
	.globl	_Z35paged_attention_ll4mi_reduce_kernelI14__hip_bfloat16hLi128ELi128ELi256ELi15EEvPT0_PKfS4_PKT_PKiS9_iS4_
	.p2align	8
	.type	_Z35paged_attention_ll4mi_reduce_kernelI14__hip_bfloat16hLi128ELi128ELi256ELi15EEvPT0_PKfS4_PKT_PKiS9_iS4_,@function
_Z35paged_attention_ll4mi_reduce_kernelI14__hip_bfloat16hLi128ELi128ELi256ELi15EEvPT0_PKfS4_PKT_PKiS9_iS4_: ; @_Z35paged_attention_ll4mi_reduce_kernelI14__hip_bfloat16hLi128ELi128ELi256ELi15EEvPT0_PKfS4_PKT_PKiS9_iS4_
; %bb.0:
	s_get_pc_i64 s[2:3]
	s_add_nc_u64 s[2:3], s[2:3], __PRETTY_FUNCTION__._Z35paged_attention_ll4mi_reduce_kernelI14__hip_bfloat16hLi128ELi128ELi256ELi15EEvPT0_PKfS4_PKT_PKiS9_iS4_@rel64+4
	s_delay_alu instid0(SALU_CYCLE_1)
	v_dual_mov_b32 v0, 0xbdd :: v_dual_mov_b32 v1, s2
	v_mov_b32_e32 v2, s3
	s_add_nc_u64 s[8:9], s[0:1], 64
	s_get_pc_i64 s[0:1]
	s_add_nc_u64 s[0:1], s[0:1], __assert_fail@rel64+4
	s_mov_b32 s32, 0
	s_swap_pc_i64 s[30:31], s[0:1]
	.section	.rodata,"a",@progbits
	.p2align	6, 0x0
	.amdhsa_kernel _Z35paged_attention_ll4mi_reduce_kernelI14__hip_bfloat16hLi128ELi128ELi256ELi15EEvPT0_PKfS4_PKT_PKiS9_iS4_
		.amdhsa_group_segment_fixed_size 0
		.amdhsa_private_segment_fixed_size 64
		.amdhsa_kernarg_size 320
		.amdhsa_user_sgpr_count 2
		.amdhsa_user_sgpr_dispatch_ptr 0
		.amdhsa_user_sgpr_queue_ptr 0
		.amdhsa_user_sgpr_kernarg_segment_ptr 1
		.amdhsa_user_sgpr_dispatch_id 0
		.amdhsa_user_sgpr_kernarg_preload_length 0
		.amdhsa_user_sgpr_kernarg_preload_offset 0
		.amdhsa_user_sgpr_private_segment_size 0
		.amdhsa_wavefront_size32 1
		.amdhsa_uses_dynamic_stack 0
		.amdhsa_enable_private_segment 1
		.amdhsa_system_sgpr_workgroup_id_x 1
		.amdhsa_system_sgpr_workgroup_id_y 0
		.amdhsa_system_sgpr_workgroup_id_z 0
		.amdhsa_system_sgpr_workgroup_info 0
		.amdhsa_system_vgpr_workitem_id 0
		.amdhsa_next_free_vgpr 51
		.amdhsa_next_free_sgpr 34
		.amdhsa_named_barrier_count 0
		.amdhsa_reserve_vcc 1
		.amdhsa_float_round_mode_32 0
		.amdhsa_float_round_mode_16_64 0
		.amdhsa_float_denorm_mode_32 3
		.amdhsa_float_denorm_mode_16_64 3
		.amdhsa_fp16_overflow 0
		.amdhsa_memory_ordered 1
		.amdhsa_forward_progress 1
		.amdhsa_inst_pref_size 1
		.amdhsa_round_robin_scheduling 0
		.amdhsa_exception_fp_ieee_invalid_op 0
		.amdhsa_exception_fp_denorm_src 0
		.amdhsa_exception_fp_ieee_div_zero 0
		.amdhsa_exception_fp_ieee_overflow 0
		.amdhsa_exception_fp_ieee_underflow 0
		.amdhsa_exception_fp_ieee_inexact 0
		.amdhsa_exception_int_div_zero 0
	.end_amdhsa_kernel
	.section	.text._Z35paged_attention_ll4mi_reduce_kernelI14__hip_bfloat16hLi128ELi128ELi256ELi15EEvPT0_PKfS4_PKT_PKiS9_iS4_,"axG",@progbits,_Z35paged_attention_ll4mi_reduce_kernelI14__hip_bfloat16hLi128ELi128ELi256ELi15EEvPT0_PKfS4_PKT_PKiS9_iS4_,comdat
.Lfunc_end612:
	.size	_Z35paged_attention_ll4mi_reduce_kernelI14__hip_bfloat16hLi128ELi128ELi256ELi15EEvPT0_PKfS4_PKT_PKiS9_iS4_, .Lfunc_end612-_Z35paged_attention_ll4mi_reduce_kernelI14__hip_bfloat16hLi128ELi128ELi256ELi15EEvPT0_PKfS4_PKT_PKiS9_iS4_
                                        ; -- End function
	.set _Z35paged_attention_ll4mi_reduce_kernelI14__hip_bfloat16hLi128ELi128ELi256ELi15EEvPT0_PKfS4_PKT_PKiS9_iS4_.num_vgpr, max(3, .L__assert_fail.num_vgpr)
	.set _Z35paged_attention_ll4mi_reduce_kernelI14__hip_bfloat16hLi128ELi128ELi256ELi15EEvPT0_PKfS4_PKT_PKiS9_iS4_.num_agpr, max(0, .L__assert_fail.num_agpr)
	.set _Z35paged_attention_ll4mi_reduce_kernelI14__hip_bfloat16hLi128ELi128ELi256ELi15EEvPT0_PKfS4_PKT_PKiS9_iS4_.numbered_sgpr, max(33, .L__assert_fail.numbered_sgpr)
	.set _Z35paged_attention_ll4mi_reduce_kernelI14__hip_bfloat16hLi128ELi128ELi256ELi15EEvPT0_PKfS4_PKT_PKiS9_iS4_.num_named_barrier, max(0, .L__assert_fail.num_named_barrier)
	.set _Z35paged_attention_ll4mi_reduce_kernelI14__hip_bfloat16hLi128ELi128ELi256ELi15EEvPT0_PKfS4_PKT_PKiS9_iS4_.private_seg_size, 0+max(.L__assert_fail.private_seg_size)
	.set _Z35paged_attention_ll4mi_reduce_kernelI14__hip_bfloat16hLi128ELi128ELi256ELi15EEvPT0_PKfS4_PKT_PKiS9_iS4_.uses_vcc, or(1, .L__assert_fail.uses_vcc)
	.set _Z35paged_attention_ll4mi_reduce_kernelI14__hip_bfloat16hLi128ELi128ELi256ELi15EEvPT0_PKfS4_PKT_PKiS9_iS4_.uses_flat_scratch, or(0, .L__assert_fail.uses_flat_scratch)
	.set _Z35paged_attention_ll4mi_reduce_kernelI14__hip_bfloat16hLi128ELi128ELi256ELi15EEvPT0_PKfS4_PKT_PKiS9_iS4_.has_dyn_sized_stack, or(0, .L__assert_fail.has_dyn_sized_stack)
	.set _Z35paged_attention_ll4mi_reduce_kernelI14__hip_bfloat16hLi128ELi128ELi256ELi15EEvPT0_PKfS4_PKT_PKiS9_iS4_.has_recursion, or(0, .L__assert_fail.has_recursion)
	.set _Z35paged_attention_ll4mi_reduce_kernelI14__hip_bfloat16hLi128ELi128ELi256ELi15EEvPT0_PKfS4_PKT_PKiS9_iS4_.has_indirect_call, or(0, .L__assert_fail.has_indirect_call)
	.section	.AMDGPU.csdata,"",@progbits
; Kernel info:
; codeLenInByte = 64
; TotalNumSgprs: 36
; NumVgprs: 51
; ScratchSize: 64
; MemoryBound: 0
; FloatMode: 240
; IeeeMode: 1
; LDSByteSize: 0 bytes/workgroup (compile time only)
; SGPRBlocks: 0
; VGPRBlocks: 3
; NumSGPRsForWavesPerEU: 36
; NumVGPRsForWavesPerEU: 51
; NamedBarCnt: 0
; Occupancy: 16
; WaveLimiterHint : 1
; COMPUTE_PGM_RSRC2:SCRATCH_EN: 1
; COMPUTE_PGM_RSRC2:USER_SGPR: 2
; COMPUTE_PGM_RSRC2:TRAP_HANDLER: 0
; COMPUTE_PGM_RSRC2:TGID_X_EN: 1
; COMPUTE_PGM_RSRC2:TGID_Y_EN: 0
; COMPUTE_PGM_RSRC2:TGID_Z_EN: 0
; COMPUTE_PGM_RSRC2:TIDIG_COMP_CNT: 0
	.section	.text._Z35paged_attention_ll4mi_reduce_kernelI14__hip_bfloat16hLi128ELi128ELi256ELi16EEvPT0_PKfS4_PKT_PKiS9_iS4_,"axG",@progbits,_Z35paged_attention_ll4mi_reduce_kernelI14__hip_bfloat16hLi128ELi128ELi256ELi16EEvPT0_PKfS4_PKT_PKiS9_iS4_,comdat
	.protected	_Z35paged_attention_ll4mi_reduce_kernelI14__hip_bfloat16hLi128ELi128ELi256ELi16EEvPT0_PKfS4_PKT_PKiS9_iS4_ ; -- Begin function _Z35paged_attention_ll4mi_reduce_kernelI14__hip_bfloat16hLi128ELi128ELi256ELi16EEvPT0_PKfS4_PKT_PKiS9_iS4_
	.globl	_Z35paged_attention_ll4mi_reduce_kernelI14__hip_bfloat16hLi128ELi128ELi256ELi16EEvPT0_PKfS4_PKT_PKiS9_iS4_
	.p2align	8
	.type	_Z35paged_attention_ll4mi_reduce_kernelI14__hip_bfloat16hLi128ELi128ELi256ELi16EEvPT0_PKfS4_PKT_PKiS9_iS4_,@function
_Z35paged_attention_ll4mi_reduce_kernelI14__hip_bfloat16hLi128ELi128ELi256ELi16EEvPT0_PKfS4_PKT_PKiS9_iS4_: ; @_Z35paged_attention_ll4mi_reduce_kernelI14__hip_bfloat16hLi128ELi128ELi256ELi16EEvPT0_PKfS4_PKT_PKiS9_iS4_
; %bb.0:
	s_get_pc_i64 s[2:3]
	s_add_nc_u64 s[2:3], s[2:3], __PRETTY_FUNCTION__._Z35paged_attention_ll4mi_reduce_kernelI14__hip_bfloat16hLi128ELi128ELi256ELi16EEvPT0_PKfS4_PKT_PKiS9_iS4_@rel64+4
	s_delay_alu instid0(SALU_CYCLE_1)
	v_dual_mov_b32 v0, 0xbdd :: v_dual_mov_b32 v1, s2
	v_mov_b32_e32 v2, s3
	s_add_nc_u64 s[8:9], s[0:1], 64
	s_get_pc_i64 s[0:1]
	s_add_nc_u64 s[0:1], s[0:1], __assert_fail@rel64+4
	s_mov_b32 s32, 0
	s_swap_pc_i64 s[30:31], s[0:1]
	.section	.rodata,"a",@progbits
	.p2align	6, 0x0
	.amdhsa_kernel _Z35paged_attention_ll4mi_reduce_kernelI14__hip_bfloat16hLi128ELi128ELi256ELi16EEvPT0_PKfS4_PKT_PKiS9_iS4_
		.amdhsa_group_segment_fixed_size 0
		.amdhsa_private_segment_fixed_size 64
		.amdhsa_kernarg_size 320
		.amdhsa_user_sgpr_count 2
		.amdhsa_user_sgpr_dispatch_ptr 0
		.amdhsa_user_sgpr_queue_ptr 0
		.amdhsa_user_sgpr_kernarg_segment_ptr 1
		.amdhsa_user_sgpr_dispatch_id 0
		.amdhsa_user_sgpr_kernarg_preload_length 0
		.amdhsa_user_sgpr_kernarg_preload_offset 0
		.amdhsa_user_sgpr_private_segment_size 0
		.amdhsa_wavefront_size32 1
		.amdhsa_uses_dynamic_stack 0
		.amdhsa_enable_private_segment 1
		.amdhsa_system_sgpr_workgroup_id_x 1
		.amdhsa_system_sgpr_workgroup_id_y 0
		.amdhsa_system_sgpr_workgroup_id_z 0
		.amdhsa_system_sgpr_workgroup_info 0
		.amdhsa_system_vgpr_workitem_id 0
		.amdhsa_next_free_vgpr 51
		.amdhsa_next_free_sgpr 34
		.amdhsa_named_barrier_count 0
		.amdhsa_reserve_vcc 1
		.amdhsa_float_round_mode_32 0
		.amdhsa_float_round_mode_16_64 0
		.amdhsa_float_denorm_mode_32 3
		.amdhsa_float_denorm_mode_16_64 3
		.amdhsa_fp16_overflow 0
		.amdhsa_memory_ordered 1
		.amdhsa_forward_progress 1
		.amdhsa_inst_pref_size 1
		.amdhsa_round_robin_scheduling 0
		.amdhsa_exception_fp_ieee_invalid_op 0
		.amdhsa_exception_fp_denorm_src 0
		.amdhsa_exception_fp_ieee_div_zero 0
		.amdhsa_exception_fp_ieee_overflow 0
		.amdhsa_exception_fp_ieee_underflow 0
		.amdhsa_exception_fp_ieee_inexact 0
		.amdhsa_exception_int_div_zero 0
	.end_amdhsa_kernel
	.section	.text._Z35paged_attention_ll4mi_reduce_kernelI14__hip_bfloat16hLi128ELi128ELi256ELi16EEvPT0_PKfS4_PKT_PKiS9_iS4_,"axG",@progbits,_Z35paged_attention_ll4mi_reduce_kernelI14__hip_bfloat16hLi128ELi128ELi256ELi16EEvPT0_PKfS4_PKT_PKiS9_iS4_,comdat
.Lfunc_end613:
	.size	_Z35paged_attention_ll4mi_reduce_kernelI14__hip_bfloat16hLi128ELi128ELi256ELi16EEvPT0_PKfS4_PKT_PKiS9_iS4_, .Lfunc_end613-_Z35paged_attention_ll4mi_reduce_kernelI14__hip_bfloat16hLi128ELi128ELi256ELi16EEvPT0_PKfS4_PKT_PKiS9_iS4_
                                        ; -- End function
	.set _Z35paged_attention_ll4mi_reduce_kernelI14__hip_bfloat16hLi128ELi128ELi256ELi16EEvPT0_PKfS4_PKT_PKiS9_iS4_.num_vgpr, max(3, .L__assert_fail.num_vgpr)
	.set _Z35paged_attention_ll4mi_reduce_kernelI14__hip_bfloat16hLi128ELi128ELi256ELi16EEvPT0_PKfS4_PKT_PKiS9_iS4_.num_agpr, max(0, .L__assert_fail.num_agpr)
	.set _Z35paged_attention_ll4mi_reduce_kernelI14__hip_bfloat16hLi128ELi128ELi256ELi16EEvPT0_PKfS4_PKT_PKiS9_iS4_.numbered_sgpr, max(33, .L__assert_fail.numbered_sgpr)
	.set _Z35paged_attention_ll4mi_reduce_kernelI14__hip_bfloat16hLi128ELi128ELi256ELi16EEvPT0_PKfS4_PKT_PKiS9_iS4_.num_named_barrier, max(0, .L__assert_fail.num_named_barrier)
	.set _Z35paged_attention_ll4mi_reduce_kernelI14__hip_bfloat16hLi128ELi128ELi256ELi16EEvPT0_PKfS4_PKT_PKiS9_iS4_.private_seg_size, 0+max(.L__assert_fail.private_seg_size)
	.set _Z35paged_attention_ll4mi_reduce_kernelI14__hip_bfloat16hLi128ELi128ELi256ELi16EEvPT0_PKfS4_PKT_PKiS9_iS4_.uses_vcc, or(1, .L__assert_fail.uses_vcc)
	.set _Z35paged_attention_ll4mi_reduce_kernelI14__hip_bfloat16hLi128ELi128ELi256ELi16EEvPT0_PKfS4_PKT_PKiS9_iS4_.uses_flat_scratch, or(0, .L__assert_fail.uses_flat_scratch)
	.set _Z35paged_attention_ll4mi_reduce_kernelI14__hip_bfloat16hLi128ELi128ELi256ELi16EEvPT0_PKfS4_PKT_PKiS9_iS4_.has_dyn_sized_stack, or(0, .L__assert_fail.has_dyn_sized_stack)
	.set _Z35paged_attention_ll4mi_reduce_kernelI14__hip_bfloat16hLi128ELi128ELi256ELi16EEvPT0_PKfS4_PKT_PKiS9_iS4_.has_recursion, or(0, .L__assert_fail.has_recursion)
	.set _Z35paged_attention_ll4mi_reduce_kernelI14__hip_bfloat16hLi128ELi128ELi256ELi16EEvPT0_PKfS4_PKT_PKiS9_iS4_.has_indirect_call, or(0, .L__assert_fail.has_indirect_call)
	.section	.AMDGPU.csdata,"",@progbits
; Kernel info:
; codeLenInByte = 64
; TotalNumSgprs: 36
; NumVgprs: 51
; ScratchSize: 64
; MemoryBound: 0
; FloatMode: 240
; IeeeMode: 1
; LDSByteSize: 0 bytes/workgroup (compile time only)
; SGPRBlocks: 0
; VGPRBlocks: 3
; NumSGPRsForWavesPerEU: 36
; NumVGPRsForWavesPerEU: 51
; NamedBarCnt: 0
; Occupancy: 16
; WaveLimiterHint : 1
; COMPUTE_PGM_RSRC2:SCRATCH_EN: 1
; COMPUTE_PGM_RSRC2:USER_SGPR: 2
; COMPUTE_PGM_RSRC2:TRAP_HANDLER: 0
; COMPUTE_PGM_RSRC2:TGID_X_EN: 1
; COMPUTE_PGM_RSRC2:TGID_Y_EN: 0
; COMPUTE_PGM_RSRC2:TGID_Z_EN: 0
; COMPUTE_PGM_RSRC2:TIDIG_COMP_CNT: 0
	.section	.text._Z38paged_attention_ll4mi_QKV_mfma4_kernelI14__hip_bfloat16S0_LN4vllm18Fp8KVCacheDataTypeE0EhLi16ELi128ELi256ELb0ELi1EEvPKT_PKT0_S8_ifPKiSA_SA_iPKfiiiPfSD_PS3_PT2_iSC_SC_,"axG",@progbits,_Z38paged_attention_ll4mi_QKV_mfma4_kernelI14__hip_bfloat16S0_LN4vllm18Fp8KVCacheDataTypeE0EhLi16ELi128ELi256ELb0ELi1EEvPKT_PKT0_S8_ifPKiSA_SA_iPKfiiiPfSD_PS3_PT2_iSC_SC_,comdat
	.protected	_Z38paged_attention_ll4mi_QKV_mfma4_kernelI14__hip_bfloat16S0_LN4vllm18Fp8KVCacheDataTypeE0EhLi16ELi128ELi256ELb0ELi1EEvPKT_PKT0_S8_ifPKiSA_SA_iPKfiiiPfSD_PS3_PT2_iSC_SC_ ; -- Begin function _Z38paged_attention_ll4mi_QKV_mfma4_kernelI14__hip_bfloat16S0_LN4vllm18Fp8KVCacheDataTypeE0EhLi16ELi128ELi256ELb0ELi1EEvPKT_PKT0_S8_ifPKiSA_SA_iPKfiiiPfSD_PS3_PT2_iSC_SC_
	.globl	_Z38paged_attention_ll4mi_QKV_mfma4_kernelI14__hip_bfloat16S0_LN4vllm18Fp8KVCacheDataTypeE0EhLi16ELi128ELi256ELb0ELi1EEvPKT_PKT0_S8_ifPKiSA_SA_iPKfiiiPfSD_PS3_PT2_iSC_SC_
	.p2align	8
	.type	_Z38paged_attention_ll4mi_QKV_mfma4_kernelI14__hip_bfloat16S0_LN4vllm18Fp8KVCacheDataTypeE0EhLi16ELi128ELi256ELb0ELi1EEvPKT_PKT0_S8_ifPKiSA_SA_iPKfiiiPfSD_PS3_PT2_iSC_SC_,@function
_Z38paged_attention_ll4mi_QKV_mfma4_kernelI14__hip_bfloat16S0_LN4vllm18Fp8KVCacheDataTypeE0EhLi16ELi128ELi256ELb0ELi1EEvPKT_PKT0_S8_ifPKiSA_SA_iPKfiiiPfSD_PS3_PT2_iSC_SC_: ; @_Z38paged_attention_ll4mi_QKV_mfma4_kernelI14__hip_bfloat16S0_LN4vllm18Fp8KVCacheDataTypeE0EhLi16ELi128ELi256ELb0ELi1EEvPKT_PKT0_S8_ifPKiSA_SA_iPKfiiiPfSD_PS3_PT2_iSC_SC_
; %bb.0:
	s_get_pc_i64 s[2:3]
	s_add_nc_u64 s[2:3], s[2:3], __PRETTY_FUNCTION__._Z38paged_attention_ll4mi_QKV_mfma4_kernelI14__hip_bfloat16S0_LN4vllm18Fp8KVCacheDataTypeE0EhLi16ELi128ELi256ELb0ELi1EEvPKT_PKT0_S8_ifPKiSA_SA_iPKfiiiPfSD_PS3_PT2_iSC_SC_@rel64+4
	s_delay_alu instid0(SALU_CYCLE_1)
	v_dual_mov_b32 v0, 0xbce :: v_dual_mov_b32 v1, s2
	v_mov_b32_e32 v2, s3
	s_add_nc_u64 s[8:9], s[0:1], 0x90
	s_get_pc_i64 s[0:1]
	s_add_nc_u64 s[0:1], s[0:1], __assert_fail@rel64+4
	s_mov_b32 s32, 0
	s_swap_pc_i64 s[30:31], s[0:1]
	.section	.rodata,"a",@progbits
	.p2align	6, 0x0
	.amdhsa_kernel _Z38paged_attention_ll4mi_QKV_mfma4_kernelI14__hip_bfloat16S0_LN4vllm18Fp8KVCacheDataTypeE0EhLi16ELi128ELi256ELb0ELi1EEvPKT_PKT0_S8_ifPKiSA_SA_iPKfiiiPfSD_PS3_PT2_iSC_SC_
		.amdhsa_group_segment_fixed_size 0
		.amdhsa_private_segment_fixed_size 64
		.amdhsa_kernarg_size 400
		.amdhsa_user_sgpr_count 2
		.amdhsa_user_sgpr_dispatch_ptr 0
		.amdhsa_user_sgpr_queue_ptr 0
		.amdhsa_user_sgpr_kernarg_segment_ptr 1
		.amdhsa_user_sgpr_dispatch_id 0
		.amdhsa_user_sgpr_kernarg_preload_length 0
		.amdhsa_user_sgpr_kernarg_preload_offset 0
		.amdhsa_user_sgpr_private_segment_size 0
		.amdhsa_wavefront_size32 1
		.amdhsa_uses_dynamic_stack 0
		.amdhsa_enable_private_segment 1
		.amdhsa_system_sgpr_workgroup_id_x 1
		.amdhsa_system_sgpr_workgroup_id_y 0
		.amdhsa_system_sgpr_workgroup_id_z 0
		.amdhsa_system_sgpr_workgroup_info 0
		.amdhsa_system_vgpr_workitem_id 0
		.amdhsa_next_free_vgpr 51
		.amdhsa_next_free_sgpr 34
		.amdhsa_named_barrier_count 0
		.amdhsa_reserve_vcc 1
		.amdhsa_float_round_mode_32 0
		.amdhsa_float_round_mode_16_64 0
		.amdhsa_float_denorm_mode_32 3
		.amdhsa_float_denorm_mode_16_64 3
		.amdhsa_fp16_overflow 0
		.amdhsa_memory_ordered 1
		.amdhsa_forward_progress 1
		.amdhsa_inst_pref_size 1
		.amdhsa_round_robin_scheduling 0
		.amdhsa_exception_fp_ieee_invalid_op 0
		.amdhsa_exception_fp_denorm_src 0
		.amdhsa_exception_fp_ieee_div_zero 0
		.amdhsa_exception_fp_ieee_overflow 0
		.amdhsa_exception_fp_ieee_underflow 0
		.amdhsa_exception_fp_ieee_inexact 0
		.amdhsa_exception_int_div_zero 0
	.end_amdhsa_kernel
	.section	.text._Z38paged_attention_ll4mi_QKV_mfma4_kernelI14__hip_bfloat16S0_LN4vllm18Fp8KVCacheDataTypeE0EhLi16ELi128ELi256ELb0ELi1EEvPKT_PKT0_S8_ifPKiSA_SA_iPKfiiiPfSD_PS3_PT2_iSC_SC_,"axG",@progbits,_Z38paged_attention_ll4mi_QKV_mfma4_kernelI14__hip_bfloat16S0_LN4vllm18Fp8KVCacheDataTypeE0EhLi16ELi128ELi256ELb0ELi1EEvPKT_PKT0_S8_ifPKiSA_SA_iPKfiiiPfSD_PS3_PT2_iSC_SC_,comdat
.Lfunc_end614:
	.size	_Z38paged_attention_ll4mi_QKV_mfma4_kernelI14__hip_bfloat16S0_LN4vllm18Fp8KVCacheDataTypeE0EhLi16ELi128ELi256ELb0ELi1EEvPKT_PKT0_S8_ifPKiSA_SA_iPKfiiiPfSD_PS3_PT2_iSC_SC_, .Lfunc_end614-_Z38paged_attention_ll4mi_QKV_mfma4_kernelI14__hip_bfloat16S0_LN4vllm18Fp8KVCacheDataTypeE0EhLi16ELi128ELi256ELb0ELi1EEvPKT_PKT0_S8_ifPKiSA_SA_iPKfiiiPfSD_PS3_PT2_iSC_SC_
                                        ; -- End function
	.set _Z38paged_attention_ll4mi_QKV_mfma4_kernelI14__hip_bfloat16S0_LN4vllm18Fp8KVCacheDataTypeE0EhLi16ELi128ELi256ELb0ELi1EEvPKT_PKT0_S8_ifPKiSA_SA_iPKfiiiPfSD_PS3_PT2_iSC_SC_.num_vgpr, max(3, .L__assert_fail.num_vgpr)
	.set _Z38paged_attention_ll4mi_QKV_mfma4_kernelI14__hip_bfloat16S0_LN4vllm18Fp8KVCacheDataTypeE0EhLi16ELi128ELi256ELb0ELi1EEvPKT_PKT0_S8_ifPKiSA_SA_iPKfiiiPfSD_PS3_PT2_iSC_SC_.num_agpr, max(0, .L__assert_fail.num_agpr)
	.set _Z38paged_attention_ll4mi_QKV_mfma4_kernelI14__hip_bfloat16S0_LN4vllm18Fp8KVCacheDataTypeE0EhLi16ELi128ELi256ELb0ELi1EEvPKT_PKT0_S8_ifPKiSA_SA_iPKfiiiPfSD_PS3_PT2_iSC_SC_.numbered_sgpr, max(33, .L__assert_fail.numbered_sgpr)
	.set _Z38paged_attention_ll4mi_QKV_mfma4_kernelI14__hip_bfloat16S0_LN4vllm18Fp8KVCacheDataTypeE0EhLi16ELi128ELi256ELb0ELi1EEvPKT_PKT0_S8_ifPKiSA_SA_iPKfiiiPfSD_PS3_PT2_iSC_SC_.num_named_barrier, max(0, .L__assert_fail.num_named_barrier)
	.set _Z38paged_attention_ll4mi_QKV_mfma4_kernelI14__hip_bfloat16S0_LN4vllm18Fp8KVCacheDataTypeE0EhLi16ELi128ELi256ELb0ELi1EEvPKT_PKT0_S8_ifPKiSA_SA_iPKfiiiPfSD_PS3_PT2_iSC_SC_.private_seg_size, 0+max(.L__assert_fail.private_seg_size)
	.set _Z38paged_attention_ll4mi_QKV_mfma4_kernelI14__hip_bfloat16S0_LN4vllm18Fp8KVCacheDataTypeE0EhLi16ELi128ELi256ELb0ELi1EEvPKT_PKT0_S8_ifPKiSA_SA_iPKfiiiPfSD_PS3_PT2_iSC_SC_.uses_vcc, or(1, .L__assert_fail.uses_vcc)
	.set _Z38paged_attention_ll4mi_QKV_mfma4_kernelI14__hip_bfloat16S0_LN4vllm18Fp8KVCacheDataTypeE0EhLi16ELi128ELi256ELb0ELi1EEvPKT_PKT0_S8_ifPKiSA_SA_iPKfiiiPfSD_PS3_PT2_iSC_SC_.uses_flat_scratch, or(0, .L__assert_fail.uses_flat_scratch)
	.set _Z38paged_attention_ll4mi_QKV_mfma4_kernelI14__hip_bfloat16S0_LN4vllm18Fp8KVCacheDataTypeE0EhLi16ELi128ELi256ELb0ELi1EEvPKT_PKT0_S8_ifPKiSA_SA_iPKfiiiPfSD_PS3_PT2_iSC_SC_.has_dyn_sized_stack, or(0, .L__assert_fail.has_dyn_sized_stack)
	.set _Z38paged_attention_ll4mi_QKV_mfma4_kernelI14__hip_bfloat16S0_LN4vllm18Fp8KVCacheDataTypeE0EhLi16ELi128ELi256ELb0ELi1EEvPKT_PKT0_S8_ifPKiSA_SA_iPKfiiiPfSD_PS3_PT2_iSC_SC_.has_recursion, or(0, .L__assert_fail.has_recursion)
	.set _Z38paged_attention_ll4mi_QKV_mfma4_kernelI14__hip_bfloat16S0_LN4vllm18Fp8KVCacheDataTypeE0EhLi16ELi128ELi256ELb0ELi1EEvPKT_PKT0_S8_ifPKiSA_SA_iPKfiiiPfSD_PS3_PT2_iSC_SC_.has_indirect_call, or(0, .L__assert_fail.has_indirect_call)
	.section	.AMDGPU.csdata,"",@progbits
; Kernel info:
; codeLenInByte = 68
; TotalNumSgprs: 36
; NumVgprs: 51
; ScratchSize: 64
; MemoryBound: 0
; FloatMode: 240
; IeeeMode: 1
; LDSByteSize: 0 bytes/workgroup (compile time only)
; SGPRBlocks: 0
; VGPRBlocks: 3
; NumSGPRsForWavesPerEU: 36
; NumVGPRsForWavesPerEU: 51
; NamedBarCnt: 0
; Occupancy: 16
; WaveLimiterHint : 1
; COMPUTE_PGM_RSRC2:SCRATCH_EN: 1
; COMPUTE_PGM_RSRC2:USER_SGPR: 2
; COMPUTE_PGM_RSRC2:TRAP_HANDLER: 0
; COMPUTE_PGM_RSRC2:TGID_X_EN: 1
; COMPUTE_PGM_RSRC2:TGID_Y_EN: 0
; COMPUTE_PGM_RSRC2:TGID_Z_EN: 0
; COMPUTE_PGM_RSRC2:TIDIG_COMP_CNT: 0
	.section	.text._Z38paged_attention_ll4mi_QKV_mfma4_kernelI14__hip_bfloat16S0_LN4vllm18Fp8KVCacheDataTypeE0EhLi16ELi128ELi256ELb0ELi2EEvPKT_PKT0_S8_ifPKiSA_SA_iPKfiiiPfSD_PS3_PT2_iSC_SC_,"axG",@progbits,_Z38paged_attention_ll4mi_QKV_mfma4_kernelI14__hip_bfloat16S0_LN4vllm18Fp8KVCacheDataTypeE0EhLi16ELi128ELi256ELb0ELi2EEvPKT_PKT0_S8_ifPKiSA_SA_iPKfiiiPfSD_PS3_PT2_iSC_SC_,comdat
	.protected	_Z38paged_attention_ll4mi_QKV_mfma4_kernelI14__hip_bfloat16S0_LN4vllm18Fp8KVCacheDataTypeE0EhLi16ELi128ELi256ELb0ELi2EEvPKT_PKT0_S8_ifPKiSA_SA_iPKfiiiPfSD_PS3_PT2_iSC_SC_ ; -- Begin function _Z38paged_attention_ll4mi_QKV_mfma4_kernelI14__hip_bfloat16S0_LN4vllm18Fp8KVCacheDataTypeE0EhLi16ELi128ELi256ELb0ELi2EEvPKT_PKT0_S8_ifPKiSA_SA_iPKfiiiPfSD_PS3_PT2_iSC_SC_
	.globl	_Z38paged_attention_ll4mi_QKV_mfma4_kernelI14__hip_bfloat16S0_LN4vllm18Fp8KVCacheDataTypeE0EhLi16ELi128ELi256ELb0ELi2EEvPKT_PKT0_S8_ifPKiSA_SA_iPKfiiiPfSD_PS3_PT2_iSC_SC_
	.p2align	8
	.type	_Z38paged_attention_ll4mi_QKV_mfma4_kernelI14__hip_bfloat16S0_LN4vllm18Fp8KVCacheDataTypeE0EhLi16ELi128ELi256ELb0ELi2EEvPKT_PKT0_S8_ifPKiSA_SA_iPKfiiiPfSD_PS3_PT2_iSC_SC_,@function
_Z38paged_attention_ll4mi_QKV_mfma4_kernelI14__hip_bfloat16S0_LN4vllm18Fp8KVCacheDataTypeE0EhLi16ELi128ELi256ELb0ELi2EEvPKT_PKT0_S8_ifPKiSA_SA_iPKfiiiPfSD_PS3_PT2_iSC_SC_: ; @_Z38paged_attention_ll4mi_QKV_mfma4_kernelI14__hip_bfloat16S0_LN4vllm18Fp8KVCacheDataTypeE0EhLi16ELi128ELi256ELb0ELi2EEvPKT_PKT0_S8_ifPKiSA_SA_iPKfiiiPfSD_PS3_PT2_iSC_SC_
; %bb.0:
	s_get_pc_i64 s[2:3]
	s_add_nc_u64 s[2:3], s[2:3], __PRETTY_FUNCTION__._Z38paged_attention_ll4mi_QKV_mfma4_kernelI14__hip_bfloat16S0_LN4vllm18Fp8KVCacheDataTypeE0EhLi16ELi128ELi256ELb0ELi2EEvPKT_PKT0_S8_ifPKiSA_SA_iPKfiiiPfSD_PS3_PT2_iSC_SC_@rel64+4
	s_delay_alu instid0(SALU_CYCLE_1)
	v_dual_mov_b32 v0, 0xbce :: v_dual_mov_b32 v1, s2
	v_mov_b32_e32 v2, s3
	s_add_nc_u64 s[8:9], s[0:1], 0x90
	s_get_pc_i64 s[0:1]
	s_add_nc_u64 s[0:1], s[0:1], __assert_fail@rel64+4
	s_mov_b32 s32, 0
	s_swap_pc_i64 s[30:31], s[0:1]
	.section	.rodata,"a",@progbits
	.p2align	6, 0x0
	.amdhsa_kernel _Z38paged_attention_ll4mi_QKV_mfma4_kernelI14__hip_bfloat16S0_LN4vllm18Fp8KVCacheDataTypeE0EhLi16ELi128ELi256ELb0ELi2EEvPKT_PKT0_S8_ifPKiSA_SA_iPKfiiiPfSD_PS3_PT2_iSC_SC_
		.amdhsa_group_segment_fixed_size 0
		.amdhsa_private_segment_fixed_size 64
		.amdhsa_kernarg_size 400
		.amdhsa_user_sgpr_count 2
		.amdhsa_user_sgpr_dispatch_ptr 0
		.amdhsa_user_sgpr_queue_ptr 0
		.amdhsa_user_sgpr_kernarg_segment_ptr 1
		.amdhsa_user_sgpr_dispatch_id 0
		.amdhsa_user_sgpr_kernarg_preload_length 0
		.amdhsa_user_sgpr_kernarg_preload_offset 0
		.amdhsa_user_sgpr_private_segment_size 0
		.amdhsa_wavefront_size32 1
		.amdhsa_uses_dynamic_stack 0
		.amdhsa_enable_private_segment 1
		.amdhsa_system_sgpr_workgroup_id_x 1
		.amdhsa_system_sgpr_workgroup_id_y 0
		.amdhsa_system_sgpr_workgroup_id_z 0
		.amdhsa_system_sgpr_workgroup_info 0
		.amdhsa_system_vgpr_workitem_id 0
		.amdhsa_next_free_vgpr 51
		.amdhsa_next_free_sgpr 34
		.amdhsa_named_barrier_count 0
		.amdhsa_reserve_vcc 1
		.amdhsa_float_round_mode_32 0
		.amdhsa_float_round_mode_16_64 0
		.amdhsa_float_denorm_mode_32 3
		.amdhsa_float_denorm_mode_16_64 3
		.amdhsa_fp16_overflow 0
		.amdhsa_memory_ordered 1
		.amdhsa_forward_progress 1
		.amdhsa_inst_pref_size 1
		.amdhsa_round_robin_scheduling 0
		.amdhsa_exception_fp_ieee_invalid_op 0
		.amdhsa_exception_fp_denorm_src 0
		.amdhsa_exception_fp_ieee_div_zero 0
		.amdhsa_exception_fp_ieee_overflow 0
		.amdhsa_exception_fp_ieee_underflow 0
		.amdhsa_exception_fp_ieee_inexact 0
		.amdhsa_exception_int_div_zero 0
	.end_amdhsa_kernel
	.section	.text._Z38paged_attention_ll4mi_QKV_mfma4_kernelI14__hip_bfloat16S0_LN4vllm18Fp8KVCacheDataTypeE0EhLi16ELi128ELi256ELb0ELi2EEvPKT_PKT0_S8_ifPKiSA_SA_iPKfiiiPfSD_PS3_PT2_iSC_SC_,"axG",@progbits,_Z38paged_attention_ll4mi_QKV_mfma4_kernelI14__hip_bfloat16S0_LN4vllm18Fp8KVCacheDataTypeE0EhLi16ELi128ELi256ELb0ELi2EEvPKT_PKT0_S8_ifPKiSA_SA_iPKfiiiPfSD_PS3_PT2_iSC_SC_,comdat
.Lfunc_end615:
	.size	_Z38paged_attention_ll4mi_QKV_mfma4_kernelI14__hip_bfloat16S0_LN4vllm18Fp8KVCacheDataTypeE0EhLi16ELi128ELi256ELb0ELi2EEvPKT_PKT0_S8_ifPKiSA_SA_iPKfiiiPfSD_PS3_PT2_iSC_SC_, .Lfunc_end615-_Z38paged_attention_ll4mi_QKV_mfma4_kernelI14__hip_bfloat16S0_LN4vllm18Fp8KVCacheDataTypeE0EhLi16ELi128ELi256ELb0ELi2EEvPKT_PKT0_S8_ifPKiSA_SA_iPKfiiiPfSD_PS3_PT2_iSC_SC_
                                        ; -- End function
	.set _Z38paged_attention_ll4mi_QKV_mfma4_kernelI14__hip_bfloat16S0_LN4vllm18Fp8KVCacheDataTypeE0EhLi16ELi128ELi256ELb0ELi2EEvPKT_PKT0_S8_ifPKiSA_SA_iPKfiiiPfSD_PS3_PT2_iSC_SC_.num_vgpr, max(3, .L__assert_fail.num_vgpr)
	.set _Z38paged_attention_ll4mi_QKV_mfma4_kernelI14__hip_bfloat16S0_LN4vllm18Fp8KVCacheDataTypeE0EhLi16ELi128ELi256ELb0ELi2EEvPKT_PKT0_S8_ifPKiSA_SA_iPKfiiiPfSD_PS3_PT2_iSC_SC_.num_agpr, max(0, .L__assert_fail.num_agpr)
	.set _Z38paged_attention_ll4mi_QKV_mfma4_kernelI14__hip_bfloat16S0_LN4vllm18Fp8KVCacheDataTypeE0EhLi16ELi128ELi256ELb0ELi2EEvPKT_PKT0_S8_ifPKiSA_SA_iPKfiiiPfSD_PS3_PT2_iSC_SC_.numbered_sgpr, max(33, .L__assert_fail.numbered_sgpr)
	.set _Z38paged_attention_ll4mi_QKV_mfma4_kernelI14__hip_bfloat16S0_LN4vllm18Fp8KVCacheDataTypeE0EhLi16ELi128ELi256ELb0ELi2EEvPKT_PKT0_S8_ifPKiSA_SA_iPKfiiiPfSD_PS3_PT2_iSC_SC_.num_named_barrier, max(0, .L__assert_fail.num_named_barrier)
	.set _Z38paged_attention_ll4mi_QKV_mfma4_kernelI14__hip_bfloat16S0_LN4vllm18Fp8KVCacheDataTypeE0EhLi16ELi128ELi256ELb0ELi2EEvPKT_PKT0_S8_ifPKiSA_SA_iPKfiiiPfSD_PS3_PT2_iSC_SC_.private_seg_size, 0+max(.L__assert_fail.private_seg_size)
	.set _Z38paged_attention_ll4mi_QKV_mfma4_kernelI14__hip_bfloat16S0_LN4vllm18Fp8KVCacheDataTypeE0EhLi16ELi128ELi256ELb0ELi2EEvPKT_PKT0_S8_ifPKiSA_SA_iPKfiiiPfSD_PS3_PT2_iSC_SC_.uses_vcc, or(1, .L__assert_fail.uses_vcc)
	.set _Z38paged_attention_ll4mi_QKV_mfma4_kernelI14__hip_bfloat16S0_LN4vllm18Fp8KVCacheDataTypeE0EhLi16ELi128ELi256ELb0ELi2EEvPKT_PKT0_S8_ifPKiSA_SA_iPKfiiiPfSD_PS3_PT2_iSC_SC_.uses_flat_scratch, or(0, .L__assert_fail.uses_flat_scratch)
	.set _Z38paged_attention_ll4mi_QKV_mfma4_kernelI14__hip_bfloat16S0_LN4vllm18Fp8KVCacheDataTypeE0EhLi16ELi128ELi256ELb0ELi2EEvPKT_PKT0_S8_ifPKiSA_SA_iPKfiiiPfSD_PS3_PT2_iSC_SC_.has_dyn_sized_stack, or(0, .L__assert_fail.has_dyn_sized_stack)
	.set _Z38paged_attention_ll4mi_QKV_mfma4_kernelI14__hip_bfloat16S0_LN4vllm18Fp8KVCacheDataTypeE0EhLi16ELi128ELi256ELb0ELi2EEvPKT_PKT0_S8_ifPKiSA_SA_iPKfiiiPfSD_PS3_PT2_iSC_SC_.has_recursion, or(0, .L__assert_fail.has_recursion)
	.set _Z38paged_attention_ll4mi_QKV_mfma4_kernelI14__hip_bfloat16S0_LN4vllm18Fp8KVCacheDataTypeE0EhLi16ELi128ELi256ELb0ELi2EEvPKT_PKT0_S8_ifPKiSA_SA_iPKfiiiPfSD_PS3_PT2_iSC_SC_.has_indirect_call, or(0, .L__assert_fail.has_indirect_call)
	.section	.AMDGPU.csdata,"",@progbits
; Kernel info:
; codeLenInByte = 68
; TotalNumSgprs: 36
; NumVgprs: 51
; ScratchSize: 64
; MemoryBound: 0
; FloatMode: 240
; IeeeMode: 1
; LDSByteSize: 0 bytes/workgroup (compile time only)
; SGPRBlocks: 0
; VGPRBlocks: 3
; NumSGPRsForWavesPerEU: 36
; NumVGPRsForWavesPerEU: 51
; NamedBarCnt: 0
; Occupancy: 16
; WaveLimiterHint : 1
; COMPUTE_PGM_RSRC2:SCRATCH_EN: 1
; COMPUTE_PGM_RSRC2:USER_SGPR: 2
; COMPUTE_PGM_RSRC2:TRAP_HANDLER: 0
; COMPUTE_PGM_RSRC2:TGID_X_EN: 1
; COMPUTE_PGM_RSRC2:TGID_Y_EN: 0
; COMPUTE_PGM_RSRC2:TGID_Z_EN: 0
; COMPUTE_PGM_RSRC2:TIDIG_COMP_CNT: 0
	.section	.text._Z38paged_attention_ll4mi_QKV_mfma4_kernelI14__hip_bfloat16S0_LN4vllm18Fp8KVCacheDataTypeE0EhLi16ELi128ELi256ELb0ELi3EEvPKT_PKT0_S8_ifPKiSA_SA_iPKfiiiPfSD_PS3_PT2_iSC_SC_,"axG",@progbits,_Z38paged_attention_ll4mi_QKV_mfma4_kernelI14__hip_bfloat16S0_LN4vllm18Fp8KVCacheDataTypeE0EhLi16ELi128ELi256ELb0ELi3EEvPKT_PKT0_S8_ifPKiSA_SA_iPKfiiiPfSD_PS3_PT2_iSC_SC_,comdat
	.protected	_Z38paged_attention_ll4mi_QKV_mfma4_kernelI14__hip_bfloat16S0_LN4vllm18Fp8KVCacheDataTypeE0EhLi16ELi128ELi256ELb0ELi3EEvPKT_PKT0_S8_ifPKiSA_SA_iPKfiiiPfSD_PS3_PT2_iSC_SC_ ; -- Begin function _Z38paged_attention_ll4mi_QKV_mfma4_kernelI14__hip_bfloat16S0_LN4vllm18Fp8KVCacheDataTypeE0EhLi16ELi128ELi256ELb0ELi3EEvPKT_PKT0_S8_ifPKiSA_SA_iPKfiiiPfSD_PS3_PT2_iSC_SC_
	.globl	_Z38paged_attention_ll4mi_QKV_mfma4_kernelI14__hip_bfloat16S0_LN4vllm18Fp8KVCacheDataTypeE0EhLi16ELi128ELi256ELb0ELi3EEvPKT_PKT0_S8_ifPKiSA_SA_iPKfiiiPfSD_PS3_PT2_iSC_SC_
	.p2align	8
	.type	_Z38paged_attention_ll4mi_QKV_mfma4_kernelI14__hip_bfloat16S0_LN4vllm18Fp8KVCacheDataTypeE0EhLi16ELi128ELi256ELb0ELi3EEvPKT_PKT0_S8_ifPKiSA_SA_iPKfiiiPfSD_PS3_PT2_iSC_SC_,@function
_Z38paged_attention_ll4mi_QKV_mfma4_kernelI14__hip_bfloat16S0_LN4vllm18Fp8KVCacheDataTypeE0EhLi16ELi128ELi256ELb0ELi3EEvPKT_PKT0_S8_ifPKiSA_SA_iPKfiiiPfSD_PS3_PT2_iSC_SC_: ; @_Z38paged_attention_ll4mi_QKV_mfma4_kernelI14__hip_bfloat16S0_LN4vllm18Fp8KVCacheDataTypeE0EhLi16ELi128ELi256ELb0ELi3EEvPKT_PKT0_S8_ifPKiSA_SA_iPKfiiiPfSD_PS3_PT2_iSC_SC_
; %bb.0:
	s_get_pc_i64 s[2:3]
	s_add_nc_u64 s[2:3], s[2:3], __PRETTY_FUNCTION__._Z38paged_attention_ll4mi_QKV_mfma4_kernelI14__hip_bfloat16S0_LN4vllm18Fp8KVCacheDataTypeE0EhLi16ELi128ELi256ELb0ELi3EEvPKT_PKT0_S8_ifPKiSA_SA_iPKfiiiPfSD_PS3_PT2_iSC_SC_@rel64+4
	s_delay_alu instid0(SALU_CYCLE_1)
	v_dual_mov_b32 v0, 0xbce :: v_dual_mov_b32 v1, s2
	v_mov_b32_e32 v2, s3
	s_add_nc_u64 s[8:9], s[0:1], 0x90
	s_get_pc_i64 s[0:1]
	s_add_nc_u64 s[0:1], s[0:1], __assert_fail@rel64+4
	s_mov_b32 s32, 0
	s_swap_pc_i64 s[30:31], s[0:1]
	.section	.rodata,"a",@progbits
	.p2align	6, 0x0
	.amdhsa_kernel _Z38paged_attention_ll4mi_QKV_mfma4_kernelI14__hip_bfloat16S0_LN4vllm18Fp8KVCacheDataTypeE0EhLi16ELi128ELi256ELb0ELi3EEvPKT_PKT0_S8_ifPKiSA_SA_iPKfiiiPfSD_PS3_PT2_iSC_SC_
		.amdhsa_group_segment_fixed_size 0
		.amdhsa_private_segment_fixed_size 64
		.amdhsa_kernarg_size 400
		.amdhsa_user_sgpr_count 2
		.amdhsa_user_sgpr_dispatch_ptr 0
		.amdhsa_user_sgpr_queue_ptr 0
		.amdhsa_user_sgpr_kernarg_segment_ptr 1
		.amdhsa_user_sgpr_dispatch_id 0
		.amdhsa_user_sgpr_kernarg_preload_length 0
		.amdhsa_user_sgpr_kernarg_preload_offset 0
		.amdhsa_user_sgpr_private_segment_size 0
		.amdhsa_wavefront_size32 1
		.amdhsa_uses_dynamic_stack 0
		.amdhsa_enable_private_segment 1
		.amdhsa_system_sgpr_workgroup_id_x 1
		.amdhsa_system_sgpr_workgroup_id_y 0
		.amdhsa_system_sgpr_workgroup_id_z 0
		.amdhsa_system_sgpr_workgroup_info 0
		.amdhsa_system_vgpr_workitem_id 0
		.amdhsa_next_free_vgpr 51
		.amdhsa_next_free_sgpr 34
		.amdhsa_named_barrier_count 0
		.amdhsa_reserve_vcc 1
		.amdhsa_float_round_mode_32 0
		.amdhsa_float_round_mode_16_64 0
		.amdhsa_float_denorm_mode_32 3
		.amdhsa_float_denorm_mode_16_64 3
		.amdhsa_fp16_overflow 0
		.amdhsa_memory_ordered 1
		.amdhsa_forward_progress 1
		.amdhsa_inst_pref_size 1
		.amdhsa_round_robin_scheduling 0
		.amdhsa_exception_fp_ieee_invalid_op 0
		.amdhsa_exception_fp_denorm_src 0
		.amdhsa_exception_fp_ieee_div_zero 0
		.amdhsa_exception_fp_ieee_overflow 0
		.amdhsa_exception_fp_ieee_underflow 0
		.amdhsa_exception_fp_ieee_inexact 0
		.amdhsa_exception_int_div_zero 0
	.end_amdhsa_kernel
	.section	.text._Z38paged_attention_ll4mi_QKV_mfma4_kernelI14__hip_bfloat16S0_LN4vllm18Fp8KVCacheDataTypeE0EhLi16ELi128ELi256ELb0ELi3EEvPKT_PKT0_S8_ifPKiSA_SA_iPKfiiiPfSD_PS3_PT2_iSC_SC_,"axG",@progbits,_Z38paged_attention_ll4mi_QKV_mfma4_kernelI14__hip_bfloat16S0_LN4vllm18Fp8KVCacheDataTypeE0EhLi16ELi128ELi256ELb0ELi3EEvPKT_PKT0_S8_ifPKiSA_SA_iPKfiiiPfSD_PS3_PT2_iSC_SC_,comdat
.Lfunc_end616:
	.size	_Z38paged_attention_ll4mi_QKV_mfma4_kernelI14__hip_bfloat16S0_LN4vllm18Fp8KVCacheDataTypeE0EhLi16ELi128ELi256ELb0ELi3EEvPKT_PKT0_S8_ifPKiSA_SA_iPKfiiiPfSD_PS3_PT2_iSC_SC_, .Lfunc_end616-_Z38paged_attention_ll4mi_QKV_mfma4_kernelI14__hip_bfloat16S0_LN4vllm18Fp8KVCacheDataTypeE0EhLi16ELi128ELi256ELb0ELi3EEvPKT_PKT0_S8_ifPKiSA_SA_iPKfiiiPfSD_PS3_PT2_iSC_SC_
                                        ; -- End function
	.set _Z38paged_attention_ll4mi_QKV_mfma4_kernelI14__hip_bfloat16S0_LN4vllm18Fp8KVCacheDataTypeE0EhLi16ELi128ELi256ELb0ELi3EEvPKT_PKT0_S8_ifPKiSA_SA_iPKfiiiPfSD_PS3_PT2_iSC_SC_.num_vgpr, max(3, .L__assert_fail.num_vgpr)
	.set _Z38paged_attention_ll4mi_QKV_mfma4_kernelI14__hip_bfloat16S0_LN4vllm18Fp8KVCacheDataTypeE0EhLi16ELi128ELi256ELb0ELi3EEvPKT_PKT0_S8_ifPKiSA_SA_iPKfiiiPfSD_PS3_PT2_iSC_SC_.num_agpr, max(0, .L__assert_fail.num_agpr)
	.set _Z38paged_attention_ll4mi_QKV_mfma4_kernelI14__hip_bfloat16S0_LN4vllm18Fp8KVCacheDataTypeE0EhLi16ELi128ELi256ELb0ELi3EEvPKT_PKT0_S8_ifPKiSA_SA_iPKfiiiPfSD_PS3_PT2_iSC_SC_.numbered_sgpr, max(33, .L__assert_fail.numbered_sgpr)
	.set _Z38paged_attention_ll4mi_QKV_mfma4_kernelI14__hip_bfloat16S0_LN4vllm18Fp8KVCacheDataTypeE0EhLi16ELi128ELi256ELb0ELi3EEvPKT_PKT0_S8_ifPKiSA_SA_iPKfiiiPfSD_PS3_PT2_iSC_SC_.num_named_barrier, max(0, .L__assert_fail.num_named_barrier)
	.set _Z38paged_attention_ll4mi_QKV_mfma4_kernelI14__hip_bfloat16S0_LN4vllm18Fp8KVCacheDataTypeE0EhLi16ELi128ELi256ELb0ELi3EEvPKT_PKT0_S8_ifPKiSA_SA_iPKfiiiPfSD_PS3_PT2_iSC_SC_.private_seg_size, 0+max(.L__assert_fail.private_seg_size)
	.set _Z38paged_attention_ll4mi_QKV_mfma4_kernelI14__hip_bfloat16S0_LN4vllm18Fp8KVCacheDataTypeE0EhLi16ELi128ELi256ELb0ELi3EEvPKT_PKT0_S8_ifPKiSA_SA_iPKfiiiPfSD_PS3_PT2_iSC_SC_.uses_vcc, or(1, .L__assert_fail.uses_vcc)
	.set _Z38paged_attention_ll4mi_QKV_mfma4_kernelI14__hip_bfloat16S0_LN4vllm18Fp8KVCacheDataTypeE0EhLi16ELi128ELi256ELb0ELi3EEvPKT_PKT0_S8_ifPKiSA_SA_iPKfiiiPfSD_PS3_PT2_iSC_SC_.uses_flat_scratch, or(0, .L__assert_fail.uses_flat_scratch)
	.set _Z38paged_attention_ll4mi_QKV_mfma4_kernelI14__hip_bfloat16S0_LN4vllm18Fp8KVCacheDataTypeE0EhLi16ELi128ELi256ELb0ELi3EEvPKT_PKT0_S8_ifPKiSA_SA_iPKfiiiPfSD_PS3_PT2_iSC_SC_.has_dyn_sized_stack, or(0, .L__assert_fail.has_dyn_sized_stack)
	.set _Z38paged_attention_ll4mi_QKV_mfma4_kernelI14__hip_bfloat16S0_LN4vllm18Fp8KVCacheDataTypeE0EhLi16ELi128ELi256ELb0ELi3EEvPKT_PKT0_S8_ifPKiSA_SA_iPKfiiiPfSD_PS3_PT2_iSC_SC_.has_recursion, or(0, .L__assert_fail.has_recursion)
	.set _Z38paged_attention_ll4mi_QKV_mfma4_kernelI14__hip_bfloat16S0_LN4vllm18Fp8KVCacheDataTypeE0EhLi16ELi128ELi256ELb0ELi3EEvPKT_PKT0_S8_ifPKiSA_SA_iPKfiiiPfSD_PS3_PT2_iSC_SC_.has_indirect_call, or(0, .L__assert_fail.has_indirect_call)
	.section	.AMDGPU.csdata,"",@progbits
; Kernel info:
; codeLenInByte = 68
; TotalNumSgprs: 36
; NumVgprs: 51
; ScratchSize: 64
; MemoryBound: 0
; FloatMode: 240
; IeeeMode: 1
; LDSByteSize: 0 bytes/workgroup (compile time only)
; SGPRBlocks: 0
; VGPRBlocks: 3
; NumSGPRsForWavesPerEU: 36
; NumVGPRsForWavesPerEU: 51
; NamedBarCnt: 0
; Occupancy: 16
; WaveLimiterHint : 1
; COMPUTE_PGM_RSRC2:SCRATCH_EN: 1
; COMPUTE_PGM_RSRC2:USER_SGPR: 2
; COMPUTE_PGM_RSRC2:TRAP_HANDLER: 0
; COMPUTE_PGM_RSRC2:TGID_X_EN: 1
; COMPUTE_PGM_RSRC2:TGID_Y_EN: 0
; COMPUTE_PGM_RSRC2:TGID_Z_EN: 0
; COMPUTE_PGM_RSRC2:TIDIG_COMP_CNT: 0
	.section	.text._Z38paged_attention_ll4mi_QKV_mfma4_kernelI14__hip_bfloat16S0_LN4vllm18Fp8KVCacheDataTypeE0EhLi16ELi128ELi256ELb0ELi4EEvPKT_PKT0_S8_ifPKiSA_SA_iPKfiiiPfSD_PS3_PT2_iSC_SC_,"axG",@progbits,_Z38paged_attention_ll4mi_QKV_mfma4_kernelI14__hip_bfloat16S0_LN4vllm18Fp8KVCacheDataTypeE0EhLi16ELi128ELi256ELb0ELi4EEvPKT_PKT0_S8_ifPKiSA_SA_iPKfiiiPfSD_PS3_PT2_iSC_SC_,comdat
	.protected	_Z38paged_attention_ll4mi_QKV_mfma4_kernelI14__hip_bfloat16S0_LN4vllm18Fp8KVCacheDataTypeE0EhLi16ELi128ELi256ELb0ELi4EEvPKT_PKT0_S8_ifPKiSA_SA_iPKfiiiPfSD_PS3_PT2_iSC_SC_ ; -- Begin function _Z38paged_attention_ll4mi_QKV_mfma4_kernelI14__hip_bfloat16S0_LN4vllm18Fp8KVCacheDataTypeE0EhLi16ELi128ELi256ELb0ELi4EEvPKT_PKT0_S8_ifPKiSA_SA_iPKfiiiPfSD_PS3_PT2_iSC_SC_
	.globl	_Z38paged_attention_ll4mi_QKV_mfma4_kernelI14__hip_bfloat16S0_LN4vllm18Fp8KVCacheDataTypeE0EhLi16ELi128ELi256ELb0ELi4EEvPKT_PKT0_S8_ifPKiSA_SA_iPKfiiiPfSD_PS3_PT2_iSC_SC_
	.p2align	8
	.type	_Z38paged_attention_ll4mi_QKV_mfma4_kernelI14__hip_bfloat16S0_LN4vllm18Fp8KVCacheDataTypeE0EhLi16ELi128ELi256ELb0ELi4EEvPKT_PKT0_S8_ifPKiSA_SA_iPKfiiiPfSD_PS3_PT2_iSC_SC_,@function
_Z38paged_attention_ll4mi_QKV_mfma4_kernelI14__hip_bfloat16S0_LN4vllm18Fp8KVCacheDataTypeE0EhLi16ELi128ELi256ELb0ELi4EEvPKT_PKT0_S8_ifPKiSA_SA_iPKfiiiPfSD_PS3_PT2_iSC_SC_: ; @_Z38paged_attention_ll4mi_QKV_mfma4_kernelI14__hip_bfloat16S0_LN4vllm18Fp8KVCacheDataTypeE0EhLi16ELi128ELi256ELb0ELi4EEvPKT_PKT0_S8_ifPKiSA_SA_iPKfiiiPfSD_PS3_PT2_iSC_SC_
; %bb.0:
	s_get_pc_i64 s[2:3]
	s_add_nc_u64 s[2:3], s[2:3], __PRETTY_FUNCTION__._Z38paged_attention_ll4mi_QKV_mfma4_kernelI14__hip_bfloat16S0_LN4vllm18Fp8KVCacheDataTypeE0EhLi16ELi128ELi256ELb0ELi4EEvPKT_PKT0_S8_ifPKiSA_SA_iPKfiiiPfSD_PS3_PT2_iSC_SC_@rel64+4
	s_delay_alu instid0(SALU_CYCLE_1)
	v_dual_mov_b32 v0, 0xbce :: v_dual_mov_b32 v1, s2
	v_mov_b32_e32 v2, s3
	s_add_nc_u64 s[8:9], s[0:1], 0x90
	s_get_pc_i64 s[0:1]
	s_add_nc_u64 s[0:1], s[0:1], __assert_fail@rel64+4
	s_mov_b32 s32, 0
	s_swap_pc_i64 s[30:31], s[0:1]
	.section	.rodata,"a",@progbits
	.p2align	6, 0x0
	.amdhsa_kernel _Z38paged_attention_ll4mi_QKV_mfma4_kernelI14__hip_bfloat16S0_LN4vllm18Fp8KVCacheDataTypeE0EhLi16ELi128ELi256ELb0ELi4EEvPKT_PKT0_S8_ifPKiSA_SA_iPKfiiiPfSD_PS3_PT2_iSC_SC_
		.amdhsa_group_segment_fixed_size 0
		.amdhsa_private_segment_fixed_size 64
		.amdhsa_kernarg_size 400
		.amdhsa_user_sgpr_count 2
		.amdhsa_user_sgpr_dispatch_ptr 0
		.amdhsa_user_sgpr_queue_ptr 0
		.amdhsa_user_sgpr_kernarg_segment_ptr 1
		.amdhsa_user_sgpr_dispatch_id 0
		.amdhsa_user_sgpr_kernarg_preload_length 0
		.amdhsa_user_sgpr_kernarg_preload_offset 0
		.amdhsa_user_sgpr_private_segment_size 0
		.amdhsa_wavefront_size32 1
		.amdhsa_uses_dynamic_stack 0
		.amdhsa_enable_private_segment 1
		.amdhsa_system_sgpr_workgroup_id_x 1
		.amdhsa_system_sgpr_workgroup_id_y 0
		.amdhsa_system_sgpr_workgroup_id_z 0
		.amdhsa_system_sgpr_workgroup_info 0
		.amdhsa_system_vgpr_workitem_id 0
		.amdhsa_next_free_vgpr 51
		.amdhsa_next_free_sgpr 34
		.amdhsa_named_barrier_count 0
		.amdhsa_reserve_vcc 1
		.amdhsa_float_round_mode_32 0
		.amdhsa_float_round_mode_16_64 0
		.amdhsa_float_denorm_mode_32 3
		.amdhsa_float_denorm_mode_16_64 3
		.amdhsa_fp16_overflow 0
		.amdhsa_memory_ordered 1
		.amdhsa_forward_progress 1
		.amdhsa_inst_pref_size 1
		.amdhsa_round_robin_scheduling 0
		.amdhsa_exception_fp_ieee_invalid_op 0
		.amdhsa_exception_fp_denorm_src 0
		.amdhsa_exception_fp_ieee_div_zero 0
		.amdhsa_exception_fp_ieee_overflow 0
		.amdhsa_exception_fp_ieee_underflow 0
		.amdhsa_exception_fp_ieee_inexact 0
		.amdhsa_exception_int_div_zero 0
	.end_amdhsa_kernel
	.section	.text._Z38paged_attention_ll4mi_QKV_mfma4_kernelI14__hip_bfloat16S0_LN4vllm18Fp8KVCacheDataTypeE0EhLi16ELi128ELi256ELb0ELi4EEvPKT_PKT0_S8_ifPKiSA_SA_iPKfiiiPfSD_PS3_PT2_iSC_SC_,"axG",@progbits,_Z38paged_attention_ll4mi_QKV_mfma4_kernelI14__hip_bfloat16S0_LN4vllm18Fp8KVCacheDataTypeE0EhLi16ELi128ELi256ELb0ELi4EEvPKT_PKT0_S8_ifPKiSA_SA_iPKfiiiPfSD_PS3_PT2_iSC_SC_,comdat
.Lfunc_end617:
	.size	_Z38paged_attention_ll4mi_QKV_mfma4_kernelI14__hip_bfloat16S0_LN4vllm18Fp8KVCacheDataTypeE0EhLi16ELi128ELi256ELb0ELi4EEvPKT_PKT0_S8_ifPKiSA_SA_iPKfiiiPfSD_PS3_PT2_iSC_SC_, .Lfunc_end617-_Z38paged_attention_ll4mi_QKV_mfma4_kernelI14__hip_bfloat16S0_LN4vllm18Fp8KVCacheDataTypeE0EhLi16ELi128ELi256ELb0ELi4EEvPKT_PKT0_S8_ifPKiSA_SA_iPKfiiiPfSD_PS3_PT2_iSC_SC_
                                        ; -- End function
	.set _Z38paged_attention_ll4mi_QKV_mfma4_kernelI14__hip_bfloat16S0_LN4vllm18Fp8KVCacheDataTypeE0EhLi16ELi128ELi256ELb0ELi4EEvPKT_PKT0_S8_ifPKiSA_SA_iPKfiiiPfSD_PS3_PT2_iSC_SC_.num_vgpr, max(3, .L__assert_fail.num_vgpr)
	.set _Z38paged_attention_ll4mi_QKV_mfma4_kernelI14__hip_bfloat16S0_LN4vllm18Fp8KVCacheDataTypeE0EhLi16ELi128ELi256ELb0ELi4EEvPKT_PKT0_S8_ifPKiSA_SA_iPKfiiiPfSD_PS3_PT2_iSC_SC_.num_agpr, max(0, .L__assert_fail.num_agpr)
	.set _Z38paged_attention_ll4mi_QKV_mfma4_kernelI14__hip_bfloat16S0_LN4vllm18Fp8KVCacheDataTypeE0EhLi16ELi128ELi256ELb0ELi4EEvPKT_PKT0_S8_ifPKiSA_SA_iPKfiiiPfSD_PS3_PT2_iSC_SC_.numbered_sgpr, max(33, .L__assert_fail.numbered_sgpr)
	.set _Z38paged_attention_ll4mi_QKV_mfma4_kernelI14__hip_bfloat16S0_LN4vllm18Fp8KVCacheDataTypeE0EhLi16ELi128ELi256ELb0ELi4EEvPKT_PKT0_S8_ifPKiSA_SA_iPKfiiiPfSD_PS3_PT2_iSC_SC_.num_named_barrier, max(0, .L__assert_fail.num_named_barrier)
	.set _Z38paged_attention_ll4mi_QKV_mfma4_kernelI14__hip_bfloat16S0_LN4vllm18Fp8KVCacheDataTypeE0EhLi16ELi128ELi256ELb0ELi4EEvPKT_PKT0_S8_ifPKiSA_SA_iPKfiiiPfSD_PS3_PT2_iSC_SC_.private_seg_size, 0+max(.L__assert_fail.private_seg_size)
	.set _Z38paged_attention_ll4mi_QKV_mfma4_kernelI14__hip_bfloat16S0_LN4vllm18Fp8KVCacheDataTypeE0EhLi16ELi128ELi256ELb0ELi4EEvPKT_PKT0_S8_ifPKiSA_SA_iPKfiiiPfSD_PS3_PT2_iSC_SC_.uses_vcc, or(1, .L__assert_fail.uses_vcc)
	.set _Z38paged_attention_ll4mi_QKV_mfma4_kernelI14__hip_bfloat16S0_LN4vllm18Fp8KVCacheDataTypeE0EhLi16ELi128ELi256ELb0ELi4EEvPKT_PKT0_S8_ifPKiSA_SA_iPKfiiiPfSD_PS3_PT2_iSC_SC_.uses_flat_scratch, or(0, .L__assert_fail.uses_flat_scratch)
	.set _Z38paged_attention_ll4mi_QKV_mfma4_kernelI14__hip_bfloat16S0_LN4vllm18Fp8KVCacheDataTypeE0EhLi16ELi128ELi256ELb0ELi4EEvPKT_PKT0_S8_ifPKiSA_SA_iPKfiiiPfSD_PS3_PT2_iSC_SC_.has_dyn_sized_stack, or(0, .L__assert_fail.has_dyn_sized_stack)
	.set _Z38paged_attention_ll4mi_QKV_mfma4_kernelI14__hip_bfloat16S0_LN4vllm18Fp8KVCacheDataTypeE0EhLi16ELi128ELi256ELb0ELi4EEvPKT_PKT0_S8_ifPKiSA_SA_iPKfiiiPfSD_PS3_PT2_iSC_SC_.has_recursion, or(0, .L__assert_fail.has_recursion)
	.set _Z38paged_attention_ll4mi_QKV_mfma4_kernelI14__hip_bfloat16S0_LN4vllm18Fp8KVCacheDataTypeE0EhLi16ELi128ELi256ELb0ELi4EEvPKT_PKT0_S8_ifPKiSA_SA_iPKfiiiPfSD_PS3_PT2_iSC_SC_.has_indirect_call, or(0, .L__assert_fail.has_indirect_call)
	.section	.AMDGPU.csdata,"",@progbits
; Kernel info:
; codeLenInByte = 68
; TotalNumSgprs: 36
; NumVgprs: 51
; ScratchSize: 64
; MemoryBound: 0
; FloatMode: 240
; IeeeMode: 1
; LDSByteSize: 0 bytes/workgroup (compile time only)
; SGPRBlocks: 0
; VGPRBlocks: 3
; NumSGPRsForWavesPerEU: 36
; NumVGPRsForWavesPerEU: 51
; NamedBarCnt: 0
; Occupancy: 16
; WaveLimiterHint : 1
; COMPUTE_PGM_RSRC2:SCRATCH_EN: 1
; COMPUTE_PGM_RSRC2:USER_SGPR: 2
; COMPUTE_PGM_RSRC2:TRAP_HANDLER: 0
; COMPUTE_PGM_RSRC2:TGID_X_EN: 1
; COMPUTE_PGM_RSRC2:TGID_Y_EN: 0
; COMPUTE_PGM_RSRC2:TGID_Z_EN: 0
; COMPUTE_PGM_RSRC2:TIDIG_COMP_CNT: 0
	.section	.text._Z39paged_attention_ll4mi_QKV_mfma16_kernelI14__hip_bfloat16S0_LN4vllm18Fp8KVCacheDataTypeE0EhLi16ELi128ELi256ELb0ELi5EEvPKT_PKT0_S8_ifPKiSA_SA_iPKfiiiPfSD_PS3_PT2_iSC_SC_,"axG",@progbits,_Z39paged_attention_ll4mi_QKV_mfma16_kernelI14__hip_bfloat16S0_LN4vllm18Fp8KVCacheDataTypeE0EhLi16ELi128ELi256ELb0ELi5EEvPKT_PKT0_S8_ifPKiSA_SA_iPKfiiiPfSD_PS3_PT2_iSC_SC_,comdat
	.protected	_Z39paged_attention_ll4mi_QKV_mfma16_kernelI14__hip_bfloat16S0_LN4vllm18Fp8KVCacheDataTypeE0EhLi16ELi128ELi256ELb0ELi5EEvPKT_PKT0_S8_ifPKiSA_SA_iPKfiiiPfSD_PS3_PT2_iSC_SC_ ; -- Begin function _Z39paged_attention_ll4mi_QKV_mfma16_kernelI14__hip_bfloat16S0_LN4vllm18Fp8KVCacheDataTypeE0EhLi16ELi128ELi256ELb0ELi5EEvPKT_PKT0_S8_ifPKiSA_SA_iPKfiiiPfSD_PS3_PT2_iSC_SC_
	.globl	_Z39paged_attention_ll4mi_QKV_mfma16_kernelI14__hip_bfloat16S0_LN4vllm18Fp8KVCacheDataTypeE0EhLi16ELi128ELi256ELb0ELi5EEvPKT_PKT0_S8_ifPKiSA_SA_iPKfiiiPfSD_PS3_PT2_iSC_SC_
	.p2align	8
	.type	_Z39paged_attention_ll4mi_QKV_mfma16_kernelI14__hip_bfloat16S0_LN4vllm18Fp8KVCacheDataTypeE0EhLi16ELi128ELi256ELb0ELi5EEvPKT_PKT0_S8_ifPKiSA_SA_iPKfiiiPfSD_PS3_PT2_iSC_SC_,@function
_Z39paged_attention_ll4mi_QKV_mfma16_kernelI14__hip_bfloat16S0_LN4vllm18Fp8KVCacheDataTypeE0EhLi16ELi128ELi256ELb0ELi5EEvPKT_PKT0_S8_ifPKiSA_SA_iPKfiiiPfSD_PS3_PT2_iSC_SC_: ; @_Z39paged_attention_ll4mi_QKV_mfma16_kernelI14__hip_bfloat16S0_LN4vllm18Fp8KVCacheDataTypeE0EhLi16ELi128ELi256ELb0ELi5EEvPKT_PKT0_S8_ifPKiSA_SA_iPKfiiiPfSD_PS3_PT2_iSC_SC_
; %bb.0:
	s_get_pc_i64 s[2:3]
	s_add_nc_u64 s[2:3], s[2:3], __PRETTY_FUNCTION__._Z39paged_attention_ll4mi_QKV_mfma16_kernelI14__hip_bfloat16S0_LN4vllm18Fp8KVCacheDataTypeE0EhLi16ELi128ELi256ELb0ELi5EEvPKT_PKT0_S8_ifPKiSA_SA_iPKfiiiPfSD_PS3_PT2_iSC_SC_@rel64+4
	s_delay_alu instid0(SALU_CYCLE_1)
	v_dual_mov_b32 v0, 0xbb3 :: v_dual_mov_b32 v1, s2
	v_mov_b32_e32 v2, s3
	s_add_nc_u64 s[8:9], s[0:1], 0x90
	s_get_pc_i64 s[0:1]
	s_add_nc_u64 s[0:1], s[0:1], __assert_fail@rel64+4
	s_mov_b32 s32, 0
	s_swap_pc_i64 s[30:31], s[0:1]
	.section	.rodata,"a",@progbits
	.p2align	6, 0x0
	.amdhsa_kernel _Z39paged_attention_ll4mi_QKV_mfma16_kernelI14__hip_bfloat16S0_LN4vllm18Fp8KVCacheDataTypeE0EhLi16ELi128ELi256ELb0ELi5EEvPKT_PKT0_S8_ifPKiSA_SA_iPKfiiiPfSD_PS3_PT2_iSC_SC_
		.amdhsa_group_segment_fixed_size 0
		.amdhsa_private_segment_fixed_size 64
		.amdhsa_kernarg_size 400
		.amdhsa_user_sgpr_count 2
		.amdhsa_user_sgpr_dispatch_ptr 0
		.amdhsa_user_sgpr_queue_ptr 0
		.amdhsa_user_sgpr_kernarg_segment_ptr 1
		.amdhsa_user_sgpr_dispatch_id 0
		.amdhsa_user_sgpr_kernarg_preload_length 0
		.amdhsa_user_sgpr_kernarg_preload_offset 0
		.amdhsa_user_sgpr_private_segment_size 0
		.amdhsa_wavefront_size32 1
		.amdhsa_uses_dynamic_stack 0
		.amdhsa_enable_private_segment 1
		.amdhsa_system_sgpr_workgroup_id_x 1
		.amdhsa_system_sgpr_workgroup_id_y 0
		.amdhsa_system_sgpr_workgroup_id_z 0
		.amdhsa_system_sgpr_workgroup_info 0
		.amdhsa_system_vgpr_workitem_id 0
		.amdhsa_next_free_vgpr 51
		.amdhsa_next_free_sgpr 34
		.amdhsa_named_barrier_count 0
		.amdhsa_reserve_vcc 1
		.amdhsa_float_round_mode_32 0
		.amdhsa_float_round_mode_16_64 0
		.amdhsa_float_denorm_mode_32 3
		.amdhsa_float_denorm_mode_16_64 3
		.amdhsa_fp16_overflow 0
		.amdhsa_memory_ordered 1
		.amdhsa_forward_progress 1
		.amdhsa_inst_pref_size 1
		.amdhsa_round_robin_scheduling 0
		.amdhsa_exception_fp_ieee_invalid_op 0
		.amdhsa_exception_fp_denorm_src 0
		.amdhsa_exception_fp_ieee_div_zero 0
		.amdhsa_exception_fp_ieee_overflow 0
		.amdhsa_exception_fp_ieee_underflow 0
		.amdhsa_exception_fp_ieee_inexact 0
		.amdhsa_exception_int_div_zero 0
	.end_amdhsa_kernel
	.section	.text._Z39paged_attention_ll4mi_QKV_mfma16_kernelI14__hip_bfloat16S0_LN4vllm18Fp8KVCacheDataTypeE0EhLi16ELi128ELi256ELb0ELi5EEvPKT_PKT0_S8_ifPKiSA_SA_iPKfiiiPfSD_PS3_PT2_iSC_SC_,"axG",@progbits,_Z39paged_attention_ll4mi_QKV_mfma16_kernelI14__hip_bfloat16S0_LN4vllm18Fp8KVCacheDataTypeE0EhLi16ELi128ELi256ELb0ELi5EEvPKT_PKT0_S8_ifPKiSA_SA_iPKfiiiPfSD_PS3_PT2_iSC_SC_,comdat
.Lfunc_end618:
	.size	_Z39paged_attention_ll4mi_QKV_mfma16_kernelI14__hip_bfloat16S0_LN4vllm18Fp8KVCacheDataTypeE0EhLi16ELi128ELi256ELb0ELi5EEvPKT_PKT0_S8_ifPKiSA_SA_iPKfiiiPfSD_PS3_PT2_iSC_SC_, .Lfunc_end618-_Z39paged_attention_ll4mi_QKV_mfma16_kernelI14__hip_bfloat16S0_LN4vllm18Fp8KVCacheDataTypeE0EhLi16ELi128ELi256ELb0ELi5EEvPKT_PKT0_S8_ifPKiSA_SA_iPKfiiiPfSD_PS3_PT2_iSC_SC_
                                        ; -- End function
	.set _Z39paged_attention_ll4mi_QKV_mfma16_kernelI14__hip_bfloat16S0_LN4vllm18Fp8KVCacheDataTypeE0EhLi16ELi128ELi256ELb0ELi5EEvPKT_PKT0_S8_ifPKiSA_SA_iPKfiiiPfSD_PS3_PT2_iSC_SC_.num_vgpr, max(3, .L__assert_fail.num_vgpr)
	.set _Z39paged_attention_ll4mi_QKV_mfma16_kernelI14__hip_bfloat16S0_LN4vllm18Fp8KVCacheDataTypeE0EhLi16ELi128ELi256ELb0ELi5EEvPKT_PKT0_S8_ifPKiSA_SA_iPKfiiiPfSD_PS3_PT2_iSC_SC_.num_agpr, max(0, .L__assert_fail.num_agpr)
	.set _Z39paged_attention_ll4mi_QKV_mfma16_kernelI14__hip_bfloat16S0_LN4vllm18Fp8KVCacheDataTypeE0EhLi16ELi128ELi256ELb0ELi5EEvPKT_PKT0_S8_ifPKiSA_SA_iPKfiiiPfSD_PS3_PT2_iSC_SC_.numbered_sgpr, max(33, .L__assert_fail.numbered_sgpr)
	.set _Z39paged_attention_ll4mi_QKV_mfma16_kernelI14__hip_bfloat16S0_LN4vllm18Fp8KVCacheDataTypeE0EhLi16ELi128ELi256ELb0ELi5EEvPKT_PKT0_S8_ifPKiSA_SA_iPKfiiiPfSD_PS3_PT2_iSC_SC_.num_named_barrier, max(0, .L__assert_fail.num_named_barrier)
	.set _Z39paged_attention_ll4mi_QKV_mfma16_kernelI14__hip_bfloat16S0_LN4vllm18Fp8KVCacheDataTypeE0EhLi16ELi128ELi256ELb0ELi5EEvPKT_PKT0_S8_ifPKiSA_SA_iPKfiiiPfSD_PS3_PT2_iSC_SC_.private_seg_size, 0+max(.L__assert_fail.private_seg_size)
	.set _Z39paged_attention_ll4mi_QKV_mfma16_kernelI14__hip_bfloat16S0_LN4vllm18Fp8KVCacheDataTypeE0EhLi16ELi128ELi256ELb0ELi5EEvPKT_PKT0_S8_ifPKiSA_SA_iPKfiiiPfSD_PS3_PT2_iSC_SC_.uses_vcc, or(1, .L__assert_fail.uses_vcc)
	.set _Z39paged_attention_ll4mi_QKV_mfma16_kernelI14__hip_bfloat16S0_LN4vllm18Fp8KVCacheDataTypeE0EhLi16ELi128ELi256ELb0ELi5EEvPKT_PKT0_S8_ifPKiSA_SA_iPKfiiiPfSD_PS3_PT2_iSC_SC_.uses_flat_scratch, or(0, .L__assert_fail.uses_flat_scratch)
	.set _Z39paged_attention_ll4mi_QKV_mfma16_kernelI14__hip_bfloat16S0_LN4vllm18Fp8KVCacheDataTypeE0EhLi16ELi128ELi256ELb0ELi5EEvPKT_PKT0_S8_ifPKiSA_SA_iPKfiiiPfSD_PS3_PT2_iSC_SC_.has_dyn_sized_stack, or(0, .L__assert_fail.has_dyn_sized_stack)
	.set _Z39paged_attention_ll4mi_QKV_mfma16_kernelI14__hip_bfloat16S0_LN4vllm18Fp8KVCacheDataTypeE0EhLi16ELi128ELi256ELb0ELi5EEvPKT_PKT0_S8_ifPKiSA_SA_iPKfiiiPfSD_PS3_PT2_iSC_SC_.has_recursion, or(0, .L__assert_fail.has_recursion)
	.set _Z39paged_attention_ll4mi_QKV_mfma16_kernelI14__hip_bfloat16S0_LN4vllm18Fp8KVCacheDataTypeE0EhLi16ELi128ELi256ELb0ELi5EEvPKT_PKT0_S8_ifPKiSA_SA_iPKfiiiPfSD_PS3_PT2_iSC_SC_.has_indirect_call, or(0, .L__assert_fail.has_indirect_call)
	.section	.AMDGPU.csdata,"",@progbits
; Kernel info:
; codeLenInByte = 68
; TotalNumSgprs: 36
; NumVgprs: 51
; ScratchSize: 64
; MemoryBound: 0
; FloatMode: 240
; IeeeMode: 1
; LDSByteSize: 0 bytes/workgroup (compile time only)
; SGPRBlocks: 0
; VGPRBlocks: 3
; NumSGPRsForWavesPerEU: 36
; NumVGPRsForWavesPerEU: 51
; NamedBarCnt: 0
; Occupancy: 16
; WaveLimiterHint : 1
; COMPUTE_PGM_RSRC2:SCRATCH_EN: 1
; COMPUTE_PGM_RSRC2:USER_SGPR: 2
; COMPUTE_PGM_RSRC2:TRAP_HANDLER: 0
; COMPUTE_PGM_RSRC2:TGID_X_EN: 1
; COMPUTE_PGM_RSRC2:TGID_Y_EN: 0
; COMPUTE_PGM_RSRC2:TGID_Z_EN: 0
; COMPUTE_PGM_RSRC2:TIDIG_COMP_CNT: 0
	.section	.text._Z39paged_attention_ll4mi_QKV_mfma16_kernelI14__hip_bfloat16S0_LN4vllm18Fp8KVCacheDataTypeE0EhLi16ELi128ELi256ELb0ELi6EEvPKT_PKT0_S8_ifPKiSA_SA_iPKfiiiPfSD_PS3_PT2_iSC_SC_,"axG",@progbits,_Z39paged_attention_ll4mi_QKV_mfma16_kernelI14__hip_bfloat16S0_LN4vllm18Fp8KVCacheDataTypeE0EhLi16ELi128ELi256ELb0ELi6EEvPKT_PKT0_S8_ifPKiSA_SA_iPKfiiiPfSD_PS3_PT2_iSC_SC_,comdat
	.protected	_Z39paged_attention_ll4mi_QKV_mfma16_kernelI14__hip_bfloat16S0_LN4vllm18Fp8KVCacheDataTypeE0EhLi16ELi128ELi256ELb0ELi6EEvPKT_PKT0_S8_ifPKiSA_SA_iPKfiiiPfSD_PS3_PT2_iSC_SC_ ; -- Begin function _Z39paged_attention_ll4mi_QKV_mfma16_kernelI14__hip_bfloat16S0_LN4vllm18Fp8KVCacheDataTypeE0EhLi16ELi128ELi256ELb0ELi6EEvPKT_PKT0_S8_ifPKiSA_SA_iPKfiiiPfSD_PS3_PT2_iSC_SC_
	.globl	_Z39paged_attention_ll4mi_QKV_mfma16_kernelI14__hip_bfloat16S0_LN4vllm18Fp8KVCacheDataTypeE0EhLi16ELi128ELi256ELb0ELi6EEvPKT_PKT0_S8_ifPKiSA_SA_iPKfiiiPfSD_PS3_PT2_iSC_SC_
	.p2align	8
	.type	_Z39paged_attention_ll4mi_QKV_mfma16_kernelI14__hip_bfloat16S0_LN4vllm18Fp8KVCacheDataTypeE0EhLi16ELi128ELi256ELb0ELi6EEvPKT_PKT0_S8_ifPKiSA_SA_iPKfiiiPfSD_PS3_PT2_iSC_SC_,@function
_Z39paged_attention_ll4mi_QKV_mfma16_kernelI14__hip_bfloat16S0_LN4vllm18Fp8KVCacheDataTypeE0EhLi16ELi128ELi256ELb0ELi6EEvPKT_PKT0_S8_ifPKiSA_SA_iPKfiiiPfSD_PS3_PT2_iSC_SC_: ; @_Z39paged_attention_ll4mi_QKV_mfma16_kernelI14__hip_bfloat16S0_LN4vllm18Fp8KVCacheDataTypeE0EhLi16ELi128ELi256ELb0ELi6EEvPKT_PKT0_S8_ifPKiSA_SA_iPKfiiiPfSD_PS3_PT2_iSC_SC_
; %bb.0:
	s_get_pc_i64 s[2:3]
	s_add_nc_u64 s[2:3], s[2:3], __PRETTY_FUNCTION__._Z39paged_attention_ll4mi_QKV_mfma16_kernelI14__hip_bfloat16S0_LN4vllm18Fp8KVCacheDataTypeE0EhLi16ELi128ELi256ELb0ELi6EEvPKT_PKT0_S8_ifPKiSA_SA_iPKfiiiPfSD_PS3_PT2_iSC_SC_@rel64+4
	s_delay_alu instid0(SALU_CYCLE_1)
	v_dual_mov_b32 v0, 0xbb3 :: v_dual_mov_b32 v1, s2
	v_mov_b32_e32 v2, s3
	s_add_nc_u64 s[8:9], s[0:1], 0x90
	s_get_pc_i64 s[0:1]
	s_add_nc_u64 s[0:1], s[0:1], __assert_fail@rel64+4
	s_mov_b32 s32, 0
	s_swap_pc_i64 s[30:31], s[0:1]
	.section	.rodata,"a",@progbits
	.p2align	6, 0x0
	.amdhsa_kernel _Z39paged_attention_ll4mi_QKV_mfma16_kernelI14__hip_bfloat16S0_LN4vllm18Fp8KVCacheDataTypeE0EhLi16ELi128ELi256ELb0ELi6EEvPKT_PKT0_S8_ifPKiSA_SA_iPKfiiiPfSD_PS3_PT2_iSC_SC_
		.amdhsa_group_segment_fixed_size 0
		.amdhsa_private_segment_fixed_size 64
		.amdhsa_kernarg_size 400
		.amdhsa_user_sgpr_count 2
		.amdhsa_user_sgpr_dispatch_ptr 0
		.amdhsa_user_sgpr_queue_ptr 0
		.amdhsa_user_sgpr_kernarg_segment_ptr 1
		.amdhsa_user_sgpr_dispatch_id 0
		.amdhsa_user_sgpr_kernarg_preload_length 0
		.amdhsa_user_sgpr_kernarg_preload_offset 0
		.amdhsa_user_sgpr_private_segment_size 0
		.amdhsa_wavefront_size32 1
		.amdhsa_uses_dynamic_stack 0
		.amdhsa_enable_private_segment 1
		.amdhsa_system_sgpr_workgroup_id_x 1
		.amdhsa_system_sgpr_workgroup_id_y 0
		.amdhsa_system_sgpr_workgroup_id_z 0
		.amdhsa_system_sgpr_workgroup_info 0
		.amdhsa_system_vgpr_workitem_id 0
		.amdhsa_next_free_vgpr 51
		.amdhsa_next_free_sgpr 34
		.amdhsa_named_barrier_count 0
		.amdhsa_reserve_vcc 1
		.amdhsa_float_round_mode_32 0
		.amdhsa_float_round_mode_16_64 0
		.amdhsa_float_denorm_mode_32 3
		.amdhsa_float_denorm_mode_16_64 3
		.amdhsa_fp16_overflow 0
		.amdhsa_memory_ordered 1
		.amdhsa_forward_progress 1
		.amdhsa_inst_pref_size 1
		.amdhsa_round_robin_scheduling 0
		.amdhsa_exception_fp_ieee_invalid_op 0
		.amdhsa_exception_fp_denorm_src 0
		.amdhsa_exception_fp_ieee_div_zero 0
		.amdhsa_exception_fp_ieee_overflow 0
		.amdhsa_exception_fp_ieee_underflow 0
		.amdhsa_exception_fp_ieee_inexact 0
		.amdhsa_exception_int_div_zero 0
	.end_amdhsa_kernel
	.section	.text._Z39paged_attention_ll4mi_QKV_mfma16_kernelI14__hip_bfloat16S0_LN4vllm18Fp8KVCacheDataTypeE0EhLi16ELi128ELi256ELb0ELi6EEvPKT_PKT0_S8_ifPKiSA_SA_iPKfiiiPfSD_PS3_PT2_iSC_SC_,"axG",@progbits,_Z39paged_attention_ll4mi_QKV_mfma16_kernelI14__hip_bfloat16S0_LN4vllm18Fp8KVCacheDataTypeE0EhLi16ELi128ELi256ELb0ELi6EEvPKT_PKT0_S8_ifPKiSA_SA_iPKfiiiPfSD_PS3_PT2_iSC_SC_,comdat
.Lfunc_end619:
	.size	_Z39paged_attention_ll4mi_QKV_mfma16_kernelI14__hip_bfloat16S0_LN4vllm18Fp8KVCacheDataTypeE0EhLi16ELi128ELi256ELb0ELi6EEvPKT_PKT0_S8_ifPKiSA_SA_iPKfiiiPfSD_PS3_PT2_iSC_SC_, .Lfunc_end619-_Z39paged_attention_ll4mi_QKV_mfma16_kernelI14__hip_bfloat16S0_LN4vllm18Fp8KVCacheDataTypeE0EhLi16ELi128ELi256ELb0ELi6EEvPKT_PKT0_S8_ifPKiSA_SA_iPKfiiiPfSD_PS3_PT2_iSC_SC_
                                        ; -- End function
	.set _Z39paged_attention_ll4mi_QKV_mfma16_kernelI14__hip_bfloat16S0_LN4vllm18Fp8KVCacheDataTypeE0EhLi16ELi128ELi256ELb0ELi6EEvPKT_PKT0_S8_ifPKiSA_SA_iPKfiiiPfSD_PS3_PT2_iSC_SC_.num_vgpr, max(3, .L__assert_fail.num_vgpr)
	.set _Z39paged_attention_ll4mi_QKV_mfma16_kernelI14__hip_bfloat16S0_LN4vllm18Fp8KVCacheDataTypeE0EhLi16ELi128ELi256ELb0ELi6EEvPKT_PKT0_S8_ifPKiSA_SA_iPKfiiiPfSD_PS3_PT2_iSC_SC_.num_agpr, max(0, .L__assert_fail.num_agpr)
	.set _Z39paged_attention_ll4mi_QKV_mfma16_kernelI14__hip_bfloat16S0_LN4vllm18Fp8KVCacheDataTypeE0EhLi16ELi128ELi256ELb0ELi6EEvPKT_PKT0_S8_ifPKiSA_SA_iPKfiiiPfSD_PS3_PT2_iSC_SC_.numbered_sgpr, max(33, .L__assert_fail.numbered_sgpr)
	.set _Z39paged_attention_ll4mi_QKV_mfma16_kernelI14__hip_bfloat16S0_LN4vllm18Fp8KVCacheDataTypeE0EhLi16ELi128ELi256ELb0ELi6EEvPKT_PKT0_S8_ifPKiSA_SA_iPKfiiiPfSD_PS3_PT2_iSC_SC_.num_named_barrier, max(0, .L__assert_fail.num_named_barrier)
	.set _Z39paged_attention_ll4mi_QKV_mfma16_kernelI14__hip_bfloat16S0_LN4vllm18Fp8KVCacheDataTypeE0EhLi16ELi128ELi256ELb0ELi6EEvPKT_PKT0_S8_ifPKiSA_SA_iPKfiiiPfSD_PS3_PT2_iSC_SC_.private_seg_size, 0+max(.L__assert_fail.private_seg_size)
	.set _Z39paged_attention_ll4mi_QKV_mfma16_kernelI14__hip_bfloat16S0_LN4vllm18Fp8KVCacheDataTypeE0EhLi16ELi128ELi256ELb0ELi6EEvPKT_PKT0_S8_ifPKiSA_SA_iPKfiiiPfSD_PS3_PT2_iSC_SC_.uses_vcc, or(1, .L__assert_fail.uses_vcc)
	.set _Z39paged_attention_ll4mi_QKV_mfma16_kernelI14__hip_bfloat16S0_LN4vllm18Fp8KVCacheDataTypeE0EhLi16ELi128ELi256ELb0ELi6EEvPKT_PKT0_S8_ifPKiSA_SA_iPKfiiiPfSD_PS3_PT2_iSC_SC_.uses_flat_scratch, or(0, .L__assert_fail.uses_flat_scratch)
	.set _Z39paged_attention_ll4mi_QKV_mfma16_kernelI14__hip_bfloat16S0_LN4vllm18Fp8KVCacheDataTypeE0EhLi16ELi128ELi256ELb0ELi6EEvPKT_PKT0_S8_ifPKiSA_SA_iPKfiiiPfSD_PS3_PT2_iSC_SC_.has_dyn_sized_stack, or(0, .L__assert_fail.has_dyn_sized_stack)
	.set _Z39paged_attention_ll4mi_QKV_mfma16_kernelI14__hip_bfloat16S0_LN4vllm18Fp8KVCacheDataTypeE0EhLi16ELi128ELi256ELb0ELi6EEvPKT_PKT0_S8_ifPKiSA_SA_iPKfiiiPfSD_PS3_PT2_iSC_SC_.has_recursion, or(0, .L__assert_fail.has_recursion)
	.set _Z39paged_attention_ll4mi_QKV_mfma16_kernelI14__hip_bfloat16S0_LN4vllm18Fp8KVCacheDataTypeE0EhLi16ELi128ELi256ELb0ELi6EEvPKT_PKT0_S8_ifPKiSA_SA_iPKfiiiPfSD_PS3_PT2_iSC_SC_.has_indirect_call, or(0, .L__assert_fail.has_indirect_call)
	.section	.AMDGPU.csdata,"",@progbits
; Kernel info:
; codeLenInByte = 68
; TotalNumSgprs: 36
; NumVgprs: 51
; ScratchSize: 64
; MemoryBound: 0
; FloatMode: 240
; IeeeMode: 1
; LDSByteSize: 0 bytes/workgroup (compile time only)
; SGPRBlocks: 0
; VGPRBlocks: 3
; NumSGPRsForWavesPerEU: 36
; NumVGPRsForWavesPerEU: 51
; NamedBarCnt: 0
; Occupancy: 16
; WaveLimiterHint : 1
; COMPUTE_PGM_RSRC2:SCRATCH_EN: 1
; COMPUTE_PGM_RSRC2:USER_SGPR: 2
; COMPUTE_PGM_RSRC2:TRAP_HANDLER: 0
; COMPUTE_PGM_RSRC2:TGID_X_EN: 1
; COMPUTE_PGM_RSRC2:TGID_Y_EN: 0
; COMPUTE_PGM_RSRC2:TGID_Z_EN: 0
; COMPUTE_PGM_RSRC2:TIDIG_COMP_CNT: 0
	.section	.text._Z39paged_attention_ll4mi_QKV_mfma16_kernelI14__hip_bfloat16S0_LN4vllm18Fp8KVCacheDataTypeE0EhLi16ELi128ELi256ELb0ELi7EEvPKT_PKT0_S8_ifPKiSA_SA_iPKfiiiPfSD_PS3_PT2_iSC_SC_,"axG",@progbits,_Z39paged_attention_ll4mi_QKV_mfma16_kernelI14__hip_bfloat16S0_LN4vllm18Fp8KVCacheDataTypeE0EhLi16ELi128ELi256ELb0ELi7EEvPKT_PKT0_S8_ifPKiSA_SA_iPKfiiiPfSD_PS3_PT2_iSC_SC_,comdat
	.protected	_Z39paged_attention_ll4mi_QKV_mfma16_kernelI14__hip_bfloat16S0_LN4vllm18Fp8KVCacheDataTypeE0EhLi16ELi128ELi256ELb0ELi7EEvPKT_PKT0_S8_ifPKiSA_SA_iPKfiiiPfSD_PS3_PT2_iSC_SC_ ; -- Begin function _Z39paged_attention_ll4mi_QKV_mfma16_kernelI14__hip_bfloat16S0_LN4vllm18Fp8KVCacheDataTypeE0EhLi16ELi128ELi256ELb0ELi7EEvPKT_PKT0_S8_ifPKiSA_SA_iPKfiiiPfSD_PS3_PT2_iSC_SC_
	.globl	_Z39paged_attention_ll4mi_QKV_mfma16_kernelI14__hip_bfloat16S0_LN4vllm18Fp8KVCacheDataTypeE0EhLi16ELi128ELi256ELb0ELi7EEvPKT_PKT0_S8_ifPKiSA_SA_iPKfiiiPfSD_PS3_PT2_iSC_SC_
	.p2align	8
	.type	_Z39paged_attention_ll4mi_QKV_mfma16_kernelI14__hip_bfloat16S0_LN4vllm18Fp8KVCacheDataTypeE0EhLi16ELi128ELi256ELb0ELi7EEvPKT_PKT0_S8_ifPKiSA_SA_iPKfiiiPfSD_PS3_PT2_iSC_SC_,@function
_Z39paged_attention_ll4mi_QKV_mfma16_kernelI14__hip_bfloat16S0_LN4vllm18Fp8KVCacheDataTypeE0EhLi16ELi128ELi256ELb0ELi7EEvPKT_PKT0_S8_ifPKiSA_SA_iPKfiiiPfSD_PS3_PT2_iSC_SC_: ; @_Z39paged_attention_ll4mi_QKV_mfma16_kernelI14__hip_bfloat16S0_LN4vllm18Fp8KVCacheDataTypeE0EhLi16ELi128ELi256ELb0ELi7EEvPKT_PKT0_S8_ifPKiSA_SA_iPKfiiiPfSD_PS3_PT2_iSC_SC_
; %bb.0:
	s_get_pc_i64 s[2:3]
	s_add_nc_u64 s[2:3], s[2:3], __PRETTY_FUNCTION__._Z39paged_attention_ll4mi_QKV_mfma16_kernelI14__hip_bfloat16S0_LN4vllm18Fp8KVCacheDataTypeE0EhLi16ELi128ELi256ELb0ELi7EEvPKT_PKT0_S8_ifPKiSA_SA_iPKfiiiPfSD_PS3_PT2_iSC_SC_@rel64+4
	s_delay_alu instid0(SALU_CYCLE_1)
	v_dual_mov_b32 v0, 0xbb3 :: v_dual_mov_b32 v1, s2
	v_mov_b32_e32 v2, s3
	s_add_nc_u64 s[8:9], s[0:1], 0x90
	s_get_pc_i64 s[0:1]
	s_add_nc_u64 s[0:1], s[0:1], __assert_fail@rel64+4
	s_mov_b32 s32, 0
	s_swap_pc_i64 s[30:31], s[0:1]
	.section	.rodata,"a",@progbits
	.p2align	6, 0x0
	.amdhsa_kernel _Z39paged_attention_ll4mi_QKV_mfma16_kernelI14__hip_bfloat16S0_LN4vllm18Fp8KVCacheDataTypeE0EhLi16ELi128ELi256ELb0ELi7EEvPKT_PKT0_S8_ifPKiSA_SA_iPKfiiiPfSD_PS3_PT2_iSC_SC_
		.amdhsa_group_segment_fixed_size 0
		.amdhsa_private_segment_fixed_size 64
		.amdhsa_kernarg_size 400
		.amdhsa_user_sgpr_count 2
		.amdhsa_user_sgpr_dispatch_ptr 0
		.amdhsa_user_sgpr_queue_ptr 0
		.amdhsa_user_sgpr_kernarg_segment_ptr 1
		.amdhsa_user_sgpr_dispatch_id 0
		.amdhsa_user_sgpr_kernarg_preload_length 0
		.amdhsa_user_sgpr_kernarg_preload_offset 0
		.amdhsa_user_sgpr_private_segment_size 0
		.amdhsa_wavefront_size32 1
		.amdhsa_uses_dynamic_stack 0
		.amdhsa_enable_private_segment 1
		.amdhsa_system_sgpr_workgroup_id_x 1
		.amdhsa_system_sgpr_workgroup_id_y 0
		.amdhsa_system_sgpr_workgroup_id_z 0
		.amdhsa_system_sgpr_workgroup_info 0
		.amdhsa_system_vgpr_workitem_id 0
		.amdhsa_next_free_vgpr 51
		.amdhsa_next_free_sgpr 34
		.amdhsa_named_barrier_count 0
		.amdhsa_reserve_vcc 1
		.amdhsa_float_round_mode_32 0
		.amdhsa_float_round_mode_16_64 0
		.amdhsa_float_denorm_mode_32 3
		.amdhsa_float_denorm_mode_16_64 3
		.amdhsa_fp16_overflow 0
		.amdhsa_memory_ordered 1
		.amdhsa_forward_progress 1
		.amdhsa_inst_pref_size 1
		.amdhsa_round_robin_scheduling 0
		.amdhsa_exception_fp_ieee_invalid_op 0
		.amdhsa_exception_fp_denorm_src 0
		.amdhsa_exception_fp_ieee_div_zero 0
		.amdhsa_exception_fp_ieee_overflow 0
		.amdhsa_exception_fp_ieee_underflow 0
		.amdhsa_exception_fp_ieee_inexact 0
		.amdhsa_exception_int_div_zero 0
	.end_amdhsa_kernel
	.section	.text._Z39paged_attention_ll4mi_QKV_mfma16_kernelI14__hip_bfloat16S0_LN4vllm18Fp8KVCacheDataTypeE0EhLi16ELi128ELi256ELb0ELi7EEvPKT_PKT0_S8_ifPKiSA_SA_iPKfiiiPfSD_PS3_PT2_iSC_SC_,"axG",@progbits,_Z39paged_attention_ll4mi_QKV_mfma16_kernelI14__hip_bfloat16S0_LN4vllm18Fp8KVCacheDataTypeE0EhLi16ELi128ELi256ELb0ELi7EEvPKT_PKT0_S8_ifPKiSA_SA_iPKfiiiPfSD_PS3_PT2_iSC_SC_,comdat
.Lfunc_end620:
	.size	_Z39paged_attention_ll4mi_QKV_mfma16_kernelI14__hip_bfloat16S0_LN4vllm18Fp8KVCacheDataTypeE0EhLi16ELi128ELi256ELb0ELi7EEvPKT_PKT0_S8_ifPKiSA_SA_iPKfiiiPfSD_PS3_PT2_iSC_SC_, .Lfunc_end620-_Z39paged_attention_ll4mi_QKV_mfma16_kernelI14__hip_bfloat16S0_LN4vllm18Fp8KVCacheDataTypeE0EhLi16ELi128ELi256ELb0ELi7EEvPKT_PKT0_S8_ifPKiSA_SA_iPKfiiiPfSD_PS3_PT2_iSC_SC_
                                        ; -- End function
	.set _Z39paged_attention_ll4mi_QKV_mfma16_kernelI14__hip_bfloat16S0_LN4vllm18Fp8KVCacheDataTypeE0EhLi16ELi128ELi256ELb0ELi7EEvPKT_PKT0_S8_ifPKiSA_SA_iPKfiiiPfSD_PS3_PT2_iSC_SC_.num_vgpr, max(3, .L__assert_fail.num_vgpr)
	.set _Z39paged_attention_ll4mi_QKV_mfma16_kernelI14__hip_bfloat16S0_LN4vllm18Fp8KVCacheDataTypeE0EhLi16ELi128ELi256ELb0ELi7EEvPKT_PKT0_S8_ifPKiSA_SA_iPKfiiiPfSD_PS3_PT2_iSC_SC_.num_agpr, max(0, .L__assert_fail.num_agpr)
	.set _Z39paged_attention_ll4mi_QKV_mfma16_kernelI14__hip_bfloat16S0_LN4vllm18Fp8KVCacheDataTypeE0EhLi16ELi128ELi256ELb0ELi7EEvPKT_PKT0_S8_ifPKiSA_SA_iPKfiiiPfSD_PS3_PT2_iSC_SC_.numbered_sgpr, max(33, .L__assert_fail.numbered_sgpr)
	.set _Z39paged_attention_ll4mi_QKV_mfma16_kernelI14__hip_bfloat16S0_LN4vllm18Fp8KVCacheDataTypeE0EhLi16ELi128ELi256ELb0ELi7EEvPKT_PKT0_S8_ifPKiSA_SA_iPKfiiiPfSD_PS3_PT2_iSC_SC_.num_named_barrier, max(0, .L__assert_fail.num_named_barrier)
	.set _Z39paged_attention_ll4mi_QKV_mfma16_kernelI14__hip_bfloat16S0_LN4vllm18Fp8KVCacheDataTypeE0EhLi16ELi128ELi256ELb0ELi7EEvPKT_PKT0_S8_ifPKiSA_SA_iPKfiiiPfSD_PS3_PT2_iSC_SC_.private_seg_size, 0+max(.L__assert_fail.private_seg_size)
	.set _Z39paged_attention_ll4mi_QKV_mfma16_kernelI14__hip_bfloat16S0_LN4vllm18Fp8KVCacheDataTypeE0EhLi16ELi128ELi256ELb0ELi7EEvPKT_PKT0_S8_ifPKiSA_SA_iPKfiiiPfSD_PS3_PT2_iSC_SC_.uses_vcc, or(1, .L__assert_fail.uses_vcc)
	.set _Z39paged_attention_ll4mi_QKV_mfma16_kernelI14__hip_bfloat16S0_LN4vllm18Fp8KVCacheDataTypeE0EhLi16ELi128ELi256ELb0ELi7EEvPKT_PKT0_S8_ifPKiSA_SA_iPKfiiiPfSD_PS3_PT2_iSC_SC_.uses_flat_scratch, or(0, .L__assert_fail.uses_flat_scratch)
	.set _Z39paged_attention_ll4mi_QKV_mfma16_kernelI14__hip_bfloat16S0_LN4vllm18Fp8KVCacheDataTypeE0EhLi16ELi128ELi256ELb0ELi7EEvPKT_PKT0_S8_ifPKiSA_SA_iPKfiiiPfSD_PS3_PT2_iSC_SC_.has_dyn_sized_stack, or(0, .L__assert_fail.has_dyn_sized_stack)
	.set _Z39paged_attention_ll4mi_QKV_mfma16_kernelI14__hip_bfloat16S0_LN4vllm18Fp8KVCacheDataTypeE0EhLi16ELi128ELi256ELb0ELi7EEvPKT_PKT0_S8_ifPKiSA_SA_iPKfiiiPfSD_PS3_PT2_iSC_SC_.has_recursion, or(0, .L__assert_fail.has_recursion)
	.set _Z39paged_attention_ll4mi_QKV_mfma16_kernelI14__hip_bfloat16S0_LN4vllm18Fp8KVCacheDataTypeE0EhLi16ELi128ELi256ELb0ELi7EEvPKT_PKT0_S8_ifPKiSA_SA_iPKfiiiPfSD_PS3_PT2_iSC_SC_.has_indirect_call, or(0, .L__assert_fail.has_indirect_call)
	.section	.AMDGPU.csdata,"",@progbits
; Kernel info:
; codeLenInByte = 68
; TotalNumSgprs: 36
; NumVgprs: 51
; ScratchSize: 64
; MemoryBound: 0
; FloatMode: 240
; IeeeMode: 1
; LDSByteSize: 0 bytes/workgroup (compile time only)
; SGPRBlocks: 0
; VGPRBlocks: 3
; NumSGPRsForWavesPerEU: 36
; NumVGPRsForWavesPerEU: 51
; NamedBarCnt: 0
; Occupancy: 16
; WaveLimiterHint : 1
; COMPUTE_PGM_RSRC2:SCRATCH_EN: 1
; COMPUTE_PGM_RSRC2:USER_SGPR: 2
; COMPUTE_PGM_RSRC2:TRAP_HANDLER: 0
; COMPUTE_PGM_RSRC2:TGID_X_EN: 1
; COMPUTE_PGM_RSRC2:TGID_Y_EN: 0
; COMPUTE_PGM_RSRC2:TGID_Z_EN: 0
; COMPUTE_PGM_RSRC2:TIDIG_COMP_CNT: 0
	.section	.text._Z39paged_attention_ll4mi_QKV_mfma16_kernelI14__hip_bfloat16S0_LN4vllm18Fp8KVCacheDataTypeE0EhLi16ELi128ELi256ELb0ELi8EEvPKT_PKT0_S8_ifPKiSA_SA_iPKfiiiPfSD_PS3_PT2_iSC_SC_,"axG",@progbits,_Z39paged_attention_ll4mi_QKV_mfma16_kernelI14__hip_bfloat16S0_LN4vllm18Fp8KVCacheDataTypeE0EhLi16ELi128ELi256ELb0ELi8EEvPKT_PKT0_S8_ifPKiSA_SA_iPKfiiiPfSD_PS3_PT2_iSC_SC_,comdat
	.protected	_Z39paged_attention_ll4mi_QKV_mfma16_kernelI14__hip_bfloat16S0_LN4vllm18Fp8KVCacheDataTypeE0EhLi16ELi128ELi256ELb0ELi8EEvPKT_PKT0_S8_ifPKiSA_SA_iPKfiiiPfSD_PS3_PT2_iSC_SC_ ; -- Begin function _Z39paged_attention_ll4mi_QKV_mfma16_kernelI14__hip_bfloat16S0_LN4vllm18Fp8KVCacheDataTypeE0EhLi16ELi128ELi256ELb0ELi8EEvPKT_PKT0_S8_ifPKiSA_SA_iPKfiiiPfSD_PS3_PT2_iSC_SC_
	.globl	_Z39paged_attention_ll4mi_QKV_mfma16_kernelI14__hip_bfloat16S0_LN4vllm18Fp8KVCacheDataTypeE0EhLi16ELi128ELi256ELb0ELi8EEvPKT_PKT0_S8_ifPKiSA_SA_iPKfiiiPfSD_PS3_PT2_iSC_SC_
	.p2align	8
	.type	_Z39paged_attention_ll4mi_QKV_mfma16_kernelI14__hip_bfloat16S0_LN4vllm18Fp8KVCacheDataTypeE0EhLi16ELi128ELi256ELb0ELi8EEvPKT_PKT0_S8_ifPKiSA_SA_iPKfiiiPfSD_PS3_PT2_iSC_SC_,@function
_Z39paged_attention_ll4mi_QKV_mfma16_kernelI14__hip_bfloat16S0_LN4vllm18Fp8KVCacheDataTypeE0EhLi16ELi128ELi256ELb0ELi8EEvPKT_PKT0_S8_ifPKiSA_SA_iPKfiiiPfSD_PS3_PT2_iSC_SC_: ; @_Z39paged_attention_ll4mi_QKV_mfma16_kernelI14__hip_bfloat16S0_LN4vllm18Fp8KVCacheDataTypeE0EhLi16ELi128ELi256ELb0ELi8EEvPKT_PKT0_S8_ifPKiSA_SA_iPKfiiiPfSD_PS3_PT2_iSC_SC_
; %bb.0:
	s_get_pc_i64 s[2:3]
	s_add_nc_u64 s[2:3], s[2:3], __PRETTY_FUNCTION__._Z39paged_attention_ll4mi_QKV_mfma16_kernelI14__hip_bfloat16S0_LN4vllm18Fp8KVCacheDataTypeE0EhLi16ELi128ELi256ELb0ELi8EEvPKT_PKT0_S8_ifPKiSA_SA_iPKfiiiPfSD_PS3_PT2_iSC_SC_@rel64+4
	s_delay_alu instid0(SALU_CYCLE_1)
	v_dual_mov_b32 v0, 0xbb3 :: v_dual_mov_b32 v1, s2
	v_mov_b32_e32 v2, s3
	s_add_nc_u64 s[8:9], s[0:1], 0x90
	s_get_pc_i64 s[0:1]
	s_add_nc_u64 s[0:1], s[0:1], __assert_fail@rel64+4
	s_mov_b32 s32, 0
	s_swap_pc_i64 s[30:31], s[0:1]
	.section	.rodata,"a",@progbits
	.p2align	6, 0x0
	.amdhsa_kernel _Z39paged_attention_ll4mi_QKV_mfma16_kernelI14__hip_bfloat16S0_LN4vllm18Fp8KVCacheDataTypeE0EhLi16ELi128ELi256ELb0ELi8EEvPKT_PKT0_S8_ifPKiSA_SA_iPKfiiiPfSD_PS3_PT2_iSC_SC_
		.amdhsa_group_segment_fixed_size 0
		.amdhsa_private_segment_fixed_size 64
		.amdhsa_kernarg_size 400
		.amdhsa_user_sgpr_count 2
		.amdhsa_user_sgpr_dispatch_ptr 0
		.amdhsa_user_sgpr_queue_ptr 0
		.amdhsa_user_sgpr_kernarg_segment_ptr 1
		.amdhsa_user_sgpr_dispatch_id 0
		.amdhsa_user_sgpr_kernarg_preload_length 0
		.amdhsa_user_sgpr_kernarg_preload_offset 0
		.amdhsa_user_sgpr_private_segment_size 0
		.amdhsa_wavefront_size32 1
		.amdhsa_uses_dynamic_stack 0
		.amdhsa_enable_private_segment 1
		.amdhsa_system_sgpr_workgroup_id_x 1
		.amdhsa_system_sgpr_workgroup_id_y 0
		.amdhsa_system_sgpr_workgroup_id_z 0
		.amdhsa_system_sgpr_workgroup_info 0
		.amdhsa_system_vgpr_workitem_id 0
		.amdhsa_next_free_vgpr 51
		.amdhsa_next_free_sgpr 34
		.amdhsa_named_barrier_count 0
		.amdhsa_reserve_vcc 1
		.amdhsa_float_round_mode_32 0
		.amdhsa_float_round_mode_16_64 0
		.amdhsa_float_denorm_mode_32 3
		.amdhsa_float_denorm_mode_16_64 3
		.amdhsa_fp16_overflow 0
		.amdhsa_memory_ordered 1
		.amdhsa_forward_progress 1
		.amdhsa_inst_pref_size 1
		.amdhsa_round_robin_scheduling 0
		.amdhsa_exception_fp_ieee_invalid_op 0
		.amdhsa_exception_fp_denorm_src 0
		.amdhsa_exception_fp_ieee_div_zero 0
		.amdhsa_exception_fp_ieee_overflow 0
		.amdhsa_exception_fp_ieee_underflow 0
		.amdhsa_exception_fp_ieee_inexact 0
		.amdhsa_exception_int_div_zero 0
	.end_amdhsa_kernel
	.section	.text._Z39paged_attention_ll4mi_QKV_mfma16_kernelI14__hip_bfloat16S0_LN4vllm18Fp8KVCacheDataTypeE0EhLi16ELi128ELi256ELb0ELi8EEvPKT_PKT0_S8_ifPKiSA_SA_iPKfiiiPfSD_PS3_PT2_iSC_SC_,"axG",@progbits,_Z39paged_attention_ll4mi_QKV_mfma16_kernelI14__hip_bfloat16S0_LN4vllm18Fp8KVCacheDataTypeE0EhLi16ELi128ELi256ELb0ELi8EEvPKT_PKT0_S8_ifPKiSA_SA_iPKfiiiPfSD_PS3_PT2_iSC_SC_,comdat
.Lfunc_end621:
	.size	_Z39paged_attention_ll4mi_QKV_mfma16_kernelI14__hip_bfloat16S0_LN4vllm18Fp8KVCacheDataTypeE0EhLi16ELi128ELi256ELb0ELi8EEvPKT_PKT0_S8_ifPKiSA_SA_iPKfiiiPfSD_PS3_PT2_iSC_SC_, .Lfunc_end621-_Z39paged_attention_ll4mi_QKV_mfma16_kernelI14__hip_bfloat16S0_LN4vllm18Fp8KVCacheDataTypeE0EhLi16ELi128ELi256ELb0ELi8EEvPKT_PKT0_S8_ifPKiSA_SA_iPKfiiiPfSD_PS3_PT2_iSC_SC_
                                        ; -- End function
	.set _Z39paged_attention_ll4mi_QKV_mfma16_kernelI14__hip_bfloat16S0_LN4vllm18Fp8KVCacheDataTypeE0EhLi16ELi128ELi256ELb0ELi8EEvPKT_PKT0_S8_ifPKiSA_SA_iPKfiiiPfSD_PS3_PT2_iSC_SC_.num_vgpr, max(3, .L__assert_fail.num_vgpr)
	.set _Z39paged_attention_ll4mi_QKV_mfma16_kernelI14__hip_bfloat16S0_LN4vllm18Fp8KVCacheDataTypeE0EhLi16ELi128ELi256ELb0ELi8EEvPKT_PKT0_S8_ifPKiSA_SA_iPKfiiiPfSD_PS3_PT2_iSC_SC_.num_agpr, max(0, .L__assert_fail.num_agpr)
	.set _Z39paged_attention_ll4mi_QKV_mfma16_kernelI14__hip_bfloat16S0_LN4vllm18Fp8KVCacheDataTypeE0EhLi16ELi128ELi256ELb0ELi8EEvPKT_PKT0_S8_ifPKiSA_SA_iPKfiiiPfSD_PS3_PT2_iSC_SC_.numbered_sgpr, max(33, .L__assert_fail.numbered_sgpr)
	.set _Z39paged_attention_ll4mi_QKV_mfma16_kernelI14__hip_bfloat16S0_LN4vllm18Fp8KVCacheDataTypeE0EhLi16ELi128ELi256ELb0ELi8EEvPKT_PKT0_S8_ifPKiSA_SA_iPKfiiiPfSD_PS3_PT2_iSC_SC_.num_named_barrier, max(0, .L__assert_fail.num_named_barrier)
	.set _Z39paged_attention_ll4mi_QKV_mfma16_kernelI14__hip_bfloat16S0_LN4vllm18Fp8KVCacheDataTypeE0EhLi16ELi128ELi256ELb0ELi8EEvPKT_PKT0_S8_ifPKiSA_SA_iPKfiiiPfSD_PS3_PT2_iSC_SC_.private_seg_size, 0+max(.L__assert_fail.private_seg_size)
	.set _Z39paged_attention_ll4mi_QKV_mfma16_kernelI14__hip_bfloat16S0_LN4vllm18Fp8KVCacheDataTypeE0EhLi16ELi128ELi256ELb0ELi8EEvPKT_PKT0_S8_ifPKiSA_SA_iPKfiiiPfSD_PS3_PT2_iSC_SC_.uses_vcc, or(1, .L__assert_fail.uses_vcc)
	.set _Z39paged_attention_ll4mi_QKV_mfma16_kernelI14__hip_bfloat16S0_LN4vllm18Fp8KVCacheDataTypeE0EhLi16ELi128ELi256ELb0ELi8EEvPKT_PKT0_S8_ifPKiSA_SA_iPKfiiiPfSD_PS3_PT2_iSC_SC_.uses_flat_scratch, or(0, .L__assert_fail.uses_flat_scratch)
	.set _Z39paged_attention_ll4mi_QKV_mfma16_kernelI14__hip_bfloat16S0_LN4vllm18Fp8KVCacheDataTypeE0EhLi16ELi128ELi256ELb0ELi8EEvPKT_PKT0_S8_ifPKiSA_SA_iPKfiiiPfSD_PS3_PT2_iSC_SC_.has_dyn_sized_stack, or(0, .L__assert_fail.has_dyn_sized_stack)
	.set _Z39paged_attention_ll4mi_QKV_mfma16_kernelI14__hip_bfloat16S0_LN4vllm18Fp8KVCacheDataTypeE0EhLi16ELi128ELi256ELb0ELi8EEvPKT_PKT0_S8_ifPKiSA_SA_iPKfiiiPfSD_PS3_PT2_iSC_SC_.has_recursion, or(0, .L__assert_fail.has_recursion)
	.set _Z39paged_attention_ll4mi_QKV_mfma16_kernelI14__hip_bfloat16S0_LN4vllm18Fp8KVCacheDataTypeE0EhLi16ELi128ELi256ELb0ELi8EEvPKT_PKT0_S8_ifPKiSA_SA_iPKfiiiPfSD_PS3_PT2_iSC_SC_.has_indirect_call, or(0, .L__assert_fail.has_indirect_call)
	.section	.AMDGPU.csdata,"",@progbits
; Kernel info:
; codeLenInByte = 68
; TotalNumSgprs: 36
; NumVgprs: 51
; ScratchSize: 64
; MemoryBound: 0
; FloatMode: 240
; IeeeMode: 1
; LDSByteSize: 0 bytes/workgroup (compile time only)
; SGPRBlocks: 0
; VGPRBlocks: 3
; NumSGPRsForWavesPerEU: 36
; NumVGPRsForWavesPerEU: 51
; NamedBarCnt: 0
; Occupancy: 16
; WaveLimiterHint : 1
; COMPUTE_PGM_RSRC2:SCRATCH_EN: 1
; COMPUTE_PGM_RSRC2:USER_SGPR: 2
; COMPUTE_PGM_RSRC2:TRAP_HANDLER: 0
; COMPUTE_PGM_RSRC2:TGID_X_EN: 1
; COMPUTE_PGM_RSRC2:TGID_Y_EN: 0
; COMPUTE_PGM_RSRC2:TGID_Z_EN: 0
; COMPUTE_PGM_RSRC2:TIDIG_COMP_CNT: 0
	.section	.text._Z39paged_attention_ll4mi_QKV_mfma16_kernelI14__hip_bfloat16S0_LN4vllm18Fp8KVCacheDataTypeE0EhLi16ELi128ELi256ELb0ELi9EEvPKT_PKT0_S8_ifPKiSA_SA_iPKfiiiPfSD_PS3_PT2_iSC_SC_,"axG",@progbits,_Z39paged_attention_ll4mi_QKV_mfma16_kernelI14__hip_bfloat16S0_LN4vllm18Fp8KVCacheDataTypeE0EhLi16ELi128ELi256ELb0ELi9EEvPKT_PKT0_S8_ifPKiSA_SA_iPKfiiiPfSD_PS3_PT2_iSC_SC_,comdat
	.protected	_Z39paged_attention_ll4mi_QKV_mfma16_kernelI14__hip_bfloat16S0_LN4vllm18Fp8KVCacheDataTypeE0EhLi16ELi128ELi256ELb0ELi9EEvPKT_PKT0_S8_ifPKiSA_SA_iPKfiiiPfSD_PS3_PT2_iSC_SC_ ; -- Begin function _Z39paged_attention_ll4mi_QKV_mfma16_kernelI14__hip_bfloat16S0_LN4vllm18Fp8KVCacheDataTypeE0EhLi16ELi128ELi256ELb0ELi9EEvPKT_PKT0_S8_ifPKiSA_SA_iPKfiiiPfSD_PS3_PT2_iSC_SC_
	.globl	_Z39paged_attention_ll4mi_QKV_mfma16_kernelI14__hip_bfloat16S0_LN4vllm18Fp8KVCacheDataTypeE0EhLi16ELi128ELi256ELb0ELi9EEvPKT_PKT0_S8_ifPKiSA_SA_iPKfiiiPfSD_PS3_PT2_iSC_SC_
	.p2align	8
	.type	_Z39paged_attention_ll4mi_QKV_mfma16_kernelI14__hip_bfloat16S0_LN4vllm18Fp8KVCacheDataTypeE0EhLi16ELi128ELi256ELb0ELi9EEvPKT_PKT0_S8_ifPKiSA_SA_iPKfiiiPfSD_PS3_PT2_iSC_SC_,@function
_Z39paged_attention_ll4mi_QKV_mfma16_kernelI14__hip_bfloat16S0_LN4vllm18Fp8KVCacheDataTypeE0EhLi16ELi128ELi256ELb0ELi9EEvPKT_PKT0_S8_ifPKiSA_SA_iPKfiiiPfSD_PS3_PT2_iSC_SC_: ; @_Z39paged_attention_ll4mi_QKV_mfma16_kernelI14__hip_bfloat16S0_LN4vllm18Fp8KVCacheDataTypeE0EhLi16ELi128ELi256ELb0ELi9EEvPKT_PKT0_S8_ifPKiSA_SA_iPKfiiiPfSD_PS3_PT2_iSC_SC_
; %bb.0:
	s_get_pc_i64 s[2:3]
	s_add_nc_u64 s[2:3], s[2:3], __PRETTY_FUNCTION__._Z39paged_attention_ll4mi_QKV_mfma16_kernelI14__hip_bfloat16S0_LN4vllm18Fp8KVCacheDataTypeE0EhLi16ELi128ELi256ELb0ELi9EEvPKT_PKT0_S8_ifPKiSA_SA_iPKfiiiPfSD_PS3_PT2_iSC_SC_@rel64+4
	s_delay_alu instid0(SALU_CYCLE_1)
	v_dual_mov_b32 v0, 0xbb3 :: v_dual_mov_b32 v1, s2
	v_mov_b32_e32 v2, s3
	s_add_nc_u64 s[8:9], s[0:1], 0x90
	s_get_pc_i64 s[0:1]
	s_add_nc_u64 s[0:1], s[0:1], __assert_fail@rel64+4
	s_mov_b32 s32, 0
	s_swap_pc_i64 s[30:31], s[0:1]
	.section	.rodata,"a",@progbits
	.p2align	6, 0x0
	.amdhsa_kernel _Z39paged_attention_ll4mi_QKV_mfma16_kernelI14__hip_bfloat16S0_LN4vllm18Fp8KVCacheDataTypeE0EhLi16ELi128ELi256ELb0ELi9EEvPKT_PKT0_S8_ifPKiSA_SA_iPKfiiiPfSD_PS3_PT2_iSC_SC_
		.amdhsa_group_segment_fixed_size 0
		.amdhsa_private_segment_fixed_size 64
		.amdhsa_kernarg_size 400
		.amdhsa_user_sgpr_count 2
		.amdhsa_user_sgpr_dispatch_ptr 0
		.amdhsa_user_sgpr_queue_ptr 0
		.amdhsa_user_sgpr_kernarg_segment_ptr 1
		.amdhsa_user_sgpr_dispatch_id 0
		.amdhsa_user_sgpr_kernarg_preload_length 0
		.amdhsa_user_sgpr_kernarg_preload_offset 0
		.amdhsa_user_sgpr_private_segment_size 0
		.amdhsa_wavefront_size32 1
		.amdhsa_uses_dynamic_stack 0
		.amdhsa_enable_private_segment 1
		.amdhsa_system_sgpr_workgroup_id_x 1
		.amdhsa_system_sgpr_workgroup_id_y 0
		.amdhsa_system_sgpr_workgroup_id_z 0
		.amdhsa_system_sgpr_workgroup_info 0
		.amdhsa_system_vgpr_workitem_id 0
		.amdhsa_next_free_vgpr 51
		.amdhsa_next_free_sgpr 34
		.amdhsa_named_barrier_count 0
		.amdhsa_reserve_vcc 1
		.amdhsa_float_round_mode_32 0
		.amdhsa_float_round_mode_16_64 0
		.amdhsa_float_denorm_mode_32 3
		.amdhsa_float_denorm_mode_16_64 3
		.amdhsa_fp16_overflow 0
		.amdhsa_memory_ordered 1
		.amdhsa_forward_progress 1
		.amdhsa_inst_pref_size 1
		.amdhsa_round_robin_scheduling 0
		.amdhsa_exception_fp_ieee_invalid_op 0
		.amdhsa_exception_fp_denorm_src 0
		.amdhsa_exception_fp_ieee_div_zero 0
		.amdhsa_exception_fp_ieee_overflow 0
		.amdhsa_exception_fp_ieee_underflow 0
		.amdhsa_exception_fp_ieee_inexact 0
		.amdhsa_exception_int_div_zero 0
	.end_amdhsa_kernel
	.section	.text._Z39paged_attention_ll4mi_QKV_mfma16_kernelI14__hip_bfloat16S0_LN4vllm18Fp8KVCacheDataTypeE0EhLi16ELi128ELi256ELb0ELi9EEvPKT_PKT0_S8_ifPKiSA_SA_iPKfiiiPfSD_PS3_PT2_iSC_SC_,"axG",@progbits,_Z39paged_attention_ll4mi_QKV_mfma16_kernelI14__hip_bfloat16S0_LN4vllm18Fp8KVCacheDataTypeE0EhLi16ELi128ELi256ELb0ELi9EEvPKT_PKT0_S8_ifPKiSA_SA_iPKfiiiPfSD_PS3_PT2_iSC_SC_,comdat
.Lfunc_end622:
	.size	_Z39paged_attention_ll4mi_QKV_mfma16_kernelI14__hip_bfloat16S0_LN4vllm18Fp8KVCacheDataTypeE0EhLi16ELi128ELi256ELb0ELi9EEvPKT_PKT0_S8_ifPKiSA_SA_iPKfiiiPfSD_PS3_PT2_iSC_SC_, .Lfunc_end622-_Z39paged_attention_ll4mi_QKV_mfma16_kernelI14__hip_bfloat16S0_LN4vllm18Fp8KVCacheDataTypeE0EhLi16ELi128ELi256ELb0ELi9EEvPKT_PKT0_S8_ifPKiSA_SA_iPKfiiiPfSD_PS3_PT2_iSC_SC_
                                        ; -- End function
	.set _Z39paged_attention_ll4mi_QKV_mfma16_kernelI14__hip_bfloat16S0_LN4vllm18Fp8KVCacheDataTypeE0EhLi16ELi128ELi256ELb0ELi9EEvPKT_PKT0_S8_ifPKiSA_SA_iPKfiiiPfSD_PS3_PT2_iSC_SC_.num_vgpr, max(3, .L__assert_fail.num_vgpr)
	.set _Z39paged_attention_ll4mi_QKV_mfma16_kernelI14__hip_bfloat16S0_LN4vllm18Fp8KVCacheDataTypeE0EhLi16ELi128ELi256ELb0ELi9EEvPKT_PKT0_S8_ifPKiSA_SA_iPKfiiiPfSD_PS3_PT2_iSC_SC_.num_agpr, max(0, .L__assert_fail.num_agpr)
	.set _Z39paged_attention_ll4mi_QKV_mfma16_kernelI14__hip_bfloat16S0_LN4vllm18Fp8KVCacheDataTypeE0EhLi16ELi128ELi256ELb0ELi9EEvPKT_PKT0_S8_ifPKiSA_SA_iPKfiiiPfSD_PS3_PT2_iSC_SC_.numbered_sgpr, max(33, .L__assert_fail.numbered_sgpr)
	.set _Z39paged_attention_ll4mi_QKV_mfma16_kernelI14__hip_bfloat16S0_LN4vllm18Fp8KVCacheDataTypeE0EhLi16ELi128ELi256ELb0ELi9EEvPKT_PKT0_S8_ifPKiSA_SA_iPKfiiiPfSD_PS3_PT2_iSC_SC_.num_named_barrier, max(0, .L__assert_fail.num_named_barrier)
	.set _Z39paged_attention_ll4mi_QKV_mfma16_kernelI14__hip_bfloat16S0_LN4vllm18Fp8KVCacheDataTypeE0EhLi16ELi128ELi256ELb0ELi9EEvPKT_PKT0_S8_ifPKiSA_SA_iPKfiiiPfSD_PS3_PT2_iSC_SC_.private_seg_size, 0+max(.L__assert_fail.private_seg_size)
	.set _Z39paged_attention_ll4mi_QKV_mfma16_kernelI14__hip_bfloat16S0_LN4vllm18Fp8KVCacheDataTypeE0EhLi16ELi128ELi256ELb0ELi9EEvPKT_PKT0_S8_ifPKiSA_SA_iPKfiiiPfSD_PS3_PT2_iSC_SC_.uses_vcc, or(1, .L__assert_fail.uses_vcc)
	.set _Z39paged_attention_ll4mi_QKV_mfma16_kernelI14__hip_bfloat16S0_LN4vllm18Fp8KVCacheDataTypeE0EhLi16ELi128ELi256ELb0ELi9EEvPKT_PKT0_S8_ifPKiSA_SA_iPKfiiiPfSD_PS3_PT2_iSC_SC_.uses_flat_scratch, or(0, .L__assert_fail.uses_flat_scratch)
	.set _Z39paged_attention_ll4mi_QKV_mfma16_kernelI14__hip_bfloat16S0_LN4vllm18Fp8KVCacheDataTypeE0EhLi16ELi128ELi256ELb0ELi9EEvPKT_PKT0_S8_ifPKiSA_SA_iPKfiiiPfSD_PS3_PT2_iSC_SC_.has_dyn_sized_stack, or(0, .L__assert_fail.has_dyn_sized_stack)
	.set _Z39paged_attention_ll4mi_QKV_mfma16_kernelI14__hip_bfloat16S0_LN4vllm18Fp8KVCacheDataTypeE0EhLi16ELi128ELi256ELb0ELi9EEvPKT_PKT0_S8_ifPKiSA_SA_iPKfiiiPfSD_PS3_PT2_iSC_SC_.has_recursion, or(0, .L__assert_fail.has_recursion)
	.set _Z39paged_attention_ll4mi_QKV_mfma16_kernelI14__hip_bfloat16S0_LN4vllm18Fp8KVCacheDataTypeE0EhLi16ELi128ELi256ELb0ELi9EEvPKT_PKT0_S8_ifPKiSA_SA_iPKfiiiPfSD_PS3_PT2_iSC_SC_.has_indirect_call, or(0, .L__assert_fail.has_indirect_call)
	.section	.AMDGPU.csdata,"",@progbits
; Kernel info:
; codeLenInByte = 68
; TotalNumSgprs: 36
; NumVgprs: 51
; ScratchSize: 64
; MemoryBound: 0
; FloatMode: 240
; IeeeMode: 1
; LDSByteSize: 0 bytes/workgroup (compile time only)
; SGPRBlocks: 0
; VGPRBlocks: 3
; NumSGPRsForWavesPerEU: 36
; NumVGPRsForWavesPerEU: 51
; NamedBarCnt: 0
; Occupancy: 16
; WaveLimiterHint : 1
; COMPUTE_PGM_RSRC2:SCRATCH_EN: 1
; COMPUTE_PGM_RSRC2:USER_SGPR: 2
; COMPUTE_PGM_RSRC2:TRAP_HANDLER: 0
; COMPUTE_PGM_RSRC2:TGID_X_EN: 1
; COMPUTE_PGM_RSRC2:TGID_Y_EN: 0
; COMPUTE_PGM_RSRC2:TGID_Z_EN: 0
; COMPUTE_PGM_RSRC2:TIDIG_COMP_CNT: 0
	.section	.text._Z39paged_attention_ll4mi_QKV_mfma16_kernelI14__hip_bfloat16S0_LN4vllm18Fp8KVCacheDataTypeE0EhLi16ELi128ELi256ELb0ELi10EEvPKT_PKT0_S8_ifPKiSA_SA_iPKfiiiPfSD_PS3_PT2_iSC_SC_,"axG",@progbits,_Z39paged_attention_ll4mi_QKV_mfma16_kernelI14__hip_bfloat16S0_LN4vllm18Fp8KVCacheDataTypeE0EhLi16ELi128ELi256ELb0ELi10EEvPKT_PKT0_S8_ifPKiSA_SA_iPKfiiiPfSD_PS3_PT2_iSC_SC_,comdat
	.protected	_Z39paged_attention_ll4mi_QKV_mfma16_kernelI14__hip_bfloat16S0_LN4vllm18Fp8KVCacheDataTypeE0EhLi16ELi128ELi256ELb0ELi10EEvPKT_PKT0_S8_ifPKiSA_SA_iPKfiiiPfSD_PS3_PT2_iSC_SC_ ; -- Begin function _Z39paged_attention_ll4mi_QKV_mfma16_kernelI14__hip_bfloat16S0_LN4vllm18Fp8KVCacheDataTypeE0EhLi16ELi128ELi256ELb0ELi10EEvPKT_PKT0_S8_ifPKiSA_SA_iPKfiiiPfSD_PS3_PT2_iSC_SC_
	.globl	_Z39paged_attention_ll4mi_QKV_mfma16_kernelI14__hip_bfloat16S0_LN4vllm18Fp8KVCacheDataTypeE0EhLi16ELi128ELi256ELb0ELi10EEvPKT_PKT0_S8_ifPKiSA_SA_iPKfiiiPfSD_PS3_PT2_iSC_SC_
	.p2align	8
	.type	_Z39paged_attention_ll4mi_QKV_mfma16_kernelI14__hip_bfloat16S0_LN4vllm18Fp8KVCacheDataTypeE0EhLi16ELi128ELi256ELb0ELi10EEvPKT_PKT0_S8_ifPKiSA_SA_iPKfiiiPfSD_PS3_PT2_iSC_SC_,@function
_Z39paged_attention_ll4mi_QKV_mfma16_kernelI14__hip_bfloat16S0_LN4vllm18Fp8KVCacheDataTypeE0EhLi16ELi128ELi256ELb0ELi10EEvPKT_PKT0_S8_ifPKiSA_SA_iPKfiiiPfSD_PS3_PT2_iSC_SC_: ; @_Z39paged_attention_ll4mi_QKV_mfma16_kernelI14__hip_bfloat16S0_LN4vllm18Fp8KVCacheDataTypeE0EhLi16ELi128ELi256ELb0ELi10EEvPKT_PKT0_S8_ifPKiSA_SA_iPKfiiiPfSD_PS3_PT2_iSC_SC_
; %bb.0:
	s_get_pc_i64 s[2:3]
	s_add_nc_u64 s[2:3], s[2:3], __PRETTY_FUNCTION__._Z39paged_attention_ll4mi_QKV_mfma16_kernelI14__hip_bfloat16S0_LN4vllm18Fp8KVCacheDataTypeE0EhLi16ELi128ELi256ELb0ELi10EEvPKT_PKT0_S8_ifPKiSA_SA_iPKfiiiPfSD_PS3_PT2_iSC_SC_@rel64+4
	s_delay_alu instid0(SALU_CYCLE_1)
	v_dual_mov_b32 v0, 0xbb3 :: v_dual_mov_b32 v1, s2
	v_mov_b32_e32 v2, s3
	s_add_nc_u64 s[8:9], s[0:1], 0x90
	s_get_pc_i64 s[0:1]
	s_add_nc_u64 s[0:1], s[0:1], __assert_fail@rel64+4
	s_mov_b32 s32, 0
	s_swap_pc_i64 s[30:31], s[0:1]
	.section	.rodata,"a",@progbits
	.p2align	6, 0x0
	.amdhsa_kernel _Z39paged_attention_ll4mi_QKV_mfma16_kernelI14__hip_bfloat16S0_LN4vllm18Fp8KVCacheDataTypeE0EhLi16ELi128ELi256ELb0ELi10EEvPKT_PKT0_S8_ifPKiSA_SA_iPKfiiiPfSD_PS3_PT2_iSC_SC_
		.amdhsa_group_segment_fixed_size 0
		.amdhsa_private_segment_fixed_size 64
		.amdhsa_kernarg_size 400
		.amdhsa_user_sgpr_count 2
		.amdhsa_user_sgpr_dispatch_ptr 0
		.amdhsa_user_sgpr_queue_ptr 0
		.amdhsa_user_sgpr_kernarg_segment_ptr 1
		.amdhsa_user_sgpr_dispatch_id 0
		.amdhsa_user_sgpr_kernarg_preload_length 0
		.amdhsa_user_sgpr_kernarg_preload_offset 0
		.amdhsa_user_sgpr_private_segment_size 0
		.amdhsa_wavefront_size32 1
		.amdhsa_uses_dynamic_stack 0
		.amdhsa_enable_private_segment 1
		.amdhsa_system_sgpr_workgroup_id_x 1
		.amdhsa_system_sgpr_workgroup_id_y 0
		.amdhsa_system_sgpr_workgroup_id_z 0
		.amdhsa_system_sgpr_workgroup_info 0
		.amdhsa_system_vgpr_workitem_id 0
		.amdhsa_next_free_vgpr 51
		.amdhsa_next_free_sgpr 34
		.amdhsa_named_barrier_count 0
		.amdhsa_reserve_vcc 1
		.amdhsa_float_round_mode_32 0
		.amdhsa_float_round_mode_16_64 0
		.amdhsa_float_denorm_mode_32 3
		.amdhsa_float_denorm_mode_16_64 3
		.amdhsa_fp16_overflow 0
		.amdhsa_memory_ordered 1
		.amdhsa_forward_progress 1
		.amdhsa_inst_pref_size 1
		.amdhsa_round_robin_scheduling 0
		.amdhsa_exception_fp_ieee_invalid_op 0
		.amdhsa_exception_fp_denorm_src 0
		.amdhsa_exception_fp_ieee_div_zero 0
		.amdhsa_exception_fp_ieee_overflow 0
		.amdhsa_exception_fp_ieee_underflow 0
		.amdhsa_exception_fp_ieee_inexact 0
		.amdhsa_exception_int_div_zero 0
	.end_amdhsa_kernel
	.section	.text._Z39paged_attention_ll4mi_QKV_mfma16_kernelI14__hip_bfloat16S0_LN4vllm18Fp8KVCacheDataTypeE0EhLi16ELi128ELi256ELb0ELi10EEvPKT_PKT0_S8_ifPKiSA_SA_iPKfiiiPfSD_PS3_PT2_iSC_SC_,"axG",@progbits,_Z39paged_attention_ll4mi_QKV_mfma16_kernelI14__hip_bfloat16S0_LN4vllm18Fp8KVCacheDataTypeE0EhLi16ELi128ELi256ELb0ELi10EEvPKT_PKT0_S8_ifPKiSA_SA_iPKfiiiPfSD_PS3_PT2_iSC_SC_,comdat
.Lfunc_end623:
	.size	_Z39paged_attention_ll4mi_QKV_mfma16_kernelI14__hip_bfloat16S0_LN4vllm18Fp8KVCacheDataTypeE0EhLi16ELi128ELi256ELb0ELi10EEvPKT_PKT0_S8_ifPKiSA_SA_iPKfiiiPfSD_PS3_PT2_iSC_SC_, .Lfunc_end623-_Z39paged_attention_ll4mi_QKV_mfma16_kernelI14__hip_bfloat16S0_LN4vllm18Fp8KVCacheDataTypeE0EhLi16ELi128ELi256ELb0ELi10EEvPKT_PKT0_S8_ifPKiSA_SA_iPKfiiiPfSD_PS3_PT2_iSC_SC_
                                        ; -- End function
	.set _Z39paged_attention_ll4mi_QKV_mfma16_kernelI14__hip_bfloat16S0_LN4vllm18Fp8KVCacheDataTypeE0EhLi16ELi128ELi256ELb0ELi10EEvPKT_PKT0_S8_ifPKiSA_SA_iPKfiiiPfSD_PS3_PT2_iSC_SC_.num_vgpr, max(3, .L__assert_fail.num_vgpr)
	.set _Z39paged_attention_ll4mi_QKV_mfma16_kernelI14__hip_bfloat16S0_LN4vllm18Fp8KVCacheDataTypeE0EhLi16ELi128ELi256ELb0ELi10EEvPKT_PKT0_S8_ifPKiSA_SA_iPKfiiiPfSD_PS3_PT2_iSC_SC_.num_agpr, max(0, .L__assert_fail.num_agpr)
	.set _Z39paged_attention_ll4mi_QKV_mfma16_kernelI14__hip_bfloat16S0_LN4vllm18Fp8KVCacheDataTypeE0EhLi16ELi128ELi256ELb0ELi10EEvPKT_PKT0_S8_ifPKiSA_SA_iPKfiiiPfSD_PS3_PT2_iSC_SC_.numbered_sgpr, max(33, .L__assert_fail.numbered_sgpr)
	.set _Z39paged_attention_ll4mi_QKV_mfma16_kernelI14__hip_bfloat16S0_LN4vllm18Fp8KVCacheDataTypeE0EhLi16ELi128ELi256ELb0ELi10EEvPKT_PKT0_S8_ifPKiSA_SA_iPKfiiiPfSD_PS3_PT2_iSC_SC_.num_named_barrier, max(0, .L__assert_fail.num_named_barrier)
	.set _Z39paged_attention_ll4mi_QKV_mfma16_kernelI14__hip_bfloat16S0_LN4vllm18Fp8KVCacheDataTypeE0EhLi16ELi128ELi256ELb0ELi10EEvPKT_PKT0_S8_ifPKiSA_SA_iPKfiiiPfSD_PS3_PT2_iSC_SC_.private_seg_size, 0+max(.L__assert_fail.private_seg_size)
	.set _Z39paged_attention_ll4mi_QKV_mfma16_kernelI14__hip_bfloat16S0_LN4vllm18Fp8KVCacheDataTypeE0EhLi16ELi128ELi256ELb0ELi10EEvPKT_PKT0_S8_ifPKiSA_SA_iPKfiiiPfSD_PS3_PT2_iSC_SC_.uses_vcc, or(1, .L__assert_fail.uses_vcc)
	.set _Z39paged_attention_ll4mi_QKV_mfma16_kernelI14__hip_bfloat16S0_LN4vllm18Fp8KVCacheDataTypeE0EhLi16ELi128ELi256ELb0ELi10EEvPKT_PKT0_S8_ifPKiSA_SA_iPKfiiiPfSD_PS3_PT2_iSC_SC_.uses_flat_scratch, or(0, .L__assert_fail.uses_flat_scratch)
	.set _Z39paged_attention_ll4mi_QKV_mfma16_kernelI14__hip_bfloat16S0_LN4vllm18Fp8KVCacheDataTypeE0EhLi16ELi128ELi256ELb0ELi10EEvPKT_PKT0_S8_ifPKiSA_SA_iPKfiiiPfSD_PS3_PT2_iSC_SC_.has_dyn_sized_stack, or(0, .L__assert_fail.has_dyn_sized_stack)
	.set _Z39paged_attention_ll4mi_QKV_mfma16_kernelI14__hip_bfloat16S0_LN4vllm18Fp8KVCacheDataTypeE0EhLi16ELi128ELi256ELb0ELi10EEvPKT_PKT0_S8_ifPKiSA_SA_iPKfiiiPfSD_PS3_PT2_iSC_SC_.has_recursion, or(0, .L__assert_fail.has_recursion)
	.set _Z39paged_attention_ll4mi_QKV_mfma16_kernelI14__hip_bfloat16S0_LN4vllm18Fp8KVCacheDataTypeE0EhLi16ELi128ELi256ELb0ELi10EEvPKT_PKT0_S8_ifPKiSA_SA_iPKfiiiPfSD_PS3_PT2_iSC_SC_.has_indirect_call, or(0, .L__assert_fail.has_indirect_call)
	.section	.AMDGPU.csdata,"",@progbits
; Kernel info:
; codeLenInByte = 68
; TotalNumSgprs: 36
; NumVgprs: 51
; ScratchSize: 64
; MemoryBound: 0
; FloatMode: 240
; IeeeMode: 1
; LDSByteSize: 0 bytes/workgroup (compile time only)
; SGPRBlocks: 0
; VGPRBlocks: 3
; NumSGPRsForWavesPerEU: 36
; NumVGPRsForWavesPerEU: 51
; NamedBarCnt: 0
; Occupancy: 16
; WaveLimiterHint : 1
; COMPUTE_PGM_RSRC2:SCRATCH_EN: 1
; COMPUTE_PGM_RSRC2:USER_SGPR: 2
; COMPUTE_PGM_RSRC2:TRAP_HANDLER: 0
; COMPUTE_PGM_RSRC2:TGID_X_EN: 1
; COMPUTE_PGM_RSRC2:TGID_Y_EN: 0
; COMPUTE_PGM_RSRC2:TGID_Z_EN: 0
; COMPUTE_PGM_RSRC2:TIDIG_COMP_CNT: 0
	.section	.text._Z39paged_attention_ll4mi_QKV_mfma16_kernelI14__hip_bfloat16S0_LN4vllm18Fp8KVCacheDataTypeE0EhLi16ELi128ELi256ELb0ELi11EEvPKT_PKT0_S8_ifPKiSA_SA_iPKfiiiPfSD_PS3_PT2_iSC_SC_,"axG",@progbits,_Z39paged_attention_ll4mi_QKV_mfma16_kernelI14__hip_bfloat16S0_LN4vllm18Fp8KVCacheDataTypeE0EhLi16ELi128ELi256ELb0ELi11EEvPKT_PKT0_S8_ifPKiSA_SA_iPKfiiiPfSD_PS3_PT2_iSC_SC_,comdat
	.protected	_Z39paged_attention_ll4mi_QKV_mfma16_kernelI14__hip_bfloat16S0_LN4vllm18Fp8KVCacheDataTypeE0EhLi16ELi128ELi256ELb0ELi11EEvPKT_PKT0_S8_ifPKiSA_SA_iPKfiiiPfSD_PS3_PT2_iSC_SC_ ; -- Begin function _Z39paged_attention_ll4mi_QKV_mfma16_kernelI14__hip_bfloat16S0_LN4vllm18Fp8KVCacheDataTypeE0EhLi16ELi128ELi256ELb0ELi11EEvPKT_PKT0_S8_ifPKiSA_SA_iPKfiiiPfSD_PS3_PT2_iSC_SC_
	.globl	_Z39paged_attention_ll4mi_QKV_mfma16_kernelI14__hip_bfloat16S0_LN4vllm18Fp8KVCacheDataTypeE0EhLi16ELi128ELi256ELb0ELi11EEvPKT_PKT0_S8_ifPKiSA_SA_iPKfiiiPfSD_PS3_PT2_iSC_SC_
	.p2align	8
	.type	_Z39paged_attention_ll4mi_QKV_mfma16_kernelI14__hip_bfloat16S0_LN4vllm18Fp8KVCacheDataTypeE0EhLi16ELi128ELi256ELb0ELi11EEvPKT_PKT0_S8_ifPKiSA_SA_iPKfiiiPfSD_PS3_PT2_iSC_SC_,@function
_Z39paged_attention_ll4mi_QKV_mfma16_kernelI14__hip_bfloat16S0_LN4vllm18Fp8KVCacheDataTypeE0EhLi16ELi128ELi256ELb0ELi11EEvPKT_PKT0_S8_ifPKiSA_SA_iPKfiiiPfSD_PS3_PT2_iSC_SC_: ; @_Z39paged_attention_ll4mi_QKV_mfma16_kernelI14__hip_bfloat16S0_LN4vllm18Fp8KVCacheDataTypeE0EhLi16ELi128ELi256ELb0ELi11EEvPKT_PKT0_S8_ifPKiSA_SA_iPKfiiiPfSD_PS3_PT2_iSC_SC_
; %bb.0:
	s_get_pc_i64 s[2:3]
	s_add_nc_u64 s[2:3], s[2:3], __PRETTY_FUNCTION__._Z39paged_attention_ll4mi_QKV_mfma16_kernelI14__hip_bfloat16S0_LN4vllm18Fp8KVCacheDataTypeE0EhLi16ELi128ELi256ELb0ELi11EEvPKT_PKT0_S8_ifPKiSA_SA_iPKfiiiPfSD_PS3_PT2_iSC_SC_@rel64+4
	s_delay_alu instid0(SALU_CYCLE_1)
	v_dual_mov_b32 v0, 0xbb3 :: v_dual_mov_b32 v1, s2
	v_mov_b32_e32 v2, s3
	s_add_nc_u64 s[8:9], s[0:1], 0x90
	s_get_pc_i64 s[0:1]
	s_add_nc_u64 s[0:1], s[0:1], __assert_fail@rel64+4
	s_mov_b32 s32, 0
	s_swap_pc_i64 s[30:31], s[0:1]
	.section	.rodata,"a",@progbits
	.p2align	6, 0x0
	.amdhsa_kernel _Z39paged_attention_ll4mi_QKV_mfma16_kernelI14__hip_bfloat16S0_LN4vllm18Fp8KVCacheDataTypeE0EhLi16ELi128ELi256ELb0ELi11EEvPKT_PKT0_S8_ifPKiSA_SA_iPKfiiiPfSD_PS3_PT2_iSC_SC_
		.amdhsa_group_segment_fixed_size 0
		.amdhsa_private_segment_fixed_size 64
		.amdhsa_kernarg_size 400
		.amdhsa_user_sgpr_count 2
		.amdhsa_user_sgpr_dispatch_ptr 0
		.amdhsa_user_sgpr_queue_ptr 0
		.amdhsa_user_sgpr_kernarg_segment_ptr 1
		.amdhsa_user_sgpr_dispatch_id 0
		.amdhsa_user_sgpr_kernarg_preload_length 0
		.amdhsa_user_sgpr_kernarg_preload_offset 0
		.amdhsa_user_sgpr_private_segment_size 0
		.amdhsa_wavefront_size32 1
		.amdhsa_uses_dynamic_stack 0
		.amdhsa_enable_private_segment 1
		.amdhsa_system_sgpr_workgroup_id_x 1
		.amdhsa_system_sgpr_workgroup_id_y 0
		.amdhsa_system_sgpr_workgroup_id_z 0
		.amdhsa_system_sgpr_workgroup_info 0
		.amdhsa_system_vgpr_workitem_id 0
		.amdhsa_next_free_vgpr 51
		.amdhsa_next_free_sgpr 34
		.amdhsa_named_barrier_count 0
		.amdhsa_reserve_vcc 1
		.amdhsa_float_round_mode_32 0
		.amdhsa_float_round_mode_16_64 0
		.amdhsa_float_denorm_mode_32 3
		.amdhsa_float_denorm_mode_16_64 3
		.amdhsa_fp16_overflow 0
		.amdhsa_memory_ordered 1
		.amdhsa_forward_progress 1
		.amdhsa_inst_pref_size 1
		.amdhsa_round_robin_scheduling 0
		.amdhsa_exception_fp_ieee_invalid_op 0
		.amdhsa_exception_fp_denorm_src 0
		.amdhsa_exception_fp_ieee_div_zero 0
		.amdhsa_exception_fp_ieee_overflow 0
		.amdhsa_exception_fp_ieee_underflow 0
		.amdhsa_exception_fp_ieee_inexact 0
		.amdhsa_exception_int_div_zero 0
	.end_amdhsa_kernel
	.section	.text._Z39paged_attention_ll4mi_QKV_mfma16_kernelI14__hip_bfloat16S0_LN4vllm18Fp8KVCacheDataTypeE0EhLi16ELi128ELi256ELb0ELi11EEvPKT_PKT0_S8_ifPKiSA_SA_iPKfiiiPfSD_PS3_PT2_iSC_SC_,"axG",@progbits,_Z39paged_attention_ll4mi_QKV_mfma16_kernelI14__hip_bfloat16S0_LN4vllm18Fp8KVCacheDataTypeE0EhLi16ELi128ELi256ELb0ELi11EEvPKT_PKT0_S8_ifPKiSA_SA_iPKfiiiPfSD_PS3_PT2_iSC_SC_,comdat
.Lfunc_end624:
	.size	_Z39paged_attention_ll4mi_QKV_mfma16_kernelI14__hip_bfloat16S0_LN4vllm18Fp8KVCacheDataTypeE0EhLi16ELi128ELi256ELb0ELi11EEvPKT_PKT0_S8_ifPKiSA_SA_iPKfiiiPfSD_PS3_PT2_iSC_SC_, .Lfunc_end624-_Z39paged_attention_ll4mi_QKV_mfma16_kernelI14__hip_bfloat16S0_LN4vllm18Fp8KVCacheDataTypeE0EhLi16ELi128ELi256ELb0ELi11EEvPKT_PKT0_S8_ifPKiSA_SA_iPKfiiiPfSD_PS3_PT2_iSC_SC_
                                        ; -- End function
	.set _Z39paged_attention_ll4mi_QKV_mfma16_kernelI14__hip_bfloat16S0_LN4vllm18Fp8KVCacheDataTypeE0EhLi16ELi128ELi256ELb0ELi11EEvPKT_PKT0_S8_ifPKiSA_SA_iPKfiiiPfSD_PS3_PT2_iSC_SC_.num_vgpr, max(3, .L__assert_fail.num_vgpr)
	.set _Z39paged_attention_ll4mi_QKV_mfma16_kernelI14__hip_bfloat16S0_LN4vllm18Fp8KVCacheDataTypeE0EhLi16ELi128ELi256ELb0ELi11EEvPKT_PKT0_S8_ifPKiSA_SA_iPKfiiiPfSD_PS3_PT2_iSC_SC_.num_agpr, max(0, .L__assert_fail.num_agpr)
	.set _Z39paged_attention_ll4mi_QKV_mfma16_kernelI14__hip_bfloat16S0_LN4vllm18Fp8KVCacheDataTypeE0EhLi16ELi128ELi256ELb0ELi11EEvPKT_PKT0_S8_ifPKiSA_SA_iPKfiiiPfSD_PS3_PT2_iSC_SC_.numbered_sgpr, max(33, .L__assert_fail.numbered_sgpr)
	.set _Z39paged_attention_ll4mi_QKV_mfma16_kernelI14__hip_bfloat16S0_LN4vllm18Fp8KVCacheDataTypeE0EhLi16ELi128ELi256ELb0ELi11EEvPKT_PKT0_S8_ifPKiSA_SA_iPKfiiiPfSD_PS3_PT2_iSC_SC_.num_named_barrier, max(0, .L__assert_fail.num_named_barrier)
	.set _Z39paged_attention_ll4mi_QKV_mfma16_kernelI14__hip_bfloat16S0_LN4vllm18Fp8KVCacheDataTypeE0EhLi16ELi128ELi256ELb0ELi11EEvPKT_PKT0_S8_ifPKiSA_SA_iPKfiiiPfSD_PS3_PT2_iSC_SC_.private_seg_size, 0+max(.L__assert_fail.private_seg_size)
	.set _Z39paged_attention_ll4mi_QKV_mfma16_kernelI14__hip_bfloat16S0_LN4vllm18Fp8KVCacheDataTypeE0EhLi16ELi128ELi256ELb0ELi11EEvPKT_PKT0_S8_ifPKiSA_SA_iPKfiiiPfSD_PS3_PT2_iSC_SC_.uses_vcc, or(1, .L__assert_fail.uses_vcc)
	.set _Z39paged_attention_ll4mi_QKV_mfma16_kernelI14__hip_bfloat16S0_LN4vllm18Fp8KVCacheDataTypeE0EhLi16ELi128ELi256ELb0ELi11EEvPKT_PKT0_S8_ifPKiSA_SA_iPKfiiiPfSD_PS3_PT2_iSC_SC_.uses_flat_scratch, or(0, .L__assert_fail.uses_flat_scratch)
	.set _Z39paged_attention_ll4mi_QKV_mfma16_kernelI14__hip_bfloat16S0_LN4vllm18Fp8KVCacheDataTypeE0EhLi16ELi128ELi256ELb0ELi11EEvPKT_PKT0_S8_ifPKiSA_SA_iPKfiiiPfSD_PS3_PT2_iSC_SC_.has_dyn_sized_stack, or(0, .L__assert_fail.has_dyn_sized_stack)
	.set _Z39paged_attention_ll4mi_QKV_mfma16_kernelI14__hip_bfloat16S0_LN4vllm18Fp8KVCacheDataTypeE0EhLi16ELi128ELi256ELb0ELi11EEvPKT_PKT0_S8_ifPKiSA_SA_iPKfiiiPfSD_PS3_PT2_iSC_SC_.has_recursion, or(0, .L__assert_fail.has_recursion)
	.set _Z39paged_attention_ll4mi_QKV_mfma16_kernelI14__hip_bfloat16S0_LN4vllm18Fp8KVCacheDataTypeE0EhLi16ELi128ELi256ELb0ELi11EEvPKT_PKT0_S8_ifPKiSA_SA_iPKfiiiPfSD_PS3_PT2_iSC_SC_.has_indirect_call, or(0, .L__assert_fail.has_indirect_call)
	.section	.AMDGPU.csdata,"",@progbits
; Kernel info:
; codeLenInByte = 68
; TotalNumSgprs: 36
; NumVgprs: 51
; ScratchSize: 64
; MemoryBound: 0
; FloatMode: 240
; IeeeMode: 1
; LDSByteSize: 0 bytes/workgroup (compile time only)
; SGPRBlocks: 0
; VGPRBlocks: 3
; NumSGPRsForWavesPerEU: 36
; NumVGPRsForWavesPerEU: 51
; NamedBarCnt: 0
; Occupancy: 16
; WaveLimiterHint : 1
; COMPUTE_PGM_RSRC2:SCRATCH_EN: 1
; COMPUTE_PGM_RSRC2:USER_SGPR: 2
; COMPUTE_PGM_RSRC2:TRAP_HANDLER: 0
; COMPUTE_PGM_RSRC2:TGID_X_EN: 1
; COMPUTE_PGM_RSRC2:TGID_Y_EN: 0
; COMPUTE_PGM_RSRC2:TGID_Z_EN: 0
; COMPUTE_PGM_RSRC2:TIDIG_COMP_CNT: 0
	.section	.text._Z39paged_attention_ll4mi_QKV_mfma16_kernelI14__hip_bfloat16S0_LN4vllm18Fp8KVCacheDataTypeE0EhLi16ELi128ELi256ELb0ELi12EEvPKT_PKT0_S8_ifPKiSA_SA_iPKfiiiPfSD_PS3_PT2_iSC_SC_,"axG",@progbits,_Z39paged_attention_ll4mi_QKV_mfma16_kernelI14__hip_bfloat16S0_LN4vllm18Fp8KVCacheDataTypeE0EhLi16ELi128ELi256ELb0ELi12EEvPKT_PKT0_S8_ifPKiSA_SA_iPKfiiiPfSD_PS3_PT2_iSC_SC_,comdat
	.protected	_Z39paged_attention_ll4mi_QKV_mfma16_kernelI14__hip_bfloat16S0_LN4vllm18Fp8KVCacheDataTypeE0EhLi16ELi128ELi256ELb0ELi12EEvPKT_PKT0_S8_ifPKiSA_SA_iPKfiiiPfSD_PS3_PT2_iSC_SC_ ; -- Begin function _Z39paged_attention_ll4mi_QKV_mfma16_kernelI14__hip_bfloat16S0_LN4vllm18Fp8KVCacheDataTypeE0EhLi16ELi128ELi256ELb0ELi12EEvPKT_PKT0_S8_ifPKiSA_SA_iPKfiiiPfSD_PS3_PT2_iSC_SC_
	.globl	_Z39paged_attention_ll4mi_QKV_mfma16_kernelI14__hip_bfloat16S0_LN4vllm18Fp8KVCacheDataTypeE0EhLi16ELi128ELi256ELb0ELi12EEvPKT_PKT0_S8_ifPKiSA_SA_iPKfiiiPfSD_PS3_PT2_iSC_SC_
	.p2align	8
	.type	_Z39paged_attention_ll4mi_QKV_mfma16_kernelI14__hip_bfloat16S0_LN4vllm18Fp8KVCacheDataTypeE0EhLi16ELi128ELi256ELb0ELi12EEvPKT_PKT0_S8_ifPKiSA_SA_iPKfiiiPfSD_PS3_PT2_iSC_SC_,@function
_Z39paged_attention_ll4mi_QKV_mfma16_kernelI14__hip_bfloat16S0_LN4vllm18Fp8KVCacheDataTypeE0EhLi16ELi128ELi256ELb0ELi12EEvPKT_PKT0_S8_ifPKiSA_SA_iPKfiiiPfSD_PS3_PT2_iSC_SC_: ; @_Z39paged_attention_ll4mi_QKV_mfma16_kernelI14__hip_bfloat16S0_LN4vllm18Fp8KVCacheDataTypeE0EhLi16ELi128ELi256ELb0ELi12EEvPKT_PKT0_S8_ifPKiSA_SA_iPKfiiiPfSD_PS3_PT2_iSC_SC_
; %bb.0:
	s_get_pc_i64 s[2:3]
	s_add_nc_u64 s[2:3], s[2:3], __PRETTY_FUNCTION__._Z39paged_attention_ll4mi_QKV_mfma16_kernelI14__hip_bfloat16S0_LN4vllm18Fp8KVCacheDataTypeE0EhLi16ELi128ELi256ELb0ELi12EEvPKT_PKT0_S8_ifPKiSA_SA_iPKfiiiPfSD_PS3_PT2_iSC_SC_@rel64+4
	s_delay_alu instid0(SALU_CYCLE_1)
	v_dual_mov_b32 v0, 0xbb3 :: v_dual_mov_b32 v1, s2
	v_mov_b32_e32 v2, s3
	s_add_nc_u64 s[8:9], s[0:1], 0x90
	s_get_pc_i64 s[0:1]
	s_add_nc_u64 s[0:1], s[0:1], __assert_fail@rel64+4
	s_mov_b32 s32, 0
	s_swap_pc_i64 s[30:31], s[0:1]
	.section	.rodata,"a",@progbits
	.p2align	6, 0x0
	.amdhsa_kernel _Z39paged_attention_ll4mi_QKV_mfma16_kernelI14__hip_bfloat16S0_LN4vllm18Fp8KVCacheDataTypeE0EhLi16ELi128ELi256ELb0ELi12EEvPKT_PKT0_S8_ifPKiSA_SA_iPKfiiiPfSD_PS3_PT2_iSC_SC_
		.amdhsa_group_segment_fixed_size 0
		.amdhsa_private_segment_fixed_size 64
		.amdhsa_kernarg_size 400
		.amdhsa_user_sgpr_count 2
		.amdhsa_user_sgpr_dispatch_ptr 0
		.amdhsa_user_sgpr_queue_ptr 0
		.amdhsa_user_sgpr_kernarg_segment_ptr 1
		.amdhsa_user_sgpr_dispatch_id 0
		.amdhsa_user_sgpr_kernarg_preload_length 0
		.amdhsa_user_sgpr_kernarg_preload_offset 0
		.amdhsa_user_sgpr_private_segment_size 0
		.amdhsa_wavefront_size32 1
		.amdhsa_uses_dynamic_stack 0
		.amdhsa_enable_private_segment 1
		.amdhsa_system_sgpr_workgroup_id_x 1
		.amdhsa_system_sgpr_workgroup_id_y 0
		.amdhsa_system_sgpr_workgroup_id_z 0
		.amdhsa_system_sgpr_workgroup_info 0
		.amdhsa_system_vgpr_workitem_id 0
		.amdhsa_next_free_vgpr 51
		.amdhsa_next_free_sgpr 34
		.amdhsa_named_barrier_count 0
		.amdhsa_reserve_vcc 1
		.amdhsa_float_round_mode_32 0
		.amdhsa_float_round_mode_16_64 0
		.amdhsa_float_denorm_mode_32 3
		.amdhsa_float_denorm_mode_16_64 3
		.amdhsa_fp16_overflow 0
		.amdhsa_memory_ordered 1
		.amdhsa_forward_progress 1
		.amdhsa_inst_pref_size 1
		.amdhsa_round_robin_scheduling 0
		.amdhsa_exception_fp_ieee_invalid_op 0
		.amdhsa_exception_fp_denorm_src 0
		.amdhsa_exception_fp_ieee_div_zero 0
		.amdhsa_exception_fp_ieee_overflow 0
		.amdhsa_exception_fp_ieee_underflow 0
		.amdhsa_exception_fp_ieee_inexact 0
		.amdhsa_exception_int_div_zero 0
	.end_amdhsa_kernel
	.section	.text._Z39paged_attention_ll4mi_QKV_mfma16_kernelI14__hip_bfloat16S0_LN4vllm18Fp8KVCacheDataTypeE0EhLi16ELi128ELi256ELb0ELi12EEvPKT_PKT0_S8_ifPKiSA_SA_iPKfiiiPfSD_PS3_PT2_iSC_SC_,"axG",@progbits,_Z39paged_attention_ll4mi_QKV_mfma16_kernelI14__hip_bfloat16S0_LN4vllm18Fp8KVCacheDataTypeE0EhLi16ELi128ELi256ELb0ELi12EEvPKT_PKT0_S8_ifPKiSA_SA_iPKfiiiPfSD_PS3_PT2_iSC_SC_,comdat
.Lfunc_end625:
	.size	_Z39paged_attention_ll4mi_QKV_mfma16_kernelI14__hip_bfloat16S0_LN4vllm18Fp8KVCacheDataTypeE0EhLi16ELi128ELi256ELb0ELi12EEvPKT_PKT0_S8_ifPKiSA_SA_iPKfiiiPfSD_PS3_PT2_iSC_SC_, .Lfunc_end625-_Z39paged_attention_ll4mi_QKV_mfma16_kernelI14__hip_bfloat16S0_LN4vllm18Fp8KVCacheDataTypeE0EhLi16ELi128ELi256ELb0ELi12EEvPKT_PKT0_S8_ifPKiSA_SA_iPKfiiiPfSD_PS3_PT2_iSC_SC_
                                        ; -- End function
	.set _Z39paged_attention_ll4mi_QKV_mfma16_kernelI14__hip_bfloat16S0_LN4vllm18Fp8KVCacheDataTypeE0EhLi16ELi128ELi256ELb0ELi12EEvPKT_PKT0_S8_ifPKiSA_SA_iPKfiiiPfSD_PS3_PT2_iSC_SC_.num_vgpr, max(3, .L__assert_fail.num_vgpr)
	.set _Z39paged_attention_ll4mi_QKV_mfma16_kernelI14__hip_bfloat16S0_LN4vllm18Fp8KVCacheDataTypeE0EhLi16ELi128ELi256ELb0ELi12EEvPKT_PKT0_S8_ifPKiSA_SA_iPKfiiiPfSD_PS3_PT2_iSC_SC_.num_agpr, max(0, .L__assert_fail.num_agpr)
	.set _Z39paged_attention_ll4mi_QKV_mfma16_kernelI14__hip_bfloat16S0_LN4vllm18Fp8KVCacheDataTypeE0EhLi16ELi128ELi256ELb0ELi12EEvPKT_PKT0_S8_ifPKiSA_SA_iPKfiiiPfSD_PS3_PT2_iSC_SC_.numbered_sgpr, max(33, .L__assert_fail.numbered_sgpr)
	.set _Z39paged_attention_ll4mi_QKV_mfma16_kernelI14__hip_bfloat16S0_LN4vllm18Fp8KVCacheDataTypeE0EhLi16ELi128ELi256ELb0ELi12EEvPKT_PKT0_S8_ifPKiSA_SA_iPKfiiiPfSD_PS3_PT2_iSC_SC_.num_named_barrier, max(0, .L__assert_fail.num_named_barrier)
	.set _Z39paged_attention_ll4mi_QKV_mfma16_kernelI14__hip_bfloat16S0_LN4vllm18Fp8KVCacheDataTypeE0EhLi16ELi128ELi256ELb0ELi12EEvPKT_PKT0_S8_ifPKiSA_SA_iPKfiiiPfSD_PS3_PT2_iSC_SC_.private_seg_size, 0+max(.L__assert_fail.private_seg_size)
	.set _Z39paged_attention_ll4mi_QKV_mfma16_kernelI14__hip_bfloat16S0_LN4vllm18Fp8KVCacheDataTypeE0EhLi16ELi128ELi256ELb0ELi12EEvPKT_PKT0_S8_ifPKiSA_SA_iPKfiiiPfSD_PS3_PT2_iSC_SC_.uses_vcc, or(1, .L__assert_fail.uses_vcc)
	.set _Z39paged_attention_ll4mi_QKV_mfma16_kernelI14__hip_bfloat16S0_LN4vllm18Fp8KVCacheDataTypeE0EhLi16ELi128ELi256ELb0ELi12EEvPKT_PKT0_S8_ifPKiSA_SA_iPKfiiiPfSD_PS3_PT2_iSC_SC_.uses_flat_scratch, or(0, .L__assert_fail.uses_flat_scratch)
	.set _Z39paged_attention_ll4mi_QKV_mfma16_kernelI14__hip_bfloat16S0_LN4vllm18Fp8KVCacheDataTypeE0EhLi16ELi128ELi256ELb0ELi12EEvPKT_PKT0_S8_ifPKiSA_SA_iPKfiiiPfSD_PS3_PT2_iSC_SC_.has_dyn_sized_stack, or(0, .L__assert_fail.has_dyn_sized_stack)
	.set _Z39paged_attention_ll4mi_QKV_mfma16_kernelI14__hip_bfloat16S0_LN4vllm18Fp8KVCacheDataTypeE0EhLi16ELi128ELi256ELb0ELi12EEvPKT_PKT0_S8_ifPKiSA_SA_iPKfiiiPfSD_PS3_PT2_iSC_SC_.has_recursion, or(0, .L__assert_fail.has_recursion)
	.set _Z39paged_attention_ll4mi_QKV_mfma16_kernelI14__hip_bfloat16S0_LN4vllm18Fp8KVCacheDataTypeE0EhLi16ELi128ELi256ELb0ELi12EEvPKT_PKT0_S8_ifPKiSA_SA_iPKfiiiPfSD_PS3_PT2_iSC_SC_.has_indirect_call, or(0, .L__assert_fail.has_indirect_call)
	.section	.AMDGPU.csdata,"",@progbits
; Kernel info:
; codeLenInByte = 68
; TotalNumSgprs: 36
; NumVgprs: 51
; ScratchSize: 64
; MemoryBound: 0
; FloatMode: 240
; IeeeMode: 1
; LDSByteSize: 0 bytes/workgroup (compile time only)
; SGPRBlocks: 0
; VGPRBlocks: 3
; NumSGPRsForWavesPerEU: 36
; NumVGPRsForWavesPerEU: 51
; NamedBarCnt: 0
; Occupancy: 16
; WaveLimiterHint : 1
; COMPUTE_PGM_RSRC2:SCRATCH_EN: 1
; COMPUTE_PGM_RSRC2:USER_SGPR: 2
; COMPUTE_PGM_RSRC2:TRAP_HANDLER: 0
; COMPUTE_PGM_RSRC2:TGID_X_EN: 1
; COMPUTE_PGM_RSRC2:TGID_Y_EN: 0
; COMPUTE_PGM_RSRC2:TGID_Z_EN: 0
; COMPUTE_PGM_RSRC2:TIDIG_COMP_CNT: 0
	.section	.text._Z39paged_attention_ll4mi_QKV_mfma16_kernelI14__hip_bfloat16S0_LN4vllm18Fp8KVCacheDataTypeE0EhLi16ELi128ELi256ELb0ELi13EEvPKT_PKT0_S8_ifPKiSA_SA_iPKfiiiPfSD_PS3_PT2_iSC_SC_,"axG",@progbits,_Z39paged_attention_ll4mi_QKV_mfma16_kernelI14__hip_bfloat16S0_LN4vllm18Fp8KVCacheDataTypeE0EhLi16ELi128ELi256ELb0ELi13EEvPKT_PKT0_S8_ifPKiSA_SA_iPKfiiiPfSD_PS3_PT2_iSC_SC_,comdat
	.protected	_Z39paged_attention_ll4mi_QKV_mfma16_kernelI14__hip_bfloat16S0_LN4vllm18Fp8KVCacheDataTypeE0EhLi16ELi128ELi256ELb0ELi13EEvPKT_PKT0_S8_ifPKiSA_SA_iPKfiiiPfSD_PS3_PT2_iSC_SC_ ; -- Begin function _Z39paged_attention_ll4mi_QKV_mfma16_kernelI14__hip_bfloat16S0_LN4vllm18Fp8KVCacheDataTypeE0EhLi16ELi128ELi256ELb0ELi13EEvPKT_PKT0_S8_ifPKiSA_SA_iPKfiiiPfSD_PS3_PT2_iSC_SC_
	.globl	_Z39paged_attention_ll4mi_QKV_mfma16_kernelI14__hip_bfloat16S0_LN4vllm18Fp8KVCacheDataTypeE0EhLi16ELi128ELi256ELb0ELi13EEvPKT_PKT0_S8_ifPKiSA_SA_iPKfiiiPfSD_PS3_PT2_iSC_SC_
	.p2align	8
	.type	_Z39paged_attention_ll4mi_QKV_mfma16_kernelI14__hip_bfloat16S0_LN4vllm18Fp8KVCacheDataTypeE0EhLi16ELi128ELi256ELb0ELi13EEvPKT_PKT0_S8_ifPKiSA_SA_iPKfiiiPfSD_PS3_PT2_iSC_SC_,@function
_Z39paged_attention_ll4mi_QKV_mfma16_kernelI14__hip_bfloat16S0_LN4vllm18Fp8KVCacheDataTypeE0EhLi16ELi128ELi256ELb0ELi13EEvPKT_PKT0_S8_ifPKiSA_SA_iPKfiiiPfSD_PS3_PT2_iSC_SC_: ; @_Z39paged_attention_ll4mi_QKV_mfma16_kernelI14__hip_bfloat16S0_LN4vllm18Fp8KVCacheDataTypeE0EhLi16ELi128ELi256ELb0ELi13EEvPKT_PKT0_S8_ifPKiSA_SA_iPKfiiiPfSD_PS3_PT2_iSC_SC_
; %bb.0:
	s_get_pc_i64 s[2:3]
	s_add_nc_u64 s[2:3], s[2:3], __PRETTY_FUNCTION__._Z39paged_attention_ll4mi_QKV_mfma16_kernelI14__hip_bfloat16S0_LN4vllm18Fp8KVCacheDataTypeE0EhLi16ELi128ELi256ELb0ELi13EEvPKT_PKT0_S8_ifPKiSA_SA_iPKfiiiPfSD_PS3_PT2_iSC_SC_@rel64+4
	s_delay_alu instid0(SALU_CYCLE_1)
	v_dual_mov_b32 v0, 0xbb3 :: v_dual_mov_b32 v1, s2
	v_mov_b32_e32 v2, s3
	s_add_nc_u64 s[8:9], s[0:1], 0x90
	s_get_pc_i64 s[0:1]
	s_add_nc_u64 s[0:1], s[0:1], __assert_fail@rel64+4
	s_mov_b32 s32, 0
	s_swap_pc_i64 s[30:31], s[0:1]
	.section	.rodata,"a",@progbits
	.p2align	6, 0x0
	.amdhsa_kernel _Z39paged_attention_ll4mi_QKV_mfma16_kernelI14__hip_bfloat16S0_LN4vllm18Fp8KVCacheDataTypeE0EhLi16ELi128ELi256ELb0ELi13EEvPKT_PKT0_S8_ifPKiSA_SA_iPKfiiiPfSD_PS3_PT2_iSC_SC_
		.amdhsa_group_segment_fixed_size 0
		.amdhsa_private_segment_fixed_size 64
		.amdhsa_kernarg_size 400
		.amdhsa_user_sgpr_count 2
		.amdhsa_user_sgpr_dispatch_ptr 0
		.amdhsa_user_sgpr_queue_ptr 0
		.amdhsa_user_sgpr_kernarg_segment_ptr 1
		.amdhsa_user_sgpr_dispatch_id 0
		.amdhsa_user_sgpr_kernarg_preload_length 0
		.amdhsa_user_sgpr_kernarg_preload_offset 0
		.amdhsa_user_sgpr_private_segment_size 0
		.amdhsa_wavefront_size32 1
		.amdhsa_uses_dynamic_stack 0
		.amdhsa_enable_private_segment 1
		.amdhsa_system_sgpr_workgroup_id_x 1
		.amdhsa_system_sgpr_workgroup_id_y 0
		.amdhsa_system_sgpr_workgroup_id_z 0
		.amdhsa_system_sgpr_workgroup_info 0
		.amdhsa_system_vgpr_workitem_id 0
		.amdhsa_next_free_vgpr 51
		.amdhsa_next_free_sgpr 34
		.amdhsa_named_barrier_count 0
		.amdhsa_reserve_vcc 1
		.amdhsa_float_round_mode_32 0
		.amdhsa_float_round_mode_16_64 0
		.amdhsa_float_denorm_mode_32 3
		.amdhsa_float_denorm_mode_16_64 3
		.amdhsa_fp16_overflow 0
		.amdhsa_memory_ordered 1
		.amdhsa_forward_progress 1
		.amdhsa_inst_pref_size 1
		.amdhsa_round_robin_scheduling 0
		.amdhsa_exception_fp_ieee_invalid_op 0
		.amdhsa_exception_fp_denorm_src 0
		.amdhsa_exception_fp_ieee_div_zero 0
		.amdhsa_exception_fp_ieee_overflow 0
		.amdhsa_exception_fp_ieee_underflow 0
		.amdhsa_exception_fp_ieee_inexact 0
		.amdhsa_exception_int_div_zero 0
	.end_amdhsa_kernel
	.section	.text._Z39paged_attention_ll4mi_QKV_mfma16_kernelI14__hip_bfloat16S0_LN4vllm18Fp8KVCacheDataTypeE0EhLi16ELi128ELi256ELb0ELi13EEvPKT_PKT0_S8_ifPKiSA_SA_iPKfiiiPfSD_PS3_PT2_iSC_SC_,"axG",@progbits,_Z39paged_attention_ll4mi_QKV_mfma16_kernelI14__hip_bfloat16S0_LN4vllm18Fp8KVCacheDataTypeE0EhLi16ELi128ELi256ELb0ELi13EEvPKT_PKT0_S8_ifPKiSA_SA_iPKfiiiPfSD_PS3_PT2_iSC_SC_,comdat
.Lfunc_end626:
	.size	_Z39paged_attention_ll4mi_QKV_mfma16_kernelI14__hip_bfloat16S0_LN4vllm18Fp8KVCacheDataTypeE0EhLi16ELi128ELi256ELb0ELi13EEvPKT_PKT0_S8_ifPKiSA_SA_iPKfiiiPfSD_PS3_PT2_iSC_SC_, .Lfunc_end626-_Z39paged_attention_ll4mi_QKV_mfma16_kernelI14__hip_bfloat16S0_LN4vllm18Fp8KVCacheDataTypeE0EhLi16ELi128ELi256ELb0ELi13EEvPKT_PKT0_S8_ifPKiSA_SA_iPKfiiiPfSD_PS3_PT2_iSC_SC_
                                        ; -- End function
	.set _Z39paged_attention_ll4mi_QKV_mfma16_kernelI14__hip_bfloat16S0_LN4vllm18Fp8KVCacheDataTypeE0EhLi16ELi128ELi256ELb0ELi13EEvPKT_PKT0_S8_ifPKiSA_SA_iPKfiiiPfSD_PS3_PT2_iSC_SC_.num_vgpr, max(3, .L__assert_fail.num_vgpr)
	.set _Z39paged_attention_ll4mi_QKV_mfma16_kernelI14__hip_bfloat16S0_LN4vllm18Fp8KVCacheDataTypeE0EhLi16ELi128ELi256ELb0ELi13EEvPKT_PKT0_S8_ifPKiSA_SA_iPKfiiiPfSD_PS3_PT2_iSC_SC_.num_agpr, max(0, .L__assert_fail.num_agpr)
	.set _Z39paged_attention_ll4mi_QKV_mfma16_kernelI14__hip_bfloat16S0_LN4vllm18Fp8KVCacheDataTypeE0EhLi16ELi128ELi256ELb0ELi13EEvPKT_PKT0_S8_ifPKiSA_SA_iPKfiiiPfSD_PS3_PT2_iSC_SC_.numbered_sgpr, max(33, .L__assert_fail.numbered_sgpr)
	.set _Z39paged_attention_ll4mi_QKV_mfma16_kernelI14__hip_bfloat16S0_LN4vllm18Fp8KVCacheDataTypeE0EhLi16ELi128ELi256ELb0ELi13EEvPKT_PKT0_S8_ifPKiSA_SA_iPKfiiiPfSD_PS3_PT2_iSC_SC_.num_named_barrier, max(0, .L__assert_fail.num_named_barrier)
	.set _Z39paged_attention_ll4mi_QKV_mfma16_kernelI14__hip_bfloat16S0_LN4vllm18Fp8KVCacheDataTypeE0EhLi16ELi128ELi256ELb0ELi13EEvPKT_PKT0_S8_ifPKiSA_SA_iPKfiiiPfSD_PS3_PT2_iSC_SC_.private_seg_size, 0+max(.L__assert_fail.private_seg_size)
	.set _Z39paged_attention_ll4mi_QKV_mfma16_kernelI14__hip_bfloat16S0_LN4vllm18Fp8KVCacheDataTypeE0EhLi16ELi128ELi256ELb0ELi13EEvPKT_PKT0_S8_ifPKiSA_SA_iPKfiiiPfSD_PS3_PT2_iSC_SC_.uses_vcc, or(1, .L__assert_fail.uses_vcc)
	.set _Z39paged_attention_ll4mi_QKV_mfma16_kernelI14__hip_bfloat16S0_LN4vllm18Fp8KVCacheDataTypeE0EhLi16ELi128ELi256ELb0ELi13EEvPKT_PKT0_S8_ifPKiSA_SA_iPKfiiiPfSD_PS3_PT2_iSC_SC_.uses_flat_scratch, or(0, .L__assert_fail.uses_flat_scratch)
	.set _Z39paged_attention_ll4mi_QKV_mfma16_kernelI14__hip_bfloat16S0_LN4vllm18Fp8KVCacheDataTypeE0EhLi16ELi128ELi256ELb0ELi13EEvPKT_PKT0_S8_ifPKiSA_SA_iPKfiiiPfSD_PS3_PT2_iSC_SC_.has_dyn_sized_stack, or(0, .L__assert_fail.has_dyn_sized_stack)
	.set _Z39paged_attention_ll4mi_QKV_mfma16_kernelI14__hip_bfloat16S0_LN4vllm18Fp8KVCacheDataTypeE0EhLi16ELi128ELi256ELb0ELi13EEvPKT_PKT0_S8_ifPKiSA_SA_iPKfiiiPfSD_PS3_PT2_iSC_SC_.has_recursion, or(0, .L__assert_fail.has_recursion)
	.set _Z39paged_attention_ll4mi_QKV_mfma16_kernelI14__hip_bfloat16S0_LN4vllm18Fp8KVCacheDataTypeE0EhLi16ELi128ELi256ELb0ELi13EEvPKT_PKT0_S8_ifPKiSA_SA_iPKfiiiPfSD_PS3_PT2_iSC_SC_.has_indirect_call, or(0, .L__assert_fail.has_indirect_call)
	.section	.AMDGPU.csdata,"",@progbits
; Kernel info:
; codeLenInByte = 68
; TotalNumSgprs: 36
; NumVgprs: 51
; ScratchSize: 64
; MemoryBound: 0
; FloatMode: 240
; IeeeMode: 1
; LDSByteSize: 0 bytes/workgroup (compile time only)
; SGPRBlocks: 0
; VGPRBlocks: 3
; NumSGPRsForWavesPerEU: 36
; NumVGPRsForWavesPerEU: 51
; NamedBarCnt: 0
; Occupancy: 16
; WaveLimiterHint : 1
; COMPUTE_PGM_RSRC2:SCRATCH_EN: 1
; COMPUTE_PGM_RSRC2:USER_SGPR: 2
; COMPUTE_PGM_RSRC2:TRAP_HANDLER: 0
; COMPUTE_PGM_RSRC2:TGID_X_EN: 1
; COMPUTE_PGM_RSRC2:TGID_Y_EN: 0
; COMPUTE_PGM_RSRC2:TGID_Z_EN: 0
; COMPUTE_PGM_RSRC2:TIDIG_COMP_CNT: 0
	.section	.text._Z39paged_attention_ll4mi_QKV_mfma16_kernelI14__hip_bfloat16S0_LN4vllm18Fp8KVCacheDataTypeE0EhLi16ELi128ELi256ELb0ELi14EEvPKT_PKT0_S8_ifPKiSA_SA_iPKfiiiPfSD_PS3_PT2_iSC_SC_,"axG",@progbits,_Z39paged_attention_ll4mi_QKV_mfma16_kernelI14__hip_bfloat16S0_LN4vllm18Fp8KVCacheDataTypeE0EhLi16ELi128ELi256ELb0ELi14EEvPKT_PKT0_S8_ifPKiSA_SA_iPKfiiiPfSD_PS3_PT2_iSC_SC_,comdat
	.protected	_Z39paged_attention_ll4mi_QKV_mfma16_kernelI14__hip_bfloat16S0_LN4vllm18Fp8KVCacheDataTypeE0EhLi16ELi128ELi256ELb0ELi14EEvPKT_PKT0_S8_ifPKiSA_SA_iPKfiiiPfSD_PS3_PT2_iSC_SC_ ; -- Begin function _Z39paged_attention_ll4mi_QKV_mfma16_kernelI14__hip_bfloat16S0_LN4vllm18Fp8KVCacheDataTypeE0EhLi16ELi128ELi256ELb0ELi14EEvPKT_PKT0_S8_ifPKiSA_SA_iPKfiiiPfSD_PS3_PT2_iSC_SC_
	.globl	_Z39paged_attention_ll4mi_QKV_mfma16_kernelI14__hip_bfloat16S0_LN4vllm18Fp8KVCacheDataTypeE0EhLi16ELi128ELi256ELb0ELi14EEvPKT_PKT0_S8_ifPKiSA_SA_iPKfiiiPfSD_PS3_PT2_iSC_SC_
	.p2align	8
	.type	_Z39paged_attention_ll4mi_QKV_mfma16_kernelI14__hip_bfloat16S0_LN4vllm18Fp8KVCacheDataTypeE0EhLi16ELi128ELi256ELb0ELi14EEvPKT_PKT0_S8_ifPKiSA_SA_iPKfiiiPfSD_PS3_PT2_iSC_SC_,@function
_Z39paged_attention_ll4mi_QKV_mfma16_kernelI14__hip_bfloat16S0_LN4vllm18Fp8KVCacheDataTypeE0EhLi16ELi128ELi256ELb0ELi14EEvPKT_PKT0_S8_ifPKiSA_SA_iPKfiiiPfSD_PS3_PT2_iSC_SC_: ; @_Z39paged_attention_ll4mi_QKV_mfma16_kernelI14__hip_bfloat16S0_LN4vllm18Fp8KVCacheDataTypeE0EhLi16ELi128ELi256ELb0ELi14EEvPKT_PKT0_S8_ifPKiSA_SA_iPKfiiiPfSD_PS3_PT2_iSC_SC_
; %bb.0:
	s_get_pc_i64 s[2:3]
	s_add_nc_u64 s[2:3], s[2:3], __PRETTY_FUNCTION__._Z39paged_attention_ll4mi_QKV_mfma16_kernelI14__hip_bfloat16S0_LN4vllm18Fp8KVCacheDataTypeE0EhLi16ELi128ELi256ELb0ELi14EEvPKT_PKT0_S8_ifPKiSA_SA_iPKfiiiPfSD_PS3_PT2_iSC_SC_@rel64+4
	s_delay_alu instid0(SALU_CYCLE_1)
	v_dual_mov_b32 v0, 0xbb3 :: v_dual_mov_b32 v1, s2
	v_mov_b32_e32 v2, s3
	s_add_nc_u64 s[8:9], s[0:1], 0x90
	s_get_pc_i64 s[0:1]
	s_add_nc_u64 s[0:1], s[0:1], __assert_fail@rel64+4
	s_mov_b32 s32, 0
	s_swap_pc_i64 s[30:31], s[0:1]
	.section	.rodata,"a",@progbits
	.p2align	6, 0x0
	.amdhsa_kernel _Z39paged_attention_ll4mi_QKV_mfma16_kernelI14__hip_bfloat16S0_LN4vllm18Fp8KVCacheDataTypeE0EhLi16ELi128ELi256ELb0ELi14EEvPKT_PKT0_S8_ifPKiSA_SA_iPKfiiiPfSD_PS3_PT2_iSC_SC_
		.amdhsa_group_segment_fixed_size 0
		.amdhsa_private_segment_fixed_size 64
		.amdhsa_kernarg_size 400
		.amdhsa_user_sgpr_count 2
		.amdhsa_user_sgpr_dispatch_ptr 0
		.amdhsa_user_sgpr_queue_ptr 0
		.amdhsa_user_sgpr_kernarg_segment_ptr 1
		.amdhsa_user_sgpr_dispatch_id 0
		.amdhsa_user_sgpr_kernarg_preload_length 0
		.amdhsa_user_sgpr_kernarg_preload_offset 0
		.amdhsa_user_sgpr_private_segment_size 0
		.amdhsa_wavefront_size32 1
		.amdhsa_uses_dynamic_stack 0
		.amdhsa_enable_private_segment 1
		.amdhsa_system_sgpr_workgroup_id_x 1
		.amdhsa_system_sgpr_workgroup_id_y 0
		.amdhsa_system_sgpr_workgroup_id_z 0
		.amdhsa_system_sgpr_workgroup_info 0
		.amdhsa_system_vgpr_workitem_id 0
		.amdhsa_next_free_vgpr 51
		.amdhsa_next_free_sgpr 34
		.amdhsa_named_barrier_count 0
		.amdhsa_reserve_vcc 1
		.amdhsa_float_round_mode_32 0
		.amdhsa_float_round_mode_16_64 0
		.amdhsa_float_denorm_mode_32 3
		.amdhsa_float_denorm_mode_16_64 3
		.amdhsa_fp16_overflow 0
		.amdhsa_memory_ordered 1
		.amdhsa_forward_progress 1
		.amdhsa_inst_pref_size 1
		.amdhsa_round_robin_scheduling 0
		.amdhsa_exception_fp_ieee_invalid_op 0
		.amdhsa_exception_fp_denorm_src 0
		.amdhsa_exception_fp_ieee_div_zero 0
		.amdhsa_exception_fp_ieee_overflow 0
		.amdhsa_exception_fp_ieee_underflow 0
		.amdhsa_exception_fp_ieee_inexact 0
		.amdhsa_exception_int_div_zero 0
	.end_amdhsa_kernel
	.section	.text._Z39paged_attention_ll4mi_QKV_mfma16_kernelI14__hip_bfloat16S0_LN4vllm18Fp8KVCacheDataTypeE0EhLi16ELi128ELi256ELb0ELi14EEvPKT_PKT0_S8_ifPKiSA_SA_iPKfiiiPfSD_PS3_PT2_iSC_SC_,"axG",@progbits,_Z39paged_attention_ll4mi_QKV_mfma16_kernelI14__hip_bfloat16S0_LN4vllm18Fp8KVCacheDataTypeE0EhLi16ELi128ELi256ELb0ELi14EEvPKT_PKT0_S8_ifPKiSA_SA_iPKfiiiPfSD_PS3_PT2_iSC_SC_,comdat
.Lfunc_end627:
	.size	_Z39paged_attention_ll4mi_QKV_mfma16_kernelI14__hip_bfloat16S0_LN4vllm18Fp8KVCacheDataTypeE0EhLi16ELi128ELi256ELb0ELi14EEvPKT_PKT0_S8_ifPKiSA_SA_iPKfiiiPfSD_PS3_PT2_iSC_SC_, .Lfunc_end627-_Z39paged_attention_ll4mi_QKV_mfma16_kernelI14__hip_bfloat16S0_LN4vllm18Fp8KVCacheDataTypeE0EhLi16ELi128ELi256ELb0ELi14EEvPKT_PKT0_S8_ifPKiSA_SA_iPKfiiiPfSD_PS3_PT2_iSC_SC_
                                        ; -- End function
	.set _Z39paged_attention_ll4mi_QKV_mfma16_kernelI14__hip_bfloat16S0_LN4vllm18Fp8KVCacheDataTypeE0EhLi16ELi128ELi256ELb0ELi14EEvPKT_PKT0_S8_ifPKiSA_SA_iPKfiiiPfSD_PS3_PT2_iSC_SC_.num_vgpr, max(3, .L__assert_fail.num_vgpr)
	.set _Z39paged_attention_ll4mi_QKV_mfma16_kernelI14__hip_bfloat16S0_LN4vllm18Fp8KVCacheDataTypeE0EhLi16ELi128ELi256ELb0ELi14EEvPKT_PKT0_S8_ifPKiSA_SA_iPKfiiiPfSD_PS3_PT2_iSC_SC_.num_agpr, max(0, .L__assert_fail.num_agpr)
	.set _Z39paged_attention_ll4mi_QKV_mfma16_kernelI14__hip_bfloat16S0_LN4vllm18Fp8KVCacheDataTypeE0EhLi16ELi128ELi256ELb0ELi14EEvPKT_PKT0_S8_ifPKiSA_SA_iPKfiiiPfSD_PS3_PT2_iSC_SC_.numbered_sgpr, max(33, .L__assert_fail.numbered_sgpr)
	.set _Z39paged_attention_ll4mi_QKV_mfma16_kernelI14__hip_bfloat16S0_LN4vllm18Fp8KVCacheDataTypeE0EhLi16ELi128ELi256ELb0ELi14EEvPKT_PKT0_S8_ifPKiSA_SA_iPKfiiiPfSD_PS3_PT2_iSC_SC_.num_named_barrier, max(0, .L__assert_fail.num_named_barrier)
	.set _Z39paged_attention_ll4mi_QKV_mfma16_kernelI14__hip_bfloat16S0_LN4vllm18Fp8KVCacheDataTypeE0EhLi16ELi128ELi256ELb0ELi14EEvPKT_PKT0_S8_ifPKiSA_SA_iPKfiiiPfSD_PS3_PT2_iSC_SC_.private_seg_size, 0+max(.L__assert_fail.private_seg_size)
	.set _Z39paged_attention_ll4mi_QKV_mfma16_kernelI14__hip_bfloat16S0_LN4vllm18Fp8KVCacheDataTypeE0EhLi16ELi128ELi256ELb0ELi14EEvPKT_PKT0_S8_ifPKiSA_SA_iPKfiiiPfSD_PS3_PT2_iSC_SC_.uses_vcc, or(1, .L__assert_fail.uses_vcc)
	.set _Z39paged_attention_ll4mi_QKV_mfma16_kernelI14__hip_bfloat16S0_LN4vllm18Fp8KVCacheDataTypeE0EhLi16ELi128ELi256ELb0ELi14EEvPKT_PKT0_S8_ifPKiSA_SA_iPKfiiiPfSD_PS3_PT2_iSC_SC_.uses_flat_scratch, or(0, .L__assert_fail.uses_flat_scratch)
	.set _Z39paged_attention_ll4mi_QKV_mfma16_kernelI14__hip_bfloat16S0_LN4vllm18Fp8KVCacheDataTypeE0EhLi16ELi128ELi256ELb0ELi14EEvPKT_PKT0_S8_ifPKiSA_SA_iPKfiiiPfSD_PS3_PT2_iSC_SC_.has_dyn_sized_stack, or(0, .L__assert_fail.has_dyn_sized_stack)
	.set _Z39paged_attention_ll4mi_QKV_mfma16_kernelI14__hip_bfloat16S0_LN4vllm18Fp8KVCacheDataTypeE0EhLi16ELi128ELi256ELb0ELi14EEvPKT_PKT0_S8_ifPKiSA_SA_iPKfiiiPfSD_PS3_PT2_iSC_SC_.has_recursion, or(0, .L__assert_fail.has_recursion)
	.set _Z39paged_attention_ll4mi_QKV_mfma16_kernelI14__hip_bfloat16S0_LN4vllm18Fp8KVCacheDataTypeE0EhLi16ELi128ELi256ELb0ELi14EEvPKT_PKT0_S8_ifPKiSA_SA_iPKfiiiPfSD_PS3_PT2_iSC_SC_.has_indirect_call, or(0, .L__assert_fail.has_indirect_call)
	.section	.AMDGPU.csdata,"",@progbits
; Kernel info:
; codeLenInByte = 68
; TotalNumSgprs: 36
; NumVgprs: 51
; ScratchSize: 64
; MemoryBound: 0
; FloatMode: 240
; IeeeMode: 1
; LDSByteSize: 0 bytes/workgroup (compile time only)
; SGPRBlocks: 0
; VGPRBlocks: 3
; NumSGPRsForWavesPerEU: 36
; NumVGPRsForWavesPerEU: 51
; NamedBarCnt: 0
; Occupancy: 16
; WaveLimiterHint : 1
; COMPUTE_PGM_RSRC2:SCRATCH_EN: 1
; COMPUTE_PGM_RSRC2:USER_SGPR: 2
; COMPUTE_PGM_RSRC2:TRAP_HANDLER: 0
; COMPUTE_PGM_RSRC2:TGID_X_EN: 1
; COMPUTE_PGM_RSRC2:TGID_Y_EN: 0
; COMPUTE_PGM_RSRC2:TGID_Z_EN: 0
; COMPUTE_PGM_RSRC2:TIDIG_COMP_CNT: 0
	.section	.text._Z39paged_attention_ll4mi_QKV_mfma16_kernelI14__hip_bfloat16S0_LN4vllm18Fp8KVCacheDataTypeE0EhLi16ELi128ELi256ELb0ELi15EEvPKT_PKT0_S8_ifPKiSA_SA_iPKfiiiPfSD_PS3_PT2_iSC_SC_,"axG",@progbits,_Z39paged_attention_ll4mi_QKV_mfma16_kernelI14__hip_bfloat16S0_LN4vllm18Fp8KVCacheDataTypeE0EhLi16ELi128ELi256ELb0ELi15EEvPKT_PKT0_S8_ifPKiSA_SA_iPKfiiiPfSD_PS3_PT2_iSC_SC_,comdat
	.protected	_Z39paged_attention_ll4mi_QKV_mfma16_kernelI14__hip_bfloat16S0_LN4vllm18Fp8KVCacheDataTypeE0EhLi16ELi128ELi256ELb0ELi15EEvPKT_PKT0_S8_ifPKiSA_SA_iPKfiiiPfSD_PS3_PT2_iSC_SC_ ; -- Begin function _Z39paged_attention_ll4mi_QKV_mfma16_kernelI14__hip_bfloat16S0_LN4vllm18Fp8KVCacheDataTypeE0EhLi16ELi128ELi256ELb0ELi15EEvPKT_PKT0_S8_ifPKiSA_SA_iPKfiiiPfSD_PS3_PT2_iSC_SC_
	.globl	_Z39paged_attention_ll4mi_QKV_mfma16_kernelI14__hip_bfloat16S0_LN4vllm18Fp8KVCacheDataTypeE0EhLi16ELi128ELi256ELb0ELi15EEvPKT_PKT0_S8_ifPKiSA_SA_iPKfiiiPfSD_PS3_PT2_iSC_SC_
	.p2align	8
	.type	_Z39paged_attention_ll4mi_QKV_mfma16_kernelI14__hip_bfloat16S0_LN4vllm18Fp8KVCacheDataTypeE0EhLi16ELi128ELi256ELb0ELi15EEvPKT_PKT0_S8_ifPKiSA_SA_iPKfiiiPfSD_PS3_PT2_iSC_SC_,@function
_Z39paged_attention_ll4mi_QKV_mfma16_kernelI14__hip_bfloat16S0_LN4vllm18Fp8KVCacheDataTypeE0EhLi16ELi128ELi256ELb0ELi15EEvPKT_PKT0_S8_ifPKiSA_SA_iPKfiiiPfSD_PS3_PT2_iSC_SC_: ; @_Z39paged_attention_ll4mi_QKV_mfma16_kernelI14__hip_bfloat16S0_LN4vllm18Fp8KVCacheDataTypeE0EhLi16ELi128ELi256ELb0ELi15EEvPKT_PKT0_S8_ifPKiSA_SA_iPKfiiiPfSD_PS3_PT2_iSC_SC_
; %bb.0:
	s_get_pc_i64 s[2:3]
	s_add_nc_u64 s[2:3], s[2:3], __PRETTY_FUNCTION__._Z39paged_attention_ll4mi_QKV_mfma16_kernelI14__hip_bfloat16S0_LN4vllm18Fp8KVCacheDataTypeE0EhLi16ELi128ELi256ELb0ELi15EEvPKT_PKT0_S8_ifPKiSA_SA_iPKfiiiPfSD_PS3_PT2_iSC_SC_@rel64+4
	s_delay_alu instid0(SALU_CYCLE_1)
	v_dual_mov_b32 v0, 0xbb3 :: v_dual_mov_b32 v1, s2
	v_mov_b32_e32 v2, s3
	s_add_nc_u64 s[8:9], s[0:1], 0x90
	s_get_pc_i64 s[0:1]
	s_add_nc_u64 s[0:1], s[0:1], __assert_fail@rel64+4
	s_mov_b32 s32, 0
	s_swap_pc_i64 s[30:31], s[0:1]
	.section	.rodata,"a",@progbits
	.p2align	6, 0x0
	.amdhsa_kernel _Z39paged_attention_ll4mi_QKV_mfma16_kernelI14__hip_bfloat16S0_LN4vllm18Fp8KVCacheDataTypeE0EhLi16ELi128ELi256ELb0ELi15EEvPKT_PKT0_S8_ifPKiSA_SA_iPKfiiiPfSD_PS3_PT2_iSC_SC_
		.amdhsa_group_segment_fixed_size 0
		.amdhsa_private_segment_fixed_size 64
		.amdhsa_kernarg_size 400
		.amdhsa_user_sgpr_count 2
		.amdhsa_user_sgpr_dispatch_ptr 0
		.amdhsa_user_sgpr_queue_ptr 0
		.amdhsa_user_sgpr_kernarg_segment_ptr 1
		.amdhsa_user_sgpr_dispatch_id 0
		.amdhsa_user_sgpr_kernarg_preload_length 0
		.amdhsa_user_sgpr_kernarg_preload_offset 0
		.amdhsa_user_sgpr_private_segment_size 0
		.amdhsa_wavefront_size32 1
		.amdhsa_uses_dynamic_stack 0
		.amdhsa_enable_private_segment 1
		.amdhsa_system_sgpr_workgroup_id_x 1
		.amdhsa_system_sgpr_workgroup_id_y 0
		.amdhsa_system_sgpr_workgroup_id_z 0
		.amdhsa_system_sgpr_workgroup_info 0
		.amdhsa_system_vgpr_workitem_id 0
		.amdhsa_next_free_vgpr 51
		.amdhsa_next_free_sgpr 34
		.amdhsa_named_barrier_count 0
		.amdhsa_reserve_vcc 1
		.amdhsa_float_round_mode_32 0
		.amdhsa_float_round_mode_16_64 0
		.amdhsa_float_denorm_mode_32 3
		.amdhsa_float_denorm_mode_16_64 3
		.amdhsa_fp16_overflow 0
		.amdhsa_memory_ordered 1
		.amdhsa_forward_progress 1
		.amdhsa_inst_pref_size 1
		.amdhsa_round_robin_scheduling 0
		.amdhsa_exception_fp_ieee_invalid_op 0
		.amdhsa_exception_fp_denorm_src 0
		.amdhsa_exception_fp_ieee_div_zero 0
		.amdhsa_exception_fp_ieee_overflow 0
		.amdhsa_exception_fp_ieee_underflow 0
		.amdhsa_exception_fp_ieee_inexact 0
		.amdhsa_exception_int_div_zero 0
	.end_amdhsa_kernel
	.section	.text._Z39paged_attention_ll4mi_QKV_mfma16_kernelI14__hip_bfloat16S0_LN4vllm18Fp8KVCacheDataTypeE0EhLi16ELi128ELi256ELb0ELi15EEvPKT_PKT0_S8_ifPKiSA_SA_iPKfiiiPfSD_PS3_PT2_iSC_SC_,"axG",@progbits,_Z39paged_attention_ll4mi_QKV_mfma16_kernelI14__hip_bfloat16S0_LN4vllm18Fp8KVCacheDataTypeE0EhLi16ELi128ELi256ELb0ELi15EEvPKT_PKT0_S8_ifPKiSA_SA_iPKfiiiPfSD_PS3_PT2_iSC_SC_,comdat
.Lfunc_end628:
	.size	_Z39paged_attention_ll4mi_QKV_mfma16_kernelI14__hip_bfloat16S0_LN4vllm18Fp8KVCacheDataTypeE0EhLi16ELi128ELi256ELb0ELi15EEvPKT_PKT0_S8_ifPKiSA_SA_iPKfiiiPfSD_PS3_PT2_iSC_SC_, .Lfunc_end628-_Z39paged_attention_ll4mi_QKV_mfma16_kernelI14__hip_bfloat16S0_LN4vllm18Fp8KVCacheDataTypeE0EhLi16ELi128ELi256ELb0ELi15EEvPKT_PKT0_S8_ifPKiSA_SA_iPKfiiiPfSD_PS3_PT2_iSC_SC_
                                        ; -- End function
	.set _Z39paged_attention_ll4mi_QKV_mfma16_kernelI14__hip_bfloat16S0_LN4vllm18Fp8KVCacheDataTypeE0EhLi16ELi128ELi256ELb0ELi15EEvPKT_PKT0_S8_ifPKiSA_SA_iPKfiiiPfSD_PS3_PT2_iSC_SC_.num_vgpr, max(3, .L__assert_fail.num_vgpr)
	.set _Z39paged_attention_ll4mi_QKV_mfma16_kernelI14__hip_bfloat16S0_LN4vllm18Fp8KVCacheDataTypeE0EhLi16ELi128ELi256ELb0ELi15EEvPKT_PKT0_S8_ifPKiSA_SA_iPKfiiiPfSD_PS3_PT2_iSC_SC_.num_agpr, max(0, .L__assert_fail.num_agpr)
	.set _Z39paged_attention_ll4mi_QKV_mfma16_kernelI14__hip_bfloat16S0_LN4vllm18Fp8KVCacheDataTypeE0EhLi16ELi128ELi256ELb0ELi15EEvPKT_PKT0_S8_ifPKiSA_SA_iPKfiiiPfSD_PS3_PT2_iSC_SC_.numbered_sgpr, max(33, .L__assert_fail.numbered_sgpr)
	.set _Z39paged_attention_ll4mi_QKV_mfma16_kernelI14__hip_bfloat16S0_LN4vllm18Fp8KVCacheDataTypeE0EhLi16ELi128ELi256ELb0ELi15EEvPKT_PKT0_S8_ifPKiSA_SA_iPKfiiiPfSD_PS3_PT2_iSC_SC_.num_named_barrier, max(0, .L__assert_fail.num_named_barrier)
	.set _Z39paged_attention_ll4mi_QKV_mfma16_kernelI14__hip_bfloat16S0_LN4vllm18Fp8KVCacheDataTypeE0EhLi16ELi128ELi256ELb0ELi15EEvPKT_PKT0_S8_ifPKiSA_SA_iPKfiiiPfSD_PS3_PT2_iSC_SC_.private_seg_size, 0+max(.L__assert_fail.private_seg_size)
	.set _Z39paged_attention_ll4mi_QKV_mfma16_kernelI14__hip_bfloat16S0_LN4vllm18Fp8KVCacheDataTypeE0EhLi16ELi128ELi256ELb0ELi15EEvPKT_PKT0_S8_ifPKiSA_SA_iPKfiiiPfSD_PS3_PT2_iSC_SC_.uses_vcc, or(1, .L__assert_fail.uses_vcc)
	.set _Z39paged_attention_ll4mi_QKV_mfma16_kernelI14__hip_bfloat16S0_LN4vllm18Fp8KVCacheDataTypeE0EhLi16ELi128ELi256ELb0ELi15EEvPKT_PKT0_S8_ifPKiSA_SA_iPKfiiiPfSD_PS3_PT2_iSC_SC_.uses_flat_scratch, or(0, .L__assert_fail.uses_flat_scratch)
	.set _Z39paged_attention_ll4mi_QKV_mfma16_kernelI14__hip_bfloat16S0_LN4vllm18Fp8KVCacheDataTypeE0EhLi16ELi128ELi256ELb0ELi15EEvPKT_PKT0_S8_ifPKiSA_SA_iPKfiiiPfSD_PS3_PT2_iSC_SC_.has_dyn_sized_stack, or(0, .L__assert_fail.has_dyn_sized_stack)
	.set _Z39paged_attention_ll4mi_QKV_mfma16_kernelI14__hip_bfloat16S0_LN4vllm18Fp8KVCacheDataTypeE0EhLi16ELi128ELi256ELb0ELi15EEvPKT_PKT0_S8_ifPKiSA_SA_iPKfiiiPfSD_PS3_PT2_iSC_SC_.has_recursion, or(0, .L__assert_fail.has_recursion)
	.set _Z39paged_attention_ll4mi_QKV_mfma16_kernelI14__hip_bfloat16S0_LN4vllm18Fp8KVCacheDataTypeE0EhLi16ELi128ELi256ELb0ELi15EEvPKT_PKT0_S8_ifPKiSA_SA_iPKfiiiPfSD_PS3_PT2_iSC_SC_.has_indirect_call, or(0, .L__assert_fail.has_indirect_call)
	.section	.AMDGPU.csdata,"",@progbits
; Kernel info:
; codeLenInByte = 68
; TotalNumSgprs: 36
; NumVgprs: 51
; ScratchSize: 64
; MemoryBound: 0
; FloatMode: 240
; IeeeMode: 1
; LDSByteSize: 0 bytes/workgroup (compile time only)
; SGPRBlocks: 0
; VGPRBlocks: 3
; NumSGPRsForWavesPerEU: 36
; NumVGPRsForWavesPerEU: 51
; NamedBarCnt: 0
; Occupancy: 16
; WaveLimiterHint : 1
; COMPUTE_PGM_RSRC2:SCRATCH_EN: 1
; COMPUTE_PGM_RSRC2:USER_SGPR: 2
; COMPUTE_PGM_RSRC2:TRAP_HANDLER: 0
; COMPUTE_PGM_RSRC2:TGID_X_EN: 1
; COMPUTE_PGM_RSRC2:TGID_Y_EN: 0
; COMPUTE_PGM_RSRC2:TGID_Z_EN: 0
; COMPUTE_PGM_RSRC2:TIDIG_COMP_CNT: 0
	.section	.text._Z39paged_attention_ll4mi_QKV_mfma16_kernelI14__hip_bfloat16S0_LN4vllm18Fp8KVCacheDataTypeE0EhLi16ELi128ELi256ELb0ELi16EEvPKT_PKT0_S8_ifPKiSA_SA_iPKfiiiPfSD_PS3_PT2_iSC_SC_,"axG",@progbits,_Z39paged_attention_ll4mi_QKV_mfma16_kernelI14__hip_bfloat16S0_LN4vllm18Fp8KVCacheDataTypeE0EhLi16ELi128ELi256ELb0ELi16EEvPKT_PKT0_S8_ifPKiSA_SA_iPKfiiiPfSD_PS3_PT2_iSC_SC_,comdat
	.protected	_Z39paged_attention_ll4mi_QKV_mfma16_kernelI14__hip_bfloat16S0_LN4vllm18Fp8KVCacheDataTypeE0EhLi16ELi128ELi256ELb0ELi16EEvPKT_PKT0_S8_ifPKiSA_SA_iPKfiiiPfSD_PS3_PT2_iSC_SC_ ; -- Begin function _Z39paged_attention_ll4mi_QKV_mfma16_kernelI14__hip_bfloat16S0_LN4vllm18Fp8KVCacheDataTypeE0EhLi16ELi128ELi256ELb0ELi16EEvPKT_PKT0_S8_ifPKiSA_SA_iPKfiiiPfSD_PS3_PT2_iSC_SC_
	.globl	_Z39paged_attention_ll4mi_QKV_mfma16_kernelI14__hip_bfloat16S0_LN4vllm18Fp8KVCacheDataTypeE0EhLi16ELi128ELi256ELb0ELi16EEvPKT_PKT0_S8_ifPKiSA_SA_iPKfiiiPfSD_PS3_PT2_iSC_SC_
	.p2align	8
	.type	_Z39paged_attention_ll4mi_QKV_mfma16_kernelI14__hip_bfloat16S0_LN4vllm18Fp8KVCacheDataTypeE0EhLi16ELi128ELi256ELb0ELi16EEvPKT_PKT0_S8_ifPKiSA_SA_iPKfiiiPfSD_PS3_PT2_iSC_SC_,@function
_Z39paged_attention_ll4mi_QKV_mfma16_kernelI14__hip_bfloat16S0_LN4vllm18Fp8KVCacheDataTypeE0EhLi16ELi128ELi256ELb0ELi16EEvPKT_PKT0_S8_ifPKiSA_SA_iPKfiiiPfSD_PS3_PT2_iSC_SC_: ; @_Z39paged_attention_ll4mi_QKV_mfma16_kernelI14__hip_bfloat16S0_LN4vllm18Fp8KVCacheDataTypeE0EhLi16ELi128ELi256ELb0ELi16EEvPKT_PKT0_S8_ifPKiSA_SA_iPKfiiiPfSD_PS3_PT2_iSC_SC_
; %bb.0:
	s_get_pc_i64 s[2:3]
	s_add_nc_u64 s[2:3], s[2:3], __PRETTY_FUNCTION__._Z39paged_attention_ll4mi_QKV_mfma16_kernelI14__hip_bfloat16S0_LN4vllm18Fp8KVCacheDataTypeE0EhLi16ELi128ELi256ELb0ELi16EEvPKT_PKT0_S8_ifPKiSA_SA_iPKfiiiPfSD_PS3_PT2_iSC_SC_@rel64+4
	s_delay_alu instid0(SALU_CYCLE_1)
	v_dual_mov_b32 v0, 0xbb3 :: v_dual_mov_b32 v1, s2
	v_mov_b32_e32 v2, s3
	s_add_nc_u64 s[8:9], s[0:1], 0x90
	s_get_pc_i64 s[0:1]
	s_add_nc_u64 s[0:1], s[0:1], __assert_fail@rel64+4
	s_mov_b32 s32, 0
	s_swap_pc_i64 s[30:31], s[0:1]
	.section	.rodata,"a",@progbits
	.p2align	6, 0x0
	.amdhsa_kernel _Z39paged_attention_ll4mi_QKV_mfma16_kernelI14__hip_bfloat16S0_LN4vllm18Fp8KVCacheDataTypeE0EhLi16ELi128ELi256ELb0ELi16EEvPKT_PKT0_S8_ifPKiSA_SA_iPKfiiiPfSD_PS3_PT2_iSC_SC_
		.amdhsa_group_segment_fixed_size 0
		.amdhsa_private_segment_fixed_size 64
		.amdhsa_kernarg_size 400
		.amdhsa_user_sgpr_count 2
		.amdhsa_user_sgpr_dispatch_ptr 0
		.amdhsa_user_sgpr_queue_ptr 0
		.amdhsa_user_sgpr_kernarg_segment_ptr 1
		.amdhsa_user_sgpr_dispatch_id 0
		.amdhsa_user_sgpr_kernarg_preload_length 0
		.amdhsa_user_sgpr_kernarg_preload_offset 0
		.amdhsa_user_sgpr_private_segment_size 0
		.amdhsa_wavefront_size32 1
		.amdhsa_uses_dynamic_stack 0
		.amdhsa_enable_private_segment 1
		.amdhsa_system_sgpr_workgroup_id_x 1
		.amdhsa_system_sgpr_workgroup_id_y 0
		.amdhsa_system_sgpr_workgroup_id_z 0
		.amdhsa_system_sgpr_workgroup_info 0
		.amdhsa_system_vgpr_workitem_id 0
		.amdhsa_next_free_vgpr 51
		.amdhsa_next_free_sgpr 34
		.amdhsa_named_barrier_count 0
		.amdhsa_reserve_vcc 1
		.amdhsa_float_round_mode_32 0
		.amdhsa_float_round_mode_16_64 0
		.amdhsa_float_denorm_mode_32 3
		.amdhsa_float_denorm_mode_16_64 3
		.amdhsa_fp16_overflow 0
		.amdhsa_memory_ordered 1
		.amdhsa_forward_progress 1
		.amdhsa_inst_pref_size 1
		.amdhsa_round_robin_scheduling 0
		.amdhsa_exception_fp_ieee_invalid_op 0
		.amdhsa_exception_fp_denorm_src 0
		.amdhsa_exception_fp_ieee_div_zero 0
		.amdhsa_exception_fp_ieee_overflow 0
		.amdhsa_exception_fp_ieee_underflow 0
		.amdhsa_exception_fp_ieee_inexact 0
		.amdhsa_exception_int_div_zero 0
	.end_amdhsa_kernel
	.section	.text._Z39paged_attention_ll4mi_QKV_mfma16_kernelI14__hip_bfloat16S0_LN4vllm18Fp8KVCacheDataTypeE0EhLi16ELi128ELi256ELb0ELi16EEvPKT_PKT0_S8_ifPKiSA_SA_iPKfiiiPfSD_PS3_PT2_iSC_SC_,"axG",@progbits,_Z39paged_attention_ll4mi_QKV_mfma16_kernelI14__hip_bfloat16S0_LN4vllm18Fp8KVCacheDataTypeE0EhLi16ELi128ELi256ELb0ELi16EEvPKT_PKT0_S8_ifPKiSA_SA_iPKfiiiPfSD_PS3_PT2_iSC_SC_,comdat
.Lfunc_end629:
	.size	_Z39paged_attention_ll4mi_QKV_mfma16_kernelI14__hip_bfloat16S0_LN4vllm18Fp8KVCacheDataTypeE0EhLi16ELi128ELi256ELb0ELi16EEvPKT_PKT0_S8_ifPKiSA_SA_iPKfiiiPfSD_PS3_PT2_iSC_SC_, .Lfunc_end629-_Z39paged_attention_ll4mi_QKV_mfma16_kernelI14__hip_bfloat16S0_LN4vllm18Fp8KVCacheDataTypeE0EhLi16ELi128ELi256ELb0ELi16EEvPKT_PKT0_S8_ifPKiSA_SA_iPKfiiiPfSD_PS3_PT2_iSC_SC_
                                        ; -- End function
	.set _Z39paged_attention_ll4mi_QKV_mfma16_kernelI14__hip_bfloat16S0_LN4vllm18Fp8KVCacheDataTypeE0EhLi16ELi128ELi256ELb0ELi16EEvPKT_PKT0_S8_ifPKiSA_SA_iPKfiiiPfSD_PS3_PT2_iSC_SC_.num_vgpr, max(3, .L__assert_fail.num_vgpr)
	.set _Z39paged_attention_ll4mi_QKV_mfma16_kernelI14__hip_bfloat16S0_LN4vllm18Fp8KVCacheDataTypeE0EhLi16ELi128ELi256ELb0ELi16EEvPKT_PKT0_S8_ifPKiSA_SA_iPKfiiiPfSD_PS3_PT2_iSC_SC_.num_agpr, max(0, .L__assert_fail.num_agpr)
	.set _Z39paged_attention_ll4mi_QKV_mfma16_kernelI14__hip_bfloat16S0_LN4vllm18Fp8KVCacheDataTypeE0EhLi16ELi128ELi256ELb0ELi16EEvPKT_PKT0_S8_ifPKiSA_SA_iPKfiiiPfSD_PS3_PT2_iSC_SC_.numbered_sgpr, max(33, .L__assert_fail.numbered_sgpr)
	.set _Z39paged_attention_ll4mi_QKV_mfma16_kernelI14__hip_bfloat16S0_LN4vllm18Fp8KVCacheDataTypeE0EhLi16ELi128ELi256ELb0ELi16EEvPKT_PKT0_S8_ifPKiSA_SA_iPKfiiiPfSD_PS3_PT2_iSC_SC_.num_named_barrier, max(0, .L__assert_fail.num_named_barrier)
	.set _Z39paged_attention_ll4mi_QKV_mfma16_kernelI14__hip_bfloat16S0_LN4vllm18Fp8KVCacheDataTypeE0EhLi16ELi128ELi256ELb0ELi16EEvPKT_PKT0_S8_ifPKiSA_SA_iPKfiiiPfSD_PS3_PT2_iSC_SC_.private_seg_size, 0+max(.L__assert_fail.private_seg_size)
	.set _Z39paged_attention_ll4mi_QKV_mfma16_kernelI14__hip_bfloat16S0_LN4vllm18Fp8KVCacheDataTypeE0EhLi16ELi128ELi256ELb0ELi16EEvPKT_PKT0_S8_ifPKiSA_SA_iPKfiiiPfSD_PS3_PT2_iSC_SC_.uses_vcc, or(1, .L__assert_fail.uses_vcc)
	.set _Z39paged_attention_ll4mi_QKV_mfma16_kernelI14__hip_bfloat16S0_LN4vllm18Fp8KVCacheDataTypeE0EhLi16ELi128ELi256ELb0ELi16EEvPKT_PKT0_S8_ifPKiSA_SA_iPKfiiiPfSD_PS3_PT2_iSC_SC_.uses_flat_scratch, or(0, .L__assert_fail.uses_flat_scratch)
	.set _Z39paged_attention_ll4mi_QKV_mfma16_kernelI14__hip_bfloat16S0_LN4vllm18Fp8KVCacheDataTypeE0EhLi16ELi128ELi256ELb0ELi16EEvPKT_PKT0_S8_ifPKiSA_SA_iPKfiiiPfSD_PS3_PT2_iSC_SC_.has_dyn_sized_stack, or(0, .L__assert_fail.has_dyn_sized_stack)
	.set _Z39paged_attention_ll4mi_QKV_mfma16_kernelI14__hip_bfloat16S0_LN4vllm18Fp8KVCacheDataTypeE0EhLi16ELi128ELi256ELb0ELi16EEvPKT_PKT0_S8_ifPKiSA_SA_iPKfiiiPfSD_PS3_PT2_iSC_SC_.has_recursion, or(0, .L__assert_fail.has_recursion)
	.set _Z39paged_attention_ll4mi_QKV_mfma16_kernelI14__hip_bfloat16S0_LN4vllm18Fp8KVCacheDataTypeE0EhLi16ELi128ELi256ELb0ELi16EEvPKT_PKT0_S8_ifPKiSA_SA_iPKfiiiPfSD_PS3_PT2_iSC_SC_.has_indirect_call, or(0, .L__assert_fail.has_indirect_call)
	.section	.AMDGPU.csdata,"",@progbits
; Kernel info:
; codeLenInByte = 68
; TotalNumSgprs: 36
; NumVgprs: 51
; ScratchSize: 64
; MemoryBound: 0
; FloatMode: 240
; IeeeMode: 1
; LDSByteSize: 0 bytes/workgroup (compile time only)
; SGPRBlocks: 0
; VGPRBlocks: 3
; NumSGPRsForWavesPerEU: 36
; NumVGPRsForWavesPerEU: 51
; NamedBarCnt: 0
; Occupancy: 16
; WaveLimiterHint : 1
; COMPUTE_PGM_RSRC2:SCRATCH_EN: 1
; COMPUTE_PGM_RSRC2:USER_SGPR: 2
; COMPUTE_PGM_RSRC2:TRAP_HANDLER: 0
; COMPUTE_PGM_RSRC2:TGID_X_EN: 1
; COMPUTE_PGM_RSRC2:TGID_Y_EN: 0
; COMPUTE_PGM_RSRC2:TGID_Z_EN: 0
; COMPUTE_PGM_RSRC2:TIDIG_COMP_CNT: 0
	.section	.text._Z39paged_attention_ll4mi_QKV_mfma16_kernelI14__hip_bfloat16S0_LN4vllm18Fp8KVCacheDataTypeE0EhLi16ELi128ELi256ELb0ELi1EEvPKT_PKT0_S8_ifPKiSA_SA_iPKfiiiPfSD_PS3_PT2_iSC_SC_,"axG",@progbits,_Z39paged_attention_ll4mi_QKV_mfma16_kernelI14__hip_bfloat16S0_LN4vllm18Fp8KVCacheDataTypeE0EhLi16ELi128ELi256ELb0ELi1EEvPKT_PKT0_S8_ifPKiSA_SA_iPKfiiiPfSD_PS3_PT2_iSC_SC_,comdat
	.protected	_Z39paged_attention_ll4mi_QKV_mfma16_kernelI14__hip_bfloat16S0_LN4vllm18Fp8KVCacheDataTypeE0EhLi16ELi128ELi256ELb0ELi1EEvPKT_PKT0_S8_ifPKiSA_SA_iPKfiiiPfSD_PS3_PT2_iSC_SC_ ; -- Begin function _Z39paged_attention_ll4mi_QKV_mfma16_kernelI14__hip_bfloat16S0_LN4vllm18Fp8KVCacheDataTypeE0EhLi16ELi128ELi256ELb0ELi1EEvPKT_PKT0_S8_ifPKiSA_SA_iPKfiiiPfSD_PS3_PT2_iSC_SC_
	.globl	_Z39paged_attention_ll4mi_QKV_mfma16_kernelI14__hip_bfloat16S0_LN4vllm18Fp8KVCacheDataTypeE0EhLi16ELi128ELi256ELb0ELi1EEvPKT_PKT0_S8_ifPKiSA_SA_iPKfiiiPfSD_PS3_PT2_iSC_SC_
	.p2align	8
	.type	_Z39paged_attention_ll4mi_QKV_mfma16_kernelI14__hip_bfloat16S0_LN4vllm18Fp8KVCacheDataTypeE0EhLi16ELi128ELi256ELb0ELi1EEvPKT_PKT0_S8_ifPKiSA_SA_iPKfiiiPfSD_PS3_PT2_iSC_SC_,@function
_Z39paged_attention_ll4mi_QKV_mfma16_kernelI14__hip_bfloat16S0_LN4vllm18Fp8KVCacheDataTypeE0EhLi16ELi128ELi256ELb0ELi1EEvPKT_PKT0_S8_ifPKiSA_SA_iPKfiiiPfSD_PS3_PT2_iSC_SC_: ; @_Z39paged_attention_ll4mi_QKV_mfma16_kernelI14__hip_bfloat16S0_LN4vllm18Fp8KVCacheDataTypeE0EhLi16ELi128ELi256ELb0ELi1EEvPKT_PKT0_S8_ifPKiSA_SA_iPKfiiiPfSD_PS3_PT2_iSC_SC_
; %bb.0:
	s_get_pc_i64 s[2:3]
	s_add_nc_u64 s[2:3], s[2:3], __PRETTY_FUNCTION__._Z39paged_attention_ll4mi_QKV_mfma16_kernelI14__hip_bfloat16S0_LN4vllm18Fp8KVCacheDataTypeE0EhLi16ELi128ELi256ELb0ELi1EEvPKT_PKT0_S8_ifPKiSA_SA_iPKfiiiPfSD_PS3_PT2_iSC_SC_@rel64+4
	s_delay_alu instid0(SALU_CYCLE_1)
	v_dual_mov_b32 v0, 0xbb3 :: v_dual_mov_b32 v1, s2
	v_mov_b32_e32 v2, s3
	s_add_nc_u64 s[8:9], s[0:1], 0x90
	s_get_pc_i64 s[0:1]
	s_add_nc_u64 s[0:1], s[0:1], __assert_fail@rel64+4
	s_mov_b32 s32, 0
	s_swap_pc_i64 s[30:31], s[0:1]
	.section	.rodata,"a",@progbits
	.p2align	6, 0x0
	.amdhsa_kernel _Z39paged_attention_ll4mi_QKV_mfma16_kernelI14__hip_bfloat16S0_LN4vllm18Fp8KVCacheDataTypeE0EhLi16ELi128ELi256ELb0ELi1EEvPKT_PKT0_S8_ifPKiSA_SA_iPKfiiiPfSD_PS3_PT2_iSC_SC_
		.amdhsa_group_segment_fixed_size 0
		.amdhsa_private_segment_fixed_size 64
		.amdhsa_kernarg_size 400
		.amdhsa_user_sgpr_count 2
		.amdhsa_user_sgpr_dispatch_ptr 0
		.amdhsa_user_sgpr_queue_ptr 0
		.amdhsa_user_sgpr_kernarg_segment_ptr 1
		.amdhsa_user_sgpr_dispatch_id 0
		.amdhsa_user_sgpr_kernarg_preload_length 0
		.amdhsa_user_sgpr_kernarg_preload_offset 0
		.amdhsa_user_sgpr_private_segment_size 0
		.amdhsa_wavefront_size32 1
		.amdhsa_uses_dynamic_stack 0
		.amdhsa_enable_private_segment 1
		.amdhsa_system_sgpr_workgroup_id_x 1
		.amdhsa_system_sgpr_workgroup_id_y 0
		.amdhsa_system_sgpr_workgroup_id_z 0
		.amdhsa_system_sgpr_workgroup_info 0
		.amdhsa_system_vgpr_workitem_id 0
		.amdhsa_next_free_vgpr 51
		.amdhsa_next_free_sgpr 34
		.amdhsa_named_barrier_count 0
		.amdhsa_reserve_vcc 1
		.amdhsa_float_round_mode_32 0
		.amdhsa_float_round_mode_16_64 0
		.amdhsa_float_denorm_mode_32 3
		.amdhsa_float_denorm_mode_16_64 3
		.amdhsa_fp16_overflow 0
		.amdhsa_memory_ordered 1
		.amdhsa_forward_progress 1
		.amdhsa_inst_pref_size 1
		.amdhsa_round_robin_scheduling 0
		.amdhsa_exception_fp_ieee_invalid_op 0
		.amdhsa_exception_fp_denorm_src 0
		.amdhsa_exception_fp_ieee_div_zero 0
		.amdhsa_exception_fp_ieee_overflow 0
		.amdhsa_exception_fp_ieee_underflow 0
		.amdhsa_exception_fp_ieee_inexact 0
		.amdhsa_exception_int_div_zero 0
	.end_amdhsa_kernel
	.section	.text._Z39paged_attention_ll4mi_QKV_mfma16_kernelI14__hip_bfloat16S0_LN4vllm18Fp8KVCacheDataTypeE0EhLi16ELi128ELi256ELb0ELi1EEvPKT_PKT0_S8_ifPKiSA_SA_iPKfiiiPfSD_PS3_PT2_iSC_SC_,"axG",@progbits,_Z39paged_attention_ll4mi_QKV_mfma16_kernelI14__hip_bfloat16S0_LN4vllm18Fp8KVCacheDataTypeE0EhLi16ELi128ELi256ELb0ELi1EEvPKT_PKT0_S8_ifPKiSA_SA_iPKfiiiPfSD_PS3_PT2_iSC_SC_,comdat
.Lfunc_end630:
	.size	_Z39paged_attention_ll4mi_QKV_mfma16_kernelI14__hip_bfloat16S0_LN4vllm18Fp8KVCacheDataTypeE0EhLi16ELi128ELi256ELb0ELi1EEvPKT_PKT0_S8_ifPKiSA_SA_iPKfiiiPfSD_PS3_PT2_iSC_SC_, .Lfunc_end630-_Z39paged_attention_ll4mi_QKV_mfma16_kernelI14__hip_bfloat16S0_LN4vllm18Fp8KVCacheDataTypeE0EhLi16ELi128ELi256ELb0ELi1EEvPKT_PKT0_S8_ifPKiSA_SA_iPKfiiiPfSD_PS3_PT2_iSC_SC_
                                        ; -- End function
	.set _Z39paged_attention_ll4mi_QKV_mfma16_kernelI14__hip_bfloat16S0_LN4vllm18Fp8KVCacheDataTypeE0EhLi16ELi128ELi256ELb0ELi1EEvPKT_PKT0_S8_ifPKiSA_SA_iPKfiiiPfSD_PS3_PT2_iSC_SC_.num_vgpr, max(3, .L__assert_fail.num_vgpr)
	.set _Z39paged_attention_ll4mi_QKV_mfma16_kernelI14__hip_bfloat16S0_LN4vllm18Fp8KVCacheDataTypeE0EhLi16ELi128ELi256ELb0ELi1EEvPKT_PKT0_S8_ifPKiSA_SA_iPKfiiiPfSD_PS3_PT2_iSC_SC_.num_agpr, max(0, .L__assert_fail.num_agpr)
	.set _Z39paged_attention_ll4mi_QKV_mfma16_kernelI14__hip_bfloat16S0_LN4vllm18Fp8KVCacheDataTypeE0EhLi16ELi128ELi256ELb0ELi1EEvPKT_PKT0_S8_ifPKiSA_SA_iPKfiiiPfSD_PS3_PT2_iSC_SC_.numbered_sgpr, max(33, .L__assert_fail.numbered_sgpr)
	.set _Z39paged_attention_ll4mi_QKV_mfma16_kernelI14__hip_bfloat16S0_LN4vllm18Fp8KVCacheDataTypeE0EhLi16ELi128ELi256ELb0ELi1EEvPKT_PKT0_S8_ifPKiSA_SA_iPKfiiiPfSD_PS3_PT2_iSC_SC_.num_named_barrier, max(0, .L__assert_fail.num_named_barrier)
	.set _Z39paged_attention_ll4mi_QKV_mfma16_kernelI14__hip_bfloat16S0_LN4vllm18Fp8KVCacheDataTypeE0EhLi16ELi128ELi256ELb0ELi1EEvPKT_PKT0_S8_ifPKiSA_SA_iPKfiiiPfSD_PS3_PT2_iSC_SC_.private_seg_size, 0+max(.L__assert_fail.private_seg_size)
	.set _Z39paged_attention_ll4mi_QKV_mfma16_kernelI14__hip_bfloat16S0_LN4vllm18Fp8KVCacheDataTypeE0EhLi16ELi128ELi256ELb0ELi1EEvPKT_PKT0_S8_ifPKiSA_SA_iPKfiiiPfSD_PS3_PT2_iSC_SC_.uses_vcc, or(1, .L__assert_fail.uses_vcc)
	.set _Z39paged_attention_ll4mi_QKV_mfma16_kernelI14__hip_bfloat16S0_LN4vllm18Fp8KVCacheDataTypeE0EhLi16ELi128ELi256ELb0ELi1EEvPKT_PKT0_S8_ifPKiSA_SA_iPKfiiiPfSD_PS3_PT2_iSC_SC_.uses_flat_scratch, or(0, .L__assert_fail.uses_flat_scratch)
	.set _Z39paged_attention_ll4mi_QKV_mfma16_kernelI14__hip_bfloat16S0_LN4vllm18Fp8KVCacheDataTypeE0EhLi16ELi128ELi256ELb0ELi1EEvPKT_PKT0_S8_ifPKiSA_SA_iPKfiiiPfSD_PS3_PT2_iSC_SC_.has_dyn_sized_stack, or(0, .L__assert_fail.has_dyn_sized_stack)
	.set _Z39paged_attention_ll4mi_QKV_mfma16_kernelI14__hip_bfloat16S0_LN4vllm18Fp8KVCacheDataTypeE0EhLi16ELi128ELi256ELb0ELi1EEvPKT_PKT0_S8_ifPKiSA_SA_iPKfiiiPfSD_PS3_PT2_iSC_SC_.has_recursion, or(0, .L__assert_fail.has_recursion)
	.set _Z39paged_attention_ll4mi_QKV_mfma16_kernelI14__hip_bfloat16S0_LN4vllm18Fp8KVCacheDataTypeE0EhLi16ELi128ELi256ELb0ELi1EEvPKT_PKT0_S8_ifPKiSA_SA_iPKfiiiPfSD_PS3_PT2_iSC_SC_.has_indirect_call, or(0, .L__assert_fail.has_indirect_call)
	.section	.AMDGPU.csdata,"",@progbits
; Kernel info:
; codeLenInByte = 68
; TotalNumSgprs: 36
; NumVgprs: 51
; ScratchSize: 64
; MemoryBound: 0
; FloatMode: 240
; IeeeMode: 1
; LDSByteSize: 0 bytes/workgroup (compile time only)
; SGPRBlocks: 0
; VGPRBlocks: 3
; NumSGPRsForWavesPerEU: 36
; NumVGPRsForWavesPerEU: 51
; NamedBarCnt: 0
; Occupancy: 16
; WaveLimiterHint : 1
; COMPUTE_PGM_RSRC2:SCRATCH_EN: 1
; COMPUTE_PGM_RSRC2:USER_SGPR: 2
; COMPUTE_PGM_RSRC2:TRAP_HANDLER: 0
; COMPUTE_PGM_RSRC2:TGID_X_EN: 1
; COMPUTE_PGM_RSRC2:TGID_Y_EN: 0
; COMPUTE_PGM_RSRC2:TGID_Z_EN: 0
; COMPUTE_PGM_RSRC2:TIDIG_COMP_CNT: 0
	.section	.text._Z39paged_attention_ll4mi_QKV_mfma16_kernelI14__hip_bfloat16S0_LN4vllm18Fp8KVCacheDataTypeE0EhLi16ELi128ELi256ELb0ELi2EEvPKT_PKT0_S8_ifPKiSA_SA_iPKfiiiPfSD_PS3_PT2_iSC_SC_,"axG",@progbits,_Z39paged_attention_ll4mi_QKV_mfma16_kernelI14__hip_bfloat16S0_LN4vllm18Fp8KVCacheDataTypeE0EhLi16ELi128ELi256ELb0ELi2EEvPKT_PKT0_S8_ifPKiSA_SA_iPKfiiiPfSD_PS3_PT2_iSC_SC_,comdat
	.protected	_Z39paged_attention_ll4mi_QKV_mfma16_kernelI14__hip_bfloat16S0_LN4vllm18Fp8KVCacheDataTypeE0EhLi16ELi128ELi256ELb0ELi2EEvPKT_PKT0_S8_ifPKiSA_SA_iPKfiiiPfSD_PS3_PT2_iSC_SC_ ; -- Begin function _Z39paged_attention_ll4mi_QKV_mfma16_kernelI14__hip_bfloat16S0_LN4vllm18Fp8KVCacheDataTypeE0EhLi16ELi128ELi256ELb0ELi2EEvPKT_PKT0_S8_ifPKiSA_SA_iPKfiiiPfSD_PS3_PT2_iSC_SC_
	.globl	_Z39paged_attention_ll4mi_QKV_mfma16_kernelI14__hip_bfloat16S0_LN4vllm18Fp8KVCacheDataTypeE0EhLi16ELi128ELi256ELb0ELi2EEvPKT_PKT0_S8_ifPKiSA_SA_iPKfiiiPfSD_PS3_PT2_iSC_SC_
	.p2align	8
	.type	_Z39paged_attention_ll4mi_QKV_mfma16_kernelI14__hip_bfloat16S0_LN4vllm18Fp8KVCacheDataTypeE0EhLi16ELi128ELi256ELb0ELi2EEvPKT_PKT0_S8_ifPKiSA_SA_iPKfiiiPfSD_PS3_PT2_iSC_SC_,@function
_Z39paged_attention_ll4mi_QKV_mfma16_kernelI14__hip_bfloat16S0_LN4vllm18Fp8KVCacheDataTypeE0EhLi16ELi128ELi256ELb0ELi2EEvPKT_PKT0_S8_ifPKiSA_SA_iPKfiiiPfSD_PS3_PT2_iSC_SC_: ; @_Z39paged_attention_ll4mi_QKV_mfma16_kernelI14__hip_bfloat16S0_LN4vllm18Fp8KVCacheDataTypeE0EhLi16ELi128ELi256ELb0ELi2EEvPKT_PKT0_S8_ifPKiSA_SA_iPKfiiiPfSD_PS3_PT2_iSC_SC_
; %bb.0:
	s_get_pc_i64 s[2:3]
	s_add_nc_u64 s[2:3], s[2:3], __PRETTY_FUNCTION__._Z39paged_attention_ll4mi_QKV_mfma16_kernelI14__hip_bfloat16S0_LN4vllm18Fp8KVCacheDataTypeE0EhLi16ELi128ELi256ELb0ELi2EEvPKT_PKT0_S8_ifPKiSA_SA_iPKfiiiPfSD_PS3_PT2_iSC_SC_@rel64+4
	s_delay_alu instid0(SALU_CYCLE_1)
	v_dual_mov_b32 v0, 0xbb3 :: v_dual_mov_b32 v1, s2
	v_mov_b32_e32 v2, s3
	s_add_nc_u64 s[8:9], s[0:1], 0x90
	s_get_pc_i64 s[0:1]
	s_add_nc_u64 s[0:1], s[0:1], __assert_fail@rel64+4
	s_mov_b32 s32, 0
	s_swap_pc_i64 s[30:31], s[0:1]
	.section	.rodata,"a",@progbits
	.p2align	6, 0x0
	.amdhsa_kernel _Z39paged_attention_ll4mi_QKV_mfma16_kernelI14__hip_bfloat16S0_LN4vllm18Fp8KVCacheDataTypeE0EhLi16ELi128ELi256ELb0ELi2EEvPKT_PKT0_S8_ifPKiSA_SA_iPKfiiiPfSD_PS3_PT2_iSC_SC_
		.amdhsa_group_segment_fixed_size 0
		.amdhsa_private_segment_fixed_size 64
		.amdhsa_kernarg_size 400
		.amdhsa_user_sgpr_count 2
		.amdhsa_user_sgpr_dispatch_ptr 0
		.amdhsa_user_sgpr_queue_ptr 0
		.amdhsa_user_sgpr_kernarg_segment_ptr 1
		.amdhsa_user_sgpr_dispatch_id 0
		.amdhsa_user_sgpr_kernarg_preload_length 0
		.amdhsa_user_sgpr_kernarg_preload_offset 0
		.amdhsa_user_sgpr_private_segment_size 0
		.amdhsa_wavefront_size32 1
		.amdhsa_uses_dynamic_stack 0
		.amdhsa_enable_private_segment 1
		.amdhsa_system_sgpr_workgroup_id_x 1
		.amdhsa_system_sgpr_workgroup_id_y 0
		.amdhsa_system_sgpr_workgroup_id_z 0
		.amdhsa_system_sgpr_workgroup_info 0
		.amdhsa_system_vgpr_workitem_id 0
		.amdhsa_next_free_vgpr 51
		.amdhsa_next_free_sgpr 34
		.amdhsa_named_barrier_count 0
		.amdhsa_reserve_vcc 1
		.amdhsa_float_round_mode_32 0
		.amdhsa_float_round_mode_16_64 0
		.amdhsa_float_denorm_mode_32 3
		.amdhsa_float_denorm_mode_16_64 3
		.amdhsa_fp16_overflow 0
		.amdhsa_memory_ordered 1
		.amdhsa_forward_progress 1
		.amdhsa_inst_pref_size 1
		.amdhsa_round_robin_scheduling 0
		.amdhsa_exception_fp_ieee_invalid_op 0
		.amdhsa_exception_fp_denorm_src 0
		.amdhsa_exception_fp_ieee_div_zero 0
		.amdhsa_exception_fp_ieee_overflow 0
		.amdhsa_exception_fp_ieee_underflow 0
		.amdhsa_exception_fp_ieee_inexact 0
		.amdhsa_exception_int_div_zero 0
	.end_amdhsa_kernel
	.section	.text._Z39paged_attention_ll4mi_QKV_mfma16_kernelI14__hip_bfloat16S0_LN4vllm18Fp8KVCacheDataTypeE0EhLi16ELi128ELi256ELb0ELi2EEvPKT_PKT0_S8_ifPKiSA_SA_iPKfiiiPfSD_PS3_PT2_iSC_SC_,"axG",@progbits,_Z39paged_attention_ll4mi_QKV_mfma16_kernelI14__hip_bfloat16S0_LN4vllm18Fp8KVCacheDataTypeE0EhLi16ELi128ELi256ELb0ELi2EEvPKT_PKT0_S8_ifPKiSA_SA_iPKfiiiPfSD_PS3_PT2_iSC_SC_,comdat
.Lfunc_end631:
	.size	_Z39paged_attention_ll4mi_QKV_mfma16_kernelI14__hip_bfloat16S0_LN4vllm18Fp8KVCacheDataTypeE0EhLi16ELi128ELi256ELb0ELi2EEvPKT_PKT0_S8_ifPKiSA_SA_iPKfiiiPfSD_PS3_PT2_iSC_SC_, .Lfunc_end631-_Z39paged_attention_ll4mi_QKV_mfma16_kernelI14__hip_bfloat16S0_LN4vllm18Fp8KVCacheDataTypeE0EhLi16ELi128ELi256ELb0ELi2EEvPKT_PKT0_S8_ifPKiSA_SA_iPKfiiiPfSD_PS3_PT2_iSC_SC_
                                        ; -- End function
	.set _Z39paged_attention_ll4mi_QKV_mfma16_kernelI14__hip_bfloat16S0_LN4vllm18Fp8KVCacheDataTypeE0EhLi16ELi128ELi256ELb0ELi2EEvPKT_PKT0_S8_ifPKiSA_SA_iPKfiiiPfSD_PS3_PT2_iSC_SC_.num_vgpr, max(3, .L__assert_fail.num_vgpr)
	.set _Z39paged_attention_ll4mi_QKV_mfma16_kernelI14__hip_bfloat16S0_LN4vllm18Fp8KVCacheDataTypeE0EhLi16ELi128ELi256ELb0ELi2EEvPKT_PKT0_S8_ifPKiSA_SA_iPKfiiiPfSD_PS3_PT2_iSC_SC_.num_agpr, max(0, .L__assert_fail.num_agpr)
	.set _Z39paged_attention_ll4mi_QKV_mfma16_kernelI14__hip_bfloat16S0_LN4vllm18Fp8KVCacheDataTypeE0EhLi16ELi128ELi256ELb0ELi2EEvPKT_PKT0_S8_ifPKiSA_SA_iPKfiiiPfSD_PS3_PT2_iSC_SC_.numbered_sgpr, max(33, .L__assert_fail.numbered_sgpr)
	.set _Z39paged_attention_ll4mi_QKV_mfma16_kernelI14__hip_bfloat16S0_LN4vllm18Fp8KVCacheDataTypeE0EhLi16ELi128ELi256ELb0ELi2EEvPKT_PKT0_S8_ifPKiSA_SA_iPKfiiiPfSD_PS3_PT2_iSC_SC_.num_named_barrier, max(0, .L__assert_fail.num_named_barrier)
	.set _Z39paged_attention_ll4mi_QKV_mfma16_kernelI14__hip_bfloat16S0_LN4vllm18Fp8KVCacheDataTypeE0EhLi16ELi128ELi256ELb0ELi2EEvPKT_PKT0_S8_ifPKiSA_SA_iPKfiiiPfSD_PS3_PT2_iSC_SC_.private_seg_size, 0+max(.L__assert_fail.private_seg_size)
	.set _Z39paged_attention_ll4mi_QKV_mfma16_kernelI14__hip_bfloat16S0_LN4vllm18Fp8KVCacheDataTypeE0EhLi16ELi128ELi256ELb0ELi2EEvPKT_PKT0_S8_ifPKiSA_SA_iPKfiiiPfSD_PS3_PT2_iSC_SC_.uses_vcc, or(1, .L__assert_fail.uses_vcc)
	.set _Z39paged_attention_ll4mi_QKV_mfma16_kernelI14__hip_bfloat16S0_LN4vllm18Fp8KVCacheDataTypeE0EhLi16ELi128ELi256ELb0ELi2EEvPKT_PKT0_S8_ifPKiSA_SA_iPKfiiiPfSD_PS3_PT2_iSC_SC_.uses_flat_scratch, or(0, .L__assert_fail.uses_flat_scratch)
	.set _Z39paged_attention_ll4mi_QKV_mfma16_kernelI14__hip_bfloat16S0_LN4vllm18Fp8KVCacheDataTypeE0EhLi16ELi128ELi256ELb0ELi2EEvPKT_PKT0_S8_ifPKiSA_SA_iPKfiiiPfSD_PS3_PT2_iSC_SC_.has_dyn_sized_stack, or(0, .L__assert_fail.has_dyn_sized_stack)
	.set _Z39paged_attention_ll4mi_QKV_mfma16_kernelI14__hip_bfloat16S0_LN4vllm18Fp8KVCacheDataTypeE0EhLi16ELi128ELi256ELb0ELi2EEvPKT_PKT0_S8_ifPKiSA_SA_iPKfiiiPfSD_PS3_PT2_iSC_SC_.has_recursion, or(0, .L__assert_fail.has_recursion)
	.set _Z39paged_attention_ll4mi_QKV_mfma16_kernelI14__hip_bfloat16S0_LN4vllm18Fp8KVCacheDataTypeE0EhLi16ELi128ELi256ELb0ELi2EEvPKT_PKT0_S8_ifPKiSA_SA_iPKfiiiPfSD_PS3_PT2_iSC_SC_.has_indirect_call, or(0, .L__assert_fail.has_indirect_call)
	.section	.AMDGPU.csdata,"",@progbits
; Kernel info:
; codeLenInByte = 68
; TotalNumSgprs: 36
; NumVgprs: 51
; ScratchSize: 64
; MemoryBound: 0
; FloatMode: 240
; IeeeMode: 1
; LDSByteSize: 0 bytes/workgroup (compile time only)
; SGPRBlocks: 0
; VGPRBlocks: 3
; NumSGPRsForWavesPerEU: 36
; NumVGPRsForWavesPerEU: 51
; NamedBarCnt: 0
; Occupancy: 16
; WaveLimiterHint : 1
; COMPUTE_PGM_RSRC2:SCRATCH_EN: 1
; COMPUTE_PGM_RSRC2:USER_SGPR: 2
; COMPUTE_PGM_RSRC2:TRAP_HANDLER: 0
; COMPUTE_PGM_RSRC2:TGID_X_EN: 1
; COMPUTE_PGM_RSRC2:TGID_Y_EN: 0
; COMPUTE_PGM_RSRC2:TGID_Z_EN: 0
; COMPUTE_PGM_RSRC2:TIDIG_COMP_CNT: 0
	.section	.text._Z39paged_attention_ll4mi_QKV_mfma16_kernelI14__hip_bfloat16S0_LN4vllm18Fp8KVCacheDataTypeE0EhLi16ELi128ELi256ELb0ELi3EEvPKT_PKT0_S8_ifPKiSA_SA_iPKfiiiPfSD_PS3_PT2_iSC_SC_,"axG",@progbits,_Z39paged_attention_ll4mi_QKV_mfma16_kernelI14__hip_bfloat16S0_LN4vllm18Fp8KVCacheDataTypeE0EhLi16ELi128ELi256ELb0ELi3EEvPKT_PKT0_S8_ifPKiSA_SA_iPKfiiiPfSD_PS3_PT2_iSC_SC_,comdat
	.protected	_Z39paged_attention_ll4mi_QKV_mfma16_kernelI14__hip_bfloat16S0_LN4vllm18Fp8KVCacheDataTypeE0EhLi16ELi128ELi256ELb0ELi3EEvPKT_PKT0_S8_ifPKiSA_SA_iPKfiiiPfSD_PS3_PT2_iSC_SC_ ; -- Begin function _Z39paged_attention_ll4mi_QKV_mfma16_kernelI14__hip_bfloat16S0_LN4vllm18Fp8KVCacheDataTypeE0EhLi16ELi128ELi256ELb0ELi3EEvPKT_PKT0_S8_ifPKiSA_SA_iPKfiiiPfSD_PS3_PT2_iSC_SC_
	.globl	_Z39paged_attention_ll4mi_QKV_mfma16_kernelI14__hip_bfloat16S0_LN4vllm18Fp8KVCacheDataTypeE0EhLi16ELi128ELi256ELb0ELi3EEvPKT_PKT0_S8_ifPKiSA_SA_iPKfiiiPfSD_PS3_PT2_iSC_SC_
	.p2align	8
	.type	_Z39paged_attention_ll4mi_QKV_mfma16_kernelI14__hip_bfloat16S0_LN4vllm18Fp8KVCacheDataTypeE0EhLi16ELi128ELi256ELb0ELi3EEvPKT_PKT0_S8_ifPKiSA_SA_iPKfiiiPfSD_PS3_PT2_iSC_SC_,@function
_Z39paged_attention_ll4mi_QKV_mfma16_kernelI14__hip_bfloat16S0_LN4vllm18Fp8KVCacheDataTypeE0EhLi16ELi128ELi256ELb0ELi3EEvPKT_PKT0_S8_ifPKiSA_SA_iPKfiiiPfSD_PS3_PT2_iSC_SC_: ; @_Z39paged_attention_ll4mi_QKV_mfma16_kernelI14__hip_bfloat16S0_LN4vllm18Fp8KVCacheDataTypeE0EhLi16ELi128ELi256ELb0ELi3EEvPKT_PKT0_S8_ifPKiSA_SA_iPKfiiiPfSD_PS3_PT2_iSC_SC_
; %bb.0:
	s_get_pc_i64 s[2:3]
	s_add_nc_u64 s[2:3], s[2:3], __PRETTY_FUNCTION__._Z39paged_attention_ll4mi_QKV_mfma16_kernelI14__hip_bfloat16S0_LN4vllm18Fp8KVCacheDataTypeE0EhLi16ELi128ELi256ELb0ELi3EEvPKT_PKT0_S8_ifPKiSA_SA_iPKfiiiPfSD_PS3_PT2_iSC_SC_@rel64+4
	s_delay_alu instid0(SALU_CYCLE_1)
	v_dual_mov_b32 v0, 0xbb3 :: v_dual_mov_b32 v1, s2
	v_mov_b32_e32 v2, s3
	s_add_nc_u64 s[8:9], s[0:1], 0x90
	s_get_pc_i64 s[0:1]
	s_add_nc_u64 s[0:1], s[0:1], __assert_fail@rel64+4
	s_mov_b32 s32, 0
	s_swap_pc_i64 s[30:31], s[0:1]
	.section	.rodata,"a",@progbits
	.p2align	6, 0x0
	.amdhsa_kernel _Z39paged_attention_ll4mi_QKV_mfma16_kernelI14__hip_bfloat16S0_LN4vllm18Fp8KVCacheDataTypeE0EhLi16ELi128ELi256ELb0ELi3EEvPKT_PKT0_S8_ifPKiSA_SA_iPKfiiiPfSD_PS3_PT2_iSC_SC_
		.amdhsa_group_segment_fixed_size 0
		.amdhsa_private_segment_fixed_size 64
		.amdhsa_kernarg_size 400
		.amdhsa_user_sgpr_count 2
		.amdhsa_user_sgpr_dispatch_ptr 0
		.amdhsa_user_sgpr_queue_ptr 0
		.amdhsa_user_sgpr_kernarg_segment_ptr 1
		.amdhsa_user_sgpr_dispatch_id 0
		.amdhsa_user_sgpr_kernarg_preload_length 0
		.amdhsa_user_sgpr_kernarg_preload_offset 0
		.amdhsa_user_sgpr_private_segment_size 0
		.amdhsa_wavefront_size32 1
		.amdhsa_uses_dynamic_stack 0
		.amdhsa_enable_private_segment 1
		.amdhsa_system_sgpr_workgroup_id_x 1
		.amdhsa_system_sgpr_workgroup_id_y 0
		.amdhsa_system_sgpr_workgroup_id_z 0
		.amdhsa_system_sgpr_workgroup_info 0
		.amdhsa_system_vgpr_workitem_id 0
		.amdhsa_next_free_vgpr 51
		.amdhsa_next_free_sgpr 34
		.amdhsa_named_barrier_count 0
		.amdhsa_reserve_vcc 1
		.amdhsa_float_round_mode_32 0
		.amdhsa_float_round_mode_16_64 0
		.amdhsa_float_denorm_mode_32 3
		.amdhsa_float_denorm_mode_16_64 3
		.amdhsa_fp16_overflow 0
		.amdhsa_memory_ordered 1
		.amdhsa_forward_progress 1
		.amdhsa_inst_pref_size 1
		.amdhsa_round_robin_scheduling 0
		.amdhsa_exception_fp_ieee_invalid_op 0
		.amdhsa_exception_fp_denorm_src 0
		.amdhsa_exception_fp_ieee_div_zero 0
		.amdhsa_exception_fp_ieee_overflow 0
		.amdhsa_exception_fp_ieee_underflow 0
		.amdhsa_exception_fp_ieee_inexact 0
		.amdhsa_exception_int_div_zero 0
	.end_amdhsa_kernel
	.section	.text._Z39paged_attention_ll4mi_QKV_mfma16_kernelI14__hip_bfloat16S0_LN4vllm18Fp8KVCacheDataTypeE0EhLi16ELi128ELi256ELb0ELi3EEvPKT_PKT0_S8_ifPKiSA_SA_iPKfiiiPfSD_PS3_PT2_iSC_SC_,"axG",@progbits,_Z39paged_attention_ll4mi_QKV_mfma16_kernelI14__hip_bfloat16S0_LN4vllm18Fp8KVCacheDataTypeE0EhLi16ELi128ELi256ELb0ELi3EEvPKT_PKT0_S8_ifPKiSA_SA_iPKfiiiPfSD_PS3_PT2_iSC_SC_,comdat
.Lfunc_end632:
	.size	_Z39paged_attention_ll4mi_QKV_mfma16_kernelI14__hip_bfloat16S0_LN4vllm18Fp8KVCacheDataTypeE0EhLi16ELi128ELi256ELb0ELi3EEvPKT_PKT0_S8_ifPKiSA_SA_iPKfiiiPfSD_PS3_PT2_iSC_SC_, .Lfunc_end632-_Z39paged_attention_ll4mi_QKV_mfma16_kernelI14__hip_bfloat16S0_LN4vllm18Fp8KVCacheDataTypeE0EhLi16ELi128ELi256ELb0ELi3EEvPKT_PKT0_S8_ifPKiSA_SA_iPKfiiiPfSD_PS3_PT2_iSC_SC_
                                        ; -- End function
	.set _Z39paged_attention_ll4mi_QKV_mfma16_kernelI14__hip_bfloat16S0_LN4vllm18Fp8KVCacheDataTypeE0EhLi16ELi128ELi256ELb0ELi3EEvPKT_PKT0_S8_ifPKiSA_SA_iPKfiiiPfSD_PS3_PT2_iSC_SC_.num_vgpr, max(3, .L__assert_fail.num_vgpr)
	.set _Z39paged_attention_ll4mi_QKV_mfma16_kernelI14__hip_bfloat16S0_LN4vllm18Fp8KVCacheDataTypeE0EhLi16ELi128ELi256ELb0ELi3EEvPKT_PKT0_S8_ifPKiSA_SA_iPKfiiiPfSD_PS3_PT2_iSC_SC_.num_agpr, max(0, .L__assert_fail.num_agpr)
	.set _Z39paged_attention_ll4mi_QKV_mfma16_kernelI14__hip_bfloat16S0_LN4vllm18Fp8KVCacheDataTypeE0EhLi16ELi128ELi256ELb0ELi3EEvPKT_PKT0_S8_ifPKiSA_SA_iPKfiiiPfSD_PS3_PT2_iSC_SC_.numbered_sgpr, max(33, .L__assert_fail.numbered_sgpr)
	.set _Z39paged_attention_ll4mi_QKV_mfma16_kernelI14__hip_bfloat16S0_LN4vllm18Fp8KVCacheDataTypeE0EhLi16ELi128ELi256ELb0ELi3EEvPKT_PKT0_S8_ifPKiSA_SA_iPKfiiiPfSD_PS3_PT2_iSC_SC_.num_named_barrier, max(0, .L__assert_fail.num_named_barrier)
	.set _Z39paged_attention_ll4mi_QKV_mfma16_kernelI14__hip_bfloat16S0_LN4vllm18Fp8KVCacheDataTypeE0EhLi16ELi128ELi256ELb0ELi3EEvPKT_PKT0_S8_ifPKiSA_SA_iPKfiiiPfSD_PS3_PT2_iSC_SC_.private_seg_size, 0+max(.L__assert_fail.private_seg_size)
	.set _Z39paged_attention_ll4mi_QKV_mfma16_kernelI14__hip_bfloat16S0_LN4vllm18Fp8KVCacheDataTypeE0EhLi16ELi128ELi256ELb0ELi3EEvPKT_PKT0_S8_ifPKiSA_SA_iPKfiiiPfSD_PS3_PT2_iSC_SC_.uses_vcc, or(1, .L__assert_fail.uses_vcc)
	.set _Z39paged_attention_ll4mi_QKV_mfma16_kernelI14__hip_bfloat16S0_LN4vllm18Fp8KVCacheDataTypeE0EhLi16ELi128ELi256ELb0ELi3EEvPKT_PKT0_S8_ifPKiSA_SA_iPKfiiiPfSD_PS3_PT2_iSC_SC_.uses_flat_scratch, or(0, .L__assert_fail.uses_flat_scratch)
	.set _Z39paged_attention_ll4mi_QKV_mfma16_kernelI14__hip_bfloat16S0_LN4vllm18Fp8KVCacheDataTypeE0EhLi16ELi128ELi256ELb0ELi3EEvPKT_PKT0_S8_ifPKiSA_SA_iPKfiiiPfSD_PS3_PT2_iSC_SC_.has_dyn_sized_stack, or(0, .L__assert_fail.has_dyn_sized_stack)
	.set _Z39paged_attention_ll4mi_QKV_mfma16_kernelI14__hip_bfloat16S0_LN4vllm18Fp8KVCacheDataTypeE0EhLi16ELi128ELi256ELb0ELi3EEvPKT_PKT0_S8_ifPKiSA_SA_iPKfiiiPfSD_PS3_PT2_iSC_SC_.has_recursion, or(0, .L__assert_fail.has_recursion)
	.set _Z39paged_attention_ll4mi_QKV_mfma16_kernelI14__hip_bfloat16S0_LN4vllm18Fp8KVCacheDataTypeE0EhLi16ELi128ELi256ELb0ELi3EEvPKT_PKT0_S8_ifPKiSA_SA_iPKfiiiPfSD_PS3_PT2_iSC_SC_.has_indirect_call, or(0, .L__assert_fail.has_indirect_call)
	.section	.AMDGPU.csdata,"",@progbits
; Kernel info:
; codeLenInByte = 68
; TotalNumSgprs: 36
; NumVgprs: 51
; ScratchSize: 64
; MemoryBound: 0
; FloatMode: 240
; IeeeMode: 1
; LDSByteSize: 0 bytes/workgroup (compile time only)
; SGPRBlocks: 0
; VGPRBlocks: 3
; NumSGPRsForWavesPerEU: 36
; NumVGPRsForWavesPerEU: 51
; NamedBarCnt: 0
; Occupancy: 16
; WaveLimiterHint : 1
; COMPUTE_PGM_RSRC2:SCRATCH_EN: 1
; COMPUTE_PGM_RSRC2:USER_SGPR: 2
; COMPUTE_PGM_RSRC2:TRAP_HANDLER: 0
; COMPUTE_PGM_RSRC2:TGID_X_EN: 1
; COMPUTE_PGM_RSRC2:TGID_Y_EN: 0
; COMPUTE_PGM_RSRC2:TGID_Z_EN: 0
; COMPUTE_PGM_RSRC2:TIDIG_COMP_CNT: 0
	.section	.text._Z39paged_attention_ll4mi_QKV_mfma16_kernelI14__hip_bfloat16S0_LN4vllm18Fp8KVCacheDataTypeE0EhLi16ELi128ELi256ELb0ELi4EEvPKT_PKT0_S8_ifPKiSA_SA_iPKfiiiPfSD_PS3_PT2_iSC_SC_,"axG",@progbits,_Z39paged_attention_ll4mi_QKV_mfma16_kernelI14__hip_bfloat16S0_LN4vllm18Fp8KVCacheDataTypeE0EhLi16ELi128ELi256ELb0ELi4EEvPKT_PKT0_S8_ifPKiSA_SA_iPKfiiiPfSD_PS3_PT2_iSC_SC_,comdat
	.protected	_Z39paged_attention_ll4mi_QKV_mfma16_kernelI14__hip_bfloat16S0_LN4vllm18Fp8KVCacheDataTypeE0EhLi16ELi128ELi256ELb0ELi4EEvPKT_PKT0_S8_ifPKiSA_SA_iPKfiiiPfSD_PS3_PT2_iSC_SC_ ; -- Begin function _Z39paged_attention_ll4mi_QKV_mfma16_kernelI14__hip_bfloat16S0_LN4vllm18Fp8KVCacheDataTypeE0EhLi16ELi128ELi256ELb0ELi4EEvPKT_PKT0_S8_ifPKiSA_SA_iPKfiiiPfSD_PS3_PT2_iSC_SC_
	.globl	_Z39paged_attention_ll4mi_QKV_mfma16_kernelI14__hip_bfloat16S0_LN4vllm18Fp8KVCacheDataTypeE0EhLi16ELi128ELi256ELb0ELi4EEvPKT_PKT0_S8_ifPKiSA_SA_iPKfiiiPfSD_PS3_PT2_iSC_SC_
	.p2align	8
	.type	_Z39paged_attention_ll4mi_QKV_mfma16_kernelI14__hip_bfloat16S0_LN4vllm18Fp8KVCacheDataTypeE0EhLi16ELi128ELi256ELb0ELi4EEvPKT_PKT0_S8_ifPKiSA_SA_iPKfiiiPfSD_PS3_PT2_iSC_SC_,@function
_Z39paged_attention_ll4mi_QKV_mfma16_kernelI14__hip_bfloat16S0_LN4vllm18Fp8KVCacheDataTypeE0EhLi16ELi128ELi256ELb0ELi4EEvPKT_PKT0_S8_ifPKiSA_SA_iPKfiiiPfSD_PS3_PT2_iSC_SC_: ; @_Z39paged_attention_ll4mi_QKV_mfma16_kernelI14__hip_bfloat16S0_LN4vllm18Fp8KVCacheDataTypeE0EhLi16ELi128ELi256ELb0ELi4EEvPKT_PKT0_S8_ifPKiSA_SA_iPKfiiiPfSD_PS3_PT2_iSC_SC_
; %bb.0:
	s_get_pc_i64 s[2:3]
	s_add_nc_u64 s[2:3], s[2:3], __PRETTY_FUNCTION__._Z39paged_attention_ll4mi_QKV_mfma16_kernelI14__hip_bfloat16S0_LN4vllm18Fp8KVCacheDataTypeE0EhLi16ELi128ELi256ELb0ELi4EEvPKT_PKT0_S8_ifPKiSA_SA_iPKfiiiPfSD_PS3_PT2_iSC_SC_@rel64+4
	s_delay_alu instid0(SALU_CYCLE_1)
	v_dual_mov_b32 v0, 0xbb3 :: v_dual_mov_b32 v1, s2
	v_mov_b32_e32 v2, s3
	s_add_nc_u64 s[8:9], s[0:1], 0x90
	s_get_pc_i64 s[0:1]
	s_add_nc_u64 s[0:1], s[0:1], __assert_fail@rel64+4
	s_mov_b32 s32, 0
	s_swap_pc_i64 s[30:31], s[0:1]
	.section	.rodata,"a",@progbits
	.p2align	6, 0x0
	.amdhsa_kernel _Z39paged_attention_ll4mi_QKV_mfma16_kernelI14__hip_bfloat16S0_LN4vllm18Fp8KVCacheDataTypeE0EhLi16ELi128ELi256ELb0ELi4EEvPKT_PKT0_S8_ifPKiSA_SA_iPKfiiiPfSD_PS3_PT2_iSC_SC_
		.amdhsa_group_segment_fixed_size 0
		.amdhsa_private_segment_fixed_size 64
		.amdhsa_kernarg_size 400
		.amdhsa_user_sgpr_count 2
		.amdhsa_user_sgpr_dispatch_ptr 0
		.amdhsa_user_sgpr_queue_ptr 0
		.amdhsa_user_sgpr_kernarg_segment_ptr 1
		.amdhsa_user_sgpr_dispatch_id 0
		.amdhsa_user_sgpr_kernarg_preload_length 0
		.amdhsa_user_sgpr_kernarg_preload_offset 0
		.amdhsa_user_sgpr_private_segment_size 0
		.amdhsa_wavefront_size32 1
		.amdhsa_uses_dynamic_stack 0
		.amdhsa_enable_private_segment 1
		.amdhsa_system_sgpr_workgroup_id_x 1
		.amdhsa_system_sgpr_workgroup_id_y 0
		.amdhsa_system_sgpr_workgroup_id_z 0
		.amdhsa_system_sgpr_workgroup_info 0
		.amdhsa_system_vgpr_workitem_id 0
		.amdhsa_next_free_vgpr 51
		.amdhsa_next_free_sgpr 34
		.amdhsa_named_barrier_count 0
		.amdhsa_reserve_vcc 1
		.amdhsa_float_round_mode_32 0
		.amdhsa_float_round_mode_16_64 0
		.amdhsa_float_denorm_mode_32 3
		.amdhsa_float_denorm_mode_16_64 3
		.amdhsa_fp16_overflow 0
		.amdhsa_memory_ordered 1
		.amdhsa_forward_progress 1
		.amdhsa_inst_pref_size 1
		.amdhsa_round_robin_scheduling 0
		.amdhsa_exception_fp_ieee_invalid_op 0
		.amdhsa_exception_fp_denorm_src 0
		.amdhsa_exception_fp_ieee_div_zero 0
		.amdhsa_exception_fp_ieee_overflow 0
		.amdhsa_exception_fp_ieee_underflow 0
		.amdhsa_exception_fp_ieee_inexact 0
		.amdhsa_exception_int_div_zero 0
	.end_amdhsa_kernel
	.section	.text._Z39paged_attention_ll4mi_QKV_mfma16_kernelI14__hip_bfloat16S0_LN4vllm18Fp8KVCacheDataTypeE0EhLi16ELi128ELi256ELb0ELi4EEvPKT_PKT0_S8_ifPKiSA_SA_iPKfiiiPfSD_PS3_PT2_iSC_SC_,"axG",@progbits,_Z39paged_attention_ll4mi_QKV_mfma16_kernelI14__hip_bfloat16S0_LN4vllm18Fp8KVCacheDataTypeE0EhLi16ELi128ELi256ELb0ELi4EEvPKT_PKT0_S8_ifPKiSA_SA_iPKfiiiPfSD_PS3_PT2_iSC_SC_,comdat
.Lfunc_end633:
	.size	_Z39paged_attention_ll4mi_QKV_mfma16_kernelI14__hip_bfloat16S0_LN4vllm18Fp8KVCacheDataTypeE0EhLi16ELi128ELi256ELb0ELi4EEvPKT_PKT0_S8_ifPKiSA_SA_iPKfiiiPfSD_PS3_PT2_iSC_SC_, .Lfunc_end633-_Z39paged_attention_ll4mi_QKV_mfma16_kernelI14__hip_bfloat16S0_LN4vllm18Fp8KVCacheDataTypeE0EhLi16ELi128ELi256ELb0ELi4EEvPKT_PKT0_S8_ifPKiSA_SA_iPKfiiiPfSD_PS3_PT2_iSC_SC_
                                        ; -- End function
	.set _Z39paged_attention_ll4mi_QKV_mfma16_kernelI14__hip_bfloat16S0_LN4vllm18Fp8KVCacheDataTypeE0EhLi16ELi128ELi256ELb0ELi4EEvPKT_PKT0_S8_ifPKiSA_SA_iPKfiiiPfSD_PS3_PT2_iSC_SC_.num_vgpr, max(3, .L__assert_fail.num_vgpr)
	.set _Z39paged_attention_ll4mi_QKV_mfma16_kernelI14__hip_bfloat16S0_LN4vllm18Fp8KVCacheDataTypeE0EhLi16ELi128ELi256ELb0ELi4EEvPKT_PKT0_S8_ifPKiSA_SA_iPKfiiiPfSD_PS3_PT2_iSC_SC_.num_agpr, max(0, .L__assert_fail.num_agpr)
	.set _Z39paged_attention_ll4mi_QKV_mfma16_kernelI14__hip_bfloat16S0_LN4vllm18Fp8KVCacheDataTypeE0EhLi16ELi128ELi256ELb0ELi4EEvPKT_PKT0_S8_ifPKiSA_SA_iPKfiiiPfSD_PS3_PT2_iSC_SC_.numbered_sgpr, max(33, .L__assert_fail.numbered_sgpr)
	.set _Z39paged_attention_ll4mi_QKV_mfma16_kernelI14__hip_bfloat16S0_LN4vllm18Fp8KVCacheDataTypeE0EhLi16ELi128ELi256ELb0ELi4EEvPKT_PKT0_S8_ifPKiSA_SA_iPKfiiiPfSD_PS3_PT2_iSC_SC_.num_named_barrier, max(0, .L__assert_fail.num_named_barrier)
	.set _Z39paged_attention_ll4mi_QKV_mfma16_kernelI14__hip_bfloat16S0_LN4vllm18Fp8KVCacheDataTypeE0EhLi16ELi128ELi256ELb0ELi4EEvPKT_PKT0_S8_ifPKiSA_SA_iPKfiiiPfSD_PS3_PT2_iSC_SC_.private_seg_size, 0+max(.L__assert_fail.private_seg_size)
	.set _Z39paged_attention_ll4mi_QKV_mfma16_kernelI14__hip_bfloat16S0_LN4vllm18Fp8KVCacheDataTypeE0EhLi16ELi128ELi256ELb0ELi4EEvPKT_PKT0_S8_ifPKiSA_SA_iPKfiiiPfSD_PS3_PT2_iSC_SC_.uses_vcc, or(1, .L__assert_fail.uses_vcc)
	.set _Z39paged_attention_ll4mi_QKV_mfma16_kernelI14__hip_bfloat16S0_LN4vllm18Fp8KVCacheDataTypeE0EhLi16ELi128ELi256ELb0ELi4EEvPKT_PKT0_S8_ifPKiSA_SA_iPKfiiiPfSD_PS3_PT2_iSC_SC_.uses_flat_scratch, or(0, .L__assert_fail.uses_flat_scratch)
	.set _Z39paged_attention_ll4mi_QKV_mfma16_kernelI14__hip_bfloat16S0_LN4vllm18Fp8KVCacheDataTypeE0EhLi16ELi128ELi256ELb0ELi4EEvPKT_PKT0_S8_ifPKiSA_SA_iPKfiiiPfSD_PS3_PT2_iSC_SC_.has_dyn_sized_stack, or(0, .L__assert_fail.has_dyn_sized_stack)
	.set _Z39paged_attention_ll4mi_QKV_mfma16_kernelI14__hip_bfloat16S0_LN4vllm18Fp8KVCacheDataTypeE0EhLi16ELi128ELi256ELb0ELi4EEvPKT_PKT0_S8_ifPKiSA_SA_iPKfiiiPfSD_PS3_PT2_iSC_SC_.has_recursion, or(0, .L__assert_fail.has_recursion)
	.set _Z39paged_attention_ll4mi_QKV_mfma16_kernelI14__hip_bfloat16S0_LN4vllm18Fp8KVCacheDataTypeE0EhLi16ELi128ELi256ELb0ELi4EEvPKT_PKT0_S8_ifPKiSA_SA_iPKfiiiPfSD_PS3_PT2_iSC_SC_.has_indirect_call, or(0, .L__assert_fail.has_indirect_call)
	.section	.AMDGPU.csdata,"",@progbits
; Kernel info:
; codeLenInByte = 68
; TotalNumSgprs: 36
; NumVgprs: 51
; ScratchSize: 64
; MemoryBound: 0
; FloatMode: 240
; IeeeMode: 1
; LDSByteSize: 0 bytes/workgroup (compile time only)
; SGPRBlocks: 0
; VGPRBlocks: 3
; NumSGPRsForWavesPerEU: 36
; NumVGPRsForWavesPerEU: 51
; NamedBarCnt: 0
; Occupancy: 16
; WaveLimiterHint : 1
; COMPUTE_PGM_RSRC2:SCRATCH_EN: 1
; COMPUTE_PGM_RSRC2:USER_SGPR: 2
; COMPUTE_PGM_RSRC2:TRAP_HANDLER: 0
; COMPUTE_PGM_RSRC2:TGID_X_EN: 1
; COMPUTE_PGM_RSRC2:TGID_Y_EN: 0
; COMPUTE_PGM_RSRC2:TGID_Z_EN: 0
; COMPUTE_PGM_RSRC2:TIDIG_COMP_CNT: 0
	.section	.text._Z38paged_attention_ll4mi_QKV_mfma4_kernelI14__hip_bfloat16S0_LN4vllm18Fp8KVCacheDataTypeE0ES0_Li16ELi128ELi256ELb1ELi1EEvPKT_PKT0_S8_ifPKiSA_SA_iPKfiiiPfSD_PS3_PT2_iSC_SC_,"axG",@progbits,_Z38paged_attention_ll4mi_QKV_mfma4_kernelI14__hip_bfloat16S0_LN4vllm18Fp8KVCacheDataTypeE0ES0_Li16ELi128ELi256ELb1ELi1EEvPKT_PKT0_S8_ifPKiSA_SA_iPKfiiiPfSD_PS3_PT2_iSC_SC_,comdat
	.protected	_Z38paged_attention_ll4mi_QKV_mfma4_kernelI14__hip_bfloat16S0_LN4vllm18Fp8KVCacheDataTypeE0ES0_Li16ELi128ELi256ELb1ELi1EEvPKT_PKT0_S8_ifPKiSA_SA_iPKfiiiPfSD_PS3_PT2_iSC_SC_ ; -- Begin function _Z38paged_attention_ll4mi_QKV_mfma4_kernelI14__hip_bfloat16S0_LN4vllm18Fp8KVCacheDataTypeE0ES0_Li16ELi128ELi256ELb1ELi1EEvPKT_PKT0_S8_ifPKiSA_SA_iPKfiiiPfSD_PS3_PT2_iSC_SC_
	.globl	_Z38paged_attention_ll4mi_QKV_mfma4_kernelI14__hip_bfloat16S0_LN4vllm18Fp8KVCacheDataTypeE0ES0_Li16ELi128ELi256ELb1ELi1EEvPKT_PKT0_S8_ifPKiSA_SA_iPKfiiiPfSD_PS3_PT2_iSC_SC_
	.p2align	8
	.type	_Z38paged_attention_ll4mi_QKV_mfma4_kernelI14__hip_bfloat16S0_LN4vllm18Fp8KVCacheDataTypeE0ES0_Li16ELi128ELi256ELb1ELi1EEvPKT_PKT0_S8_ifPKiSA_SA_iPKfiiiPfSD_PS3_PT2_iSC_SC_,@function
_Z38paged_attention_ll4mi_QKV_mfma4_kernelI14__hip_bfloat16S0_LN4vllm18Fp8KVCacheDataTypeE0ES0_Li16ELi128ELi256ELb1ELi1EEvPKT_PKT0_S8_ifPKiSA_SA_iPKfiiiPfSD_PS3_PT2_iSC_SC_: ; @_Z38paged_attention_ll4mi_QKV_mfma4_kernelI14__hip_bfloat16S0_LN4vllm18Fp8KVCacheDataTypeE0ES0_Li16ELi128ELi256ELb1ELi1EEvPKT_PKT0_S8_ifPKiSA_SA_iPKfiiiPfSD_PS3_PT2_iSC_SC_
; %bb.0:
	s_get_pc_i64 s[2:3]
	s_add_nc_u64 s[2:3], s[2:3], __PRETTY_FUNCTION__._Z38paged_attention_ll4mi_QKV_mfma4_kernelI14__hip_bfloat16S0_LN4vllm18Fp8KVCacheDataTypeE0ES0_Li16ELi128ELi256ELb1ELi1EEvPKT_PKT0_S8_ifPKiSA_SA_iPKfiiiPfSD_PS3_PT2_iSC_SC_@rel64+4
	s_delay_alu instid0(SALU_CYCLE_1)
	v_dual_mov_b32 v0, 0xbce :: v_dual_mov_b32 v1, s2
	v_mov_b32_e32 v2, s3
	s_add_nc_u64 s[8:9], s[0:1], 0x90
	s_get_pc_i64 s[0:1]
	s_add_nc_u64 s[0:1], s[0:1], __assert_fail@rel64+4
	s_mov_b32 s32, 0
	s_swap_pc_i64 s[30:31], s[0:1]
	.section	.rodata,"a",@progbits
	.p2align	6, 0x0
	.amdhsa_kernel _Z38paged_attention_ll4mi_QKV_mfma4_kernelI14__hip_bfloat16S0_LN4vllm18Fp8KVCacheDataTypeE0ES0_Li16ELi128ELi256ELb1ELi1EEvPKT_PKT0_S8_ifPKiSA_SA_iPKfiiiPfSD_PS3_PT2_iSC_SC_
		.amdhsa_group_segment_fixed_size 0
		.amdhsa_private_segment_fixed_size 64
		.amdhsa_kernarg_size 400
		.amdhsa_user_sgpr_count 2
		.amdhsa_user_sgpr_dispatch_ptr 0
		.amdhsa_user_sgpr_queue_ptr 0
		.amdhsa_user_sgpr_kernarg_segment_ptr 1
		.amdhsa_user_sgpr_dispatch_id 0
		.amdhsa_user_sgpr_kernarg_preload_length 0
		.amdhsa_user_sgpr_kernarg_preload_offset 0
		.amdhsa_user_sgpr_private_segment_size 0
		.amdhsa_wavefront_size32 1
		.amdhsa_uses_dynamic_stack 0
		.amdhsa_enable_private_segment 1
		.amdhsa_system_sgpr_workgroup_id_x 1
		.amdhsa_system_sgpr_workgroup_id_y 0
		.amdhsa_system_sgpr_workgroup_id_z 0
		.amdhsa_system_sgpr_workgroup_info 0
		.amdhsa_system_vgpr_workitem_id 0
		.amdhsa_next_free_vgpr 51
		.amdhsa_next_free_sgpr 34
		.amdhsa_named_barrier_count 0
		.amdhsa_reserve_vcc 1
		.amdhsa_float_round_mode_32 0
		.amdhsa_float_round_mode_16_64 0
		.amdhsa_float_denorm_mode_32 3
		.amdhsa_float_denorm_mode_16_64 3
		.amdhsa_fp16_overflow 0
		.amdhsa_memory_ordered 1
		.amdhsa_forward_progress 1
		.amdhsa_inst_pref_size 1
		.amdhsa_round_robin_scheduling 0
		.amdhsa_exception_fp_ieee_invalid_op 0
		.amdhsa_exception_fp_denorm_src 0
		.amdhsa_exception_fp_ieee_div_zero 0
		.amdhsa_exception_fp_ieee_overflow 0
		.amdhsa_exception_fp_ieee_underflow 0
		.amdhsa_exception_fp_ieee_inexact 0
		.amdhsa_exception_int_div_zero 0
	.end_amdhsa_kernel
	.section	.text._Z38paged_attention_ll4mi_QKV_mfma4_kernelI14__hip_bfloat16S0_LN4vllm18Fp8KVCacheDataTypeE0ES0_Li16ELi128ELi256ELb1ELi1EEvPKT_PKT0_S8_ifPKiSA_SA_iPKfiiiPfSD_PS3_PT2_iSC_SC_,"axG",@progbits,_Z38paged_attention_ll4mi_QKV_mfma4_kernelI14__hip_bfloat16S0_LN4vllm18Fp8KVCacheDataTypeE0ES0_Li16ELi128ELi256ELb1ELi1EEvPKT_PKT0_S8_ifPKiSA_SA_iPKfiiiPfSD_PS3_PT2_iSC_SC_,comdat
.Lfunc_end634:
	.size	_Z38paged_attention_ll4mi_QKV_mfma4_kernelI14__hip_bfloat16S0_LN4vllm18Fp8KVCacheDataTypeE0ES0_Li16ELi128ELi256ELb1ELi1EEvPKT_PKT0_S8_ifPKiSA_SA_iPKfiiiPfSD_PS3_PT2_iSC_SC_, .Lfunc_end634-_Z38paged_attention_ll4mi_QKV_mfma4_kernelI14__hip_bfloat16S0_LN4vllm18Fp8KVCacheDataTypeE0ES0_Li16ELi128ELi256ELb1ELi1EEvPKT_PKT0_S8_ifPKiSA_SA_iPKfiiiPfSD_PS3_PT2_iSC_SC_
                                        ; -- End function
	.set _Z38paged_attention_ll4mi_QKV_mfma4_kernelI14__hip_bfloat16S0_LN4vllm18Fp8KVCacheDataTypeE0ES0_Li16ELi128ELi256ELb1ELi1EEvPKT_PKT0_S8_ifPKiSA_SA_iPKfiiiPfSD_PS3_PT2_iSC_SC_.num_vgpr, max(3, .L__assert_fail.num_vgpr)
	.set _Z38paged_attention_ll4mi_QKV_mfma4_kernelI14__hip_bfloat16S0_LN4vllm18Fp8KVCacheDataTypeE0ES0_Li16ELi128ELi256ELb1ELi1EEvPKT_PKT0_S8_ifPKiSA_SA_iPKfiiiPfSD_PS3_PT2_iSC_SC_.num_agpr, max(0, .L__assert_fail.num_agpr)
	.set _Z38paged_attention_ll4mi_QKV_mfma4_kernelI14__hip_bfloat16S0_LN4vllm18Fp8KVCacheDataTypeE0ES0_Li16ELi128ELi256ELb1ELi1EEvPKT_PKT0_S8_ifPKiSA_SA_iPKfiiiPfSD_PS3_PT2_iSC_SC_.numbered_sgpr, max(33, .L__assert_fail.numbered_sgpr)
	.set _Z38paged_attention_ll4mi_QKV_mfma4_kernelI14__hip_bfloat16S0_LN4vllm18Fp8KVCacheDataTypeE0ES0_Li16ELi128ELi256ELb1ELi1EEvPKT_PKT0_S8_ifPKiSA_SA_iPKfiiiPfSD_PS3_PT2_iSC_SC_.num_named_barrier, max(0, .L__assert_fail.num_named_barrier)
	.set _Z38paged_attention_ll4mi_QKV_mfma4_kernelI14__hip_bfloat16S0_LN4vllm18Fp8KVCacheDataTypeE0ES0_Li16ELi128ELi256ELb1ELi1EEvPKT_PKT0_S8_ifPKiSA_SA_iPKfiiiPfSD_PS3_PT2_iSC_SC_.private_seg_size, 0+max(.L__assert_fail.private_seg_size)
	.set _Z38paged_attention_ll4mi_QKV_mfma4_kernelI14__hip_bfloat16S0_LN4vllm18Fp8KVCacheDataTypeE0ES0_Li16ELi128ELi256ELb1ELi1EEvPKT_PKT0_S8_ifPKiSA_SA_iPKfiiiPfSD_PS3_PT2_iSC_SC_.uses_vcc, or(1, .L__assert_fail.uses_vcc)
	.set _Z38paged_attention_ll4mi_QKV_mfma4_kernelI14__hip_bfloat16S0_LN4vllm18Fp8KVCacheDataTypeE0ES0_Li16ELi128ELi256ELb1ELi1EEvPKT_PKT0_S8_ifPKiSA_SA_iPKfiiiPfSD_PS3_PT2_iSC_SC_.uses_flat_scratch, or(0, .L__assert_fail.uses_flat_scratch)
	.set _Z38paged_attention_ll4mi_QKV_mfma4_kernelI14__hip_bfloat16S0_LN4vllm18Fp8KVCacheDataTypeE0ES0_Li16ELi128ELi256ELb1ELi1EEvPKT_PKT0_S8_ifPKiSA_SA_iPKfiiiPfSD_PS3_PT2_iSC_SC_.has_dyn_sized_stack, or(0, .L__assert_fail.has_dyn_sized_stack)
	.set _Z38paged_attention_ll4mi_QKV_mfma4_kernelI14__hip_bfloat16S0_LN4vllm18Fp8KVCacheDataTypeE0ES0_Li16ELi128ELi256ELb1ELi1EEvPKT_PKT0_S8_ifPKiSA_SA_iPKfiiiPfSD_PS3_PT2_iSC_SC_.has_recursion, or(0, .L__assert_fail.has_recursion)
	.set _Z38paged_attention_ll4mi_QKV_mfma4_kernelI14__hip_bfloat16S0_LN4vllm18Fp8KVCacheDataTypeE0ES0_Li16ELi128ELi256ELb1ELi1EEvPKT_PKT0_S8_ifPKiSA_SA_iPKfiiiPfSD_PS3_PT2_iSC_SC_.has_indirect_call, or(0, .L__assert_fail.has_indirect_call)
	.section	.AMDGPU.csdata,"",@progbits
; Kernel info:
; codeLenInByte = 68
; TotalNumSgprs: 36
; NumVgprs: 51
; ScratchSize: 64
; MemoryBound: 0
; FloatMode: 240
; IeeeMode: 1
; LDSByteSize: 0 bytes/workgroup (compile time only)
; SGPRBlocks: 0
; VGPRBlocks: 3
; NumSGPRsForWavesPerEU: 36
; NumVGPRsForWavesPerEU: 51
; NamedBarCnt: 0
; Occupancy: 16
; WaveLimiterHint : 1
; COMPUTE_PGM_RSRC2:SCRATCH_EN: 1
; COMPUTE_PGM_RSRC2:USER_SGPR: 2
; COMPUTE_PGM_RSRC2:TRAP_HANDLER: 0
; COMPUTE_PGM_RSRC2:TGID_X_EN: 1
; COMPUTE_PGM_RSRC2:TGID_Y_EN: 0
; COMPUTE_PGM_RSRC2:TGID_Z_EN: 0
; COMPUTE_PGM_RSRC2:TIDIG_COMP_CNT: 0
	.section	.text._Z38paged_attention_ll4mi_QKV_mfma4_kernelI14__hip_bfloat16S0_LN4vllm18Fp8KVCacheDataTypeE0ES0_Li16ELi128ELi256ELb1ELi2EEvPKT_PKT0_S8_ifPKiSA_SA_iPKfiiiPfSD_PS3_PT2_iSC_SC_,"axG",@progbits,_Z38paged_attention_ll4mi_QKV_mfma4_kernelI14__hip_bfloat16S0_LN4vllm18Fp8KVCacheDataTypeE0ES0_Li16ELi128ELi256ELb1ELi2EEvPKT_PKT0_S8_ifPKiSA_SA_iPKfiiiPfSD_PS3_PT2_iSC_SC_,comdat
	.protected	_Z38paged_attention_ll4mi_QKV_mfma4_kernelI14__hip_bfloat16S0_LN4vllm18Fp8KVCacheDataTypeE0ES0_Li16ELi128ELi256ELb1ELi2EEvPKT_PKT0_S8_ifPKiSA_SA_iPKfiiiPfSD_PS3_PT2_iSC_SC_ ; -- Begin function _Z38paged_attention_ll4mi_QKV_mfma4_kernelI14__hip_bfloat16S0_LN4vllm18Fp8KVCacheDataTypeE0ES0_Li16ELi128ELi256ELb1ELi2EEvPKT_PKT0_S8_ifPKiSA_SA_iPKfiiiPfSD_PS3_PT2_iSC_SC_
	.globl	_Z38paged_attention_ll4mi_QKV_mfma4_kernelI14__hip_bfloat16S0_LN4vllm18Fp8KVCacheDataTypeE0ES0_Li16ELi128ELi256ELb1ELi2EEvPKT_PKT0_S8_ifPKiSA_SA_iPKfiiiPfSD_PS3_PT2_iSC_SC_
	.p2align	8
	.type	_Z38paged_attention_ll4mi_QKV_mfma4_kernelI14__hip_bfloat16S0_LN4vllm18Fp8KVCacheDataTypeE0ES0_Li16ELi128ELi256ELb1ELi2EEvPKT_PKT0_S8_ifPKiSA_SA_iPKfiiiPfSD_PS3_PT2_iSC_SC_,@function
_Z38paged_attention_ll4mi_QKV_mfma4_kernelI14__hip_bfloat16S0_LN4vllm18Fp8KVCacheDataTypeE0ES0_Li16ELi128ELi256ELb1ELi2EEvPKT_PKT0_S8_ifPKiSA_SA_iPKfiiiPfSD_PS3_PT2_iSC_SC_: ; @_Z38paged_attention_ll4mi_QKV_mfma4_kernelI14__hip_bfloat16S0_LN4vllm18Fp8KVCacheDataTypeE0ES0_Li16ELi128ELi256ELb1ELi2EEvPKT_PKT0_S8_ifPKiSA_SA_iPKfiiiPfSD_PS3_PT2_iSC_SC_
; %bb.0:
	s_get_pc_i64 s[2:3]
	s_add_nc_u64 s[2:3], s[2:3], __PRETTY_FUNCTION__._Z38paged_attention_ll4mi_QKV_mfma4_kernelI14__hip_bfloat16S0_LN4vllm18Fp8KVCacheDataTypeE0ES0_Li16ELi128ELi256ELb1ELi2EEvPKT_PKT0_S8_ifPKiSA_SA_iPKfiiiPfSD_PS3_PT2_iSC_SC_@rel64+4
	s_delay_alu instid0(SALU_CYCLE_1)
	v_dual_mov_b32 v0, 0xbce :: v_dual_mov_b32 v1, s2
	v_mov_b32_e32 v2, s3
	s_add_nc_u64 s[8:9], s[0:1], 0x90
	s_get_pc_i64 s[0:1]
	s_add_nc_u64 s[0:1], s[0:1], __assert_fail@rel64+4
	s_mov_b32 s32, 0
	s_swap_pc_i64 s[30:31], s[0:1]
	.section	.rodata,"a",@progbits
	.p2align	6, 0x0
	.amdhsa_kernel _Z38paged_attention_ll4mi_QKV_mfma4_kernelI14__hip_bfloat16S0_LN4vllm18Fp8KVCacheDataTypeE0ES0_Li16ELi128ELi256ELb1ELi2EEvPKT_PKT0_S8_ifPKiSA_SA_iPKfiiiPfSD_PS3_PT2_iSC_SC_
		.amdhsa_group_segment_fixed_size 0
		.amdhsa_private_segment_fixed_size 64
		.amdhsa_kernarg_size 400
		.amdhsa_user_sgpr_count 2
		.amdhsa_user_sgpr_dispatch_ptr 0
		.amdhsa_user_sgpr_queue_ptr 0
		.amdhsa_user_sgpr_kernarg_segment_ptr 1
		.amdhsa_user_sgpr_dispatch_id 0
		.amdhsa_user_sgpr_kernarg_preload_length 0
		.amdhsa_user_sgpr_kernarg_preload_offset 0
		.amdhsa_user_sgpr_private_segment_size 0
		.amdhsa_wavefront_size32 1
		.amdhsa_uses_dynamic_stack 0
		.amdhsa_enable_private_segment 1
		.amdhsa_system_sgpr_workgroup_id_x 1
		.amdhsa_system_sgpr_workgroup_id_y 0
		.amdhsa_system_sgpr_workgroup_id_z 0
		.amdhsa_system_sgpr_workgroup_info 0
		.amdhsa_system_vgpr_workitem_id 0
		.amdhsa_next_free_vgpr 51
		.amdhsa_next_free_sgpr 34
		.amdhsa_named_barrier_count 0
		.amdhsa_reserve_vcc 1
		.amdhsa_float_round_mode_32 0
		.amdhsa_float_round_mode_16_64 0
		.amdhsa_float_denorm_mode_32 3
		.amdhsa_float_denorm_mode_16_64 3
		.amdhsa_fp16_overflow 0
		.amdhsa_memory_ordered 1
		.amdhsa_forward_progress 1
		.amdhsa_inst_pref_size 1
		.amdhsa_round_robin_scheduling 0
		.amdhsa_exception_fp_ieee_invalid_op 0
		.amdhsa_exception_fp_denorm_src 0
		.amdhsa_exception_fp_ieee_div_zero 0
		.amdhsa_exception_fp_ieee_overflow 0
		.amdhsa_exception_fp_ieee_underflow 0
		.amdhsa_exception_fp_ieee_inexact 0
		.amdhsa_exception_int_div_zero 0
	.end_amdhsa_kernel
	.section	.text._Z38paged_attention_ll4mi_QKV_mfma4_kernelI14__hip_bfloat16S0_LN4vllm18Fp8KVCacheDataTypeE0ES0_Li16ELi128ELi256ELb1ELi2EEvPKT_PKT0_S8_ifPKiSA_SA_iPKfiiiPfSD_PS3_PT2_iSC_SC_,"axG",@progbits,_Z38paged_attention_ll4mi_QKV_mfma4_kernelI14__hip_bfloat16S0_LN4vllm18Fp8KVCacheDataTypeE0ES0_Li16ELi128ELi256ELb1ELi2EEvPKT_PKT0_S8_ifPKiSA_SA_iPKfiiiPfSD_PS3_PT2_iSC_SC_,comdat
.Lfunc_end635:
	.size	_Z38paged_attention_ll4mi_QKV_mfma4_kernelI14__hip_bfloat16S0_LN4vllm18Fp8KVCacheDataTypeE0ES0_Li16ELi128ELi256ELb1ELi2EEvPKT_PKT0_S8_ifPKiSA_SA_iPKfiiiPfSD_PS3_PT2_iSC_SC_, .Lfunc_end635-_Z38paged_attention_ll4mi_QKV_mfma4_kernelI14__hip_bfloat16S0_LN4vllm18Fp8KVCacheDataTypeE0ES0_Li16ELi128ELi256ELb1ELi2EEvPKT_PKT0_S8_ifPKiSA_SA_iPKfiiiPfSD_PS3_PT2_iSC_SC_
                                        ; -- End function
	.set _Z38paged_attention_ll4mi_QKV_mfma4_kernelI14__hip_bfloat16S0_LN4vllm18Fp8KVCacheDataTypeE0ES0_Li16ELi128ELi256ELb1ELi2EEvPKT_PKT0_S8_ifPKiSA_SA_iPKfiiiPfSD_PS3_PT2_iSC_SC_.num_vgpr, max(3, .L__assert_fail.num_vgpr)
	.set _Z38paged_attention_ll4mi_QKV_mfma4_kernelI14__hip_bfloat16S0_LN4vllm18Fp8KVCacheDataTypeE0ES0_Li16ELi128ELi256ELb1ELi2EEvPKT_PKT0_S8_ifPKiSA_SA_iPKfiiiPfSD_PS3_PT2_iSC_SC_.num_agpr, max(0, .L__assert_fail.num_agpr)
	.set _Z38paged_attention_ll4mi_QKV_mfma4_kernelI14__hip_bfloat16S0_LN4vllm18Fp8KVCacheDataTypeE0ES0_Li16ELi128ELi256ELb1ELi2EEvPKT_PKT0_S8_ifPKiSA_SA_iPKfiiiPfSD_PS3_PT2_iSC_SC_.numbered_sgpr, max(33, .L__assert_fail.numbered_sgpr)
	.set _Z38paged_attention_ll4mi_QKV_mfma4_kernelI14__hip_bfloat16S0_LN4vllm18Fp8KVCacheDataTypeE0ES0_Li16ELi128ELi256ELb1ELi2EEvPKT_PKT0_S8_ifPKiSA_SA_iPKfiiiPfSD_PS3_PT2_iSC_SC_.num_named_barrier, max(0, .L__assert_fail.num_named_barrier)
	.set _Z38paged_attention_ll4mi_QKV_mfma4_kernelI14__hip_bfloat16S0_LN4vllm18Fp8KVCacheDataTypeE0ES0_Li16ELi128ELi256ELb1ELi2EEvPKT_PKT0_S8_ifPKiSA_SA_iPKfiiiPfSD_PS3_PT2_iSC_SC_.private_seg_size, 0+max(.L__assert_fail.private_seg_size)
	.set _Z38paged_attention_ll4mi_QKV_mfma4_kernelI14__hip_bfloat16S0_LN4vllm18Fp8KVCacheDataTypeE0ES0_Li16ELi128ELi256ELb1ELi2EEvPKT_PKT0_S8_ifPKiSA_SA_iPKfiiiPfSD_PS3_PT2_iSC_SC_.uses_vcc, or(1, .L__assert_fail.uses_vcc)
	.set _Z38paged_attention_ll4mi_QKV_mfma4_kernelI14__hip_bfloat16S0_LN4vllm18Fp8KVCacheDataTypeE0ES0_Li16ELi128ELi256ELb1ELi2EEvPKT_PKT0_S8_ifPKiSA_SA_iPKfiiiPfSD_PS3_PT2_iSC_SC_.uses_flat_scratch, or(0, .L__assert_fail.uses_flat_scratch)
	.set _Z38paged_attention_ll4mi_QKV_mfma4_kernelI14__hip_bfloat16S0_LN4vllm18Fp8KVCacheDataTypeE0ES0_Li16ELi128ELi256ELb1ELi2EEvPKT_PKT0_S8_ifPKiSA_SA_iPKfiiiPfSD_PS3_PT2_iSC_SC_.has_dyn_sized_stack, or(0, .L__assert_fail.has_dyn_sized_stack)
	.set _Z38paged_attention_ll4mi_QKV_mfma4_kernelI14__hip_bfloat16S0_LN4vllm18Fp8KVCacheDataTypeE0ES0_Li16ELi128ELi256ELb1ELi2EEvPKT_PKT0_S8_ifPKiSA_SA_iPKfiiiPfSD_PS3_PT2_iSC_SC_.has_recursion, or(0, .L__assert_fail.has_recursion)
	.set _Z38paged_attention_ll4mi_QKV_mfma4_kernelI14__hip_bfloat16S0_LN4vllm18Fp8KVCacheDataTypeE0ES0_Li16ELi128ELi256ELb1ELi2EEvPKT_PKT0_S8_ifPKiSA_SA_iPKfiiiPfSD_PS3_PT2_iSC_SC_.has_indirect_call, or(0, .L__assert_fail.has_indirect_call)
	.section	.AMDGPU.csdata,"",@progbits
; Kernel info:
; codeLenInByte = 68
; TotalNumSgprs: 36
; NumVgprs: 51
; ScratchSize: 64
; MemoryBound: 0
; FloatMode: 240
; IeeeMode: 1
; LDSByteSize: 0 bytes/workgroup (compile time only)
; SGPRBlocks: 0
; VGPRBlocks: 3
; NumSGPRsForWavesPerEU: 36
; NumVGPRsForWavesPerEU: 51
; NamedBarCnt: 0
; Occupancy: 16
; WaveLimiterHint : 1
; COMPUTE_PGM_RSRC2:SCRATCH_EN: 1
; COMPUTE_PGM_RSRC2:USER_SGPR: 2
; COMPUTE_PGM_RSRC2:TRAP_HANDLER: 0
; COMPUTE_PGM_RSRC2:TGID_X_EN: 1
; COMPUTE_PGM_RSRC2:TGID_Y_EN: 0
; COMPUTE_PGM_RSRC2:TGID_Z_EN: 0
; COMPUTE_PGM_RSRC2:TIDIG_COMP_CNT: 0
	.section	.text._Z38paged_attention_ll4mi_QKV_mfma4_kernelI14__hip_bfloat16S0_LN4vllm18Fp8KVCacheDataTypeE0ES0_Li16ELi128ELi256ELb1ELi3EEvPKT_PKT0_S8_ifPKiSA_SA_iPKfiiiPfSD_PS3_PT2_iSC_SC_,"axG",@progbits,_Z38paged_attention_ll4mi_QKV_mfma4_kernelI14__hip_bfloat16S0_LN4vllm18Fp8KVCacheDataTypeE0ES0_Li16ELi128ELi256ELb1ELi3EEvPKT_PKT0_S8_ifPKiSA_SA_iPKfiiiPfSD_PS3_PT2_iSC_SC_,comdat
	.protected	_Z38paged_attention_ll4mi_QKV_mfma4_kernelI14__hip_bfloat16S0_LN4vllm18Fp8KVCacheDataTypeE0ES0_Li16ELi128ELi256ELb1ELi3EEvPKT_PKT0_S8_ifPKiSA_SA_iPKfiiiPfSD_PS3_PT2_iSC_SC_ ; -- Begin function _Z38paged_attention_ll4mi_QKV_mfma4_kernelI14__hip_bfloat16S0_LN4vllm18Fp8KVCacheDataTypeE0ES0_Li16ELi128ELi256ELb1ELi3EEvPKT_PKT0_S8_ifPKiSA_SA_iPKfiiiPfSD_PS3_PT2_iSC_SC_
	.globl	_Z38paged_attention_ll4mi_QKV_mfma4_kernelI14__hip_bfloat16S0_LN4vllm18Fp8KVCacheDataTypeE0ES0_Li16ELi128ELi256ELb1ELi3EEvPKT_PKT0_S8_ifPKiSA_SA_iPKfiiiPfSD_PS3_PT2_iSC_SC_
	.p2align	8
	.type	_Z38paged_attention_ll4mi_QKV_mfma4_kernelI14__hip_bfloat16S0_LN4vllm18Fp8KVCacheDataTypeE0ES0_Li16ELi128ELi256ELb1ELi3EEvPKT_PKT0_S8_ifPKiSA_SA_iPKfiiiPfSD_PS3_PT2_iSC_SC_,@function
_Z38paged_attention_ll4mi_QKV_mfma4_kernelI14__hip_bfloat16S0_LN4vllm18Fp8KVCacheDataTypeE0ES0_Li16ELi128ELi256ELb1ELi3EEvPKT_PKT0_S8_ifPKiSA_SA_iPKfiiiPfSD_PS3_PT2_iSC_SC_: ; @_Z38paged_attention_ll4mi_QKV_mfma4_kernelI14__hip_bfloat16S0_LN4vllm18Fp8KVCacheDataTypeE0ES0_Li16ELi128ELi256ELb1ELi3EEvPKT_PKT0_S8_ifPKiSA_SA_iPKfiiiPfSD_PS3_PT2_iSC_SC_
; %bb.0:
	s_get_pc_i64 s[2:3]
	s_add_nc_u64 s[2:3], s[2:3], __PRETTY_FUNCTION__._Z38paged_attention_ll4mi_QKV_mfma4_kernelI14__hip_bfloat16S0_LN4vllm18Fp8KVCacheDataTypeE0ES0_Li16ELi128ELi256ELb1ELi3EEvPKT_PKT0_S8_ifPKiSA_SA_iPKfiiiPfSD_PS3_PT2_iSC_SC_@rel64+4
	s_delay_alu instid0(SALU_CYCLE_1)
	v_dual_mov_b32 v0, 0xbce :: v_dual_mov_b32 v1, s2
	v_mov_b32_e32 v2, s3
	s_add_nc_u64 s[8:9], s[0:1], 0x90
	s_get_pc_i64 s[0:1]
	s_add_nc_u64 s[0:1], s[0:1], __assert_fail@rel64+4
	s_mov_b32 s32, 0
	s_swap_pc_i64 s[30:31], s[0:1]
	.section	.rodata,"a",@progbits
	.p2align	6, 0x0
	.amdhsa_kernel _Z38paged_attention_ll4mi_QKV_mfma4_kernelI14__hip_bfloat16S0_LN4vllm18Fp8KVCacheDataTypeE0ES0_Li16ELi128ELi256ELb1ELi3EEvPKT_PKT0_S8_ifPKiSA_SA_iPKfiiiPfSD_PS3_PT2_iSC_SC_
		.amdhsa_group_segment_fixed_size 0
		.amdhsa_private_segment_fixed_size 64
		.amdhsa_kernarg_size 400
		.amdhsa_user_sgpr_count 2
		.amdhsa_user_sgpr_dispatch_ptr 0
		.amdhsa_user_sgpr_queue_ptr 0
		.amdhsa_user_sgpr_kernarg_segment_ptr 1
		.amdhsa_user_sgpr_dispatch_id 0
		.amdhsa_user_sgpr_kernarg_preload_length 0
		.amdhsa_user_sgpr_kernarg_preload_offset 0
		.amdhsa_user_sgpr_private_segment_size 0
		.amdhsa_wavefront_size32 1
		.amdhsa_uses_dynamic_stack 0
		.amdhsa_enable_private_segment 1
		.amdhsa_system_sgpr_workgroup_id_x 1
		.amdhsa_system_sgpr_workgroup_id_y 0
		.amdhsa_system_sgpr_workgroup_id_z 0
		.amdhsa_system_sgpr_workgroup_info 0
		.amdhsa_system_vgpr_workitem_id 0
		.amdhsa_next_free_vgpr 51
		.amdhsa_next_free_sgpr 34
		.amdhsa_named_barrier_count 0
		.amdhsa_reserve_vcc 1
		.amdhsa_float_round_mode_32 0
		.amdhsa_float_round_mode_16_64 0
		.amdhsa_float_denorm_mode_32 3
		.amdhsa_float_denorm_mode_16_64 3
		.amdhsa_fp16_overflow 0
		.amdhsa_memory_ordered 1
		.amdhsa_forward_progress 1
		.amdhsa_inst_pref_size 1
		.amdhsa_round_robin_scheduling 0
		.amdhsa_exception_fp_ieee_invalid_op 0
		.amdhsa_exception_fp_denorm_src 0
		.amdhsa_exception_fp_ieee_div_zero 0
		.amdhsa_exception_fp_ieee_overflow 0
		.amdhsa_exception_fp_ieee_underflow 0
		.amdhsa_exception_fp_ieee_inexact 0
		.amdhsa_exception_int_div_zero 0
	.end_amdhsa_kernel
	.section	.text._Z38paged_attention_ll4mi_QKV_mfma4_kernelI14__hip_bfloat16S0_LN4vllm18Fp8KVCacheDataTypeE0ES0_Li16ELi128ELi256ELb1ELi3EEvPKT_PKT0_S8_ifPKiSA_SA_iPKfiiiPfSD_PS3_PT2_iSC_SC_,"axG",@progbits,_Z38paged_attention_ll4mi_QKV_mfma4_kernelI14__hip_bfloat16S0_LN4vllm18Fp8KVCacheDataTypeE0ES0_Li16ELi128ELi256ELb1ELi3EEvPKT_PKT0_S8_ifPKiSA_SA_iPKfiiiPfSD_PS3_PT2_iSC_SC_,comdat
.Lfunc_end636:
	.size	_Z38paged_attention_ll4mi_QKV_mfma4_kernelI14__hip_bfloat16S0_LN4vllm18Fp8KVCacheDataTypeE0ES0_Li16ELi128ELi256ELb1ELi3EEvPKT_PKT0_S8_ifPKiSA_SA_iPKfiiiPfSD_PS3_PT2_iSC_SC_, .Lfunc_end636-_Z38paged_attention_ll4mi_QKV_mfma4_kernelI14__hip_bfloat16S0_LN4vllm18Fp8KVCacheDataTypeE0ES0_Li16ELi128ELi256ELb1ELi3EEvPKT_PKT0_S8_ifPKiSA_SA_iPKfiiiPfSD_PS3_PT2_iSC_SC_
                                        ; -- End function
	.set _Z38paged_attention_ll4mi_QKV_mfma4_kernelI14__hip_bfloat16S0_LN4vllm18Fp8KVCacheDataTypeE0ES0_Li16ELi128ELi256ELb1ELi3EEvPKT_PKT0_S8_ifPKiSA_SA_iPKfiiiPfSD_PS3_PT2_iSC_SC_.num_vgpr, max(3, .L__assert_fail.num_vgpr)
	.set _Z38paged_attention_ll4mi_QKV_mfma4_kernelI14__hip_bfloat16S0_LN4vllm18Fp8KVCacheDataTypeE0ES0_Li16ELi128ELi256ELb1ELi3EEvPKT_PKT0_S8_ifPKiSA_SA_iPKfiiiPfSD_PS3_PT2_iSC_SC_.num_agpr, max(0, .L__assert_fail.num_agpr)
	.set _Z38paged_attention_ll4mi_QKV_mfma4_kernelI14__hip_bfloat16S0_LN4vllm18Fp8KVCacheDataTypeE0ES0_Li16ELi128ELi256ELb1ELi3EEvPKT_PKT0_S8_ifPKiSA_SA_iPKfiiiPfSD_PS3_PT2_iSC_SC_.numbered_sgpr, max(33, .L__assert_fail.numbered_sgpr)
	.set _Z38paged_attention_ll4mi_QKV_mfma4_kernelI14__hip_bfloat16S0_LN4vllm18Fp8KVCacheDataTypeE0ES0_Li16ELi128ELi256ELb1ELi3EEvPKT_PKT0_S8_ifPKiSA_SA_iPKfiiiPfSD_PS3_PT2_iSC_SC_.num_named_barrier, max(0, .L__assert_fail.num_named_barrier)
	.set _Z38paged_attention_ll4mi_QKV_mfma4_kernelI14__hip_bfloat16S0_LN4vllm18Fp8KVCacheDataTypeE0ES0_Li16ELi128ELi256ELb1ELi3EEvPKT_PKT0_S8_ifPKiSA_SA_iPKfiiiPfSD_PS3_PT2_iSC_SC_.private_seg_size, 0+max(.L__assert_fail.private_seg_size)
	.set _Z38paged_attention_ll4mi_QKV_mfma4_kernelI14__hip_bfloat16S0_LN4vllm18Fp8KVCacheDataTypeE0ES0_Li16ELi128ELi256ELb1ELi3EEvPKT_PKT0_S8_ifPKiSA_SA_iPKfiiiPfSD_PS3_PT2_iSC_SC_.uses_vcc, or(1, .L__assert_fail.uses_vcc)
	.set _Z38paged_attention_ll4mi_QKV_mfma4_kernelI14__hip_bfloat16S0_LN4vllm18Fp8KVCacheDataTypeE0ES0_Li16ELi128ELi256ELb1ELi3EEvPKT_PKT0_S8_ifPKiSA_SA_iPKfiiiPfSD_PS3_PT2_iSC_SC_.uses_flat_scratch, or(0, .L__assert_fail.uses_flat_scratch)
	.set _Z38paged_attention_ll4mi_QKV_mfma4_kernelI14__hip_bfloat16S0_LN4vllm18Fp8KVCacheDataTypeE0ES0_Li16ELi128ELi256ELb1ELi3EEvPKT_PKT0_S8_ifPKiSA_SA_iPKfiiiPfSD_PS3_PT2_iSC_SC_.has_dyn_sized_stack, or(0, .L__assert_fail.has_dyn_sized_stack)
	.set _Z38paged_attention_ll4mi_QKV_mfma4_kernelI14__hip_bfloat16S0_LN4vllm18Fp8KVCacheDataTypeE0ES0_Li16ELi128ELi256ELb1ELi3EEvPKT_PKT0_S8_ifPKiSA_SA_iPKfiiiPfSD_PS3_PT2_iSC_SC_.has_recursion, or(0, .L__assert_fail.has_recursion)
	.set _Z38paged_attention_ll4mi_QKV_mfma4_kernelI14__hip_bfloat16S0_LN4vllm18Fp8KVCacheDataTypeE0ES0_Li16ELi128ELi256ELb1ELi3EEvPKT_PKT0_S8_ifPKiSA_SA_iPKfiiiPfSD_PS3_PT2_iSC_SC_.has_indirect_call, or(0, .L__assert_fail.has_indirect_call)
	.section	.AMDGPU.csdata,"",@progbits
; Kernel info:
; codeLenInByte = 68
; TotalNumSgprs: 36
; NumVgprs: 51
; ScratchSize: 64
; MemoryBound: 0
; FloatMode: 240
; IeeeMode: 1
; LDSByteSize: 0 bytes/workgroup (compile time only)
; SGPRBlocks: 0
; VGPRBlocks: 3
; NumSGPRsForWavesPerEU: 36
; NumVGPRsForWavesPerEU: 51
; NamedBarCnt: 0
; Occupancy: 16
; WaveLimiterHint : 1
; COMPUTE_PGM_RSRC2:SCRATCH_EN: 1
; COMPUTE_PGM_RSRC2:USER_SGPR: 2
; COMPUTE_PGM_RSRC2:TRAP_HANDLER: 0
; COMPUTE_PGM_RSRC2:TGID_X_EN: 1
; COMPUTE_PGM_RSRC2:TGID_Y_EN: 0
; COMPUTE_PGM_RSRC2:TGID_Z_EN: 0
; COMPUTE_PGM_RSRC2:TIDIG_COMP_CNT: 0
	.section	.text._Z38paged_attention_ll4mi_QKV_mfma4_kernelI14__hip_bfloat16S0_LN4vllm18Fp8KVCacheDataTypeE0ES0_Li16ELi128ELi256ELb1ELi4EEvPKT_PKT0_S8_ifPKiSA_SA_iPKfiiiPfSD_PS3_PT2_iSC_SC_,"axG",@progbits,_Z38paged_attention_ll4mi_QKV_mfma4_kernelI14__hip_bfloat16S0_LN4vllm18Fp8KVCacheDataTypeE0ES0_Li16ELi128ELi256ELb1ELi4EEvPKT_PKT0_S8_ifPKiSA_SA_iPKfiiiPfSD_PS3_PT2_iSC_SC_,comdat
	.protected	_Z38paged_attention_ll4mi_QKV_mfma4_kernelI14__hip_bfloat16S0_LN4vllm18Fp8KVCacheDataTypeE0ES0_Li16ELi128ELi256ELb1ELi4EEvPKT_PKT0_S8_ifPKiSA_SA_iPKfiiiPfSD_PS3_PT2_iSC_SC_ ; -- Begin function _Z38paged_attention_ll4mi_QKV_mfma4_kernelI14__hip_bfloat16S0_LN4vllm18Fp8KVCacheDataTypeE0ES0_Li16ELi128ELi256ELb1ELi4EEvPKT_PKT0_S8_ifPKiSA_SA_iPKfiiiPfSD_PS3_PT2_iSC_SC_
	.globl	_Z38paged_attention_ll4mi_QKV_mfma4_kernelI14__hip_bfloat16S0_LN4vllm18Fp8KVCacheDataTypeE0ES0_Li16ELi128ELi256ELb1ELi4EEvPKT_PKT0_S8_ifPKiSA_SA_iPKfiiiPfSD_PS3_PT2_iSC_SC_
	.p2align	8
	.type	_Z38paged_attention_ll4mi_QKV_mfma4_kernelI14__hip_bfloat16S0_LN4vllm18Fp8KVCacheDataTypeE0ES0_Li16ELi128ELi256ELb1ELi4EEvPKT_PKT0_S8_ifPKiSA_SA_iPKfiiiPfSD_PS3_PT2_iSC_SC_,@function
_Z38paged_attention_ll4mi_QKV_mfma4_kernelI14__hip_bfloat16S0_LN4vllm18Fp8KVCacheDataTypeE0ES0_Li16ELi128ELi256ELb1ELi4EEvPKT_PKT0_S8_ifPKiSA_SA_iPKfiiiPfSD_PS3_PT2_iSC_SC_: ; @_Z38paged_attention_ll4mi_QKV_mfma4_kernelI14__hip_bfloat16S0_LN4vllm18Fp8KVCacheDataTypeE0ES0_Li16ELi128ELi256ELb1ELi4EEvPKT_PKT0_S8_ifPKiSA_SA_iPKfiiiPfSD_PS3_PT2_iSC_SC_
; %bb.0:
	s_get_pc_i64 s[2:3]
	s_add_nc_u64 s[2:3], s[2:3], __PRETTY_FUNCTION__._Z38paged_attention_ll4mi_QKV_mfma4_kernelI14__hip_bfloat16S0_LN4vllm18Fp8KVCacheDataTypeE0ES0_Li16ELi128ELi256ELb1ELi4EEvPKT_PKT0_S8_ifPKiSA_SA_iPKfiiiPfSD_PS3_PT2_iSC_SC_@rel64+4
	s_delay_alu instid0(SALU_CYCLE_1)
	v_dual_mov_b32 v0, 0xbce :: v_dual_mov_b32 v1, s2
	v_mov_b32_e32 v2, s3
	s_add_nc_u64 s[8:9], s[0:1], 0x90
	s_get_pc_i64 s[0:1]
	s_add_nc_u64 s[0:1], s[0:1], __assert_fail@rel64+4
	s_mov_b32 s32, 0
	s_swap_pc_i64 s[30:31], s[0:1]
	.section	.rodata,"a",@progbits
	.p2align	6, 0x0
	.amdhsa_kernel _Z38paged_attention_ll4mi_QKV_mfma4_kernelI14__hip_bfloat16S0_LN4vllm18Fp8KVCacheDataTypeE0ES0_Li16ELi128ELi256ELb1ELi4EEvPKT_PKT0_S8_ifPKiSA_SA_iPKfiiiPfSD_PS3_PT2_iSC_SC_
		.amdhsa_group_segment_fixed_size 0
		.amdhsa_private_segment_fixed_size 64
		.amdhsa_kernarg_size 400
		.amdhsa_user_sgpr_count 2
		.amdhsa_user_sgpr_dispatch_ptr 0
		.amdhsa_user_sgpr_queue_ptr 0
		.amdhsa_user_sgpr_kernarg_segment_ptr 1
		.amdhsa_user_sgpr_dispatch_id 0
		.amdhsa_user_sgpr_kernarg_preload_length 0
		.amdhsa_user_sgpr_kernarg_preload_offset 0
		.amdhsa_user_sgpr_private_segment_size 0
		.amdhsa_wavefront_size32 1
		.amdhsa_uses_dynamic_stack 0
		.amdhsa_enable_private_segment 1
		.amdhsa_system_sgpr_workgroup_id_x 1
		.amdhsa_system_sgpr_workgroup_id_y 0
		.amdhsa_system_sgpr_workgroup_id_z 0
		.amdhsa_system_sgpr_workgroup_info 0
		.amdhsa_system_vgpr_workitem_id 0
		.amdhsa_next_free_vgpr 51
		.amdhsa_next_free_sgpr 34
		.amdhsa_named_barrier_count 0
		.amdhsa_reserve_vcc 1
		.amdhsa_float_round_mode_32 0
		.amdhsa_float_round_mode_16_64 0
		.amdhsa_float_denorm_mode_32 3
		.amdhsa_float_denorm_mode_16_64 3
		.amdhsa_fp16_overflow 0
		.amdhsa_memory_ordered 1
		.amdhsa_forward_progress 1
		.amdhsa_inst_pref_size 1
		.amdhsa_round_robin_scheduling 0
		.amdhsa_exception_fp_ieee_invalid_op 0
		.amdhsa_exception_fp_denorm_src 0
		.amdhsa_exception_fp_ieee_div_zero 0
		.amdhsa_exception_fp_ieee_overflow 0
		.amdhsa_exception_fp_ieee_underflow 0
		.amdhsa_exception_fp_ieee_inexact 0
		.amdhsa_exception_int_div_zero 0
	.end_amdhsa_kernel
	.section	.text._Z38paged_attention_ll4mi_QKV_mfma4_kernelI14__hip_bfloat16S0_LN4vllm18Fp8KVCacheDataTypeE0ES0_Li16ELi128ELi256ELb1ELi4EEvPKT_PKT0_S8_ifPKiSA_SA_iPKfiiiPfSD_PS3_PT2_iSC_SC_,"axG",@progbits,_Z38paged_attention_ll4mi_QKV_mfma4_kernelI14__hip_bfloat16S0_LN4vllm18Fp8KVCacheDataTypeE0ES0_Li16ELi128ELi256ELb1ELi4EEvPKT_PKT0_S8_ifPKiSA_SA_iPKfiiiPfSD_PS3_PT2_iSC_SC_,comdat
.Lfunc_end637:
	.size	_Z38paged_attention_ll4mi_QKV_mfma4_kernelI14__hip_bfloat16S0_LN4vllm18Fp8KVCacheDataTypeE0ES0_Li16ELi128ELi256ELb1ELi4EEvPKT_PKT0_S8_ifPKiSA_SA_iPKfiiiPfSD_PS3_PT2_iSC_SC_, .Lfunc_end637-_Z38paged_attention_ll4mi_QKV_mfma4_kernelI14__hip_bfloat16S0_LN4vllm18Fp8KVCacheDataTypeE0ES0_Li16ELi128ELi256ELb1ELi4EEvPKT_PKT0_S8_ifPKiSA_SA_iPKfiiiPfSD_PS3_PT2_iSC_SC_
                                        ; -- End function
	.set _Z38paged_attention_ll4mi_QKV_mfma4_kernelI14__hip_bfloat16S0_LN4vllm18Fp8KVCacheDataTypeE0ES0_Li16ELi128ELi256ELb1ELi4EEvPKT_PKT0_S8_ifPKiSA_SA_iPKfiiiPfSD_PS3_PT2_iSC_SC_.num_vgpr, max(3, .L__assert_fail.num_vgpr)
	.set _Z38paged_attention_ll4mi_QKV_mfma4_kernelI14__hip_bfloat16S0_LN4vllm18Fp8KVCacheDataTypeE0ES0_Li16ELi128ELi256ELb1ELi4EEvPKT_PKT0_S8_ifPKiSA_SA_iPKfiiiPfSD_PS3_PT2_iSC_SC_.num_agpr, max(0, .L__assert_fail.num_agpr)
	.set _Z38paged_attention_ll4mi_QKV_mfma4_kernelI14__hip_bfloat16S0_LN4vllm18Fp8KVCacheDataTypeE0ES0_Li16ELi128ELi256ELb1ELi4EEvPKT_PKT0_S8_ifPKiSA_SA_iPKfiiiPfSD_PS3_PT2_iSC_SC_.numbered_sgpr, max(33, .L__assert_fail.numbered_sgpr)
	.set _Z38paged_attention_ll4mi_QKV_mfma4_kernelI14__hip_bfloat16S0_LN4vllm18Fp8KVCacheDataTypeE0ES0_Li16ELi128ELi256ELb1ELi4EEvPKT_PKT0_S8_ifPKiSA_SA_iPKfiiiPfSD_PS3_PT2_iSC_SC_.num_named_barrier, max(0, .L__assert_fail.num_named_barrier)
	.set _Z38paged_attention_ll4mi_QKV_mfma4_kernelI14__hip_bfloat16S0_LN4vllm18Fp8KVCacheDataTypeE0ES0_Li16ELi128ELi256ELb1ELi4EEvPKT_PKT0_S8_ifPKiSA_SA_iPKfiiiPfSD_PS3_PT2_iSC_SC_.private_seg_size, 0+max(.L__assert_fail.private_seg_size)
	.set _Z38paged_attention_ll4mi_QKV_mfma4_kernelI14__hip_bfloat16S0_LN4vllm18Fp8KVCacheDataTypeE0ES0_Li16ELi128ELi256ELb1ELi4EEvPKT_PKT0_S8_ifPKiSA_SA_iPKfiiiPfSD_PS3_PT2_iSC_SC_.uses_vcc, or(1, .L__assert_fail.uses_vcc)
	.set _Z38paged_attention_ll4mi_QKV_mfma4_kernelI14__hip_bfloat16S0_LN4vllm18Fp8KVCacheDataTypeE0ES0_Li16ELi128ELi256ELb1ELi4EEvPKT_PKT0_S8_ifPKiSA_SA_iPKfiiiPfSD_PS3_PT2_iSC_SC_.uses_flat_scratch, or(0, .L__assert_fail.uses_flat_scratch)
	.set _Z38paged_attention_ll4mi_QKV_mfma4_kernelI14__hip_bfloat16S0_LN4vllm18Fp8KVCacheDataTypeE0ES0_Li16ELi128ELi256ELb1ELi4EEvPKT_PKT0_S8_ifPKiSA_SA_iPKfiiiPfSD_PS3_PT2_iSC_SC_.has_dyn_sized_stack, or(0, .L__assert_fail.has_dyn_sized_stack)
	.set _Z38paged_attention_ll4mi_QKV_mfma4_kernelI14__hip_bfloat16S0_LN4vllm18Fp8KVCacheDataTypeE0ES0_Li16ELi128ELi256ELb1ELi4EEvPKT_PKT0_S8_ifPKiSA_SA_iPKfiiiPfSD_PS3_PT2_iSC_SC_.has_recursion, or(0, .L__assert_fail.has_recursion)
	.set _Z38paged_attention_ll4mi_QKV_mfma4_kernelI14__hip_bfloat16S0_LN4vllm18Fp8KVCacheDataTypeE0ES0_Li16ELi128ELi256ELb1ELi4EEvPKT_PKT0_S8_ifPKiSA_SA_iPKfiiiPfSD_PS3_PT2_iSC_SC_.has_indirect_call, or(0, .L__assert_fail.has_indirect_call)
	.section	.AMDGPU.csdata,"",@progbits
; Kernel info:
; codeLenInByte = 68
; TotalNumSgprs: 36
; NumVgprs: 51
; ScratchSize: 64
; MemoryBound: 0
; FloatMode: 240
; IeeeMode: 1
; LDSByteSize: 0 bytes/workgroup (compile time only)
; SGPRBlocks: 0
; VGPRBlocks: 3
; NumSGPRsForWavesPerEU: 36
; NumVGPRsForWavesPerEU: 51
; NamedBarCnt: 0
; Occupancy: 16
; WaveLimiterHint : 1
; COMPUTE_PGM_RSRC2:SCRATCH_EN: 1
; COMPUTE_PGM_RSRC2:USER_SGPR: 2
; COMPUTE_PGM_RSRC2:TRAP_HANDLER: 0
; COMPUTE_PGM_RSRC2:TGID_X_EN: 1
; COMPUTE_PGM_RSRC2:TGID_Y_EN: 0
; COMPUTE_PGM_RSRC2:TGID_Z_EN: 0
; COMPUTE_PGM_RSRC2:TIDIG_COMP_CNT: 0
	.section	.text._Z39paged_attention_ll4mi_QKV_mfma16_kernelI14__hip_bfloat16S0_LN4vllm18Fp8KVCacheDataTypeE0ES0_Li16ELi128ELi256ELb1ELi5EEvPKT_PKT0_S8_ifPKiSA_SA_iPKfiiiPfSD_PS3_PT2_iSC_SC_,"axG",@progbits,_Z39paged_attention_ll4mi_QKV_mfma16_kernelI14__hip_bfloat16S0_LN4vllm18Fp8KVCacheDataTypeE0ES0_Li16ELi128ELi256ELb1ELi5EEvPKT_PKT0_S8_ifPKiSA_SA_iPKfiiiPfSD_PS3_PT2_iSC_SC_,comdat
	.protected	_Z39paged_attention_ll4mi_QKV_mfma16_kernelI14__hip_bfloat16S0_LN4vllm18Fp8KVCacheDataTypeE0ES0_Li16ELi128ELi256ELb1ELi5EEvPKT_PKT0_S8_ifPKiSA_SA_iPKfiiiPfSD_PS3_PT2_iSC_SC_ ; -- Begin function _Z39paged_attention_ll4mi_QKV_mfma16_kernelI14__hip_bfloat16S0_LN4vllm18Fp8KVCacheDataTypeE0ES0_Li16ELi128ELi256ELb1ELi5EEvPKT_PKT0_S8_ifPKiSA_SA_iPKfiiiPfSD_PS3_PT2_iSC_SC_
	.globl	_Z39paged_attention_ll4mi_QKV_mfma16_kernelI14__hip_bfloat16S0_LN4vllm18Fp8KVCacheDataTypeE0ES0_Li16ELi128ELi256ELb1ELi5EEvPKT_PKT0_S8_ifPKiSA_SA_iPKfiiiPfSD_PS3_PT2_iSC_SC_
	.p2align	8
	.type	_Z39paged_attention_ll4mi_QKV_mfma16_kernelI14__hip_bfloat16S0_LN4vllm18Fp8KVCacheDataTypeE0ES0_Li16ELi128ELi256ELb1ELi5EEvPKT_PKT0_S8_ifPKiSA_SA_iPKfiiiPfSD_PS3_PT2_iSC_SC_,@function
_Z39paged_attention_ll4mi_QKV_mfma16_kernelI14__hip_bfloat16S0_LN4vllm18Fp8KVCacheDataTypeE0ES0_Li16ELi128ELi256ELb1ELi5EEvPKT_PKT0_S8_ifPKiSA_SA_iPKfiiiPfSD_PS3_PT2_iSC_SC_: ; @_Z39paged_attention_ll4mi_QKV_mfma16_kernelI14__hip_bfloat16S0_LN4vllm18Fp8KVCacheDataTypeE0ES0_Li16ELi128ELi256ELb1ELi5EEvPKT_PKT0_S8_ifPKiSA_SA_iPKfiiiPfSD_PS3_PT2_iSC_SC_
; %bb.0:
	s_get_pc_i64 s[2:3]
	s_add_nc_u64 s[2:3], s[2:3], __PRETTY_FUNCTION__._Z39paged_attention_ll4mi_QKV_mfma16_kernelI14__hip_bfloat16S0_LN4vllm18Fp8KVCacheDataTypeE0ES0_Li16ELi128ELi256ELb1ELi5EEvPKT_PKT0_S8_ifPKiSA_SA_iPKfiiiPfSD_PS3_PT2_iSC_SC_@rel64+4
	s_delay_alu instid0(SALU_CYCLE_1)
	v_dual_mov_b32 v0, 0xbb3 :: v_dual_mov_b32 v1, s2
	v_mov_b32_e32 v2, s3
	s_add_nc_u64 s[8:9], s[0:1], 0x90
	s_get_pc_i64 s[0:1]
	s_add_nc_u64 s[0:1], s[0:1], __assert_fail@rel64+4
	s_mov_b32 s32, 0
	s_swap_pc_i64 s[30:31], s[0:1]
	.section	.rodata,"a",@progbits
	.p2align	6, 0x0
	.amdhsa_kernel _Z39paged_attention_ll4mi_QKV_mfma16_kernelI14__hip_bfloat16S0_LN4vllm18Fp8KVCacheDataTypeE0ES0_Li16ELi128ELi256ELb1ELi5EEvPKT_PKT0_S8_ifPKiSA_SA_iPKfiiiPfSD_PS3_PT2_iSC_SC_
		.amdhsa_group_segment_fixed_size 0
		.amdhsa_private_segment_fixed_size 64
		.amdhsa_kernarg_size 400
		.amdhsa_user_sgpr_count 2
		.amdhsa_user_sgpr_dispatch_ptr 0
		.amdhsa_user_sgpr_queue_ptr 0
		.amdhsa_user_sgpr_kernarg_segment_ptr 1
		.amdhsa_user_sgpr_dispatch_id 0
		.amdhsa_user_sgpr_kernarg_preload_length 0
		.amdhsa_user_sgpr_kernarg_preload_offset 0
		.amdhsa_user_sgpr_private_segment_size 0
		.amdhsa_wavefront_size32 1
		.amdhsa_uses_dynamic_stack 0
		.amdhsa_enable_private_segment 1
		.amdhsa_system_sgpr_workgroup_id_x 1
		.amdhsa_system_sgpr_workgroup_id_y 0
		.amdhsa_system_sgpr_workgroup_id_z 0
		.amdhsa_system_sgpr_workgroup_info 0
		.amdhsa_system_vgpr_workitem_id 0
		.amdhsa_next_free_vgpr 51
		.amdhsa_next_free_sgpr 34
		.amdhsa_named_barrier_count 0
		.amdhsa_reserve_vcc 1
		.amdhsa_float_round_mode_32 0
		.amdhsa_float_round_mode_16_64 0
		.amdhsa_float_denorm_mode_32 3
		.amdhsa_float_denorm_mode_16_64 3
		.amdhsa_fp16_overflow 0
		.amdhsa_memory_ordered 1
		.amdhsa_forward_progress 1
		.amdhsa_inst_pref_size 1
		.amdhsa_round_robin_scheduling 0
		.amdhsa_exception_fp_ieee_invalid_op 0
		.amdhsa_exception_fp_denorm_src 0
		.amdhsa_exception_fp_ieee_div_zero 0
		.amdhsa_exception_fp_ieee_overflow 0
		.amdhsa_exception_fp_ieee_underflow 0
		.amdhsa_exception_fp_ieee_inexact 0
		.amdhsa_exception_int_div_zero 0
	.end_amdhsa_kernel
	.section	.text._Z39paged_attention_ll4mi_QKV_mfma16_kernelI14__hip_bfloat16S0_LN4vllm18Fp8KVCacheDataTypeE0ES0_Li16ELi128ELi256ELb1ELi5EEvPKT_PKT0_S8_ifPKiSA_SA_iPKfiiiPfSD_PS3_PT2_iSC_SC_,"axG",@progbits,_Z39paged_attention_ll4mi_QKV_mfma16_kernelI14__hip_bfloat16S0_LN4vllm18Fp8KVCacheDataTypeE0ES0_Li16ELi128ELi256ELb1ELi5EEvPKT_PKT0_S8_ifPKiSA_SA_iPKfiiiPfSD_PS3_PT2_iSC_SC_,comdat
.Lfunc_end638:
	.size	_Z39paged_attention_ll4mi_QKV_mfma16_kernelI14__hip_bfloat16S0_LN4vllm18Fp8KVCacheDataTypeE0ES0_Li16ELi128ELi256ELb1ELi5EEvPKT_PKT0_S8_ifPKiSA_SA_iPKfiiiPfSD_PS3_PT2_iSC_SC_, .Lfunc_end638-_Z39paged_attention_ll4mi_QKV_mfma16_kernelI14__hip_bfloat16S0_LN4vllm18Fp8KVCacheDataTypeE0ES0_Li16ELi128ELi256ELb1ELi5EEvPKT_PKT0_S8_ifPKiSA_SA_iPKfiiiPfSD_PS3_PT2_iSC_SC_
                                        ; -- End function
	.set _Z39paged_attention_ll4mi_QKV_mfma16_kernelI14__hip_bfloat16S0_LN4vllm18Fp8KVCacheDataTypeE0ES0_Li16ELi128ELi256ELb1ELi5EEvPKT_PKT0_S8_ifPKiSA_SA_iPKfiiiPfSD_PS3_PT2_iSC_SC_.num_vgpr, max(3, .L__assert_fail.num_vgpr)
	.set _Z39paged_attention_ll4mi_QKV_mfma16_kernelI14__hip_bfloat16S0_LN4vllm18Fp8KVCacheDataTypeE0ES0_Li16ELi128ELi256ELb1ELi5EEvPKT_PKT0_S8_ifPKiSA_SA_iPKfiiiPfSD_PS3_PT2_iSC_SC_.num_agpr, max(0, .L__assert_fail.num_agpr)
	.set _Z39paged_attention_ll4mi_QKV_mfma16_kernelI14__hip_bfloat16S0_LN4vllm18Fp8KVCacheDataTypeE0ES0_Li16ELi128ELi256ELb1ELi5EEvPKT_PKT0_S8_ifPKiSA_SA_iPKfiiiPfSD_PS3_PT2_iSC_SC_.numbered_sgpr, max(33, .L__assert_fail.numbered_sgpr)
	.set _Z39paged_attention_ll4mi_QKV_mfma16_kernelI14__hip_bfloat16S0_LN4vllm18Fp8KVCacheDataTypeE0ES0_Li16ELi128ELi256ELb1ELi5EEvPKT_PKT0_S8_ifPKiSA_SA_iPKfiiiPfSD_PS3_PT2_iSC_SC_.num_named_barrier, max(0, .L__assert_fail.num_named_barrier)
	.set _Z39paged_attention_ll4mi_QKV_mfma16_kernelI14__hip_bfloat16S0_LN4vllm18Fp8KVCacheDataTypeE0ES0_Li16ELi128ELi256ELb1ELi5EEvPKT_PKT0_S8_ifPKiSA_SA_iPKfiiiPfSD_PS3_PT2_iSC_SC_.private_seg_size, 0+max(.L__assert_fail.private_seg_size)
	.set _Z39paged_attention_ll4mi_QKV_mfma16_kernelI14__hip_bfloat16S0_LN4vllm18Fp8KVCacheDataTypeE0ES0_Li16ELi128ELi256ELb1ELi5EEvPKT_PKT0_S8_ifPKiSA_SA_iPKfiiiPfSD_PS3_PT2_iSC_SC_.uses_vcc, or(1, .L__assert_fail.uses_vcc)
	.set _Z39paged_attention_ll4mi_QKV_mfma16_kernelI14__hip_bfloat16S0_LN4vllm18Fp8KVCacheDataTypeE0ES0_Li16ELi128ELi256ELb1ELi5EEvPKT_PKT0_S8_ifPKiSA_SA_iPKfiiiPfSD_PS3_PT2_iSC_SC_.uses_flat_scratch, or(0, .L__assert_fail.uses_flat_scratch)
	.set _Z39paged_attention_ll4mi_QKV_mfma16_kernelI14__hip_bfloat16S0_LN4vllm18Fp8KVCacheDataTypeE0ES0_Li16ELi128ELi256ELb1ELi5EEvPKT_PKT0_S8_ifPKiSA_SA_iPKfiiiPfSD_PS3_PT2_iSC_SC_.has_dyn_sized_stack, or(0, .L__assert_fail.has_dyn_sized_stack)
	.set _Z39paged_attention_ll4mi_QKV_mfma16_kernelI14__hip_bfloat16S0_LN4vllm18Fp8KVCacheDataTypeE0ES0_Li16ELi128ELi256ELb1ELi5EEvPKT_PKT0_S8_ifPKiSA_SA_iPKfiiiPfSD_PS3_PT2_iSC_SC_.has_recursion, or(0, .L__assert_fail.has_recursion)
	.set _Z39paged_attention_ll4mi_QKV_mfma16_kernelI14__hip_bfloat16S0_LN4vllm18Fp8KVCacheDataTypeE0ES0_Li16ELi128ELi256ELb1ELi5EEvPKT_PKT0_S8_ifPKiSA_SA_iPKfiiiPfSD_PS3_PT2_iSC_SC_.has_indirect_call, or(0, .L__assert_fail.has_indirect_call)
	.section	.AMDGPU.csdata,"",@progbits
; Kernel info:
; codeLenInByte = 68
; TotalNumSgprs: 36
; NumVgprs: 51
; ScratchSize: 64
; MemoryBound: 0
; FloatMode: 240
; IeeeMode: 1
; LDSByteSize: 0 bytes/workgroup (compile time only)
; SGPRBlocks: 0
; VGPRBlocks: 3
; NumSGPRsForWavesPerEU: 36
; NumVGPRsForWavesPerEU: 51
; NamedBarCnt: 0
; Occupancy: 16
; WaveLimiterHint : 1
; COMPUTE_PGM_RSRC2:SCRATCH_EN: 1
; COMPUTE_PGM_RSRC2:USER_SGPR: 2
; COMPUTE_PGM_RSRC2:TRAP_HANDLER: 0
; COMPUTE_PGM_RSRC2:TGID_X_EN: 1
; COMPUTE_PGM_RSRC2:TGID_Y_EN: 0
; COMPUTE_PGM_RSRC2:TGID_Z_EN: 0
; COMPUTE_PGM_RSRC2:TIDIG_COMP_CNT: 0
	.section	.text._Z39paged_attention_ll4mi_QKV_mfma16_kernelI14__hip_bfloat16S0_LN4vllm18Fp8KVCacheDataTypeE0ES0_Li16ELi128ELi256ELb1ELi6EEvPKT_PKT0_S8_ifPKiSA_SA_iPKfiiiPfSD_PS3_PT2_iSC_SC_,"axG",@progbits,_Z39paged_attention_ll4mi_QKV_mfma16_kernelI14__hip_bfloat16S0_LN4vllm18Fp8KVCacheDataTypeE0ES0_Li16ELi128ELi256ELb1ELi6EEvPKT_PKT0_S8_ifPKiSA_SA_iPKfiiiPfSD_PS3_PT2_iSC_SC_,comdat
	.protected	_Z39paged_attention_ll4mi_QKV_mfma16_kernelI14__hip_bfloat16S0_LN4vllm18Fp8KVCacheDataTypeE0ES0_Li16ELi128ELi256ELb1ELi6EEvPKT_PKT0_S8_ifPKiSA_SA_iPKfiiiPfSD_PS3_PT2_iSC_SC_ ; -- Begin function _Z39paged_attention_ll4mi_QKV_mfma16_kernelI14__hip_bfloat16S0_LN4vllm18Fp8KVCacheDataTypeE0ES0_Li16ELi128ELi256ELb1ELi6EEvPKT_PKT0_S8_ifPKiSA_SA_iPKfiiiPfSD_PS3_PT2_iSC_SC_
	.globl	_Z39paged_attention_ll4mi_QKV_mfma16_kernelI14__hip_bfloat16S0_LN4vllm18Fp8KVCacheDataTypeE0ES0_Li16ELi128ELi256ELb1ELi6EEvPKT_PKT0_S8_ifPKiSA_SA_iPKfiiiPfSD_PS3_PT2_iSC_SC_
	.p2align	8
	.type	_Z39paged_attention_ll4mi_QKV_mfma16_kernelI14__hip_bfloat16S0_LN4vllm18Fp8KVCacheDataTypeE0ES0_Li16ELi128ELi256ELb1ELi6EEvPKT_PKT0_S8_ifPKiSA_SA_iPKfiiiPfSD_PS3_PT2_iSC_SC_,@function
_Z39paged_attention_ll4mi_QKV_mfma16_kernelI14__hip_bfloat16S0_LN4vllm18Fp8KVCacheDataTypeE0ES0_Li16ELi128ELi256ELb1ELi6EEvPKT_PKT0_S8_ifPKiSA_SA_iPKfiiiPfSD_PS3_PT2_iSC_SC_: ; @_Z39paged_attention_ll4mi_QKV_mfma16_kernelI14__hip_bfloat16S0_LN4vllm18Fp8KVCacheDataTypeE0ES0_Li16ELi128ELi256ELb1ELi6EEvPKT_PKT0_S8_ifPKiSA_SA_iPKfiiiPfSD_PS3_PT2_iSC_SC_
; %bb.0:
	s_get_pc_i64 s[2:3]
	s_add_nc_u64 s[2:3], s[2:3], __PRETTY_FUNCTION__._Z39paged_attention_ll4mi_QKV_mfma16_kernelI14__hip_bfloat16S0_LN4vllm18Fp8KVCacheDataTypeE0ES0_Li16ELi128ELi256ELb1ELi6EEvPKT_PKT0_S8_ifPKiSA_SA_iPKfiiiPfSD_PS3_PT2_iSC_SC_@rel64+4
	s_delay_alu instid0(SALU_CYCLE_1)
	v_dual_mov_b32 v0, 0xbb3 :: v_dual_mov_b32 v1, s2
	v_mov_b32_e32 v2, s3
	s_add_nc_u64 s[8:9], s[0:1], 0x90
	s_get_pc_i64 s[0:1]
	s_add_nc_u64 s[0:1], s[0:1], __assert_fail@rel64+4
	s_mov_b32 s32, 0
	s_swap_pc_i64 s[30:31], s[0:1]
	.section	.rodata,"a",@progbits
	.p2align	6, 0x0
	.amdhsa_kernel _Z39paged_attention_ll4mi_QKV_mfma16_kernelI14__hip_bfloat16S0_LN4vllm18Fp8KVCacheDataTypeE0ES0_Li16ELi128ELi256ELb1ELi6EEvPKT_PKT0_S8_ifPKiSA_SA_iPKfiiiPfSD_PS3_PT2_iSC_SC_
		.amdhsa_group_segment_fixed_size 0
		.amdhsa_private_segment_fixed_size 64
		.amdhsa_kernarg_size 400
		.amdhsa_user_sgpr_count 2
		.amdhsa_user_sgpr_dispatch_ptr 0
		.amdhsa_user_sgpr_queue_ptr 0
		.amdhsa_user_sgpr_kernarg_segment_ptr 1
		.amdhsa_user_sgpr_dispatch_id 0
		.amdhsa_user_sgpr_kernarg_preload_length 0
		.amdhsa_user_sgpr_kernarg_preload_offset 0
		.amdhsa_user_sgpr_private_segment_size 0
		.amdhsa_wavefront_size32 1
		.amdhsa_uses_dynamic_stack 0
		.amdhsa_enable_private_segment 1
		.amdhsa_system_sgpr_workgroup_id_x 1
		.amdhsa_system_sgpr_workgroup_id_y 0
		.amdhsa_system_sgpr_workgroup_id_z 0
		.amdhsa_system_sgpr_workgroup_info 0
		.amdhsa_system_vgpr_workitem_id 0
		.amdhsa_next_free_vgpr 51
		.amdhsa_next_free_sgpr 34
		.amdhsa_named_barrier_count 0
		.amdhsa_reserve_vcc 1
		.amdhsa_float_round_mode_32 0
		.amdhsa_float_round_mode_16_64 0
		.amdhsa_float_denorm_mode_32 3
		.amdhsa_float_denorm_mode_16_64 3
		.amdhsa_fp16_overflow 0
		.amdhsa_memory_ordered 1
		.amdhsa_forward_progress 1
		.amdhsa_inst_pref_size 1
		.amdhsa_round_robin_scheduling 0
		.amdhsa_exception_fp_ieee_invalid_op 0
		.amdhsa_exception_fp_denorm_src 0
		.amdhsa_exception_fp_ieee_div_zero 0
		.amdhsa_exception_fp_ieee_overflow 0
		.amdhsa_exception_fp_ieee_underflow 0
		.amdhsa_exception_fp_ieee_inexact 0
		.amdhsa_exception_int_div_zero 0
	.end_amdhsa_kernel
	.section	.text._Z39paged_attention_ll4mi_QKV_mfma16_kernelI14__hip_bfloat16S0_LN4vllm18Fp8KVCacheDataTypeE0ES0_Li16ELi128ELi256ELb1ELi6EEvPKT_PKT0_S8_ifPKiSA_SA_iPKfiiiPfSD_PS3_PT2_iSC_SC_,"axG",@progbits,_Z39paged_attention_ll4mi_QKV_mfma16_kernelI14__hip_bfloat16S0_LN4vllm18Fp8KVCacheDataTypeE0ES0_Li16ELi128ELi256ELb1ELi6EEvPKT_PKT0_S8_ifPKiSA_SA_iPKfiiiPfSD_PS3_PT2_iSC_SC_,comdat
.Lfunc_end639:
	.size	_Z39paged_attention_ll4mi_QKV_mfma16_kernelI14__hip_bfloat16S0_LN4vllm18Fp8KVCacheDataTypeE0ES0_Li16ELi128ELi256ELb1ELi6EEvPKT_PKT0_S8_ifPKiSA_SA_iPKfiiiPfSD_PS3_PT2_iSC_SC_, .Lfunc_end639-_Z39paged_attention_ll4mi_QKV_mfma16_kernelI14__hip_bfloat16S0_LN4vllm18Fp8KVCacheDataTypeE0ES0_Li16ELi128ELi256ELb1ELi6EEvPKT_PKT0_S8_ifPKiSA_SA_iPKfiiiPfSD_PS3_PT2_iSC_SC_
                                        ; -- End function
	.set _Z39paged_attention_ll4mi_QKV_mfma16_kernelI14__hip_bfloat16S0_LN4vllm18Fp8KVCacheDataTypeE0ES0_Li16ELi128ELi256ELb1ELi6EEvPKT_PKT0_S8_ifPKiSA_SA_iPKfiiiPfSD_PS3_PT2_iSC_SC_.num_vgpr, max(3, .L__assert_fail.num_vgpr)
	.set _Z39paged_attention_ll4mi_QKV_mfma16_kernelI14__hip_bfloat16S0_LN4vllm18Fp8KVCacheDataTypeE0ES0_Li16ELi128ELi256ELb1ELi6EEvPKT_PKT0_S8_ifPKiSA_SA_iPKfiiiPfSD_PS3_PT2_iSC_SC_.num_agpr, max(0, .L__assert_fail.num_agpr)
	.set _Z39paged_attention_ll4mi_QKV_mfma16_kernelI14__hip_bfloat16S0_LN4vllm18Fp8KVCacheDataTypeE0ES0_Li16ELi128ELi256ELb1ELi6EEvPKT_PKT0_S8_ifPKiSA_SA_iPKfiiiPfSD_PS3_PT2_iSC_SC_.numbered_sgpr, max(33, .L__assert_fail.numbered_sgpr)
	.set _Z39paged_attention_ll4mi_QKV_mfma16_kernelI14__hip_bfloat16S0_LN4vllm18Fp8KVCacheDataTypeE0ES0_Li16ELi128ELi256ELb1ELi6EEvPKT_PKT0_S8_ifPKiSA_SA_iPKfiiiPfSD_PS3_PT2_iSC_SC_.num_named_barrier, max(0, .L__assert_fail.num_named_barrier)
	.set _Z39paged_attention_ll4mi_QKV_mfma16_kernelI14__hip_bfloat16S0_LN4vllm18Fp8KVCacheDataTypeE0ES0_Li16ELi128ELi256ELb1ELi6EEvPKT_PKT0_S8_ifPKiSA_SA_iPKfiiiPfSD_PS3_PT2_iSC_SC_.private_seg_size, 0+max(.L__assert_fail.private_seg_size)
	.set _Z39paged_attention_ll4mi_QKV_mfma16_kernelI14__hip_bfloat16S0_LN4vllm18Fp8KVCacheDataTypeE0ES0_Li16ELi128ELi256ELb1ELi6EEvPKT_PKT0_S8_ifPKiSA_SA_iPKfiiiPfSD_PS3_PT2_iSC_SC_.uses_vcc, or(1, .L__assert_fail.uses_vcc)
	.set _Z39paged_attention_ll4mi_QKV_mfma16_kernelI14__hip_bfloat16S0_LN4vllm18Fp8KVCacheDataTypeE0ES0_Li16ELi128ELi256ELb1ELi6EEvPKT_PKT0_S8_ifPKiSA_SA_iPKfiiiPfSD_PS3_PT2_iSC_SC_.uses_flat_scratch, or(0, .L__assert_fail.uses_flat_scratch)
	.set _Z39paged_attention_ll4mi_QKV_mfma16_kernelI14__hip_bfloat16S0_LN4vllm18Fp8KVCacheDataTypeE0ES0_Li16ELi128ELi256ELb1ELi6EEvPKT_PKT0_S8_ifPKiSA_SA_iPKfiiiPfSD_PS3_PT2_iSC_SC_.has_dyn_sized_stack, or(0, .L__assert_fail.has_dyn_sized_stack)
	.set _Z39paged_attention_ll4mi_QKV_mfma16_kernelI14__hip_bfloat16S0_LN4vllm18Fp8KVCacheDataTypeE0ES0_Li16ELi128ELi256ELb1ELi6EEvPKT_PKT0_S8_ifPKiSA_SA_iPKfiiiPfSD_PS3_PT2_iSC_SC_.has_recursion, or(0, .L__assert_fail.has_recursion)
	.set _Z39paged_attention_ll4mi_QKV_mfma16_kernelI14__hip_bfloat16S0_LN4vllm18Fp8KVCacheDataTypeE0ES0_Li16ELi128ELi256ELb1ELi6EEvPKT_PKT0_S8_ifPKiSA_SA_iPKfiiiPfSD_PS3_PT2_iSC_SC_.has_indirect_call, or(0, .L__assert_fail.has_indirect_call)
	.section	.AMDGPU.csdata,"",@progbits
; Kernel info:
; codeLenInByte = 68
; TotalNumSgprs: 36
; NumVgprs: 51
; ScratchSize: 64
; MemoryBound: 0
; FloatMode: 240
; IeeeMode: 1
; LDSByteSize: 0 bytes/workgroup (compile time only)
; SGPRBlocks: 0
; VGPRBlocks: 3
; NumSGPRsForWavesPerEU: 36
; NumVGPRsForWavesPerEU: 51
; NamedBarCnt: 0
; Occupancy: 16
; WaveLimiterHint : 1
; COMPUTE_PGM_RSRC2:SCRATCH_EN: 1
; COMPUTE_PGM_RSRC2:USER_SGPR: 2
; COMPUTE_PGM_RSRC2:TRAP_HANDLER: 0
; COMPUTE_PGM_RSRC2:TGID_X_EN: 1
; COMPUTE_PGM_RSRC2:TGID_Y_EN: 0
; COMPUTE_PGM_RSRC2:TGID_Z_EN: 0
; COMPUTE_PGM_RSRC2:TIDIG_COMP_CNT: 0
	.section	.text._Z39paged_attention_ll4mi_QKV_mfma16_kernelI14__hip_bfloat16S0_LN4vllm18Fp8KVCacheDataTypeE0ES0_Li16ELi128ELi256ELb1ELi7EEvPKT_PKT0_S8_ifPKiSA_SA_iPKfiiiPfSD_PS3_PT2_iSC_SC_,"axG",@progbits,_Z39paged_attention_ll4mi_QKV_mfma16_kernelI14__hip_bfloat16S0_LN4vllm18Fp8KVCacheDataTypeE0ES0_Li16ELi128ELi256ELb1ELi7EEvPKT_PKT0_S8_ifPKiSA_SA_iPKfiiiPfSD_PS3_PT2_iSC_SC_,comdat
	.protected	_Z39paged_attention_ll4mi_QKV_mfma16_kernelI14__hip_bfloat16S0_LN4vllm18Fp8KVCacheDataTypeE0ES0_Li16ELi128ELi256ELb1ELi7EEvPKT_PKT0_S8_ifPKiSA_SA_iPKfiiiPfSD_PS3_PT2_iSC_SC_ ; -- Begin function _Z39paged_attention_ll4mi_QKV_mfma16_kernelI14__hip_bfloat16S0_LN4vllm18Fp8KVCacheDataTypeE0ES0_Li16ELi128ELi256ELb1ELi7EEvPKT_PKT0_S8_ifPKiSA_SA_iPKfiiiPfSD_PS3_PT2_iSC_SC_
	.globl	_Z39paged_attention_ll4mi_QKV_mfma16_kernelI14__hip_bfloat16S0_LN4vllm18Fp8KVCacheDataTypeE0ES0_Li16ELi128ELi256ELb1ELi7EEvPKT_PKT0_S8_ifPKiSA_SA_iPKfiiiPfSD_PS3_PT2_iSC_SC_
	.p2align	8
	.type	_Z39paged_attention_ll4mi_QKV_mfma16_kernelI14__hip_bfloat16S0_LN4vllm18Fp8KVCacheDataTypeE0ES0_Li16ELi128ELi256ELb1ELi7EEvPKT_PKT0_S8_ifPKiSA_SA_iPKfiiiPfSD_PS3_PT2_iSC_SC_,@function
_Z39paged_attention_ll4mi_QKV_mfma16_kernelI14__hip_bfloat16S0_LN4vllm18Fp8KVCacheDataTypeE0ES0_Li16ELi128ELi256ELb1ELi7EEvPKT_PKT0_S8_ifPKiSA_SA_iPKfiiiPfSD_PS3_PT2_iSC_SC_: ; @_Z39paged_attention_ll4mi_QKV_mfma16_kernelI14__hip_bfloat16S0_LN4vllm18Fp8KVCacheDataTypeE0ES0_Li16ELi128ELi256ELb1ELi7EEvPKT_PKT0_S8_ifPKiSA_SA_iPKfiiiPfSD_PS3_PT2_iSC_SC_
; %bb.0:
	s_get_pc_i64 s[2:3]
	s_add_nc_u64 s[2:3], s[2:3], __PRETTY_FUNCTION__._Z39paged_attention_ll4mi_QKV_mfma16_kernelI14__hip_bfloat16S0_LN4vllm18Fp8KVCacheDataTypeE0ES0_Li16ELi128ELi256ELb1ELi7EEvPKT_PKT0_S8_ifPKiSA_SA_iPKfiiiPfSD_PS3_PT2_iSC_SC_@rel64+4
	s_delay_alu instid0(SALU_CYCLE_1)
	v_dual_mov_b32 v0, 0xbb3 :: v_dual_mov_b32 v1, s2
	v_mov_b32_e32 v2, s3
	s_add_nc_u64 s[8:9], s[0:1], 0x90
	s_get_pc_i64 s[0:1]
	s_add_nc_u64 s[0:1], s[0:1], __assert_fail@rel64+4
	s_mov_b32 s32, 0
	s_swap_pc_i64 s[30:31], s[0:1]
	.section	.rodata,"a",@progbits
	.p2align	6, 0x0
	.amdhsa_kernel _Z39paged_attention_ll4mi_QKV_mfma16_kernelI14__hip_bfloat16S0_LN4vllm18Fp8KVCacheDataTypeE0ES0_Li16ELi128ELi256ELb1ELi7EEvPKT_PKT0_S8_ifPKiSA_SA_iPKfiiiPfSD_PS3_PT2_iSC_SC_
		.amdhsa_group_segment_fixed_size 0
		.amdhsa_private_segment_fixed_size 64
		.amdhsa_kernarg_size 400
		.amdhsa_user_sgpr_count 2
		.amdhsa_user_sgpr_dispatch_ptr 0
		.amdhsa_user_sgpr_queue_ptr 0
		.amdhsa_user_sgpr_kernarg_segment_ptr 1
		.amdhsa_user_sgpr_dispatch_id 0
		.amdhsa_user_sgpr_kernarg_preload_length 0
		.amdhsa_user_sgpr_kernarg_preload_offset 0
		.amdhsa_user_sgpr_private_segment_size 0
		.amdhsa_wavefront_size32 1
		.amdhsa_uses_dynamic_stack 0
		.amdhsa_enable_private_segment 1
		.amdhsa_system_sgpr_workgroup_id_x 1
		.amdhsa_system_sgpr_workgroup_id_y 0
		.amdhsa_system_sgpr_workgroup_id_z 0
		.amdhsa_system_sgpr_workgroup_info 0
		.amdhsa_system_vgpr_workitem_id 0
		.amdhsa_next_free_vgpr 51
		.amdhsa_next_free_sgpr 34
		.amdhsa_named_barrier_count 0
		.amdhsa_reserve_vcc 1
		.amdhsa_float_round_mode_32 0
		.amdhsa_float_round_mode_16_64 0
		.amdhsa_float_denorm_mode_32 3
		.amdhsa_float_denorm_mode_16_64 3
		.amdhsa_fp16_overflow 0
		.amdhsa_memory_ordered 1
		.amdhsa_forward_progress 1
		.amdhsa_inst_pref_size 1
		.amdhsa_round_robin_scheduling 0
		.amdhsa_exception_fp_ieee_invalid_op 0
		.amdhsa_exception_fp_denorm_src 0
		.amdhsa_exception_fp_ieee_div_zero 0
		.amdhsa_exception_fp_ieee_overflow 0
		.amdhsa_exception_fp_ieee_underflow 0
		.amdhsa_exception_fp_ieee_inexact 0
		.amdhsa_exception_int_div_zero 0
	.end_amdhsa_kernel
	.section	.text._Z39paged_attention_ll4mi_QKV_mfma16_kernelI14__hip_bfloat16S0_LN4vllm18Fp8KVCacheDataTypeE0ES0_Li16ELi128ELi256ELb1ELi7EEvPKT_PKT0_S8_ifPKiSA_SA_iPKfiiiPfSD_PS3_PT2_iSC_SC_,"axG",@progbits,_Z39paged_attention_ll4mi_QKV_mfma16_kernelI14__hip_bfloat16S0_LN4vllm18Fp8KVCacheDataTypeE0ES0_Li16ELi128ELi256ELb1ELi7EEvPKT_PKT0_S8_ifPKiSA_SA_iPKfiiiPfSD_PS3_PT2_iSC_SC_,comdat
.Lfunc_end640:
	.size	_Z39paged_attention_ll4mi_QKV_mfma16_kernelI14__hip_bfloat16S0_LN4vllm18Fp8KVCacheDataTypeE0ES0_Li16ELi128ELi256ELb1ELi7EEvPKT_PKT0_S8_ifPKiSA_SA_iPKfiiiPfSD_PS3_PT2_iSC_SC_, .Lfunc_end640-_Z39paged_attention_ll4mi_QKV_mfma16_kernelI14__hip_bfloat16S0_LN4vllm18Fp8KVCacheDataTypeE0ES0_Li16ELi128ELi256ELb1ELi7EEvPKT_PKT0_S8_ifPKiSA_SA_iPKfiiiPfSD_PS3_PT2_iSC_SC_
                                        ; -- End function
	.set _Z39paged_attention_ll4mi_QKV_mfma16_kernelI14__hip_bfloat16S0_LN4vllm18Fp8KVCacheDataTypeE0ES0_Li16ELi128ELi256ELb1ELi7EEvPKT_PKT0_S8_ifPKiSA_SA_iPKfiiiPfSD_PS3_PT2_iSC_SC_.num_vgpr, max(3, .L__assert_fail.num_vgpr)
	.set _Z39paged_attention_ll4mi_QKV_mfma16_kernelI14__hip_bfloat16S0_LN4vllm18Fp8KVCacheDataTypeE0ES0_Li16ELi128ELi256ELb1ELi7EEvPKT_PKT0_S8_ifPKiSA_SA_iPKfiiiPfSD_PS3_PT2_iSC_SC_.num_agpr, max(0, .L__assert_fail.num_agpr)
	.set _Z39paged_attention_ll4mi_QKV_mfma16_kernelI14__hip_bfloat16S0_LN4vllm18Fp8KVCacheDataTypeE0ES0_Li16ELi128ELi256ELb1ELi7EEvPKT_PKT0_S8_ifPKiSA_SA_iPKfiiiPfSD_PS3_PT2_iSC_SC_.numbered_sgpr, max(33, .L__assert_fail.numbered_sgpr)
	.set _Z39paged_attention_ll4mi_QKV_mfma16_kernelI14__hip_bfloat16S0_LN4vllm18Fp8KVCacheDataTypeE0ES0_Li16ELi128ELi256ELb1ELi7EEvPKT_PKT0_S8_ifPKiSA_SA_iPKfiiiPfSD_PS3_PT2_iSC_SC_.num_named_barrier, max(0, .L__assert_fail.num_named_barrier)
	.set _Z39paged_attention_ll4mi_QKV_mfma16_kernelI14__hip_bfloat16S0_LN4vllm18Fp8KVCacheDataTypeE0ES0_Li16ELi128ELi256ELb1ELi7EEvPKT_PKT0_S8_ifPKiSA_SA_iPKfiiiPfSD_PS3_PT2_iSC_SC_.private_seg_size, 0+max(.L__assert_fail.private_seg_size)
	.set _Z39paged_attention_ll4mi_QKV_mfma16_kernelI14__hip_bfloat16S0_LN4vllm18Fp8KVCacheDataTypeE0ES0_Li16ELi128ELi256ELb1ELi7EEvPKT_PKT0_S8_ifPKiSA_SA_iPKfiiiPfSD_PS3_PT2_iSC_SC_.uses_vcc, or(1, .L__assert_fail.uses_vcc)
	.set _Z39paged_attention_ll4mi_QKV_mfma16_kernelI14__hip_bfloat16S0_LN4vllm18Fp8KVCacheDataTypeE0ES0_Li16ELi128ELi256ELb1ELi7EEvPKT_PKT0_S8_ifPKiSA_SA_iPKfiiiPfSD_PS3_PT2_iSC_SC_.uses_flat_scratch, or(0, .L__assert_fail.uses_flat_scratch)
	.set _Z39paged_attention_ll4mi_QKV_mfma16_kernelI14__hip_bfloat16S0_LN4vllm18Fp8KVCacheDataTypeE0ES0_Li16ELi128ELi256ELb1ELi7EEvPKT_PKT0_S8_ifPKiSA_SA_iPKfiiiPfSD_PS3_PT2_iSC_SC_.has_dyn_sized_stack, or(0, .L__assert_fail.has_dyn_sized_stack)
	.set _Z39paged_attention_ll4mi_QKV_mfma16_kernelI14__hip_bfloat16S0_LN4vllm18Fp8KVCacheDataTypeE0ES0_Li16ELi128ELi256ELb1ELi7EEvPKT_PKT0_S8_ifPKiSA_SA_iPKfiiiPfSD_PS3_PT2_iSC_SC_.has_recursion, or(0, .L__assert_fail.has_recursion)
	.set _Z39paged_attention_ll4mi_QKV_mfma16_kernelI14__hip_bfloat16S0_LN4vllm18Fp8KVCacheDataTypeE0ES0_Li16ELi128ELi256ELb1ELi7EEvPKT_PKT0_S8_ifPKiSA_SA_iPKfiiiPfSD_PS3_PT2_iSC_SC_.has_indirect_call, or(0, .L__assert_fail.has_indirect_call)
	.section	.AMDGPU.csdata,"",@progbits
; Kernel info:
; codeLenInByte = 68
; TotalNumSgprs: 36
; NumVgprs: 51
; ScratchSize: 64
; MemoryBound: 0
; FloatMode: 240
; IeeeMode: 1
; LDSByteSize: 0 bytes/workgroup (compile time only)
; SGPRBlocks: 0
; VGPRBlocks: 3
; NumSGPRsForWavesPerEU: 36
; NumVGPRsForWavesPerEU: 51
; NamedBarCnt: 0
; Occupancy: 16
; WaveLimiterHint : 1
; COMPUTE_PGM_RSRC2:SCRATCH_EN: 1
; COMPUTE_PGM_RSRC2:USER_SGPR: 2
; COMPUTE_PGM_RSRC2:TRAP_HANDLER: 0
; COMPUTE_PGM_RSRC2:TGID_X_EN: 1
; COMPUTE_PGM_RSRC2:TGID_Y_EN: 0
; COMPUTE_PGM_RSRC2:TGID_Z_EN: 0
; COMPUTE_PGM_RSRC2:TIDIG_COMP_CNT: 0
	.section	.text._Z39paged_attention_ll4mi_QKV_mfma16_kernelI14__hip_bfloat16S0_LN4vllm18Fp8KVCacheDataTypeE0ES0_Li16ELi128ELi256ELb1ELi8EEvPKT_PKT0_S8_ifPKiSA_SA_iPKfiiiPfSD_PS3_PT2_iSC_SC_,"axG",@progbits,_Z39paged_attention_ll4mi_QKV_mfma16_kernelI14__hip_bfloat16S0_LN4vllm18Fp8KVCacheDataTypeE0ES0_Li16ELi128ELi256ELb1ELi8EEvPKT_PKT0_S8_ifPKiSA_SA_iPKfiiiPfSD_PS3_PT2_iSC_SC_,comdat
	.protected	_Z39paged_attention_ll4mi_QKV_mfma16_kernelI14__hip_bfloat16S0_LN4vllm18Fp8KVCacheDataTypeE0ES0_Li16ELi128ELi256ELb1ELi8EEvPKT_PKT0_S8_ifPKiSA_SA_iPKfiiiPfSD_PS3_PT2_iSC_SC_ ; -- Begin function _Z39paged_attention_ll4mi_QKV_mfma16_kernelI14__hip_bfloat16S0_LN4vllm18Fp8KVCacheDataTypeE0ES0_Li16ELi128ELi256ELb1ELi8EEvPKT_PKT0_S8_ifPKiSA_SA_iPKfiiiPfSD_PS3_PT2_iSC_SC_
	.globl	_Z39paged_attention_ll4mi_QKV_mfma16_kernelI14__hip_bfloat16S0_LN4vllm18Fp8KVCacheDataTypeE0ES0_Li16ELi128ELi256ELb1ELi8EEvPKT_PKT0_S8_ifPKiSA_SA_iPKfiiiPfSD_PS3_PT2_iSC_SC_
	.p2align	8
	.type	_Z39paged_attention_ll4mi_QKV_mfma16_kernelI14__hip_bfloat16S0_LN4vllm18Fp8KVCacheDataTypeE0ES0_Li16ELi128ELi256ELb1ELi8EEvPKT_PKT0_S8_ifPKiSA_SA_iPKfiiiPfSD_PS3_PT2_iSC_SC_,@function
_Z39paged_attention_ll4mi_QKV_mfma16_kernelI14__hip_bfloat16S0_LN4vllm18Fp8KVCacheDataTypeE0ES0_Li16ELi128ELi256ELb1ELi8EEvPKT_PKT0_S8_ifPKiSA_SA_iPKfiiiPfSD_PS3_PT2_iSC_SC_: ; @_Z39paged_attention_ll4mi_QKV_mfma16_kernelI14__hip_bfloat16S0_LN4vllm18Fp8KVCacheDataTypeE0ES0_Li16ELi128ELi256ELb1ELi8EEvPKT_PKT0_S8_ifPKiSA_SA_iPKfiiiPfSD_PS3_PT2_iSC_SC_
; %bb.0:
	s_get_pc_i64 s[2:3]
	s_add_nc_u64 s[2:3], s[2:3], __PRETTY_FUNCTION__._Z39paged_attention_ll4mi_QKV_mfma16_kernelI14__hip_bfloat16S0_LN4vllm18Fp8KVCacheDataTypeE0ES0_Li16ELi128ELi256ELb1ELi8EEvPKT_PKT0_S8_ifPKiSA_SA_iPKfiiiPfSD_PS3_PT2_iSC_SC_@rel64+4
	s_delay_alu instid0(SALU_CYCLE_1)
	v_dual_mov_b32 v0, 0xbb3 :: v_dual_mov_b32 v1, s2
	v_mov_b32_e32 v2, s3
	s_add_nc_u64 s[8:9], s[0:1], 0x90
	s_get_pc_i64 s[0:1]
	s_add_nc_u64 s[0:1], s[0:1], __assert_fail@rel64+4
	s_mov_b32 s32, 0
	s_swap_pc_i64 s[30:31], s[0:1]
	.section	.rodata,"a",@progbits
	.p2align	6, 0x0
	.amdhsa_kernel _Z39paged_attention_ll4mi_QKV_mfma16_kernelI14__hip_bfloat16S0_LN4vllm18Fp8KVCacheDataTypeE0ES0_Li16ELi128ELi256ELb1ELi8EEvPKT_PKT0_S8_ifPKiSA_SA_iPKfiiiPfSD_PS3_PT2_iSC_SC_
		.amdhsa_group_segment_fixed_size 0
		.amdhsa_private_segment_fixed_size 64
		.amdhsa_kernarg_size 400
		.amdhsa_user_sgpr_count 2
		.amdhsa_user_sgpr_dispatch_ptr 0
		.amdhsa_user_sgpr_queue_ptr 0
		.amdhsa_user_sgpr_kernarg_segment_ptr 1
		.amdhsa_user_sgpr_dispatch_id 0
		.amdhsa_user_sgpr_kernarg_preload_length 0
		.amdhsa_user_sgpr_kernarg_preload_offset 0
		.amdhsa_user_sgpr_private_segment_size 0
		.amdhsa_wavefront_size32 1
		.amdhsa_uses_dynamic_stack 0
		.amdhsa_enable_private_segment 1
		.amdhsa_system_sgpr_workgroup_id_x 1
		.amdhsa_system_sgpr_workgroup_id_y 0
		.amdhsa_system_sgpr_workgroup_id_z 0
		.amdhsa_system_sgpr_workgroup_info 0
		.amdhsa_system_vgpr_workitem_id 0
		.amdhsa_next_free_vgpr 51
		.amdhsa_next_free_sgpr 34
		.amdhsa_named_barrier_count 0
		.amdhsa_reserve_vcc 1
		.amdhsa_float_round_mode_32 0
		.amdhsa_float_round_mode_16_64 0
		.amdhsa_float_denorm_mode_32 3
		.amdhsa_float_denorm_mode_16_64 3
		.amdhsa_fp16_overflow 0
		.amdhsa_memory_ordered 1
		.amdhsa_forward_progress 1
		.amdhsa_inst_pref_size 1
		.amdhsa_round_robin_scheduling 0
		.amdhsa_exception_fp_ieee_invalid_op 0
		.amdhsa_exception_fp_denorm_src 0
		.amdhsa_exception_fp_ieee_div_zero 0
		.amdhsa_exception_fp_ieee_overflow 0
		.amdhsa_exception_fp_ieee_underflow 0
		.amdhsa_exception_fp_ieee_inexact 0
		.amdhsa_exception_int_div_zero 0
	.end_amdhsa_kernel
	.section	.text._Z39paged_attention_ll4mi_QKV_mfma16_kernelI14__hip_bfloat16S0_LN4vllm18Fp8KVCacheDataTypeE0ES0_Li16ELi128ELi256ELb1ELi8EEvPKT_PKT0_S8_ifPKiSA_SA_iPKfiiiPfSD_PS3_PT2_iSC_SC_,"axG",@progbits,_Z39paged_attention_ll4mi_QKV_mfma16_kernelI14__hip_bfloat16S0_LN4vllm18Fp8KVCacheDataTypeE0ES0_Li16ELi128ELi256ELb1ELi8EEvPKT_PKT0_S8_ifPKiSA_SA_iPKfiiiPfSD_PS3_PT2_iSC_SC_,comdat
.Lfunc_end641:
	.size	_Z39paged_attention_ll4mi_QKV_mfma16_kernelI14__hip_bfloat16S0_LN4vllm18Fp8KVCacheDataTypeE0ES0_Li16ELi128ELi256ELb1ELi8EEvPKT_PKT0_S8_ifPKiSA_SA_iPKfiiiPfSD_PS3_PT2_iSC_SC_, .Lfunc_end641-_Z39paged_attention_ll4mi_QKV_mfma16_kernelI14__hip_bfloat16S0_LN4vllm18Fp8KVCacheDataTypeE0ES0_Li16ELi128ELi256ELb1ELi8EEvPKT_PKT0_S8_ifPKiSA_SA_iPKfiiiPfSD_PS3_PT2_iSC_SC_
                                        ; -- End function
	.set _Z39paged_attention_ll4mi_QKV_mfma16_kernelI14__hip_bfloat16S0_LN4vllm18Fp8KVCacheDataTypeE0ES0_Li16ELi128ELi256ELb1ELi8EEvPKT_PKT0_S8_ifPKiSA_SA_iPKfiiiPfSD_PS3_PT2_iSC_SC_.num_vgpr, max(3, .L__assert_fail.num_vgpr)
	.set _Z39paged_attention_ll4mi_QKV_mfma16_kernelI14__hip_bfloat16S0_LN4vllm18Fp8KVCacheDataTypeE0ES0_Li16ELi128ELi256ELb1ELi8EEvPKT_PKT0_S8_ifPKiSA_SA_iPKfiiiPfSD_PS3_PT2_iSC_SC_.num_agpr, max(0, .L__assert_fail.num_agpr)
	.set _Z39paged_attention_ll4mi_QKV_mfma16_kernelI14__hip_bfloat16S0_LN4vllm18Fp8KVCacheDataTypeE0ES0_Li16ELi128ELi256ELb1ELi8EEvPKT_PKT0_S8_ifPKiSA_SA_iPKfiiiPfSD_PS3_PT2_iSC_SC_.numbered_sgpr, max(33, .L__assert_fail.numbered_sgpr)
	.set _Z39paged_attention_ll4mi_QKV_mfma16_kernelI14__hip_bfloat16S0_LN4vllm18Fp8KVCacheDataTypeE0ES0_Li16ELi128ELi256ELb1ELi8EEvPKT_PKT0_S8_ifPKiSA_SA_iPKfiiiPfSD_PS3_PT2_iSC_SC_.num_named_barrier, max(0, .L__assert_fail.num_named_barrier)
	.set _Z39paged_attention_ll4mi_QKV_mfma16_kernelI14__hip_bfloat16S0_LN4vllm18Fp8KVCacheDataTypeE0ES0_Li16ELi128ELi256ELb1ELi8EEvPKT_PKT0_S8_ifPKiSA_SA_iPKfiiiPfSD_PS3_PT2_iSC_SC_.private_seg_size, 0+max(.L__assert_fail.private_seg_size)
	.set _Z39paged_attention_ll4mi_QKV_mfma16_kernelI14__hip_bfloat16S0_LN4vllm18Fp8KVCacheDataTypeE0ES0_Li16ELi128ELi256ELb1ELi8EEvPKT_PKT0_S8_ifPKiSA_SA_iPKfiiiPfSD_PS3_PT2_iSC_SC_.uses_vcc, or(1, .L__assert_fail.uses_vcc)
	.set _Z39paged_attention_ll4mi_QKV_mfma16_kernelI14__hip_bfloat16S0_LN4vllm18Fp8KVCacheDataTypeE0ES0_Li16ELi128ELi256ELb1ELi8EEvPKT_PKT0_S8_ifPKiSA_SA_iPKfiiiPfSD_PS3_PT2_iSC_SC_.uses_flat_scratch, or(0, .L__assert_fail.uses_flat_scratch)
	.set _Z39paged_attention_ll4mi_QKV_mfma16_kernelI14__hip_bfloat16S0_LN4vllm18Fp8KVCacheDataTypeE0ES0_Li16ELi128ELi256ELb1ELi8EEvPKT_PKT0_S8_ifPKiSA_SA_iPKfiiiPfSD_PS3_PT2_iSC_SC_.has_dyn_sized_stack, or(0, .L__assert_fail.has_dyn_sized_stack)
	.set _Z39paged_attention_ll4mi_QKV_mfma16_kernelI14__hip_bfloat16S0_LN4vllm18Fp8KVCacheDataTypeE0ES0_Li16ELi128ELi256ELb1ELi8EEvPKT_PKT0_S8_ifPKiSA_SA_iPKfiiiPfSD_PS3_PT2_iSC_SC_.has_recursion, or(0, .L__assert_fail.has_recursion)
	.set _Z39paged_attention_ll4mi_QKV_mfma16_kernelI14__hip_bfloat16S0_LN4vllm18Fp8KVCacheDataTypeE0ES0_Li16ELi128ELi256ELb1ELi8EEvPKT_PKT0_S8_ifPKiSA_SA_iPKfiiiPfSD_PS3_PT2_iSC_SC_.has_indirect_call, or(0, .L__assert_fail.has_indirect_call)
	.section	.AMDGPU.csdata,"",@progbits
; Kernel info:
; codeLenInByte = 68
; TotalNumSgprs: 36
; NumVgprs: 51
; ScratchSize: 64
; MemoryBound: 0
; FloatMode: 240
; IeeeMode: 1
; LDSByteSize: 0 bytes/workgroup (compile time only)
; SGPRBlocks: 0
; VGPRBlocks: 3
; NumSGPRsForWavesPerEU: 36
; NumVGPRsForWavesPerEU: 51
; NamedBarCnt: 0
; Occupancy: 16
; WaveLimiterHint : 1
; COMPUTE_PGM_RSRC2:SCRATCH_EN: 1
; COMPUTE_PGM_RSRC2:USER_SGPR: 2
; COMPUTE_PGM_RSRC2:TRAP_HANDLER: 0
; COMPUTE_PGM_RSRC2:TGID_X_EN: 1
; COMPUTE_PGM_RSRC2:TGID_Y_EN: 0
; COMPUTE_PGM_RSRC2:TGID_Z_EN: 0
; COMPUTE_PGM_RSRC2:TIDIG_COMP_CNT: 0
	.section	.text._Z39paged_attention_ll4mi_QKV_mfma16_kernelI14__hip_bfloat16S0_LN4vllm18Fp8KVCacheDataTypeE0ES0_Li16ELi128ELi256ELb1ELi9EEvPKT_PKT0_S8_ifPKiSA_SA_iPKfiiiPfSD_PS3_PT2_iSC_SC_,"axG",@progbits,_Z39paged_attention_ll4mi_QKV_mfma16_kernelI14__hip_bfloat16S0_LN4vllm18Fp8KVCacheDataTypeE0ES0_Li16ELi128ELi256ELb1ELi9EEvPKT_PKT0_S8_ifPKiSA_SA_iPKfiiiPfSD_PS3_PT2_iSC_SC_,comdat
	.protected	_Z39paged_attention_ll4mi_QKV_mfma16_kernelI14__hip_bfloat16S0_LN4vllm18Fp8KVCacheDataTypeE0ES0_Li16ELi128ELi256ELb1ELi9EEvPKT_PKT0_S8_ifPKiSA_SA_iPKfiiiPfSD_PS3_PT2_iSC_SC_ ; -- Begin function _Z39paged_attention_ll4mi_QKV_mfma16_kernelI14__hip_bfloat16S0_LN4vllm18Fp8KVCacheDataTypeE0ES0_Li16ELi128ELi256ELb1ELi9EEvPKT_PKT0_S8_ifPKiSA_SA_iPKfiiiPfSD_PS3_PT2_iSC_SC_
	.globl	_Z39paged_attention_ll4mi_QKV_mfma16_kernelI14__hip_bfloat16S0_LN4vllm18Fp8KVCacheDataTypeE0ES0_Li16ELi128ELi256ELb1ELi9EEvPKT_PKT0_S8_ifPKiSA_SA_iPKfiiiPfSD_PS3_PT2_iSC_SC_
	.p2align	8
	.type	_Z39paged_attention_ll4mi_QKV_mfma16_kernelI14__hip_bfloat16S0_LN4vllm18Fp8KVCacheDataTypeE0ES0_Li16ELi128ELi256ELb1ELi9EEvPKT_PKT0_S8_ifPKiSA_SA_iPKfiiiPfSD_PS3_PT2_iSC_SC_,@function
_Z39paged_attention_ll4mi_QKV_mfma16_kernelI14__hip_bfloat16S0_LN4vllm18Fp8KVCacheDataTypeE0ES0_Li16ELi128ELi256ELb1ELi9EEvPKT_PKT0_S8_ifPKiSA_SA_iPKfiiiPfSD_PS3_PT2_iSC_SC_: ; @_Z39paged_attention_ll4mi_QKV_mfma16_kernelI14__hip_bfloat16S0_LN4vllm18Fp8KVCacheDataTypeE0ES0_Li16ELi128ELi256ELb1ELi9EEvPKT_PKT0_S8_ifPKiSA_SA_iPKfiiiPfSD_PS3_PT2_iSC_SC_
; %bb.0:
	s_get_pc_i64 s[2:3]
	s_add_nc_u64 s[2:3], s[2:3], __PRETTY_FUNCTION__._Z39paged_attention_ll4mi_QKV_mfma16_kernelI14__hip_bfloat16S0_LN4vllm18Fp8KVCacheDataTypeE0ES0_Li16ELi128ELi256ELb1ELi9EEvPKT_PKT0_S8_ifPKiSA_SA_iPKfiiiPfSD_PS3_PT2_iSC_SC_@rel64+4
	s_delay_alu instid0(SALU_CYCLE_1)
	v_dual_mov_b32 v0, 0xbb3 :: v_dual_mov_b32 v1, s2
	v_mov_b32_e32 v2, s3
	s_add_nc_u64 s[8:9], s[0:1], 0x90
	s_get_pc_i64 s[0:1]
	s_add_nc_u64 s[0:1], s[0:1], __assert_fail@rel64+4
	s_mov_b32 s32, 0
	s_swap_pc_i64 s[30:31], s[0:1]
	.section	.rodata,"a",@progbits
	.p2align	6, 0x0
	.amdhsa_kernel _Z39paged_attention_ll4mi_QKV_mfma16_kernelI14__hip_bfloat16S0_LN4vllm18Fp8KVCacheDataTypeE0ES0_Li16ELi128ELi256ELb1ELi9EEvPKT_PKT0_S8_ifPKiSA_SA_iPKfiiiPfSD_PS3_PT2_iSC_SC_
		.amdhsa_group_segment_fixed_size 0
		.amdhsa_private_segment_fixed_size 64
		.amdhsa_kernarg_size 400
		.amdhsa_user_sgpr_count 2
		.amdhsa_user_sgpr_dispatch_ptr 0
		.amdhsa_user_sgpr_queue_ptr 0
		.amdhsa_user_sgpr_kernarg_segment_ptr 1
		.amdhsa_user_sgpr_dispatch_id 0
		.amdhsa_user_sgpr_kernarg_preload_length 0
		.amdhsa_user_sgpr_kernarg_preload_offset 0
		.amdhsa_user_sgpr_private_segment_size 0
		.amdhsa_wavefront_size32 1
		.amdhsa_uses_dynamic_stack 0
		.amdhsa_enable_private_segment 1
		.amdhsa_system_sgpr_workgroup_id_x 1
		.amdhsa_system_sgpr_workgroup_id_y 0
		.amdhsa_system_sgpr_workgroup_id_z 0
		.amdhsa_system_sgpr_workgroup_info 0
		.amdhsa_system_vgpr_workitem_id 0
		.amdhsa_next_free_vgpr 51
		.amdhsa_next_free_sgpr 34
		.amdhsa_named_barrier_count 0
		.amdhsa_reserve_vcc 1
		.amdhsa_float_round_mode_32 0
		.amdhsa_float_round_mode_16_64 0
		.amdhsa_float_denorm_mode_32 3
		.amdhsa_float_denorm_mode_16_64 3
		.amdhsa_fp16_overflow 0
		.amdhsa_memory_ordered 1
		.amdhsa_forward_progress 1
		.amdhsa_inst_pref_size 1
		.amdhsa_round_robin_scheduling 0
		.amdhsa_exception_fp_ieee_invalid_op 0
		.amdhsa_exception_fp_denorm_src 0
		.amdhsa_exception_fp_ieee_div_zero 0
		.amdhsa_exception_fp_ieee_overflow 0
		.amdhsa_exception_fp_ieee_underflow 0
		.amdhsa_exception_fp_ieee_inexact 0
		.amdhsa_exception_int_div_zero 0
	.end_amdhsa_kernel
	.section	.text._Z39paged_attention_ll4mi_QKV_mfma16_kernelI14__hip_bfloat16S0_LN4vllm18Fp8KVCacheDataTypeE0ES0_Li16ELi128ELi256ELb1ELi9EEvPKT_PKT0_S8_ifPKiSA_SA_iPKfiiiPfSD_PS3_PT2_iSC_SC_,"axG",@progbits,_Z39paged_attention_ll4mi_QKV_mfma16_kernelI14__hip_bfloat16S0_LN4vllm18Fp8KVCacheDataTypeE0ES0_Li16ELi128ELi256ELb1ELi9EEvPKT_PKT0_S8_ifPKiSA_SA_iPKfiiiPfSD_PS3_PT2_iSC_SC_,comdat
.Lfunc_end642:
	.size	_Z39paged_attention_ll4mi_QKV_mfma16_kernelI14__hip_bfloat16S0_LN4vllm18Fp8KVCacheDataTypeE0ES0_Li16ELi128ELi256ELb1ELi9EEvPKT_PKT0_S8_ifPKiSA_SA_iPKfiiiPfSD_PS3_PT2_iSC_SC_, .Lfunc_end642-_Z39paged_attention_ll4mi_QKV_mfma16_kernelI14__hip_bfloat16S0_LN4vllm18Fp8KVCacheDataTypeE0ES0_Li16ELi128ELi256ELb1ELi9EEvPKT_PKT0_S8_ifPKiSA_SA_iPKfiiiPfSD_PS3_PT2_iSC_SC_
                                        ; -- End function
	.set _Z39paged_attention_ll4mi_QKV_mfma16_kernelI14__hip_bfloat16S0_LN4vllm18Fp8KVCacheDataTypeE0ES0_Li16ELi128ELi256ELb1ELi9EEvPKT_PKT0_S8_ifPKiSA_SA_iPKfiiiPfSD_PS3_PT2_iSC_SC_.num_vgpr, max(3, .L__assert_fail.num_vgpr)
	.set _Z39paged_attention_ll4mi_QKV_mfma16_kernelI14__hip_bfloat16S0_LN4vllm18Fp8KVCacheDataTypeE0ES0_Li16ELi128ELi256ELb1ELi9EEvPKT_PKT0_S8_ifPKiSA_SA_iPKfiiiPfSD_PS3_PT2_iSC_SC_.num_agpr, max(0, .L__assert_fail.num_agpr)
	.set _Z39paged_attention_ll4mi_QKV_mfma16_kernelI14__hip_bfloat16S0_LN4vllm18Fp8KVCacheDataTypeE0ES0_Li16ELi128ELi256ELb1ELi9EEvPKT_PKT0_S8_ifPKiSA_SA_iPKfiiiPfSD_PS3_PT2_iSC_SC_.numbered_sgpr, max(33, .L__assert_fail.numbered_sgpr)
	.set _Z39paged_attention_ll4mi_QKV_mfma16_kernelI14__hip_bfloat16S0_LN4vllm18Fp8KVCacheDataTypeE0ES0_Li16ELi128ELi256ELb1ELi9EEvPKT_PKT0_S8_ifPKiSA_SA_iPKfiiiPfSD_PS3_PT2_iSC_SC_.num_named_barrier, max(0, .L__assert_fail.num_named_barrier)
	.set _Z39paged_attention_ll4mi_QKV_mfma16_kernelI14__hip_bfloat16S0_LN4vllm18Fp8KVCacheDataTypeE0ES0_Li16ELi128ELi256ELb1ELi9EEvPKT_PKT0_S8_ifPKiSA_SA_iPKfiiiPfSD_PS3_PT2_iSC_SC_.private_seg_size, 0+max(.L__assert_fail.private_seg_size)
	.set _Z39paged_attention_ll4mi_QKV_mfma16_kernelI14__hip_bfloat16S0_LN4vllm18Fp8KVCacheDataTypeE0ES0_Li16ELi128ELi256ELb1ELi9EEvPKT_PKT0_S8_ifPKiSA_SA_iPKfiiiPfSD_PS3_PT2_iSC_SC_.uses_vcc, or(1, .L__assert_fail.uses_vcc)
	.set _Z39paged_attention_ll4mi_QKV_mfma16_kernelI14__hip_bfloat16S0_LN4vllm18Fp8KVCacheDataTypeE0ES0_Li16ELi128ELi256ELb1ELi9EEvPKT_PKT0_S8_ifPKiSA_SA_iPKfiiiPfSD_PS3_PT2_iSC_SC_.uses_flat_scratch, or(0, .L__assert_fail.uses_flat_scratch)
	.set _Z39paged_attention_ll4mi_QKV_mfma16_kernelI14__hip_bfloat16S0_LN4vllm18Fp8KVCacheDataTypeE0ES0_Li16ELi128ELi256ELb1ELi9EEvPKT_PKT0_S8_ifPKiSA_SA_iPKfiiiPfSD_PS3_PT2_iSC_SC_.has_dyn_sized_stack, or(0, .L__assert_fail.has_dyn_sized_stack)
	.set _Z39paged_attention_ll4mi_QKV_mfma16_kernelI14__hip_bfloat16S0_LN4vllm18Fp8KVCacheDataTypeE0ES0_Li16ELi128ELi256ELb1ELi9EEvPKT_PKT0_S8_ifPKiSA_SA_iPKfiiiPfSD_PS3_PT2_iSC_SC_.has_recursion, or(0, .L__assert_fail.has_recursion)
	.set _Z39paged_attention_ll4mi_QKV_mfma16_kernelI14__hip_bfloat16S0_LN4vllm18Fp8KVCacheDataTypeE0ES0_Li16ELi128ELi256ELb1ELi9EEvPKT_PKT0_S8_ifPKiSA_SA_iPKfiiiPfSD_PS3_PT2_iSC_SC_.has_indirect_call, or(0, .L__assert_fail.has_indirect_call)
	.section	.AMDGPU.csdata,"",@progbits
; Kernel info:
; codeLenInByte = 68
; TotalNumSgprs: 36
; NumVgprs: 51
; ScratchSize: 64
; MemoryBound: 0
; FloatMode: 240
; IeeeMode: 1
; LDSByteSize: 0 bytes/workgroup (compile time only)
; SGPRBlocks: 0
; VGPRBlocks: 3
; NumSGPRsForWavesPerEU: 36
; NumVGPRsForWavesPerEU: 51
; NamedBarCnt: 0
; Occupancy: 16
; WaveLimiterHint : 1
; COMPUTE_PGM_RSRC2:SCRATCH_EN: 1
; COMPUTE_PGM_RSRC2:USER_SGPR: 2
; COMPUTE_PGM_RSRC2:TRAP_HANDLER: 0
; COMPUTE_PGM_RSRC2:TGID_X_EN: 1
; COMPUTE_PGM_RSRC2:TGID_Y_EN: 0
; COMPUTE_PGM_RSRC2:TGID_Z_EN: 0
; COMPUTE_PGM_RSRC2:TIDIG_COMP_CNT: 0
	.section	.text._Z39paged_attention_ll4mi_QKV_mfma16_kernelI14__hip_bfloat16S0_LN4vllm18Fp8KVCacheDataTypeE0ES0_Li16ELi128ELi256ELb1ELi10EEvPKT_PKT0_S8_ifPKiSA_SA_iPKfiiiPfSD_PS3_PT2_iSC_SC_,"axG",@progbits,_Z39paged_attention_ll4mi_QKV_mfma16_kernelI14__hip_bfloat16S0_LN4vllm18Fp8KVCacheDataTypeE0ES0_Li16ELi128ELi256ELb1ELi10EEvPKT_PKT0_S8_ifPKiSA_SA_iPKfiiiPfSD_PS3_PT2_iSC_SC_,comdat
	.protected	_Z39paged_attention_ll4mi_QKV_mfma16_kernelI14__hip_bfloat16S0_LN4vllm18Fp8KVCacheDataTypeE0ES0_Li16ELi128ELi256ELb1ELi10EEvPKT_PKT0_S8_ifPKiSA_SA_iPKfiiiPfSD_PS3_PT2_iSC_SC_ ; -- Begin function _Z39paged_attention_ll4mi_QKV_mfma16_kernelI14__hip_bfloat16S0_LN4vllm18Fp8KVCacheDataTypeE0ES0_Li16ELi128ELi256ELb1ELi10EEvPKT_PKT0_S8_ifPKiSA_SA_iPKfiiiPfSD_PS3_PT2_iSC_SC_
	.globl	_Z39paged_attention_ll4mi_QKV_mfma16_kernelI14__hip_bfloat16S0_LN4vllm18Fp8KVCacheDataTypeE0ES0_Li16ELi128ELi256ELb1ELi10EEvPKT_PKT0_S8_ifPKiSA_SA_iPKfiiiPfSD_PS3_PT2_iSC_SC_
	.p2align	8
	.type	_Z39paged_attention_ll4mi_QKV_mfma16_kernelI14__hip_bfloat16S0_LN4vllm18Fp8KVCacheDataTypeE0ES0_Li16ELi128ELi256ELb1ELi10EEvPKT_PKT0_S8_ifPKiSA_SA_iPKfiiiPfSD_PS3_PT2_iSC_SC_,@function
_Z39paged_attention_ll4mi_QKV_mfma16_kernelI14__hip_bfloat16S0_LN4vllm18Fp8KVCacheDataTypeE0ES0_Li16ELi128ELi256ELb1ELi10EEvPKT_PKT0_S8_ifPKiSA_SA_iPKfiiiPfSD_PS3_PT2_iSC_SC_: ; @_Z39paged_attention_ll4mi_QKV_mfma16_kernelI14__hip_bfloat16S0_LN4vllm18Fp8KVCacheDataTypeE0ES0_Li16ELi128ELi256ELb1ELi10EEvPKT_PKT0_S8_ifPKiSA_SA_iPKfiiiPfSD_PS3_PT2_iSC_SC_
; %bb.0:
	s_get_pc_i64 s[2:3]
	s_add_nc_u64 s[2:3], s[2:3], __PRETTY_FUNCTION__._Z39paged_attention_ll4mi_QKV_mfma16_kernelI14__hip_bfloat16S0_LN4vllm18Fp8KVCacheDataTypeE0ES0_Li16ELi128ELi256ELb1ELi10EEvPKT_PKT0_S8_ifPKiSA_SA_iPKfiiiPfSD_PS3_PT2_iSC_SC_@rel64+4
	s_delay_alu instid0(SALU_CYCLE_1)
	v_dual_mov_b32 v0, 0xbb3 :: v_dual_mov_b32 v1, s2
	v_mov_b32_e32 v2, s3
	s_add_nc_u64 s[8:9], s[0:1], 0x90
	s_get_pc_i64 s[0:1]
	s_add_nc_u64 s[0:1], s[0:1], __assert_fail@rel64+4
	s_mov_b32 s32, 0
	s_swap_pc_i64 s[30:31], s[0:1]
	.section	.rodata,"a",@progbits
	.p2align	6, 0x0
	.amdhsa_kernel _Z39paged_attention_ll4mi_QKV_mfma16_kernelI14__hip_bfloat16S0_LN4vllm18Fp8KVCacheDataTypeE0ES0_Li16ELi128ELi256ELb1ELi10EEvPKT_PKT0_S8_ifPKiSA_SA_iPKfiiiPfSD_PS3_PT2_iSC_SC_
		.amdhsa_group_segment_fixed_size 0
		.amdhsa_private_segment_fixed_size 64
		.amdhsa_kernarg_size 400
		.amdhsa_user_sgpr_count 2
		.amdhsa_user_sgpr_dispatch_ptr 0
		.amdhsa_user_sgpr_queue_ptr 0
		.amdhsa_user_sgpr_kernarg_segment_ptr 1
		.amdhsa_user_sgpr_dispatch_id 0
		.amdhsa_user_sgpr_kernarg_preload_length 0
		.amdhsa_user_sgpr_kernarg_preload_offset 0
		.amdhsa_user_sgpr_private_segment_size 0
		.amdhsa_wavefront_size32 1
		.amdhsa_uses_dynamic_stack 0
		.amdhsa_enable_private_segment 1
		.amdhsa_system_sgpr_workgroup_id_x 1
		.amdhsa_system_sgpr_workgroup_id_y 0
		.amdhsa_system_sgpr_workgroup_id_z 0
		.amdhsa_system_sgpr_workgroup_info 0
		.amdhsa_system_vgpr_workitem_id 0
		.amdhsa_next_free_vgpr 51
		.amdhsa_next_free_sgpr 34
		.amdhsa_named_barrier_count 0
		.amdhsa_reserve_vcc 1
		.amdhsa_float_round_mode_32 0
		.amdhsa_float_round_mode_16_64 0
		.amdhsa_float_denorm_mode_32 3
		.amdhsa_float_denorm_mode_16_64 3
		.amdhsa_fp16_overflow 0
		.amdhsa_memory_ordered 1
		.amdhsa_forward_progress 1
		.amdhsa_inst_pref_size 1
		.amdhsa_round_robin_scheduling 0
		.amdhsa_exception_fp_ieee_invalid_op 0
		.amdhsa_exception_fp_denorm_src 0
		.amdhsa_exception_fp_ieee_div_zero 0
		.amdhsa_exception_fp_ieee_overflow 0
		.amdhsa_exception_fp_ieee_underflow 0
		.amdhsa_exception_fp_ieee_inexact 0
		.amdhsa_exception_int_div_zero 0
	.end_amdhsa_kernel
	.section	.text._Z39paged_attention_ll4mi_QKV_mfma16_kernelI14__hip_bfloat16S0_LN4vllm18Fp8KVCacheDataTypeE0ES0_Li16ELi128ELi256ELb1ELi10EEvPKT_PKT0_S8_ifPKiSA_SA_iPKfiiiPfSD_PS3_PT2_iSC_SC_,"axG",@progbits,_Z39paged_attention_ll4mi_QKV_mfma16_kernelI14__hip_bfloat16S0_LN4vllm18Fp8KVCacheDataTypeE0ES0_Li16ELi128ELi256ELb1ELi10EEvPKT_PKT0_S8_ifPKiSA_SA_iPKfiiiPfSD_PS3_PT2_iSC_SC_,comdat
.Lfunc_end643:
	.size	_Z39paged_attention_ll4mi_QKV_mfma16_kernelI14__hip_bfloat16S0_LN4vllm18Fp8KVCacheDataTypeE0ES0_Li16ELi128ELi256ELb1ELi10EEvPKT_PKT0_S8_ifPKiSA_SA_iPKfiiiPfSD_PS3_PT2_iSC_SC_, .Lfunc_end643-_Z39paged_attention_ll4mi_QKV_mfma16_kernelI14__hip_bfloat16S0_LN4vllm18Fp8KVCacheDataTypeE0ES0_Li16ELi128ELi256ELb1ELi10EEvPKT_PKT0_S8_ifPKiSA_SA_iPKfiiiPfSD_PS3_PT2_iSC_SC_
                                        ; -- End function
	.set _Z39paged_attention_ll4mi_QKV_mfma16_kernelI14__hip_bfloat16S0_LN4vllm18Fp8KVCacheDataTypeE0ES0_Li16ELi128ELi256ELb1ELi10EEvPKT_PKT0_S8_ifPKiSA_SA_iPKfiiiPfSD_PS3_PT2_iSC_SC_.num_vgpr, max(3, .L__assert_fail.num_vgpr)
	.set _Z39paged_attention_ll4mi_QKV_mfma16_kernelI14__hip_bfloat16S0_LN4vllm18Fp8KVCacheDataTypeE0ES0_Li16ELi128ELi256ELb1ELi10EEvPKT_PKT0_S8_ifPKiSA_SA_iPKfiiiPfSD_PS3_PT2_iSC_SC_.num_agpr, max(0, .L__assert_fail.num_agpr)
	.set _Z39paged_attention_ll4mi_QKV_mfma16_kernelI14__hip_bfloat16S0_LN4vllm18Fp8KVCacheDataTypeE0ES0_Li16ELi128ELi256ELb1ELi10EEvPKT_PKT0_S8_ifPKiSA_SA_iPKfiiiPfSD_PS3_PT2_iSC_SC_.numbered_sgpr, max(33, .L__assert_fail.numbered_sgpr)
	.set _Z39paged_attention_ll4mi_QKV_mfma16_kernelI14__hip_bfloat16S0_LN4vllm18Fp8KVCacheDataTypeE0ES0_Li16ELi128ELi256ELb1ELi10EEvPKT_PKT0_S8_ifPKiSA_SA_iPKfiiiPfSD_PS3_PT2_iSC_SC_.num_named_barrier, max(0, .L__assert_fail.num_named_barrier)
	.set _Z39paged_attention_ll4mi_QKV_mfma16_kernelI14__hip_bfloat16S0_LN4vllm18Fp8KVCacheDataTypeE0ES0_Li16ELi128ELi256ELb1ELi10EEvPKT_PKT0_S8_ifPKiSA_SA_iPKfiiiPfSD_PS3_PT2_iSC_SC_.private_seg_size, 0+max(.L__assert_fail.private_seg_size)
	.set _Z39paged_attention_ll4mi_QKV_mfma16_kernelI14__hip_bfloat16S0_LN4vllm18Fp8KVCacheDataTypeE0ES0_Li16ELi128ELi256ELb1ELi10EEvPKT_PKT0_S8_ifPKiSA_SA_iPKfiiiPfSD_PS3_PT2_iSC_SC_.uses_vcc, or(1, .L__assert_fail.uses_vcc)
	.set _Z39paged_attention_ll4mi_QKV_mfma16_kernelI14__hip_bfloat16S0_LN4vllm18Fp8KVCacheDataTypeE0ES0_Li16ELi128ELi256ELb1ELi10EEvPKT_PKT0_S8_ifPKiSA_SA_iPKfiiiPfSD_PS3_PT2_iSC_SC_.uses_flat_scratch, or(0, .L__assert_fail.uses_flat_scratch)
	.set _Z39paged_attention_ll4mi_QKV_mfma16_kernelI14__hip_bfloat16S0_LN4vllm18Fp8KVCacheDataTypeE0ES0_Li16ELi128ELi256ELb1ELi10EEvPKT_PKT0_S8_ifPKiSA_SA_iPKfiiiPfSD_PS3_PT2_iSC_SC_.has_dyn_sized_stack, or(0, .L__assert_fail.has_dyn_sized_stack)
	.set _Z39paged_attention_ll4mi_QKV_mfma16_kernelI14__hip_bfloat16S0_LN4vllm18Fp8KVCacheDataTypeE0ES0_Li16ELi128ELi256ELb1ELi10EEvPKT_PKT0_S8_ifPKiSA_SA_iPKfiiiPfSD_PS3_PT2_iSC_SC_.has_recursion, or(0, .L__assert_fail.has_recursion)
	.set _Z39paged_attention_ll4mi_QKV_mfma16_kernelI14__hip_bfloat16S0_LN4vllm18Fp8KVCacheDataTypeE0ES0_Li16ELi128ELi256ELb1ELi10EEvPKT_PKT0_S8_ifPKiSA_SA_iPKfiiiPfSD_PS3_PT2_iSC_SC_.has_indirect_call, or(0, .L__assert_fail.has_indirect_call)
	.section	.AMDGPU.csdata,"",@progbits
; Kernel info:
; codeLenInByte = 68
; TotalNumSgprs: 36
; NumVgprs: 51
; ScratchSize: 64
; MemoryBound: 0
; FloatMode: 240
; IeeeMode: 1
; LDSByteSize: 0 bytes/workgroup (compile time only)
; SGPRBlocks: 0
; VGPRBlocks: 3
; NumSGPRsForWavesPerEU: 36
; NumVGPRsForWavesPerEU: 51
; NamedBarCnt: 0
; Occupancy: 16
; WaveLimiterHint : 1
; COMPUTE_PGM_RSRC2:SCRATCH_EN: 1
; COMPUTE_PGM_RSRC2:USER_SGPR: 2
; COMPUTE_PGM_RSRC2:TRAP_HANDLER: 0
; COMPUTE_PGM_RSRC2:TGID_X_EN: 1
; COMPUTE_PGM_RSRC2:TGID_Y_EN: 0
; COMPUTE_PGM_RSRC2:TGID_Z_EN: 0
; COMPUTE_PGM_RSRC2:TIDIG_COMP_CNT: 0
	.section	.text._Z39paged_attention_ll4mi_QKV_mfma16_kernelI14__hip_bfloat16S0_LN4vllm18Fp8KVCacheDataTypeE0ES0_Li16ELi128ELi256ELb1ELi11EEvPKT_PKT0_S8_ifPKiSA_SA_iPKfiiiPfSD_PS3_PT2_iSC_SC_,"axG",@progbits,_Z39paged_attention_ll4mi_QKV_mfma16_kernelI14__hip_bfloat16S0_LN4vllm18Fp8KVCacheDataTypeE0ES0_Li16ELi128ELi256ELb1ELi11EEvPKT_PKT0_S8_ifPKiSA_SA_iPKfiiiPfSD_PS3_PT2_iSC_SC_,comdat
	.protected	_Z39paged_attention_ll4mi_QKV_mfma16_kernelI14__hip_bfloat16S0_LN4vllm18Fp8KVCacheDataTypeE0ES0_Li16ELi128ELi256ELb1ELi11EEvPKT_PKT0_S8_ifPKiSA_SA_iPKfiiiPfSD_PS3_PT2_iSC_SC_ ; -- Begin function _Z39paged_attention_ll4mi_QKV_mfma16_kernelI14__hip_bfloat16S0_LN4vllm18Fp8KVCacheDataTypeE0ES0_Li16ELi128ELi256ELb1ELi11EEvPKT_PKT0_S8_ifPKiSA_SA_iPKfiiiPfSD_PS3_PT2_iSC_SC_
	.globl	_Z39paged_attention_ll4mi_QKV_mfma16_kernelI14__hip_bfloat16S0_LN4vllm18Fp8KVCacheDataTypeE0ES0_Li16ELi128ELi256ELb1ELi11EEvPKT_PKT0_S8_ifPKiSA_SA_iPKfiiiPfSD_PS3_PT2_iSC_SC_
	.p2align	8
	.type	_Z39paged_attention_ll4mi_QKV_mfma16_kernelI14__hip_bfloat16S0_LN4vllm18Fp8KVCacheDataTypeE0ES0_Li16ELi128ELi256ELb1ELi11EEvPKT_PKT0_S8_ifPKiSA_SA_iPKfiiiPfSD_PS3_PT2_iSC_SC_,@function
_Z39paged_attention_ll4mi_QKV_mfma16_kernelI14__hip_bfloat16S0_LN4vllm18Fp8KVCacheDataTypeE0ES0_Li16ELi128ELi256ELb1ELi11EEvPKT_PKT0_S8_ifPKiSA_SA_iPKfiiiPfSD_PS3_PT2_iSC_SC_: ; @_Z39paged_attention_ll4mi_QKV_mfma16_kernelI14__hip_bfloat16S0_LN4vllm18Fp8KVCacheDataTypeE0ES0_Li16ELi128ELi256ELb1ELi11EEvPKT_PKT0_S8_ifPKiSA_SA_iPKfiiiPfSD_PS3_PT2_iSC_SC_
; %bb.0:
	s_get_pc_i64 s[2:3]
	s_add_nc_u64 s[2:3], s[2:3], __PRETTY_FUNCTION__._Z39paged_attention_ll4mi_QKV_mfma16_kernelI14__hip_bfloat16S0_LN4vllm18Fp8KVCacheDataTypeE0ES0_Li16ELi128ELi256ELb1ELi11EEvPKT_PKT0_S8_ifPKiSA_SA_iPKfiiiPfSD_PS3_PT2_iSC_SC_@rel64+4
	s_delay_alu instid0(SALU_CYCLE_1)
	v_dual_mov_b32 v0, 0xbb3 :: v_dual_mov_b32 v1, s2
	v_mov_b32_e32 v2, s3
	s_add_nc_u64 s[8:9], s[0:1], 0x90
	s_get_pc_i64 s[0:1]
	s_add_nc_u64 s[0:1], s[0:1], __assert_fail@rel64+4
	s_mov_b32 s32, 0
	s_swap_pc_i64 s[30:31], s[0:1]
	.section	.rodata,"a",@progbits
	.p2align	6, 0x0
	.amdhsa_kernel _Z39paged_attention_ll4mi_QKV_mfma16_kernelI14__hip_bfloat16S0_LN4vllm18Fp8KVCacheDataTypeE0ES0_Li16ELi128ELi256ELb1ELi11EEvPKT_PKT0_S8_ifPKiSA_SA_iPKfiiiPfSD_PS3_PT2_iSC_SC_
		.amdhsa_group_segment_fixed_size 0
		.amdhsa_private_segment_fixed_size 64
		.amdhsa_kernarg_size 400
		.amdhsa_user_sgpr_count 2
		.amdhsa_user_sgpr_dispatch_ptr 0
		.amdhsa_user_sgpr_queue_ptr 0
		.amdhsa_user_sgpr_kernarg_segment_ptr 1
		.amdhsa_user_sgpr_dispatch_id 0
		.amdhsa_user_sgpr_kernarg_preload_length 0
		.amdhsa_user_sgpr_kernarg_preload_offset 0
		.amdhsa_user_sgpr_private_segment_size 0
		.amdhsa_wavefront_size32 1
		.amdhsa_uses_dynamic_stack 0
		.amdhsa_enable_private_segment 1
		.amdhsa_system_sgpr_workgroup_id_x 1
		.amdhsa_system_sgpr_workgroup_id_y 0
		.amdhsa_system_sgpr_workgroup_id_z 0
		.amdhsa_system_sgpr_workgroup_info 0
		.amdhsa_system_vgpr_workitem_id 0
		.amdhsa_next_free_vgpr 51
		.amdhsa_next_free_sgpr 34
		.amdhsa_named_barrier_count 0
		.amdhsa_reserve_vcc 1
		.amdhsa_float_round_mode_32 0
		.amdhsa_float_round_mode_16_64 0
		.amdhsa_float_denorm_mode_32 3
		.amdhsa_float_denorm_mode_16_64 3
		.amdhsa_fp16_overflow 0
		.amdhsa_memory_ordered 1
		.amdhsa_forward_progress 1
		.amdhsa_inst_pref_size 1
		.amdhsa_round_robin_scheduling 0
		.amdhsa_exception_fp_ieee_invalid_op 0
		.amdhsa_exception_fp_denorm_src 0
		.amdhsa_exception_fp_ieee_div_zero 0
		.amdhsa_exception_fp_ieee_overflow 0
		.amdhsa_exception_fp_ieee_underflow 0
		.amdhsa_exception_fp_ieee_inexact 0
		.amdhsa_exception_int_div_zero 0
	.end_amdhsa_kernel
	.section	.text._Z39paged_attention_ll4mi_QKV_mfma16_kernelI14__hip_bfloat16S0_LN4vllm18Fp8KVCacheDataTypeE0ES0_Li16ELi128ELi256ELb1ELi11EEvPKT_PKT0_S8_ifPKiSA_SA_iPKfiiiPfSD_PS3_PT2_iSC_SC_,"axG",@progbits,_Z39paged_attention_ll4mi_QKV_mfma16_kernelI14__hip_bfloat16S0_LN4vllm18Fp8KVCacheDataTypeE0ES0_Li16ELi128ELi256ELb1ELi11EEvPKT_PKT0_S8_ifPKiSA_SA_iPKfiiiPfSD_PS3_PT2_iSC_SC_,comdat
.Lfunc_end644:
	.size	_Z39paged_attention_ll4mi_QKV_mfma16_kernelI14__hip_bfloat16S0_LN4vllm18Fp8KVCacheDataTypeE0ES0_Li16ELi128ELi256ELb1ELi11EEvPKT_PKT0_S8_ifPKiSA_SA_iPKfiiiPfSD_PS3_PT2_iSC_SC_, .Lfunc_end644-_Z39paged_attention_ll4mi_QKV_mfma16_kernelI14__hip_bfloat16S0_LN4vllm18Fp8KVCacheDataTypeE0ES0_Li16ELi128ELi256ELb1ELi11EEvPKT_PKT0_S8_ifPKiSA_SA_iPKfiiiPfSD_PS3_PT2_iSC_SC_
                                        ; -- End function
	.set _Z39paged_attention_ll4mi_QKV_mfma16_kernelI14__hip_bfloat16S0_LN4vllm18Fp8KVCacheDataTypeE0ES0_Li16ELi128ELi256ELb1ELi11EEvPKT_PKT0_S8_ifPKiSA_SA_iPKfiiiPfSD_PS3_PT2_iSC_SC_.num_vgpr, max(3, .L__assert_fail.num_vgpr)
	.set _Z39paged_attention_ll4mi_QKV_mfma16_kernelI14__hip_bfloat16S0_LN4vllm18Fp8KVCacheDataTypeE0ES0_Li16ELi128ELi256ELb1ELi11EEvPKT_PKT0_S8_ifPKiSA_SA_iPKfiiiPfSD_PS3_PT2_iSC_SC_.num_agpr, max(0, .L__assert_fail.num_agpr)
	.set _Z39paged_attention_ll4mi_QKV_mfma16_kernelI14__hip_bfloat16S0_LN4vllm18Fp8KVCacheDataTypeE0ES0_Li16ELi128ELi256ELb1ELi11EEvPKT_PKT0_S8_ifPKiSA_SA_iPKfiiiPfSD_PS3_PT2_iSC_SC_.numbered_sgpr, max(33, .L__assert_fail.numbered_sgpr)
	.set _Z39paged_attention_ll4mi_QKV_mfma16_kernelI14__hip_bfloat16S0_LN4vllm18Fp8KVCacheDataTypeE0ES0_Li16ELi128ELi256ELb1ELi11EEvPKT_PKT0_S8_ifPKiSA_SA_iPKfiiiPfSD_PS3_PT2_iSC_SC_.num_named_barrier, max(0, .L__assert_fail.num_named_barrier)
	.set _Z39paged_attention_ll4mi_QKV_mfma16_kernelI14__hip_bfloat16S0_LN4vllm18Fp8KVCacheDataTypeE0ES0_Li16ELi128ELi256ELb1ELi11EEvPKT_PKT0_S8_ifPKiSA_SA_iPKfiiiPfSD_PS3_PT2_iSC_SC_.private_seg_size, 0+max(.L__assert_fail.private_seg_size)
	.set _Z39paged_attention_ll4mi_QKV_mfma16_kernelI14__hip_bfloat16S0_LN4vllm18Fp8KVCacheDataTypeE0ES0_Li16ELi128ELi256ELb1ELi11EEvPKT_PKT0_S8_ifPKiSA_SA_iPKfiiiPfSD_PS3_PT2_iSC_SC_.uses_vcc, or(1, .L__assert_fail.uses_vcc)
	.set _Z39paged_attention_ll4mi_QKV_mfma16_kernelI14__hip_bfloat16S0_LN4vllm18Fp8KVCacheDataTypeE0ES0_Li16ELi128ELi256ELb1ELi11EEvPKT_PKT0_S8_ifPKiSA_SA_iPKfiiiPfSD_PS3_PT2_iSC_SC_.uses_flat_scratch, or(0, .L__assert_fail.uses_flat_scratch)
	.set _Z39paged_attention_ll4mi_QKV_mfma16_kernelI14__hip_bfloat16S0_LN4vllm18Fp8KVCacheDataTypeE0ES0_Li16ELi128ELi256ELb1ELi11EEvPKT_PKT0_S8_ifPKiSA_SA_iPKfiiiPfSD_PS3_PT2_iSC_SC_.has_dyn_sized_stack, or(0, .L__assert_fail.has_dyn_sized_stack)
	.set _Z39paged_attention_ll4mi_QKV_mfma16_kernelI14__hip_bfloat16S0_LN4vllm18Fp8KVCacheDataTypeE0ES0_Li16ELi128ELi256ELb1ELi11EEvPKT_PKT0_S8_ifPKiSA_SA_iPKfiiiPfSD_PS3_PT2_iSC_SC_.has_recursion, or(0, .L__assert_fail.has_recursion)
	.set _Z39paged_attention_ll4mi_QKV_mfma16_kernelI14__hip_bfloat16S0_LN4vllm18Fp8KVCacheDataTypeE0ES0_Li16ELi128ELi256ELb1ELi11EEvPKT_PKT0_S8_ifPKiSA_SA_iPKfiiiPfSD_PS3_PT2_iSC_SC_.has_indirect_call, or(0, .L__assert_fail.has_indirect_call)
	.section	.AMDGPU.csdata,"",@progbits
; Kernel info:
; codeLenInByte = 68
; TotalNumSgprs: 36
; NumVgprs: 51
; ScratchSize: 64
; MemoryBound: 0
; FloatMode: 240
; IeeeMode: 1
; LDSByteSize: 0 bytes/workgroup (compile time only)
; SGPRBlocks: 0
; VGPRBlocks: 3
; NumSGPRsForWavesPerEU: 36
; NumVGPRsForWavesPerEU: 51
; NamedBarCnt: 0
; Occupancy: 16
; WaveLimiterHint : 1
; COMPUTE_PGM_RSRC2:SCRATCH_EN: 1
; COMPUTE_PGM_RSRC2:USER_SGPR: 2
; COMPUTE_PGM_RSRC2:TRAP_HANDLER: 0
; COMPUTE_PGM_RSRC2:TGID_X_EN: 1
; COMPUTE_PGM_RSRC2:TGID_Y_EN: 0
; COMPUTE_PGM_RSRC2:TGID_Z_EN: 0
; COMPUTE_PGM_RSRC2:TIDIG_COMP_CNT: 0
	.section	.text._Z39paged_attention_ll4mi_QKV_mfma16_kernelI14__hip_bfloat16S0_LN4vllm18Fp8KVCacheDataTypeE0ES0_Li16ELi128ELi256ELb1ELi12EEvPKT_PKT0_S8_ifPKiSA_SA_iPKfiiiPfSD_PS3_PT2_iSC_SC_,"axG",@progbits,_Z39paged_attention_ll4mi_QKV_mfma16_kernelI14__hip_bfloat16S0_LN4vllm18Fp8KVCacheDataTypeE0ES0_Li16ELi128ELi256ELb1ELi12EEvPKT_PKT0_S8_ifPKiSA_SA_iPKfiiiPfSD_PS3_PT2_iSC_SC_,comdat
	.protected	_Z39paged_attention_ll4mi_QKV_mfma16_kernelI14__hip_bfloat16S0_LN4vllm18Fp8KVCacheDataTypeE0ES0_Li16ELi128ELi256ELb1ELi12EEvPKT_PKT0_S8_ifPKiSA_SA_iPKfiiiPfSD_PS3_PT2_iSC_SC_ ; -- Begin function _Z39paged_attention_ll4mi_QKV_mfma16_kernelI14__hip_bfloat16S0_LN4vllm18Fp8KVCacheDataTypeE0ES0_Li16ELi128ELi256ELb1ELi12EEvPKT_PKT0_S8_ifPKiSA_SA_iPKfiiiPfSD_PS3_PT2_iSC_SC_
	.globl	_Z39paged_attention_ll4mi_QKV_mfma16_kernelI14__hip_bfloat16S0_LN4vllm18Fp8KVCacheDataTypeE0ES0_Li16ELi128ELi256ELb1ELi12EEvPKT_PKT0_S8_ifPKiSA_SA_iPKfiiiPfSD_PS3_PT2_iSC_SC_
	.p2align	8
	.type	_Z39paged_attention_ll4mi_QKV_mfma16_kernelI14__hip_bfloat16S0_LN4vllm18Fp8KVCacheDataTypeE0ES0_Li16ELi128ELi256ELb1ELi12EEvPKT_PKT0_S8_ifPKiSA_SA_iPKfiiiPfSD_PS3_PT2_iSC_SC_,@function
_Z39paged_attention_ll4mi_QKV_mfma16_kernelI14__hip_bfloat16S0_LN4vllm18Fp8KVCacheDataTypeE0ES0_Li16ELi128ELi256ELb1ELi12EEvPKT_PKT0_S8_ifPKiSA_SA_iPKfiiiPfSD_PS3_PT2_iSC_SC_: ; @_Z39paged_attention_ll4mi_QKV_mfma16_kernelI14__hip_bfloat16S0_LN4vllm18Fp8KVCacheDataTypeE0ES0_Li16ELi128ELi256ELb1ELi12EEvPKT_PKT0_S8_ifPKiSA_SA_iPKfiiiPfSD_PS3_PT2_iSC_SC_
; %bb.0:
	s_get_pc_i64 s[2:3]
	s_add_nc_u64 s[2:3], s[2:3], __PRETTY_FUNCTION__._Z39paged_attention_ll4mi_QKV_mfma16_kernelI14__hip_bfloat16S0_LN4vllm18Fp8KVCacheDataTypeE0ES0_Li16ELi128ELi256ELb1ELi12EEvPKT_PKT0_S8_ifPKiSA_SA_iPKfiiiPfSD_PS3_PT2_iSC_SC_@rel64+4
	s_delay_alu instid0(SALU_CYCLE_1)
	v_dual_mov_b32 v0, 0xbb3 :: v_dual_mov_b32 v1, s2
	v_mov_b32_e32 v2, s3
	s_add_nc_u64 s[8:9], s[0:1], 0x90
	s_get_pc_i64 s[0:1]
	s_add_nc_u64 s[0:1], s[0:1], __assert_fail@rel64+4
	s_mov_b32 s32, 0
	s_swap_pc_i64 s[30:31], s[0:1]
	.section	.rodata,"a",@progbits
	.p2align	6, 0x0
	.amdhsa_kernel _Z39paged_attention_ll4mi_QKV_mfma16_kernelI14__hip_bfloat16S0_LN4vllm18Fp8KVCacheDataTypeE0ES0_Li16ELi128ELi256ELb1ELi12EEvPKT_PKT0_S8_ifPKiSA_SA_iPKfiiiPfSD_PS3_PT2_iSC_SC_
		.amdhsa_group_segment_fixed_size 0
		.amdhsa_private_segment_fixed_size 64
		.amdhsa_kernarg_size 400
		.amdhsa_user_sgpr_count 2
		.amdhsa_user_sgpr_dispatch_ptr 0
		.amdhsa_user_sgpr_queue_ptr 0
		.amdhsa_user_sgpr_kernarg_segment_ptr 1
		.amdhsa_user_sgpr_dispatch_id 0
		.amdhsa_user_sgpr_kernarg_preload_length 0
		.amdhsa_user_sgpr_kernarg_preload_offset 0
		.amdhsa_user_sgpr_private_segment_size 0
		.amdhsa_wavefront_size32 1
		.amdhsa_uses_dynamic_stack 0
		.amdhsa_enable_private_segment 1
		.amdhsa_system_sgpr_workgroup_id_x 1
		.amdhsa_system_sgpr_workgroup_id_y 0
		.amdhsa_system_sgpr_workgroup_id_z 0
		.amdhsa_system_sgpr_workgroup_info 0
		.amdhsa_system_vgpr_workitem_id 0
		.amdhsa_next_free_vgpr 51
		.amdhsa_next_free_sgpr 34
		.amdhsa_named_barrier_count 0
		.amdhsa_reserve_vcc 1
		.amdhsa_float_round_mode_32 0
		.amdhsa_float_round_mode_16_64 0
		.amdhsa_float_denorm_mode_32 3
		.amdhsa_float_denorm_mode_16_64 3
		.amdhsa_fp16_overflow 0
		.amdhsa_memory_ordered 1
		.amdhsa_forward_progress 1
		.amdhsa_inst_pref_size 1
		.amdhsa_round_robin_scheduling 0
		.amdhsa_exception_fp_ieee_invalid_op 0
		.amdhsa_exception_fp_denorm_src 0
		.amdhsa_exception_fp_ieee_div_zero 0
		.amdhsa_exception_fp_ieee_overflow 0
		.amdhsa_exception_fp_ieee_underflow 0
		.amdhsa_exception_fp_ieee_inexact 0
		.amdhsa_exception_int_div_zero 0
	.end_amdhsa_kernel
	.section	.text._Z39paged_attention_ll4mi_QKV_mfma16_kernelI14__hip_bfloat16S0_LN4vllm18Fp8KVCacheDataTypeE0ES0_Li16ELi128ELi256ELb1ELi12EEvPKT_PKT0_S8_ifPKiSA_SA_iPKfiiiPfSD_PS3_PT2_iSC_SC_,"axG",@progbits,_Z39paged_attention_ll4mi_QKV_mfma16_kernelI14__hip_bfloat16S0_LN4vllm18Fp8KVCacheDataTypeE0ES0_Li16ELi128ELi256ELb1ELi12EEvPKT_PKT0_S8_ifPKiSA_SA_iPKfiiiPfSD_PS3_PT2_iSC_SC_,comdat
.Lfunc_end645:
	.size	_Z39paged_attention_ll4mi_QKV_mfma16_kernelI14__hip_bfloat16S0_LN4vllm18Fp8KVCacheDataTypeE0ES0_Li16ELi128ELi256ELb1ELi12EEvPKT_PKT0_S8_ifPKiSA_SA_iPKfiiiPfSD_PS3_PT2_iSC_SC_, .Lfunc_end645-_Z39paged_attention_ll4mi_QKV_mfma16_kernelI14__hip_bfloat16S0_LN4vllm18Fp8KVCacheDataTypeE0ES0_Li16ELi128ELi256ELb1ELi12EEvPKT_PKT0_S8_ifPKiSA_SA_iPKfiiiPfSD_PS3_PT2_iSC_SC_
                                        ; -- End function
	.set _Z39paged_attention_ll4mi_QKV_mfma16_kernelI14__hip_bfloat16S0_LN4vllm18Fp8KVCacheDataTypeE0ES0_Li16ELi128ELi256ELb1ELi12EEvPKT_PKT0_S8_ifPKiSA_SA_iPKfiiiPfSD_PS3_PT2_iSC_SC_.num_vgpr, max(3, .L__assert_fail.num_vgpr)
	.set _Z39paged_attention_ll4mi_QKV_mfma16_kernelI14__hip_bfloat16S0_LN4vllm18Fp8KVCacheDataTypeE0ES0_Li16ELi128ELi256ELb1ELi12EEvPKT_PKT0_S8_ifPKiSA_SA_iPKfiiiPfSD_PS3_PT2_iSC_SC_.num_agpr, max(0, .L__assert_fail.num_agpr)
	.set _Z39paged_attention_ll4mi_QKV_mfma16_kernelI14__hip_bfloat16S0_LN4vllm18Fp8KVCacheDataTypeE0ES0_Li16ELi128ELi256ELb1ELi12EEvPKT_PKT0_S8_ifPKiSA_SA_iPKfiiiPfSD_PS3_PT2_iSC_SC_.numbered_sgpr, max(33, .L__assert_fail.numbered_sgpr)
	.set _Z39paged_attention_ll4mi_QKV_mfma16_kernelI14__hip_bfloat16S0_LN4vllm18Fp8KVCacheDataTypeE0ES0_Li16ELi128ELi256ELb1ELi12EEvPKT_PKT0_S8_ifPKiSA_SA_iPKfiiiPfSD_PS3_PT2_iSC_SC_.num_named_barrier, max(0, .L__assert_fail.num_named_barrier)
	.set _Z39paged_attention_ll4mi_QKV_mfma16_kernelI14__hip_bfloat16S0_LN4vllm18Fp8KVCacheDataTypeE0ES0_Li16ELi128ELi256ELb1ELi12EEvPKT_PKT0_S8_ifPKiSA_SA_iPKfiiiPfSD_PS3_PT2_iSC_SC_.private_seg_size, 0+max(.L__assert_fail.private_seg_size)
	.set _Z39paged_attention_ll4mi_QKV_mfma16_kernelI14__hip_bfloat16S0_LN4vllm18Fp8KVCacheDataTypeE0ES0_Li16ELi128ELi256ELb1ELi12EEvPKT_PKT0_S8_ifPKiSA_SA_iPKfiiiPfSD_PS3_PT2_iSC_SC_.uses_vcc, or(1, .L__assert_fail.uses_vcc)
	.set _Z39paged_attention_ll4mi_QKV_mfma16_kernelI14__hip_bfloat16S0_LN4vllm18Fp8KVCacheDataTypeE0ES0_Li16ELi128ELi256ELb1ELi12EEvPKT_PKT0_S8_ifPKiSA_SA_iPKfiiiPfSD_PS3_PT2_iSC_SC_.uses_flat_scratch, or(0, .L__assert_fail.uses_flat_scratch)
	.set _Z39paged_attention_ll4mi_QKV_mfma16_kernelI14__hip_bfloat16S0_LN4vllm18Fp8KVCacheDataTypeE0ES0_Li16ELi128ELi256ELb1ELi12EEvPKT_PKT0_S8_ifPKiSA_SA_iPKfiiiPfSD_PS3_PT2_iSC_SC_.has_dyn_sized_stack, or(0, .L__assert_fail.has_dyn_sized_stack)
	.set _Z39paged_attention_ll4mi_QKV_mfma16_kernelI14__hip_bfloat16S0_LN4vllm18Fp8KVCacheDataTypeE0ES0_Li16ELi128ELi256ELb1ELi12EEvPKT_PKT0_S8_ifPKiSA_SA_iPKfiiiPfSD_PS3_PT2_iSC_SC_.has_recursion, or(0, .L__assert_fail.has_recursion)
	.set _Z39paged_attention_ll4mi_QKV_mfma16_kernelI14__hip_bfloat16S0_LN4vllm18Fp8KVCacheDataTypeE0ES0_Li16ELi128ELi256ELb1ELi12EEvPKT_PKT0_S8_ifPKiSA_SA_iPKfiiiPfSD_PS3_PT2_iSC_SC_.has_indirect_call, or(0, .L__assert_fail.has_indirect_call)
	.section	.AMDGPU.csdata,"",@progbits
; Kernel info:
; codeLenInByte = 68
; TotalNumSgprs: 36
; NumVgprs: 51
; ScratchSize: 64
; MemoryBound: 0
; FloatMode: 240
; IeeeMode: 1
; LDSByteSize: 0 bytes/workgroup (compile time only)
; SGPRBlocks: 0
; VGPRBlocks: 3
; NumSGPRsForWavesPerEU: 36
; NumVGPRsForWavesPerEU: 51
; NamedBarCnt: 0
; Occupancy: 16
; WaveLimiterHint : 1
; COMPUTE_PGM_RSRC2:SCRATCH_EN: 1
; COMPUTE_PGM_RSRC2:USER_SGPR: 2
; COMPUTE_PGM_RSRC2:TRAP_HANDLER: 0
; COMPUTE_PGM_RSRC2:TGID_X_EN: 1
; COMPUTE_PGM_RSRC2:TGID_Y_EN: 0
; COMPUTE_PGM_RSRC2:TGID_Z_EN: 0
; COMPUTE_PGM_RSRC2:TIDIG_COMP_CNT: 0
	.section	.text._Z39paged_attention_ll4mi_QKV_mfma16_kernelI14__hip_bfloat16S0_LN4vllm18Fp8KVCacheDataTypeE0ES0_Li16ELi128ELi256ELb1ELi13EEvPKT_PKT0_S8_ifPKiSA_SA_iPKfiiiPfSD_PS3_PT2_iSC_SC_,"axG",@progbits,_Z39paged_attention_ll4mi_QKV_mfma16_kernelI14__hip_bfloat16S0_LN4vllm18Fp8KVCacheDataTypeE0ES0_Li16ELi128ELi256ELb1ELi13EEvPKT_PKT0_S8_ifPKiSA_SA_iPKfiiiPfSD_PS3_PT2_iSC_SC_,comdat
	.protected	_Z39paged_attention_ll4mi_QKV_mfma16_kernelI14__hip_bfloat16S0_LN4vllm18Fp8KVCacheDataTypeE0ES0_Li16ELi128ELi256ELb1ELi13EEvPKT_PKT0_S8_ifPKiSA_SA_iPKfiiiPfSD_PS3_PT2_iSC_SC_ ; -- Begin function _Z39paged_attention_ll4mi_QKV_mfma16_kernelI14__hip_bfloat16S0_LN4vllm18Fp8KVCacheDataTypeE0ES0_Li16ELi128ELi256ELb1ELi13EEvPKT_PKT0_S8_ifPKiSA_SA_iPKfiiiPfSD_PS3_PT2_iSC_SC_
	.globl	_Z39paged_attention_ll4mi_QKV_mfma16_kernelI14__hip_bfloat16S0_LN4vllm18Fp8KVCacheDataTypeE0ES0_Li16ELi128ELi256ELb1ELi13EEvPKT_PKT0_S8_ifPKiSA_SA_iPKfiiiPfSD_PS3_PT2_iSC_SC_
	.p2align	8
	.type	_Z39paged_attention_ll4mi_QKV_mfma16_kernelI14__hip_bfloat16S0_LN4vllm18Fp8KVCacheDataTypeE0ES0_Li16ELi128ELi256ELb1ELi13EEvPKT_PKT0_S8_ifPKiSA_SA_iPKfiiiPfSD_PS3_PT2_iSC_SC_,@function
_Z39paged_attention_ll4mi_QKV_mfma16_kernelI14__hip_bfloat16S0_LN4vllm18Fp8KVCacheDataTypeE0ES0_Li16ELi128ELi256ELb1ELi13EEvPKT_PKT0_S8_ifPKiSA_SA_iPKfiiiPfSD_PS3_PT2_iSC_SC_: ; @_Z39paged_attention_ll4mi_QKV_mfma16_kernelI14__hip_bfloat16S0_LN4vllm18Fp8KVCacheDataTypeE0ES0_Li16ELi128ELi256ELb1ELi13EEvPKT_PKT0_S8_ifPKiSA_SA_iPKfiiiPfSD_PS3_PT2_iSC_SC_
; %bb.0:
	s_get_pc_i64 s[2:3]
	s_add_nc_u64 s[2:3], s[2:3], __PRETTY_FUNCTION__._Z39paged_attention_ll4mi_QKV_mfma16_kernelI14__hip_bfloat16S0_LN4vllm18Fp8KVCacheDataTypeE0ES0_Li16ELi128ELi256ELb1ELi13EEvPKT_PKT0_S8_ifPKiSA_SA_iPKfiiiPfSD_PS3_PT2_iSC_SC_@rel64+4
	s_delay_alu instid0(SALU_CYCLE_1)
	v_dual_mov_b32 v0, 0xbb3 :: v_dual_mov_b32 v1, s2
	v_mov_b32_e32 v2, s3
	s_add_nc_u64 s[8:9], s[0:1], 0x90
	s_get_pc_i64 s[0:1]
	s_add_nc_u64 s[0:1], s[0:1], __assert_fail@rel64+4
	s_mov_b32 s32, 0
	s_swap_pc_i64 s[30:31], s[0:1]
	.section	.rodata,"a",@progbits
	.p2align	6, 0x0
	.amdhsa_kernel _Z39paged_attention_ll4mi_QKV_mfma16_kernelI14__hip_bfloat16S0_LN4vllm18Fp8KVCacheDataTypeE0ES0_Li16ELi128ELi256ELb1ELi13EEvPKT_PKT0_S8_ifPKiSA_SA_iPKfiiiPfSD_PS3_PT2_iSC_SC_
		.amdhsa_group_segment_fixed_size 0
		.amdhsa_private_segment_fixed_size 64
		.amdhsa_kernarg_size 400
		.amdhsa_user_sgpr_count 2
		.amdhsa_user_sgpr_dispatch_ptr 0
		.amdhsa_user_sgpr_queue_ptr 0
		.amdhsa_user_sgpr_kernarg_segment_ptr 1
		.amdhsa_user_sgpr_dispatch_id 0
		.amdhsa_user_sgpr_kernarg_preload_length 0
		.amdhsa_user_sgpr_kernarg_preload_offset 0
		.amdhsa_user_sgpr_private_segment_size 0
		.amdhsa_wavefront_size32 1
		.amdhsa_uses_dynamic_stack 0
		.amdhsa_enable_private_segment 1
		.amdhsa_system_sgpr_workgroup_id_x 1
		.amdhsa_system_sgpr_workgroup_id_y 0
		.amdhsa_system_sgpr_workgroup_id_z 0
		.amdhsa_system_sgpr_workgroup_info 0
		.amdhsa_system_vgpr_workitem_id 0
		.amdhsa_next_free_vgpr 51
		.amdhsa_next_free_sgpr 34
		.amdhsa_named_barrier_count 0
		.amdhsa_reserve_vcc 1
		.amdhsa_float_round_mode_32 0
		.amdhsa_float_round_mode_16_64 0
		.amdhsa_float_denorm_mode_32 3
		.amdhsa_float_denorm_mode_16_64 3
		.amdhsa_fp16_overflow 0
		.amdhsa_memory_ordered 1
		.amdhsa_forward_progress 1
		.amdhsa_inst_pref_size 1
		.amdhsa_round_robin_scheduling 0
		.amdhsa_exception_fp_ieee_invalid_op 0
		.amdhsa_exception_fp_denorm_src 0
		.amdhsa_exception_fp_ieee_div_zero 0
		.amdhsa_exception_fp_ieee_overflow 0
		.amdhsa_exception_fp_ieee_underflow 0
		.amdhsa_exception_fp_ieee_inexact 0
		.amdhsa_exception_int_div_zero 0
	.end_amdhsa_kernel
	.section	.text._Z39paged_attention_ll4mi_QKV_mfma16_kernelI14__hip_bfloat16S0_LN4vllm18Fp8KVCacheDataTypeE0ES0_Li16ELi128ELi256ELb1ELi13EEvPKT_PKT0_S8_ifPKiSA_SA_iPKfiiiPfSD_PS3_PT2_iSC_SC_,"axG",@progbits,_Z39paged_attention_ll4mi_QKV_mfma16_kernelI14__hip_bfloat16S0_LN4vllm18Fp8KVCacheDataTypeE0ES0_Li16ELi128ELi256ELb1ELi13EEvPKT_PKT0_S8_ifPKiSA_SA_iPKfiiiPfSD_PS3_PT2_iSC_SC_,comdat
.Lfunc_end646:
	.size	_Z39paged_attention_ll4mi_QKV_mfma16_kernelI14__hip_bfloat16S0_LN4vllm18Fp8KVCacheDataTypeE0ES0_Li16ELi128ELi256ELb1ELi13EEvPKT_PKT0_S8_ifPKiSA_SA_iPKfiiiPfSD_PS3_PT2_iSC_SC_, .Lfunc_end646-_Z39paged_attention_ll4mi_QKV_mfma16_kernelI14__hip_bfloat16S0_LN4vllm18Fp8KVCacheDataTypeE0ES0_Li16ELi128ELi256ELb1ELi13EEvPKT_PKT0_S8_ifPKiSA_SA_iPKfiiiPfSD_PS3_PT2_iSC_SC_
                                        ; -- End function
	.set _Z39paged_attention_ll4mi_QKV_mfma16_kernelI14__hip_bfloat16S0_LN4vllm18Fp8KVCacheDataTypeE0ES0_Li16ELi128ELi256ELb1ELi13EEvPKT_PKT0_S8_ifPKiSA_SA_iPKfiiiPfSD_PS3_PT2_iSC_SC_.num_vgpr, max(3, .L__assert_fail.num_vgpr)
	.set _Z39paged_attention_ll4mi_QKV_mfma16_kernelI14__hip_bfloat16S0_LN4vllm18Fp8KVCacheDataTypeE0ES0_Li16ELi128ELi256ELb1ELi13EEvPKT_PKT0_S8_ifPKiSA_SA_iPKfiiiPfSD_PS3_PT2_iSC_SC_.num_agpr, max(0, .L__assert_fail.num_agpr)
	.set _Z39paged_attention_ll4mi_QKV_mfma16_kernelI14__hip_bfloat16S0_LN4vllm18Fp8KVCacheDataTypeE0ES0_Li16ELi128ELi256ELb1ELi13EEvPKT_PKT0_S8_ifPKiSA_SA_iPKfiiiPfSD_PS3_PT2_iSC_SC_.numbered_sgpr, max(33, .L__assert_fail.numbered_sgpr)
	.set _Z39paged_attention_ll4mi_QKV_mfma16_kernelI14__hip_bfloat16S0_LN4vllm18Fp8KVCacheDataTypeE0ES0_Li16ELi128ELi256ELb1ELi13EEvPKT_PKT0_S8_ifPKiSA_SA_iPKfiiiPfSD_PS3_PT2_iSC_SC_.num_named_barrier, max(0, .L__assert_fail.num_named_barrier)
	.set _Z39paged_attention_ll4mi_QKV_mfma16_kernelI14__hip_bfloat16S0_LN4vllm18Fp8KVCacheDataTypeE0ES0_Li16ELi128ELi256ELb1ELi13EEvPKT_PKT0_S8_ifPKiSA_SA_iPKfiiiPfSD_PS3_PT2_iSC_SC_.private_seg_size, 0+max(.L__assert_fail.private_seg_size)
	.set _Z39paged_attention_ll4mi_QKV_mfma16_kernelI14__hip_bfloat16S0_LN4vllm18Fp8KVCacheDataTypeE0ES0_Li16ELi128ELi256ELb1ELi13EEvPKT_PKT0_S8_ifPKiSA_SA_iPKfiiiPfSD_PS3_PT2_iSC_SC_.uses_vcc, or(1, .L__assert_fail.uses_vcc)
	.set _Z39paged_attention_ll4mi_QKV_mfma16_kernelI14__hip_bfloat16S0_LN4vllm18Fp8KVCacheDataTypeE0ES0_Li16ELi128ELi256ELb1ELi13EEvPKT_PKT0_S8_ifPKiSA_SA_iPKfiiiPfSD_PS3_PT2_iSC_SC_.uses_flat_scratch, or(0, .L__assert_fail.uses_flat_scratch)
	.set _Z39paged_attention_ll4mi_QKV_mfma16_kernelI14__hip_bfloat16S0_LN4vllm18Fp8KVCacheDataTypeE0ES0_Li16ELi128ELi256ELb1ELi13EEvPKT_PKT0_S8_ifPKiSA_SA_iPKfiiiPfSD_PS3_PT2_iSC_SC_.has_dyn_sized_stack, or(0, .L__assert_fail.has_dyn_sized_stack)
	.set _Z39paged_attention_ll4mi_QKV_mfma16_kernelI14__hip_bfloat16S0_LN4vllm18Fp8KVCacheDataTypeE0ES0_Li16ELi128ELi256ELb1ELi13EEvPKT_PKT0_S8_ifPKiSA_SA_iPKfiiiPfSD_PS3_PT2_iSC_SC_.has_recursion, or(0, .L__assert_fail.has_recursion)
	.set _Z39paged_attention_ll4mi_QKV_mfma16_kernelI14__hip_bfloat16S0_LN4vllm18Fp8KVCacheDataTypeE0ES0_Li16ELi128ELi256ELb1ELi13EEvPKT_PKT0_S8_ifPKiSA_SA_iPKfiiiPfSD_PS3_PT2_iSC_SC_.has_indirect_call, or(0, .L__assert_fail.has_indirect_call)
	.section	.AMDGPU.csdata,"",@progbits
; Kernel info:
; codeLenInByte = 68
; TotalNumSgprs: 36
; NumVgprs: 51
; ScratchSize: 64
; MemoryBound: 0
; FloatMode: 240
; IeeeMode: 1
; LDSByteSize: 0 bytes/workgroup (compile time only)
; SGPRBlocks: 0
; VGPRBlocks: 3
; NumSGPRsForWavesPerEU: 36
; NumVGPRsForWavesPerEU: 51
; NamedBarCnt: 0
; Occupancy: 16
; WaveLimiterHint : 1
; COMPUTE_PGM_RSRC2:SCRATCH_EN: 1
; COMPUTE_PGM_RSRC2:USER_SGPR: 2
; COMPUTE_PGM_RSRC2:TRAP_HANDLER: 0
; COMPUTE_PGM_RSRC2:TGID_X_EN: 1
; COMPUTE_PGM_RSRC2:TGID_Y_EN: 0
; COMPUTE_PGM_RSRC2:TGID_Z_EN: 0
; COMPUTE_PGM_RSRC2:TIDIG_COMP_CNT: 0
	.section	.text._Z39paged_attention_ll4mi_QKV_mfma16_kernelI14__hip_bfloat16S0_LN4vllm18Fp8KVCacheDataTypeE0ES0_Li16ELi128ELi256ELb1ELi14EEvPKT_PKT0_S8_ifPKiSA_SA_iPKfiiiPfSD_PS3_PT2_iSC_SC_,"axG",@progbits,_Z39paged_attention_ll4mi_QKV_mfma16_kernelI14__hip_bfloat16S0_LN4vllm18Fp8KVCacheDataTypeE0ES0_Li16ELi128ELi256ELb1ELi14EEvPKT_PKT0_S8_ifPKiSA_SA_iPKfiiiPfSD_PS3_PT2_iSC_SC_,comdat
	.protected	_Z39paged_attention_ll4mi_QKV_mfma16_kernelI14__hip_bfloat16S0_LN4vllm18Fp8KVCacheDataTypeE0ES0_Li16ELi128ELi256ELb1ELi14EEvPKT_PKT0_S8_ifPKiSA_SA_iPKfiiiPfSD_PS3_PT2_iSC_SC_ ; -- Begin function _Z39paged_attention_ll4mi_QKV_mfma16_kernelI14__hip_bfloat16S0_LN4vllm18Fp8KVCacheDataTypeE0ES0_Li16ELi128ELi256ELb1ELi14EEvPKT_PKT0_S8_ifPKiSA_SA_iPKfiiiPfSD_PS3_PT2_iSC_SC_
	.globl	_Z39paged_attention_ll4mi_QKV_mfma16_kernelI14__hip_bfloat16S0_LN4vllm18Fp8KVCacheDataTypeE0ES0_Li16ELi128ELi256ELb1ELi14EEvPKT_PKT0_S8_ifPKiSA_SA_iPKfiiiPfSD_PS3_PT2_iSC_SC_
	.p2align	8
	.type	_Z39paged_attention_ll4mi_QKV_mfma16_kernelI14__hip_bfloat16S0_LN4vllm18Fp8KVCacheDataTypeE0ES0_Li16ELi128ELi256ELb1ELi14EEvPKT_PKT0_S8_ifPKiSA_SA_iPKfiiiPfSD_PS3_PT2_iSC_SC_,@function
_Z39paged_attention_ll4mi_QKV_mfma16_kernelI14__hip_bfloat16S0_LN4vllm18Fp8KVCacheDataTypeE0ES0_Li16ELi128ELi256ELb1ELi14EEvPKT_PKT0_S8_ifPKiSA_SA_iPKfiiiPfSD_PS3_PT2_iSC_SC_: ; @_Z39paged_attention_ll4mi_QKV_mfma16_kernelI14__hip_bfloat16S0_LN4vllm18Fp8KVCacheDataTypeE0ES0_Li16ELi128ELi256ELb1ELi14EEvPKT_PKT0_S8_ifPKiSA_SA_iPKfiiiPfSD_PS3_PT2_iSC_SC_
; %bb.0:
	s_get_pc_i64 s[2:3]
	s_add_nc_u64 s[2:3], s[2:3], __PRETTY_FUNCTION__._Z39paged_attention_ll4mi_QKV_mfma16_kernelI14__hip_bfloat16S0_LN4vllm18Fp8KVCacheDataTypeE0ES0_Li16ELi128ELi256ELb1ELi14EEvPKT_PKT0_S8_ifPKiSA_SA_iPKfiiiPfSD_PS3_PT2_iSC_SC_@rel64+4
	s_delay_alu instid0(SALU_CYCLE_1)
	v_dual_mov_b32 v0, 0xbb3 :: v_dual_mov_b32 v1, s2
	v_mov_b32_e32 v2, s3
	s_add_nc_u64 s[8:9], s[0:1], 0x90
	s_get_pc_i64 s[0:1]
	s_add_nc_u64 s[0:1], s[0:1], __assert_fail@rel64+4
	s_mov_b32 s32, 0
	s_swap_pc_i64 s[30:31], s[0:1]
	.section	.rodata,"a",@progbits
	.p2align	6, 0x0
	.amdhsa_kernel _Z39paged_attention_ll4mi_QKV_mfma16_kernelI14__hip_bfloat16S0_LN4vllm18Fp8KVCacheDataTypeE0ES0_Li16ELi128ELi256ELb1ELi14EEvPKT_PKT0_S8_ifPKiSA_SA_iPKfiiiPfSD_PS3_PT2_iSC_SC_
		.amdhsa_group_segment_fixed_size 0
		.amdhsa_private_segment_fixed_size 64
		.amdhsa_kernarg_size 400
		.amdhsa_user_sgpr_count 2
		.amdhsa_user_sgpr_dispatch_ptr 0
		.amdhsa_user_sgpr_queue_ptr 0
		.amdhsa_user_sgpr_kernarg_segment_ptr 1
		.amdhsa_user_sgpr_dispatch_id 0
		.amdhsa_user_sgpr_kernarg_preload_length 0
		.amdhsa_user_sgpr_kernarg_preload_offset 0
		.amdhsa_user_sgpr_private_segment_size 0
		.amdhsa_wavefront_size32 1
		.amdhsa_uses_dynamic_stack 0
		.amdhsa_enable_private_segment 1
		.amdhsa_system_sgpr_workgroup_id_x 1
		.amdhsa_system_sgpr_workgroup_id_y 0
		.amdhsa_system_sgpr_workgroup_id_z 0
		.amdhsa_system_sgpr_workgroup_info 0
		.amdhsa_system_vgpr_workitem_id 0
		.amdhsa_next_free_vgpr 51
		.amdhsa_next_free_sgpr 34
		.amdhsa_named_barrier_count 0
		.amdhsa_reserve_vcc 1
		.amdhsa_float_round_mode_32 0
		.amdhsa_float_round_mode_16_64 0
		.amdhsa_float_denorm_mode_32 3
		.amdhsa_float_denorm_mode_16_64 3
		.amdhsa_fp16_overflow 0
		.amdhsa_memory_ordered 1
		.amdhsa_forward_progress 1
		.amdhsa_inst_pref_size 1
		.amdhsa_round_robin_scheduling 0
		.amdhsa_exception_fp_ieee_invalid_op 0
		.amdhsa_exception_fp_denorm_src 0
		.amdhsa_exception_fp_ieee_div_zero 0
		.amdhsa_exception_fp_ieee_overflow 0
		.amdhsa_exception_fp_ieee_underflow 0
		.amdhsa_exception_fp_ieee_inexact 0
		.amdhsa_exception_int_div_zero 0
	.end_amdhsa_kernel
	.section	.text._Z39paged_attention_ll4mi_QKV_mfma16_kernelI14__hip_bfloat16S0_LN4vllm18Fp8KVCacheDataTypeE0ES0_Li16ELi128ELi256ELb1ELi14EEvPKT_PKT0_S8_ifPKiSA_SA_iPKfiiiPfSD_PS3_PT2_iSC_SC_,"axG",@progbits,_Z39paged_attention_ll4mi_QKV_mfma16_kernelI14__hip_bfloat16S0_LN4vllm18Fp8KVCacheDataTypeE0ES0_Li16ELi128ELi256ELb1ELi14EEvPKT_PKT0_S8_ifPKiSA_SA_iPKfiiiPfSD_PS3_PT2_iSC_SC_,comdat
.Lfunc_end647:
	.size	_Z39paged_attention_ll4mi_QKV_mfma16_kernelI14__hip_bfloat16S0_LN4vllm18Fp8KVCacheDataTypeE0ES0_Li16ELi128ELi256ELb1ELi14EEvPKT_PKT0_S8_ifPKiSA_SA_iPKfiiiPfSD_PS3_PT2_iSC_SC_, .Lfunc_end647-_Z39paged_attention_ll4mi_QKV_mfma16_kernelI14__hip_bfloat16S0_LN4vllm18Fp8KVCacheDataTypeE0ES0_Li16ELi128ELi256ELb1ELi14EEvPKT_PKT0_S8_ifPKiSA_SA_iPKfiiiPfSD_PS3_PT2_iSC_SC_
                                        ; -- End function
	.set _Z39paged_attention_ll4mi_QKV_mfma16_kernelI14__hip_bfloat16S0_LN4vllm18Fp8KVCacheDataTypeE0ES0_Li16ELi128ELi256ELb1ELi14EEvPKT_PKT0_S8_ifPKiSA_SA_iPKfiiiPfSD_PS3_PT2_iSC_SC_.num_vgpr, max(3, .L__assert_fail.num_vgpr)
	.set _Z39paged_attention_ll4mi_QKV_mfma16_kernelI14__hip_bfloat16S0_LN4vllm18Fp8KVCacheDataTypeE0ES0_Li16ELi128ELi256ELb1ELi14EEvPKT_PKT0_S8_ifPKiSA_SA_iPKfiiiPfSD_PS3_PT2_iSC_SC_.num_agpr, max(0, .L__assert_fail.num_agpr)
	.set _Z39paged_attention_ll4mi_QKV_mfma16_kernelI14__hip_bfloat16S0_LN4vllm18Fp8KVCacheDataTypeE0ES0_Li16ELi128ELi256ELb1ELi14EEvPKT_PKT0_S8_ifPKiSA_SA_iPKfiiiPfSD_PS3_PT2_iSC_SC_.numbered_sgpr, max(33, .L__assert_fail.numbered_sgpr)
	.set _Z39paged_attention_ll4mi_QKV_mfma16_kernelI14__hip_bfloat16S0_LN4vllm18Fp8KVCacheDataTypeE0ES0_Li16ELi128ELi256ELb1ELi14EEvPKT_PKT0_S8_ifPKiSA_SA_iPKfiiiPfSD_PS3_PT2_iSC_SC_.num_named_barrier, max(0, .L__assert_fail.num_named_barrier)
	.set _Z39paged_attention_ll4mi_QKV_mfma16_kernelI14__hip_bfloat16S0_LN4vllm18Fp8KVCacheDataTypeE0ES0_Li16ELi128ELi256ELb1ELi14EEvPKT_PKT0_S8_ifPKiSA_SA_iPKfiiiPfSD_PS3_PT2_iSC_SC_.private_seg_size, 0+max(.L__assert_fail.private_seg_size)
	.set _Z39paged_attention_ll4mi_QKV_mfma16_kernelI14__hip_bfloat16S0_LN4vllm18Fp8KVCacheDataTypeE0ES0_Li16ELi128ELi256ELb1ELi14EEvPKT_PKT0_S8_ifPKiSA_SA_iPKfiiiPfSD_PS3_PT2_iSC_SC_.uses_vcc, or(1, .L__assert_fail.uses_vcc)
	.set _Z39paged_attention_ll4mi_QKV_mfma16_kernelI14__hip_bfloat16S0_LN4vllm18Fp8KVCacheDataTypeE0ES0_Li16ELi128ELi256ELb1ELi14EEvPKT_PKT0_S8_ifPKiSA_SA_iPKfiiiPfSD_PS3_PT2_iSC_SC_.uses_flat_scratch, or(0, .L__assert_fail.uses_flat_scratch)
	.set _Z39paged_attention_ll4mi_QKV_mfma16_kernelI14__hip_bfloat16S0_LN4vllm18Fp8KVCacheDataTypeE0ES0_Li16ELi128ELi256ELb1ELi14EEvPKT_PKT0_S8_ifPKiSA_SA_iPKfiiiPfSD_PS3_PT2_iSC_SC_.has_dyn_sized_stack, or(0, .L__assert_fail.has_dyn_sized_stack)
	.set _Z39paged_attention_ll4mi_QKV_mfma16_kernelI14__hip_bfloat16S0_LN4vllm18Fp8KVCacheDataTypeE0ES0_Li16ELi128ELi256ELb1ELi14EEvPKT_PKT0_S8_ifPKiSA_SA_iPKfiiiPfSD_PS3_PT2_iSC_SC_.has_recursion, or(0, .L__assert_fail.has_recursion)
	.set _Z39paged_attention_ll4mi_QKV_mfma16_kernelI14__hip_bfloat16S0_LN4vllm18Fp8KVCacheDataTypeE0ES0_Li16ELi128ELi256ELb1ELi14EEvPKT_PKT0_S8_ifPKiSA_SA_iPKfiiiPfSD_PS3_PT2_iSC_SC_.has_indirect_call, or(0, .L__assert_fail.has_indirect_call)
	.section	.AMDGPU.csdata,"",@progbits
; Kernel info:
; codeLenInByte = 68
; TotalNumSgprs: 36
; NumVgprs: 51
; ScratchSize: 64
; MemoryBound: 0
; FloatMode: 240
; IeeeMode: 1
; LDSByteSize: 0 bytes/workgroup (compile time only)
; SGPRBlocks: 0
; VGPRBlocks: 3
; NumSGPRsForWavesPerEU: 36
; NumVGPRsForWavesPerEU: 51
; NamedBarCnt: 0
; Occupancy: 16
; WaveLimiterHint : 1
; COMPUTE_PGM_RSRC2:SCRATCH_EN: 1
; COMPUTE_PGM_RSRC2:USER_SGPR: 2
; COMPUTE_PGM_RSRC2:TRAP_HANDLER: 0
; COMPUTE_PGM_RSRC2:TGID_X_EN: 1
; COMPUTE_PGM_RSRC2:TGID_Y_EN: 0
; COMPUTE_PGM_RSRC2:TGID_Z_EN: 0
; COMPUTE_PGM_RSRC2:TIDIG_COMP_CNT: 0
	.section	.text._Z39paged_attention_ll4mi_QKV_mfma16_kernelI14__hip_bfloat16S0_LN4vllm18Fp8KVCacheDataTypeE0ES0_Li16ELi128ELi256ELb1ELi15EEvPKT_PKT0_S8_ifPKiSA_SA_iPKfiiiPfSD_PS3_PT2_iSC_SC_,"axG",@progbits,_Z39paged_attention_ll4mi_QKV_mfma16_kernelI14__hip_bfloat16S0_LN4vllm18Fp8KVCacheDataTypeE0ES0_Li16ELi128ELi256ELb1ELi15EEvPKT_PKT0_S8_ifPKiSA_SA_iPKfiiiPfSD_PS3_PT2_iSC_SC_,comdat
	.protected	_Z39paged_attention_ll4mi_QKV_mfma16_kernelI14__hip_bfloat16S0_LN4vllm18Fp8KVCacheDataTypeE0ES0_Li16ELi128ELi256ELb1ELi15EEvPKT_PKT0_S8_ifPKiSA_SA_iPKfiiiPfSD_PS3_PT2_iSC_SC_ ; -- Begin function _Z39paged_attention_ll4mi_QKV_mfma16_kernelI14__hip_bfloat16S0_LN4vllm18Fp8KVCacheDataTypeE0ES0_Li16ELi128ELi256ELb1ELi15EEvPKT_PKT0_S8_ifPKiSA_SA_iPKfiiiPfSD_PS3_PT2_iSC_SC_
	.globl	_Z39paged_attention_ll4mi_QKV_mfma16_kernelI14__hip_bfloat16S0_LN4vllm18Fp8KVCacheDataTypeE0ES0_Li16ELi128ELi256ELb1ELi15EEvPKT_PKT0_S8_ifPKiSA_SA_iPKfiiiPfSD_PS3_PT2_iSC_SC_
	.p2align	8
	.type	_Z39paged_attention_ll4mi_QKV_mfma16_kernelI14__hip_bfloat16S0_LN4vllm18Fp8KVCacheDataTypeE0ES0_Li16ELi128ELi256ELb1ELi15EEvPKT_PKT0_S8_ifPKiSA_SA_iPKfiiiPfSD_PS3_PT2_iSC_SC_,@function
_Z39paged_attention_ll4mi_QKV_mfma16_kernelI14__hip_bfloat16S0_LN4vllm18Fp8KVCacheDataTypeE0ES0_Li16ELi128ELi256ELb1ELi15EEvPKT_PKT0_S8_ifPKiSA_SA_iPKfiiiPfSD_PS3_PT2_iSC_SC_: ; @_Z39paged_attention_ll4mi_QKV_mfma16_kernelI14__hip_bfloat16S0_LN4vllm18Fp8KVCacheDataTypeE0ES0_Li16ELi128ELi256ELb1ELi15EEvPKT_PKT0_S8_ifPKiSA_SA_iPKfiiiPfSD_PS3_PT2_iSC_SC_
; %bb.0:
	s_get_pc_i64 s[2:3]
	s_add_nc_u64 s[2:3], s[2:3], __PRETTY_FUNCTION__._Z39paged_attention_ll4mi_QKV_mfma16_kernelI14__hip_bfloat16S0_LN4vllm18Fp8KVCacheDataTypeE0ES0_Li16ELi128ELi256ELb1ELi15EEvPKT_PKT0_S8_ifPKiSA_SA_iPKfiiiPfSD_PS3_PT2_iSC_SC_@rel64+4
	s_delay_alu instid0(SALU_CYCLE_1)
	v_dual_mov_b32 v0, 0xbb3 :: v_dual_mov_b32 v1, s2
	v_mov_b32_e32 v2, s3
	s_add_nc_u64 s[8:9], s[0:1], 0x90
	s_get_pc_i64 s[0:1]
	s_add_nc_u64 s[0:1], s[0:1], __assert_fail@rel64+4
	s_mov_b32 s32, 0
	s_swap_pc_i64 s[30:31], s[0:1]
	.section	.rodata,"a",@progbits
	.p2align	6, 0x0
	.amdhsa_kernel _Z39paged_attention_ll4mi_QKV_mfma16_kernelI14__hip_bfloat16S0_LN4vllm18Fp8KVCacheDataTypeE0ES0_Li16ELi128ELi256ELb1ELi15EEvPKT_PKT0_S8_ifPKiSA_SA_iPKfiiiPfSD_PS3_PT2_iSC_SC_
		.amdhsa_group_segment_fixed_size 0
		.amdhsa_private_segment_fixed_size 64
		.amdhsa_kernarg_size 400
		.amdhsa_user_sgpr_count 2
		.amdhsa_user_sgpr_dispatch_ptr 0
		.amdhsa_user_sgpr_queue_ptr 0
		.amdhsa_user_sgpr_kernarg_segment_ptr 1
		.amdhsa_user_sgpr_dispatch_id 0
		.amdhsa_user_sgpr_kernarg_preload_length 0
		.amdhsa_user_sgpr_kernarg_preload_offset 0
		.amdhsa_user_sgpr_private_segment_size 0
		.amdhsa_wavefront_size32 1
		.amdhsa_uses_dynamic_stack 0
		.amdhsa_enable_private_segment 1
		.amdhsa_system_sgpr_workgroup_id_x 1
		.amdhsa_system_sgpr_workgroup_id_y 0
		.amdhsa_system_sgpr_workgroup_id_z 0
		.amdhsa_system_sgpr_workgroup_info 0
		.amdhsa_system_vgpr_workitem_id 0
		.amdhsa_next_free_vgpr 51
		.amdhsa_next_free_sgpr 34
		.amdhsa_named_barrier_count 0
		.amdhsa_reserve_vcc 1
		.amdhsa_float_round_mode_32 0
		.amdhsa_float_round_mode_16_64 0
		.amdhsa_float_denorm_mode_32 3
		.amdhsa_float_denorm_mode_16_64 3
		.amdhsa_fp16_overflow 0
		.amdhsa_memory_ordered 1
		.amdhsa_forward_progress 1
		.amdhsa_inst_pref_size 1
		.amdhsa_round_robin_scheduling 0
		.amdhsa_exception_fp_ieee_invalid_op 0
		.amdhsa_exception_fp_denorm_src 0
		.amdhsa_exception_fp_ieee_div_zero 0
		.amdhsa_exception_fp_ieee_overflow 0
		.amdhsa_exception_fp_ieee_underflow 0
		.amdhsa_exception_fp_ieee_inexact 0
		.amdhsa_exception_int_div_zero 0
	.end_amdhsa_kernel
	.section	.text._Z39paged_attention_ll4mi_QKV_mfma16_kernelI14__hip_bfloat16S0_LN4vllm18Fp8KVCacheDataTypeE0ES0_Li16ELi128ELi256ELb1ELi15EEvPKT_PKT0_S8_ifPKiSA_SA_iPKfiiiPfSD_PS3_PT2_iSC_SC_,"axG",@progbits,_Z39paged_attention_ll4mi_QKV_mfma16_kernelI14__hip_bfloat16S0_LN4vllm18Fp8KVCacheDataTypeE0ES0_Li16ELi128ELi256ELb1ELi15EEvPKT_PKT0_S8_ifPKiSA_SA_iPKfiiiPfSD_PS3_PT2_iSC_SC_,comdat
.Lfunc_end648:
	.size	_Z39paged_attention_ll4mi_QKV_mfma16_kernelI14__hip_bfloat16S0_LN4vllm18Fp8KVCacheDataTypeE0ES0_Li16ELi128ELi256ELb1ELi15EEvPKT_PKT0_S8_ifPKiSA_SA_iPKfiiiPfSD_PS3_PT2_iSC_SC_, .Lfunc_end648-_Z39paged_attention_ll4mi_QKV_mfma16_kernelI14__hip_bfloat16S0_LN4vllm18Fp8KVCacheDataTypeE0ES0_Li16ELi128ELi256ELb1ELi15EEvPKT_PKT0_S8_ifPKiSA_SA_iPKfiiiPfSD_PS3_PT2_iSC_SC_
                                        ; -- End function
	.set _Z39paged_attention_ll4mi_QKV_mfma16_kernelI14__hip_bfloat16S0_LN4vllm18Fp8KVCacheDataTypeE0ES0_Li16ELi128ELi256ELb1ELi15EEvPKT_PKT0_S8_ifPKiSA_SA_iPKfiiiPfSD_PS3_PT2_iSC_SC_.num_vgpr, max(3, .L__assert_fail.num_vgpr)
	.set _Z39paged_attention_ll4mi_QKV_mfma16_kernelI14__hip_bfloat16S0_LN4vllm18Fp8KVCacheDataTypeE0ES0_Li16ELi128ELi256ELb1ELi15EEvPKT_PKT0_S8_ifPKiSA_SA_iPKfiiiPfSD_PS3_PT2_iSC_SC_.num_agpr, max(0, .L__assert_fail.num_agpr)
	.set _Z39paged_attention_ll4mi_QKV_mfma16_kernelI14__hip_bfloat16S0_LN4vllm18Fp8KVCacheDataTypeE0ES0_Li16ELi128ELi256ELb1ELi15EEvPKT_PKT0_S8_ifPKiSA_SA_iPKfiiiPfSD_PS3_PT2_iSC_SC_.numbered_sgpr, max(33, .L__assert_fail.numbered_sgpr)
	.set _Z39paged_attention_ll4mi_QKV_mfma16_kernelI14__hip_bfloat16S0_LN4vllm18Fp8KVCacheDataTypeE0ES0_Li16ELi128ELi256ELb1ELi15EEvPKT_PKT0_S8_ifPKiSA_SA_iPKfiiiPfSD_PS3_PT2_iSC_SC_.num_named_barrier, max(0, .L__assert_fail.num_named_barrier)
	.set _Z39paged_attention_ll4mi_QKV_mfma16_kernelI14__hip_bfloat16S0_LN4vllm18Fp8KVCacheDataTypeE0ES0_Li16ELi128ELi256ELb1ELi15EEvPKT_PKT0_S8_ifPKiSA_SA_iPKfiiiPfSD_PS3_PT2_iSC_SC_.private_seg_size, 0+max(.L__assert_fail.private_seg_size)
	.set _Z39paged_attention_ll4mi_QKV_mfma16_kernelI14__hip_bfloat16S0_LN4vllm18Fp8KVCacheDataTypeE0ES0_Li16ELi128ELi256ELb1ELi15EEvPKT_PKT0_S8_ifPKiSA_SA_iPKfiiiPfSD_PS3_PT2_iSC_SC_.uses_vcc, or(1, .L__assert_fail.uses_vcc)
	.set _Z39paged_attention_ll4mi_QKV_mfma16_kernelI14__hip_bfloat16S0_LN4vllm18Fp8KVCacheDataTypeE0ES0_Li16ELi128ELi256ELb1ELi15EEvPKT_PKT0_S8_ifPKiSA_SA_iPKfiiiPfSD_PS3_PT2_iSC_SC_.uses_flat_scratch, or(0, .L__assert_fail.uses_flat_scratch)
	.set _Z39paged_attention_ll4mi_QKV_mfma16_kernelI14__hip_bfloat16S0_LN4vllm18Fp8KVCacheDataTypeE0ES0_Li16ELi128ELi256ELb1ELi15EEvPKT_PKT0_S8_ifPKiSA_SA_iPKfiiiPfSD_PS3_PT2_iSC_SC_.has_dyn_sized_stack, or(0, .L__assert_fail.has_dyn_sized_stack)
	.set _Z39paged_attention_ll4mi_QKV_mfma16_kernelI14__hip_bfloat16S0_LN4vllm18Fp8KVCacheDataTypeE0ES0_Li16ELi128ELi256ELb1ELi15EEvPKT_PKT0_S8_ifPKiSA_SA_iPKfiiiPfSD_PS3_PT2_iSC_SC_.has_recursion, or(0, .L__assert_fail.has_recursion)
	.set _Z39paged_attention_ll4mi_QKV_mfma16_kernelI14__hip_bfloat16S0_LN4vllm18Fp8KVCacheDataTypeE0ES0_Li16ELi128ELi256ELb1ELi15EEvPKT_PKT0_S8_ifPKiSA_SA_iPKfiiiPfSD_PS3_PT2_iSC_SC_.has_indirect_call, or(0, .L__assert_fail.has_indirect_call)
	.section	.AMDGPU.csdata,"",@progbits
; Kernel info:
; codeLenInByte = 68
; TotalNumSgprs: 36
; NumVgprs: 51
; ScratchSize: 64
; MemoryBound: 0
; FloatMode: 240
; IeeeMode: 1
; LDSByteSize: 0 bytes/workgroup (compile time only)
; SGPRBlocks: 0
; VGPRBlocks: 3
; NumSGPRsForWavesPerEU: 36
; NumVGPRsForWavesPerEU: 51
; NamedBarCnt: 0
; Occupancy: 16
; WaveLimiterHint : 1
; COMPUTE_PGM_RSRC2:SCRATCH_EN: 1
; COMPUTE_PGM_RSRC2:USER_SGPR: 2
; COMPUTE_PGM_RSRC2:TRAP_HANDLER: 0
; COMPUTE_PGM_RSRC2:TGID_X_EN: 1
; COMPUTE_PGM_RSRC2:TGID_Y_EN: 0
; COMPUTE_PGM_RSRC2:TGID_Z_EN: 0
; COMPUTE_PGM_RSRC2:TIDIG_COMP_CNT: 0
	.section	.text._Z39paged_attention_ll4mi_QKV_mfma16_kernelI14__hip_bfloat16S0_LN4vllm18Fp8KVCacheDataTypeE0ES0_Li16ELi128ELi256ELb1ELi16EEvPKT_PKT0_S8_ifPKiSA_SA_iPKfiiiPfSD_PS3_PT2_iSC_SC_,"axG",@progbits,_Z39paged_attention_ll4mi_QKV_mfma16_kernelI14__hip_bfloat16S0_LN4vllm18Fp8KVCacheDataTypeE0ES0_Li16ELi128ELi256ELb1ELi16EEvPKT_PKT0_S8_ifPKiSA_SA_iPKfiiiPfSD_PS3_PT2_iSC_SC_,comdat
	.protected	_Z39paged_attention_ll4mi_QKV_mfma16_kernelI14__hip_bfloat16S0_LN4vllm18Fp8KVCacheDataTypeE0ES0_Li16ELi128ELi256ELb1ELi16EEvPKT_PKT0_S8_ifPKiSA_SA_iPKfiiiPfSD_PS3_PT2_iSC_SC_ ; -- Begin function _Z39paged_attention_ll4mi_QKV_mfma16_kernelI14__hip_bfloat16S0_LN4vllm18Fp8KVCacheDataTypeE0ES0_Li16ELi128ELi256ELb1ELi16EEvPKT_PKT0_S8_ifPKiSA_SA_iPKfiiiPfSD_PS3_PT2_iSC_SC_
	.globl	_Z39paged_attention_ll4mi_QKV_mfma16_kernelI14__hip_bfloat16S0_LN4vllm18Fp8KVCacheDataTypeE0ES0_Li16ELi128ELi256ELb1ELi16EEvPKT_PKT0_S8_ifPKiSA_SA_iPKfiiiPfSD_PS3_PT2_iSC_SC_
	.p2align	8
	.type	_Z39paged_attention_ll4mi_QKV_mfma16_kernelI14__hip_bfloat16S0_LN4vllm18Fp8KVCacheDataTypeE0ES0_Li16ELi128ELi256ELb1ELi16EEvPKT_PKT0_S8_ifPKiSA_SA_iPKfiiiPfSD_PS3_PT2_iSC_SC_,@function
_Z39paged_attention_ll4mi_QKV_mfma16_kernelI14__hip_bfloat16S0_LN4vllm18Fp8KVCacheDataTypeE0ES0_Li16ELi128ELi256ELb1ELi16EEvPKT_PKT0_S8_ifPKiSA_SA_iPKfiiiPfSD_PS3_PT2_iSC_SC_: ; @_Z39paged_attention_ll4mi_QKV_mfma16_kernelI14__hip_bfloat16S0_LN4vllm18Fp8KVCacheDataTypeE0ES0_Li16ELi128ELi256ELb1ELi16EEvPKT_PKT0_S8_ifPKiSA_SA_iPKfiiiPfSD_PS3_PT2_iSC_SC_
; %bb.0:
	s_get_pc_i64 s[2:3]
	s_add_nc_u64 s[2:3], s[2:3], __PRETTY_FUNCTION__._Z39paged_attention_ll4mi_QKV_mfma16_kernelI14__hip_bfloat16S0_LN4vllm18Fp8KVCacheDataTypeE0ES0_Li16ELi128ELi256ELb1ELi16EEvPKT_PKT0_S8_ifPKiSA_SA_iPKfiiiPfSD_PS3_PT2_iSC_SC_@rel64+4
	s_delay_alu instid0(SALU_CYCLE_1)
	v_dual_mov_b32 v0, 0xbb3 :: v_dual_mov_b32 v1, s2
	v_mov_b32_e32 v2, s3
	s_add_nc_u64 s[8:9], s[0:1], 0x90
	s_get_pc_i64 s[0:1]
	s_add_nc_u64 s[0:1], s[0:1], __assert_fail@rel64+4
	s_mov_b32 s32, 0
	s_swap_pc_i64 s[30:31], s[0:1]
	.section	.rodata,"a",@progbits
	.p2align	6, 0x0
	.amdhsa_kernel _Z39paged_attention_ll4mi_QKV_mfma16_kernelI14__hip_bfloat16S0_LN4vllm18Fp8KVCacheDataTypeE0ES0_Li16ELi128ELi256ELb1ELi16EEvPKT_PKT0_S8_ifPKiSA_SA_iPKfiiiPfSD_PS3_PT2_iSC_SC_
		.amdhsa_group_segment_fixed_size 0
		.amdhsa_private_segment_fixed_size 64
		.amdhsa_kernarg_size 400
		.amdhsa_user_sgpr_count 2
		.amdhsa_user_sgpr_dispatch_ptr 0
		.amdhsa_user_sgpr_queue_ptr 0
		.amdhsa_user_sgpr_kernarg_segment_ptr 1
		.amdhsa_user_sgpr_dispatch_id 0
		.amdhsa_user_sgpr_kernarg_preload_length 0
		.amdhsa_user_sgpr_kernarg_preload_offset 0
		.amdhsa_user_sgpr_private_segment_size 0
		.amdhsa_wavefront_size32 1
		.amdhsa_uses_dynamic_stack 0
		.amdhsa_enable_private_segment 1
		.amdhsa_system_sgpr_workgroup_id_x 1
		.amdhsa_system_sgpr_workgroup_id_y 0
		.amdhsa_system_sgpr_workgroup_id_z 0
		.amdhsa_system_sgpr_workgroup_info 0
		.amdhsa_system_vgpr_workitem_id 0
		.amdhsa_next_free_vgpr 51
		.amdhsa_next_free_sgpr 34
		.amdhsa_named_barrier_count 0
		.amdhsa_reserve_vcc 1
		.amdhsa_float_round_mode_32 0
		.amdhsa_float_round_mode_16_64 0
		.amdhsa_float_denorm_mode_32 3
		.amdhsa_float_denorm_mode_16_64 3
		.amdhsa_fp16_overflow 0
		.amdhsa_memory_ordered 1
		.amdhsa_forward_progress 1
		.amdhsa_inst_pref_size 1
		.amdhsa_round_robin_scheduling 0
		.amdhsa_exception_fp_ieee_invalid_op 0
		.amdhsa_exception_fp_denorm_src 0
		.amdhsa_exception_fp_ieee_div_zero 0
		.amdhsa_exception_fp_ieee_overflow 0
		.amdhsa_exception_fp_ieee_underflow 0
		.amdhsa_exception_fp_ieee_inexact 0
		.amdhsa_exception_int_div_zero 0
	.end_amdhsa_kernel
	.section	.text._Z39paged_attention_ll4mi_QKV_mfma16_kernelI14__hip_bfloat16S0_LN4vllm18Fp8KVCacheDataTypeE0ES0_Li16ELi128ELi256ELb1ELi16EEvPKT_PKT0_S8_ifPKiSA_SA_iPKfiiiPfSD_PS3_PT2_iSC_SC_,"axG",@progbits,_Z39paged_attention_ll4mi_QKV_mfma16_kernelI14__hip_bfloat16S0_LN4vllm18Fp8KVCacheDataTypeE0ES0_Li16ELi128ELi256ELb1ELi16EEvPKT_PKT0_S8_ifPKiSA_SA_iPKfiiiPfSD_PS3_PT2_iSC_SC_,comdat
.Lfunc_end649:
	.size	_Z39paged_attention_ll4mi_QKV_mfma16_kernelI14__hip_bfloat16S0_LN4vllm18Fp8KVCacheDataTypeE0ES0_Li16ELi128ELi256ELb1ELi16EEvPKT_PKT0_S8_ifPKiSA_SA_iPKfiiiPfSD_PS3_PT2_iSC_SC_, .Lfunc_end649-_Z39paged_attention_ll4mi_QKV_mfma16_kernelI14__hip_bfloat16S0_LN4vllm18Fp8KVCacheDataTypeE0ES0_Li16ELi128ELi256ELb1ELi16EEvPKT_PKT0_S8_ifPKiSA_SA_iPKfiiiPfSD_PS3_PT2_iSC_SC_
                                        ; -- End function
	.set _Z39paged_attention_ll4mi_QKV_mfma16_kernelI14__hip_bfloat16S0_LN4vllm18Fp8KVCacheDataTypeE0ES0_Li16ELi128ELi256ELb1ELi16EEvPKT_PKT0_S8_ifPKiSA_SA_iPKfiiiPfSD_PS3_PT2_iSC_SC_.num_vgpr, max(3, .L__assert_fail.num_vgpr)
	.set _Z39paged_attention_ll4mi_QKV_mfma16_kernelI14__hip_bfloat16S0_LN4vllm18Fp8KVCacheDataTypeE0ES0_Li16ELi128ELi256ELb1ELi16EEvPKT_PKT0_S8_ifPKiSA_SA_iPKfiiiPfSD_PS3_PT2_iSC_SC_.num_agpr, max(0, .L__assert_fail.num_agpr)
	.set _Z39paged_attention_ll4mi_QKV_mfma16_kernelI14__hip_bfloat16S0_LN4vllm18Fp8KVCacheDataTypeE0ES0_Li16ELi128ELi256ELb1ELi16EEvPKT_PKT0_S8_ifPKiSA_SA_iPKfiiiPfSD_PS3_PT2_iSC_SC_.numbered_sgpr, max(33, .L__assert_fail.numbered_sgpr)
	.set _Z39paged_attention_ll4mi_QKV_mfma16_kernelI14__hip_bfloat16S0_LN4vllm18Fp8KVCacheDataTypeE0ES0_Li16ELi128ELi256ELb1ELi16EEvPKT_PKT0_S8_ifPKiSA_SA_iPKfiiiPfSD_PS3_PT2_iSC_SC_.num_named_barrier, max(0, .L__assert_fail.num_named_barrier)
	.set _Z39paged_attention_ll4mi_QKV_mfma16_kernelI14__hip_bfloat16S0_LN4vllm18Fp8KVCacheDataTypeE0ES0_Li16ELi128ELi256ELb1ELi16EEvPKT_PKT0_S8_ifPKiSA_SA_iPKfiiiPfSD_PS3_PT2_iSC_SC_.private_seg_size, 0+max(.L__assert_fail.private_seg_size)
	.set _Z39paged_attention_ll4mi_QKV_mfma16_kernelI14__hip_bfloat16S0_LN4vllm18Fp8KVCacheDataTypeE0ES0_Li16ELi128ELi256ELb1ELi16EEvPKT_PKT0_S8_ifPKiSA_SA_iPKfiiiPfSD_PS3_PT2_iSC_SC_.uses_vcc, or(1, .L__assert_fail.uses_vcc)
	.set _Z39paged_attention_ll4mi_QKV_mfma16_kernelI14__hip_bfloat16S0_LN4vllm18Fp8KVCacheDataTypeE0ES0_Li16ELi128ELi256ELb1ELi16EEvPKT_PKT0_S8_ifPKiSA_SA_iPKfiiiPfSD_PS3_PT2_iSC_SC_.uses_flat_scratch, or(0, .L__assert_fail.uses_flat_scratch)
	.set _Z39paged_attention_ll4mi_QKV_mfma16_kernelI14__hip_bfloat16S0_LN4vllm18Fp8KVCacheDataTypeE0ES0_Li16ELi128ELi256ELb1ELi16EEvPKT_PKT0_S8_ifPKiSA_SA_iPKfiiiPfSD_PS3_PT2_iSC_SC_.has_dyn_sized_stack, or(0, .L__assert_fail.has_dyn_sized_stack)
	.set _Z39paged_attention_ll4mi_QKV_mfma16_kernelI14__hip_bfloat16S0_LN4vllm18Fp8KVCacheDataTypeE0ES0_Li16ELi128ELi256ELb1ELi16EEvPKT_PKT0_S8_ifPKiSA_SA_iPKfiiiPfSD_PS3_PT2_iSC_SC_.has_recursion, or(0, .L__assert_fail.has_recursion)
	.set _Z39paged_attention_ll4mi_QKV_mfma16_kernelI14__hip_bfloat16S0_LN4vllm18Fp8KVCacheDataTypeE0ES0_Li16ELi128ELi256ELb1ELi16EEvPKT_PKT0_S8_ifPKiSA_SA_iPKfiiiPfSD_PS3_PT2_iSC_SC_.has_indirect_call, or(0, .L__assert_fail.has_indirect_call)
	.section	.AMDGPU.csdata,"",@progbits
; Kernel info:
; codeLenInByte = 68
; TotalNumSgprs: 36
; NumVgprs: 51
; ScratchSize: 64
; MemoryBound: 0
; FloatMode: 240
; IeeeMode: 1
; LDSByteSize: 0 bytes/workgroup (compile time only)
; SGPRBlocks: 0
; VGPRBlocks: 3
; NumSGPRsForWavesPerEU: 36
; NumVGPRsForWavesPerEU: 51
; NamedBarCnt: 0
; Occupancy: 16
; WaveLimiterHint : 1
; COMPUTE_PGM_RSRC2:SCRATCH_EN: 1
; COMPUTE_PGM_RSRC2:USER_SGPR: 2
; COMPUTE_PGM_RSRC2:TRAP_HANDLER: 0
; COMPUTE_PGM_RSRC2:TGID_X_EN: 1
; COMPUTE_PGM_RSRC2:TGID_Y_EN: 0
; COMPUTE_PGM_RSRC2:TGID_Z_EN: 0
; COMPUTE_PGM_RSRC2:TIDIG_COMP_CNT: 0
	.section	.text._Z35paged_attention_ll4mi_reduce_kernelI14__hip_bfloat16S0_Li128ELi128ELi256ELi1EEvPT0_PKfS4_PKT_PKiS9_iS4_,"axG",@progbits,_Z35paged_attention_ll4mi_reduce_kernelI14__hip_bfloat16S0_Li128ELi128ELi256ELi1EEvPT0_PKfS4_PKT_PKiS9_iS4_,comdat
	.protected	_Z35paged_attention_ll4mi_reduce_kernelI14__hip_bfloat16S0_Li128ELi128ELi256ELi1EEvPT0_PKfS4_PKT_PKiS9_iS4_ ; -- Begin function _Z35paged_attention_ll4mi_reduce_kernelI14__hip_bfloat16S0_Li128ELi128ELi256ELi1EEvPT0_PKfS4_PKT_PKiS9_iS4_
	.globl	_Z35paged_attention_ll4mi_reduce_kernelI14__hip_bfloat16S0_Li128ELi128ELi256ELi1EEvPT0_PKfS4_PKT_PKiS9_iS4_
	.p2align	8
	.type	_Z35paged_attention_ll4mi_reduce_kernelI14__hip_bfloat16S0_Li128ELi128ELi256ELi1EEvPT0_PKfS4_PKT_PKiS9_iS4_,@function
_Z35paged_attention_ll4mi_reduce_kernelI14__hip_bfloat16S0_Li128ELi128ELi256ELi1EEvPT0_PKfS4_PKT_PKiS9_iS4_: ; @_Z35paged_attention_ll4mi_reduce_kernelI14__hip_bfloat16S0_Li128ELi128ELi256ELi1EEvPT0_PKfS4_PKT_PKiS9_iS4_
; %bb.0:
	s_get_pc_i64 s[2:3]
	s_add_nc_u64 s[2:3], s[2:3], __PRETTY_FUNCTION__._Z35paged_attention_ll4mi_reduce_kernelI14__hip_bfloat16S0_Li128ELi128ELi256ELi1EEvPT0_PKfS4_PKT_PKiS9_iS4_@rel64+4
	s_delay_alu instid0(SALU_CYCLE_1)
	v_dual_mov_b32 v0, 0xbdd :: v_dual_mov_b32 v1, s2
	v_mov_b32_e32 v2, s3
	s_add_nc_u64 s[8:9], s[0:1], 64
	s_get_pc_i64 s[0:1]
	s_add_nc_u64 s[0:1], s[0:1], __assert_fail@rel64+4
	s_mov_b32 s32, 0
	s_swap_pc_i64 s[30:31], s[0:1]
	.section	.rodata,"a",@progbits
	.p2align	6, 0x0
	.amdhsa_kernel _Z35paged_attention_ll4mi_reduce_kernelI14__hip_bfloat16S0_Li128ELi128ELi256ELi1EEvPT0_PKfS4_PKT_PKiS9_iS4_
		.amdhsa_group_segment_fixed_size 0
		.amdhsa_private_segment_fixed_size 64
		.amdhsa_kernarg_size 320
		.amdhsa_user_sgpr_count 2
		.amdhsa_user_sgpr_dispatch_ptr 0
		.amdhsa_user_sgpr_queue_ptr 0
		.amdhsa_user_sgpr_kernarg_segment_ptr 1
		.amdhsa_user_sgpr_dispatch_id 0
		.amdhsa_user_sgpr_kernarg_preload_length 0
		.amdhsa_user_sgpr_kernarg_preload_offset 0
		.amdhsa_user_sgpr_private_segment_size 0
		.amdhsa_wavefront_size32 1
		.amdhsa_uses_dynamic_stack 0
		.amdhsa_enable_private_segment 1
		.amdhsa_system_sgpr_workgroup_id_x 1
		.amdhsa_system_sgpr_workgroup_id_y 0
		.amdhsa_system_sgpr_workgroup_id_z 0
		.amdhsa_system_sgpr_workgroup_info 0
		.amdhsa_system_vgpr_workitem_id 0
		.amdhsa_next_free_vgpr 51
		.amdhsa_next_free_sgpr 34
		.amdhsa_named_barrier_count 0
		.amdhsa_reserve_vcc 1
		.amdhsa_float_round_mode_32 0
		.amdhsa_float_round_mode_16_64 0
		.amdhsa_float_denorm_mode_32 3
		.amdhsa_float_denorm_mode_16_64 3
		.amdhsa_fp16_overflow 0
		.amdhsa_memory_ordered 1
		.amdhsa_forward_progress 1
		.amdhsa_inst_pref_size 1
		.amdhsa_round_robin_scheduling 0
		.amdhsa_exception_fp_ieee_invalid_op 0
		.amdhsa_exception_fp_denorm_src 0
		.amdhsa_exception_fp_ieee_div_zero 0
		.amdhsa_exception_fp_ieee_overflow 0
		.amdhsa_exception_fp_ieee_underflow 0
		.amdhsa_exception_fp_ieee_inexact 0
		.amdhsa_exception_int_div_zero 0
	.end_amdhsa_kernel
	.section	.text._Z35paged_attention_ll4mi_reduce_kernelI14__hip_bfloat16S0_Li128ELi128ELi256ELi1EEvPT0_PKfS4_PKT_PKiS9_iS4_,"axG",@progbits,_Z35paged_attention_ll4mi_reduce_kernelI14__hip_bfloat16S0_Li128ELi128ELi256ELi1EEvPT0_PKfS4_PKT_PKiS9_iS4_,comdat
.Lfunc_end650:
	.size	_Z35paged_attention_ll4mi_reduce_kernelI14__hip_bfloat16S0_Li128ELi128ELi256ELi1EEvPT0_PKfS4_PKT_PKiS9_iS4_, .Lfunc_end650-_Z35paged_attention_ll4mi_reduce_kernelI14__hip_bfloat16S0_Li128ELi128ELi256ELi1EEvPT0_PKfS4_PKT_PKiS9_iS4_
                                        ; -- End function
	.set _Z35paged_attention_ll4mi_reduce_kernelI14__hip_bfloat16S0_Li128ELi128ELi256ELi1EEvPT0_PKfS4_PKT_PKiS9_iS4_.num_vgpr, max(3, .L__assert_fail.num_vgpr)
	.set _Z35paged_attention_ll4mi_reduce_kernelI14__hip_bfloat16S0_Li128ELi128ELi256ELi1EEvPT0_PKfS4_PKT_PKiS9_iS4_.num_agpr, max(0, .L__assert_fail.num_agpr)
	.set _Z35paged_attention_ll4mi_reduce_kernelI14__hip_bfloat16S0_Li128ELi128ELi256ELi1EEvPT0_PKfS4_PKT_PKiS9_iS4_.numbered_sgpr, max(33, .L__assert_fail.numbered_sgpr)
	.set _Z35paged_attention_ll4mi_reduce_kernelI14__hip_bfloat16S0_Li128ELi128ELi256ELi1EEvPT0_PKfS4_PKT_PKiS9_iS4_.num_named_barrier, max(0, .L__assert_fail.num_named_barrier)
	.set _Z35paged_attention_ll4mi_reduce_kernelI14__hip_bfloat16S0_Li128ELi128ELi256ELi1EEvPT0_PKfS4_PKT_PKiS9_iS4_.private_seg_size, 0+max(.L__assert_fail.private_seg_size)
	.set _Z35paged_attention_ll4mi_reduce_kernelI14__hip_bfloat16S0_Li128ELi128ELi256ELi1EEvPT0_PKfS4_PKT_PKiS9_iS4_.uses_vcc, or(1, .L__assert_fail.uses_vcc)
	.set _Z35paged_attention_ll4mi_reduce_kernelI14__hip_bfloat16S0_Li128ELi128ELi256ELi1EEvPT0_PKfS4_PKT_PKiS9_iS4_.uses_flat_scratch, or(0, .L__assert_fail.uses_flat_scratch)
	.set _Z35paged_attention_ll4mi_reduce_kernelI14__hip_bfloat16S0_Li128ELi128ELi256ELi1EEvPT0_PKfS4_PKT_PKiS9_iS4_.has_dyn_sized_stack, or(0, .L__assert_fail.has_dyn_sized_stack)
	.set _Z35paged_attention_ll4mi_reduce_kernelI14__hip_bfloat16S0_Li128ELi128ELi256ELi1EEvPT0_PKfS4_PKT_PKiS9_iS4_.has_recursion, or(0, .L__assert_fail.has_recursion)
	.set _Z35paged_attention_ll4mi_reduce_kernelI14__hip_bfloat16S0_Li128ELi128ELi256ELi1EEvPT0_PKfS4_PKT_PKiS9_iS4_.has_indirect_call, or(0, .L__assert_fail.has_indirect_call)
	.section	.AMDGPU.csdata,"",@progbits
; Kernel info:
; codeLenInByte = 64
; TotalNumSgprs: 36
; NumVgprs: 51
; ScratchSize: 64
; MemoryBound: 0
; FloatMode: 240
; IeeeMode: 1
; LDSByteSize: 0 bytes/workgroup (compile time only)
; SGPRBlocks: 0
; VGPRBlocks: 3
; NumSGPRsForWavesPerEU: 36
; NumVGPRsForWavesPerEU: 51
; NamedBarCnt: 0
; Occupancy: 16
; WaveLimiterHint : 1
; COMPUTE_PGM_RSRC2:SCRATCH_EN: 1
; COMPUTE_PGM_RSRC2:USER_SGPR: 2
; COMPUTE_PGM_RSRC2:TRAP_HANDLER: 0
; COMPUTE_PGM_RSRC2:TGID_X_EN: 1
; COMPUTE_PGM_RSRC2:TGID_Y_EN: 0
; COMPUTE_PGM_RSRC2:TGID_Z_EN: 0
; COMPUTE_PGM_RSRC2:TIDIG_COMP_CNT: 0
	.section	.text._Z35paged_attention_ll4mi_reduce_kernelI14__hip_bfloat16S0_Li128ELi128ELi256ELi2EEvPT0_PKfS4_PKT_PKiS9_iS4_,"axG",@progbits,_Z35paged_attention_ll4mi_reduce_kernelI14__hip_bfloat16S0_Li128ELi128ELi256ELi2EEvPT0_PKfS4_PKT_PKiS9_iS4_,comdat
	.protected	_Z35paged_attention_ll4mi_reduce_kernelI14__hip_bfloat16S0_Li128ELi128ELi256ELi2EEvPT0_PKfS4_PKT_PKiS9_iS4_ ; -- Begin function _Z35paged_attention_ll4mi_reduce_kernelI14__hip_bfloat16S0_Li128ELi128ELi256ELi2EEvPT0_PKfS4_PKT_PKiS9_iS4_
	.globl	_Z35paged_attention_ll4mi_reduce_kernelI14__hip_bfloat16S0_Li128ELi128ELi256ELi2EEvPT0_PKfS4_PKT_PKiS9_iS4_
	.p2align	8
	.type	_Z35paged_attention_ll4mi_reduce_kernelI14__hip_bfloat16S0_Li128ELi128ELi256ELi2EEvPT0_PKfS4_PKT_PKiS9_iS4_,@function
_Z35paged_attention_ll4mi_reduce_kernelI14__hip_bfloat16S0_Li128ELi128ELi256ELi2EEvPT0_PKfS4_PKT_PKiS9_iS4_: ; @_Z35paged_attention_ll4mi_reduce_kernelI14__hip_bfloat16S0_Li128ELi128ELi256ELi2EEvPT0_PKfS4_PKT_PKiS9_iS4_
; %bb.0:
	s_get_pc_i64 s[2:3]
	s_add_nc_u64 s[2:3], s[2:3], __PRETTY_FUNCTION__._Z35paged_attention_ll4mi_reduce_kernelI14__hip_bfloat16S0_Li128ELi128ELi256ELi2EEvPT0_PKfS4_PKT_PKiS9_iS4_@rel64+4
	s_delay_alu instid0(SALU_CYCLE_1)
	v_dual_mov_b32 v0, 0xbdd :: v_dual_mov_b32 v1, s2
	v_mov_b32_e32 v2, s3
	s_add_nc_u64 s[8:9], s[0:1], 64
	s_get_pc_i64 s[0:1]
	s_add_nc_u64 s[0:1], s[0:1], __assert_fail@rel64+4
	s_mov_b32 s32, 0
	s_swap_pc_i64 s[30:31], s[0:1]
	.section	.rodata,"a",@progbits
	.p2align	6, 0x0
	.amdhsa_kernel _Z35paged_attention_ll4mi_reduce_kernelI14__hip_bfloat16S0_Li128ELi128ELi256ELi2EEvPT0_PKfS4_PKT_PKiS9_iS4_
		.amdhsa_group_segment_fixed_size 0
		.amdhsa_private_segment_fixed_size 64
		.amdhsa_kernarg_size 320
		.amdhsa_user_sgpr_count 2
		.amdhsa_user_sgpr_dispatch_ptr 0
		.amdhsa_user_sgpr_queue_ptr 0
		.amdhsa_user_sgpr_kernarg_segment_ptr 1
		.amdhsa_user_sgpr_dispatch_id 0
		.amdhsa_user_sgpr_kernarg_preload_length 0
		.amdhsa_user_sgpr_kernarg_preload_offset 0
		.amdhsa_user_sgpr_private_segment_size 0
		.amdhsa_wavefront_size32 1
		.amdhsa_uses_dynamic_stack 0
		.amdhsa_enable_private_segment 1
		.amdhsa_system_sgpr_workgroup_id_x 1
		.amdhsa_system_sgpr_workgroup_id_y 0
		.amdhsa_system_sgpr_workgroup_id_z 0
		.amdhsa_system_sgpr_workgroup_info 0
		.amdhsa_system_vgpr_workitem_id 0
		.amdhsa_next_free_vgpr 51
		.amdhsa_next_free_sgpr 34
		.amdhsa_named_barrier_count 0
		.amdhsa_reserve_vcc 1
		.amdhsa_float_round_mode_32 0
		.amdhsa_float_round_mode_16_64 0
		.amdhsa_float_denorm_mode_32 3
		.amdhsa_float_denorm_mode_16_64 3
		.amdhsa_fp16_overflow 0
		.amdhsa_memory_ordered 1
		.amdhsa_forward_progress 1
		.amdhsa_inst_pref_size 1
		.amdhsa_round_robin_scheduling 0
		.amdhsa_exception_fp_ieee_invalid_op 0
		.amdhsa_exception_fp_denorm_src 0
		.amdhsa_exception_fp_ieee_div_zero 0
		.amdhsa_exception_fp_ieee_overflow 0
		.amdhsa_exception_fp_ieee_underflow 0
		.amdhsa_exception_fp_ieee_inexact 0
		.amdhsa_exception_int_div_zero 0
	.end_amdhsa_kernel
	.section	.text._Z35paged_attention_ll4mi_reduce_kernelI14__hip_bfloat16S0_Li128ELi128ELi256ELi2EEvPT0_PKfS4_PKT_PKiS9_iS4_,"axG",@progbits,_Z35paged_attention_ll4mi_reduce_kernelI14__hip_bfloat16S0_Li128ELi128ELi256ELi2EEvPT0_PKfS4_PKT_PKiS9_iS4_,comdat
.Lfunc_end651:
	.size	_Z35paged_attention_ll4mi_reduce_kernelI14__hip_bfloat16S0_Li128ELi128ELi256ELi2EEvPT0_PKfS4_PKT_PKiS9_iS4_, .Lfunc_end651-_Z35paged_attention_ll4mi_reduce_kernelI14__hip_bfloat16S0_Li128ELi128ELi256ELi2EEvPT0_PKfS4_PKT_PKiS9_iS4_
                                        ; -- End function
	.set _Z35paged_attention_ll4mi_reduce_kernelI14__hip_bfloat16S0_Li128ELi128ELi256ELi2EEvPT0_PKfS4_PKT_PKiS9_iS4_.num_vgpr, max(3, .L__assert_fail.num_vgpr)
	.set _Z35paged_attention_ll4mi_reduce_kernelI14__hip_bfloat16S0_Li128ELi128ELi256ELi2EEvPT0_PKfS4_PKT_PKiS9_iS4_.num_agpr, max(0, .L__assert_fail.num_agpr)
	.set _Z35paged_attention_ll4mi_reduce_kernelI14__hip_bfloat16S0_Li128ELi128ELi256ELi2EEvPT0_PKfS4_PKT_PKiS9_iS4_.numbered_sgpr, max(33, .L__assert_fail.numbered_sgpr)
	.set _Z35paged_attention_ll4mi_reduce_kernelI14__hip_bfloat16S0_Li128ELi128ELi256ELi2EEvPT0_PKfS4_PKT_PKiS9_iS4_.num_named_barrier, max(0, .L__assert_fail.num_named_barrier)
	.set _Z35paged_attention_ll4mi_reduce_kernelI14__hip_bfloat16S0_Li128ELi128ELi256ELi2EEvPT0_PKfS4_PKT_PKiS9_iS4_.private_seg_size, 0+max(.L__assert_fail.private_seg_size)
	.set _Z35paged_attention_ll4mi_reduce_kernelI14__hip_bfloat16S0_Li128ELi128ELi256ELi2EEvPT0_PKfS4_PKT_PKiS9_iS4_.uses_vcc, or(1, .L__assert_fail.uses_vcc)
	.set _Z35paged_attention_ll4mi_reduce_kernelI14__hip_bfloat16S0_Li128ELi128ELi256ELi2EEvPT0_PKfS4_PKT_PKiS9_iS4_.uses_flat_scratch, or(0, .L__assert_fail.uses_flat_scratch)
	.set _Z35paged_attention_ll4mi_reduce_kernelI14__hip_bfloat16S0_Li128ELi128ELi256ELi2EEvPT0_PKfS4_PKT_PKiS9_iS4_.has_dyn_sized_stack, or(0, .L__assert_fail.has_dyn_sized_stack)
	.set _Z35paged_attention_ll4mi_reduce_kernelI14__hip_bfloat16S0_Li128ELi128ELi256ELi2EEvPT0_PKfS4_PKT_PKiS9_iS4_.has_recursion, or(0, .L__assert_fail.has_recursion)
	.set _Z35paged_attention_ll4mi_reduce_kernelI14__hip_bfloat16S0_Li128ELi128ELi256ELi2EEvPT0_PKfS4_PKT_PKiS9_iS4_.has_indirect_call, or(0, .L__assert_fail.has_indirect_call)
	.section	.AMDGPU.csdata,"",@progbits
; Kernel info:
; codeLenInByte = 64
; TotalNumSgprs: 36
; NumVgprs: 51
; ScratchSize: 64
; MemoryBound: 0
; FloatMode: 240
; IeeeMode: 1
; LDSByteSize: 0 bytes/workgroup (compile time only)
; SGPRBlocks: 0
; VGPRBlocks: 3
; NumSGPRsForWavesPerEU: 36
; NumVGPRsForWavesPerEU: 51
; NamedBarCnt: 0
; Occupancy: 16
; WaveLimiterHint : 1
; COMPUTE_PGM_RSRC2:SCRATCH_EN: 1
; COMPUTE_PGM_RSRC2:USER_SGPR: 2
; COMPUTE_PGM_RSRC2:TRAP_HANDLER: 0
; COMPUTE_PGM_RSRC2:TGID_X_EN: 1
; COMPUTE_PGM_RSRC2:TGID_Y_EN: 0
; COMPUTE_PGM_RSRC2:TGID_Z_EN: 0
; COMPUTE_PGM_RSRC2:TIDIG_COMP_CNT: 0
	.section	.text._Z35paged_attention_ll4mi_reduce_kernelI14__hip_bfloat16S0_Li128ELi128ELi256ELi3EEvPT0_PKfS4_PKT_PKiS9_iS4_,"axG",@progbits,_Z35paged_attention_ll4mi_reduce_kernelI14__hip_bfloat16S0_Li128ELi128ELi256ELi3EEvPT0_PKfS4_PKT_PKiS9_iS4_,comdat
	.protected	_Z35paged_attention_ll4mi_reduce_kernelI14__hip_bfloat16S0_Li128ELi128ELi256ELi3EEvPT0_PKfS4_PKT_PKiS9_iS4_ ; -- Begin function _Z35paged_attention_ll4mi_reduce_kernelI14__hip_bfloat16S0_Li128ELi128ELi256ELi3EEvPT0_PKfS4_PKT_PKiS9_iS4_
	.globl	_Z35paged_attention_ll4mi_reduce_kernelI14__hip_bfloat16S0_Li128ELi128ELi256ELi3EEvPT0_PKfS4_PKT_PKiS9_iS4_
	.p2align	8
	.type	_Z35paged_attention_ll4mi_reduce_kernelI14__hip_bfloat16S0_Li128ELi128ELi256ELi3EEvPT0_PKfS4_PKT_PKiS9_iS4_,@function
_Z35paged_attention_ll4mi_reduce_kernelI14__hip_bfloat16S0_Li128ELi128ELi256ELi3EEvPT0_PKfS4_PKT_PKiS9_iS4_: ; @_Z35paged_attention_ll4mi_reduce_kernelI14__hip_bfloat16S0_Li128ELi128ELi256ELi3EEvPT0_PKfS4_PKT_PKiS9_iS4_
; %bb.0:
	s_get_pc_i64 s[2:3]
	s_add_nc_u64 s[2:3], s[2:3], __PRETTY_FUNCTION__._Z35paged_attention_ll4mi_reduce_kernelI14__hip_bfloat16S0_Li128ELi128ELi256ELi3EEvPT0_PKfS4_PKT_PKiS9_iS4_@rel64+4
	s_delay_alu instid0(SALU_CYCLE_1)
	v_dual_mov_b32 v0, 0xbdd :: v_dual_mov_b32 v1, s2
	v_mov_b32_e32 v2, s3
	s_add_nc_u64 s[8:9], s[0:1], 64
	s_get_pc_i64 s[0:1]
	s_add_nc_u64 s[0:1], s[0:1], __assert_fail@rel64+4
	s_mov_b32 s32, 0
	s_swap_pc_i64 s[30:31], s[0:1]
	.section	.rodata,"a",@progbits
	.p2align	6, 0x0
	.amdhsa_kernel _Z35paged_attention_ll4mi_reduce_kernelI14__hip_bfloat16S0_Li128ELi128ELi256ELi3EEvPT0_PKfS4_PKT_PKiS9_iS4_
		.amdhsa_group_segment_fixed_size 0
		.amdhsa_private_segment_fixed_size 64
		.amdhsa_kernarg_size 320
		.amdhsa_user_sgpr_count 2
		.amdhsa_user_sgpr_dispatch_ptr 0
		.amdhsa_user_sgpr_queue_ptr 0
		.amdhsa_user_sgpr_kernarg_segment_ptr 1
		.amdhsa_user_sgpr_dispatch_id 0
		.amdhsa_user_sgpr_kernarg_preload_length 0
		.amdhsa_user_sgpr_kernarg_preload_offset 0
		.amdhsa_user_sgpr_private_segment_size 0
		.amdhsa_wavefront_size32 1
		.amdhsa_uses_dynamic_stack 0
		.amdhsa_enable_private_segment 1
		.amdhsa_system_sgpr_workgroup_id_x 1
		.amdhsa_system_sgpr_workgroup_id_y 0
		.amdhsa_system_sgpr_workgroup_id_z 0
		.amdhsa_system_sgpr_workgroup_info 0
		.amdhsa_system_vgpr_workitem_id 0
		.amdhsa_next_free_vgpr 51
		.amdhsa_next_free_sgpr 34
		.amdhsa_named_barrier_count 0
		.amdhsa_reserve_vcc 1
		.amdhsa_float_round_mode_32 0
		.amdhsa_float_round_mode_16_64 0
		.amdhsa_float_denorm_mode_32 3
		.amdhsa_float_denorm_mode_16_64 3
		.amdhsa_fp16_overflow 0
		.amdhsa_memory_ordered 1
		.amdhsa_forward_progress 1
		.amdhsa_inst_pref_size 1
		.amdhsa_round_robin_scheduling 0
		.amdhsa_exception_fp_ieee_invalid_op 0
		.amdhsa_exception_fp_denorm_src 0
		.amdhsa_exception_fp_ieee_div_zero 0
		.amdhsa_exception_fp_ieee_overflow 0
		.amdhsa_exception_fp_ieee_underflow 0
		.amdhsa_exception_fp_ieee_inexact 0
		.amdhsa_exception_int_div_zero 0
	.end_amdhsa_kernel
	.section	.text._Z35paged_attention_ll4mi_reduce_kernelI14__hip_bfloat16S0_Li128ELi128ELi256ELi3EEvPT0_PKfS4_PKT_PKiS9_iS4_,"axG",@progbits,_Z35paged_attention_ll4mi_reduce_kernelI14__hip_bfloat16S0_Li128ELi128ELi256ELi3EEvPT0_PKfS4_PKT_PKiS9_iS4_,comdat
.Lfunc_end652:
	.size	_Z35paged_attention_ll4mi_reduce_kernelI14__hip_bfloat16S0_Li128ELi128ELi256ELi3EEvPT0_PKfS4_PKT_PKiS9_iS4_, .Lfunc_end652-_Z35paged_attention_ll4mi_reduce_kernelI14__hip_bfloat16S0_Li128ELi128ELi256ELi3EEvPT0_PKfS4_PKT_PKiS9_iS4_
                                        ; -- End function
	.set _Z35paged_attention_ll4mi_reduce_kernelI14__hip_bfloat16S0_Li128ELi128ELi256ELi3EEvPT0_PKfS4_PKT_PKiS9_iS4_.num_vgpr, max(3, .L__assert_fail.num_vgpr)
	.set _Z35paged_attention_ll4mi_reduce_kernelI14__hip_bfloat16S0_Li128ELi128ELi256ELi3EEvPT0_PKfS4_PKT_PKiS9_iS4_.num_agpr, max(0, .L__assert_fail.num_agpr)
	.set _Z35paged_attention_ll4mi_reduce_kernelI14__hip_bfloat16S0_Li128ELi128ELi256ELi3EEvPT0_PKfS4_PKT_PKiS9_iS4_.numbered_sgpr, max(33, .L__assert_fail.numbered_sgpr)
	.set _Z35paged_attention_ll4mi_reduce_kernelI14__hip_bfloat16S0_Li128ELi128ELi256ELi3EEvPT0_PKfS4_PKT_PKiS9_iS4_.num_named_barrier, max(0, .L__assert_fail.num_named_barrier)
	.set _Z35paged_attention_ll4mi_reduce_kernelI14__hip_bfloat16S0_Li128ELi128ELi256ELi3EEvPT0_PKfS4_PKT_PKiS9_iS4_.private_seg_size, 0+max(.L__assert_fail.private_seg_size)
	.set _Z35paged_attention_ll4mi_reduce_kernelI14__hip_bfloat16S0_Li128ELi128ELi256ELi3EEvPT0_PKfS4_PKT_PKiS9_iS4_.uses_vcc, or(1, .L__assert_fail.uses_vcc)
	.set _Z35paged_attention_ll4mi_reduce_kernelI14__hip_bfloat16S0_Li128ELi128ELi256ELi3EEvPT0_PKfS4_PKT_PKiS9_iS4_.uses_flat_scratch, or(0, .L__assert_fail.uses_flat_scratch)
	.set _Z35paged_attention_ll4mi_reduce_kernelI14__hip_bfloat16S0_Li128ELi128ELi256ELi3EEvPT0_PKfS4_PKT_PKiS9_iS4_.has_dyn_sized_stack, or(0, .L__assert_fail.has_dyn_sized_stack)
	.set _Z35paged_attention_ll4mi_reduce_kernelI14__hip_bfloat16S0_Li128ELi128ELi256ELi3EEvPT0_PKfS4_PKT_PKiS9_iS4_.has_recursion, or(0, .L__assert_fail.has_recursion)
	.set _Z35paged_attention_ll4mi_reduce_kernelI14__hip_bfloat16S0_Li128ELi128ELi256ELi3EEvPT0_PKfS4_PKT_PKiS9_iS4_.has_indirect_call, or(0, .L__assert_fail.has_indirect_call)
	.section	.AMDGPU.csdata,"",@progbits
; Kernel info:
; codeLenInByte = 64
; TotalNumSgprs: 36
; NumVgprs: 51
; ScratchSize: 64
; MemoryBound: 0
; FloatMode: 240
; IeeeMode: 1
; LDSByteSize: 0 bytes/workgroup (compile time only)
; SGPRBlocks: 0
; VGPRBlocks: 3
; NumSGPRsForWavesPerEU: 36
; NumVGPRsForWavesPerEU: 51
; NamedBarCnt: 0
; Occupancy: 16
; WaveLimiterHint : 1
; COMPUTE_PGM_RSRC2:SCRATCH_EN: 1
; COMPUTE_PGM_RSRC2:USER_SGPR: 2
; COMPUTE_PGM_RSRC2:TRAP_HANDLER: 0
; COMPUTE_PGM_RSRC2:TGID_X_EN: 1
; COMPUTE_PGM_RSRC2:TGID_Y_EN: 0
; COMPUTE_PGM_RSRC2:TGID_Z_EN: 0
; COMPUTE_PGM_RSRC2:TIDIG_COMP_CNT: 0
	.section	.text._Z35paged_attention_ll4mi_reduce_kernelI14__hip_bfloat16S0_Li128ELi128ELi256ELi4EEvPT0_PKfS4_PKT_PKiS9_iS4_,"axG",@progbits,_Z35paged_attention_ll4mi_reduce_kernelI14__hip_bfloat16S0_Li128ELi128ELi256ELi4EEvPT0_PKfS4_PKT_PKiS9_iS4_,comdat
	.protected	_Z35paged_attention_ll4mi_reduce_kernelI14__hip_bfloat16S0_Li128ELi128ELi256ELi4EEvPT0_PKfS4_PKT_PKiS9_iS4_ ; -- Begin function _Z35paged_attention_ll4mi_reduce_kernelI14__hip_bfloat16S0_Li128ELi128ELi256ELi4EEvPT0_PKfS4_PKT_PKiS9_iS4_
	.globl	_Z35paged_attention_ll4mi_reduce_kernelI14__hip_bfloat16S0_Li128ELi128ELi256ELi4EEvPT0_PKfS4_PKT_PKiS9_iS4_
	.p2align	8
	.type	_Z35paged_attention_ll4mi_reduce_kernelI14__hip_bfloat16S0_Li128ELi128ELi256ELi4EEvPT0_PKfS4_PKT_PKiS9_iS4_,@function
_Z35paged_attention_ll4mi_reduce_kernelI14__hip_bfloat16S0_Li128ELi128ELi256ELi4EEvPT0_PKfS4_PKT_PKiS9_iS4_: ; @_Z35paged_attention_ll4mi_reduce_kernelI14__hip_bfloat16S0_Li128ELi128ELi256ELi4EEvPT0_PKfS4_PKT_PKiS9_iS4_
; %bb.0:
	s_get_pc_i64 s[2:3]
	s_add_nc_u64 s[2:3], s[2:3], __PRETTY_FUNCTION__._Z35paged_attention_ll4mi_reduce_kernelI14__hip_bfloat16S0_Li128ELi128ELi256ELi4EEvPT0_PKfS4_PKT_PKiS9_iS4_@rel64+4
	s_delay_alu instid0(SALU_CYCLE_1)
	v_dual_mov_b32 v0, 0xbdd :: v_dual_mov_b32 v1, s2
	v_mov_b32_e32 v2, s3
	s_add_nc_u64 s[8:9], s[0:1], 64
	s_get_pc_i64 s[0:1]
	s_add_nc_u64 s[0:1], s[0:1], __assert_fail@rel64+4
	s_mov_b32 s32, 0
	s_swap_pc_i64 s[30:31], s[0:1]
	.section	.rodata,"a",@progbits
	.p2align	6, 0x0
	.amdhsa_kernel _Z35paged_attention_ll4mi_reduce_kernelI14__hip_bfloat16S0_Li128ELi128ELi256ELi4EEvPT0_PKfS4_PKT_PKiS9_iS4_
		.amdhsa_group_segment_fixed_size 0
		.amdhsa_private_segment_fixed_size 64
		.amdhsa_kernarg_size 320
		.amdhsa_user_sgpr_count 2
		.amdhsa_user_sgpr_dispatch_ptr 0
		.amdhsa_user_sgpr_queue_ptr 0
		.amdhsa_user_sgpr_kernarg_segment_ptr 1
		.amdhsa_user_sgpr_dispatch_id 0
		.amdhsa_user_sgpr_kernarg_preload_length 0
		.amdhsa_user_sgpr_kernarg_preload_offset 0
		.amdhsa_user_sgpr_private_segment_size 0
		.amdhsa_wavefront_size32 1
		.amdhsa_uses_dynamic_stack 0
		.amdhsa_enable_private_segment 1
		.amdhsa_system_sgpr_workgroup_id_x 1
		.amdhsa_system_sgpr_workgroup_id_y 0
		.amdhsa_system_sgpr_workgroup_id_z 0
		.amdhsa_system_sgpr_workgroup_info 0
		.amdhsa_system_vgpr_workitem_id 0
		.amdhsa_next_free_vgpr 51
		.amdhsa_next_free_sgpr 34
		.amdhsa_named_barrier_count 0
		.amdhsa_reserve_vcc 1
		.amdhsa_float_round_mode_32 0
		.amdhsa_float_round_mode_16_64 0
		.amdhsa_float_denorm_mode_32 3
		.amdhsa_float_denorm_mode_16_64 3
		.amdhsa_fp16_overflow 0
		.amdhsa_memory_ordered 1
		.amdhsa_forward_progress 1
		.amdhsa_inst_pref_size 1
		.amdhsa_round_robin_scheduling 0
		.amdhsa_exception_fp_ieee_invalid_op 0
		.amdhsa_exception_fp_denorm_src 0
		.amdhsa_exception_fp_ieee_div_zero 0
		.amdhsa_exception_fp_ieee_overflow 0
		.amdhsa_exception_fp_ieee_underflow 0
		.amdhsa_exception_fp_ieee_inexact 0
		.amdhsa_exception_int_div_zero 0
	.end_amdhsa_kernel
	.section	.text._Z35paged_attention_ll4mi_reduce_kernelI14__hip_bfloat16S0_Li128ELi128ELi256ELi4EEvPT0_PKfS4_PKT_PKiS9_iS4_,"axG",@progbits,_Z35paged_attention_ll4mi_reduce_kernelI14__hip_bfloat16S0_Li128ELi128ELi256ELi4EEvPT0_PKfS4_PKT_PKiS9_iS4_,comdat
.Lfunc_end653:
	.size	_Z35paged_attention_ll4mi_reduce_kernelI14__hip_bfloat16S0_Li128ELi128ELi256ELi4EEvPT0_PKfS4_PKT_PKiS9_iS4_, .Lfunc_end653-_Z35paged_attention_ll4mi_reduce_kernelI14__hip_bfloat16S0_Li128ELi128ELi256ELi4EEvPT0_PKfS4_PKT_PKiS9_iS4_
                                        ; -- End function
	.set _Z35paged_attention_ll4mi_reduce_kernelI14__hip_bfloat16S0_Li128ELi128ELi256ELi4EEvPT0_PKfS4_PKT_PKiS9_iS4_.num_vgpr, max(3, .L__assert_fail.num_vgpr)
	.set _Z35paged_attention_ll4mi_reduce_kernelI14__hip_bfloat16S0_Li128ELi128ELi256ELi4EEvPT0_PKfS4_PKT_PKiS9_iS4_.num_agpr, max(0, .L__assert_fail.num_agpr)
	.set _Z35paged_attention_ll4mi_reduce_kernelI14__hip_bfloat16S0_Li128ELi128ELi256ELi4EEvPT0_PKfS4_PKT_PKiS9_iS4_.numbered_sgpr, max(33, .L__assert_fail.numbered_sgpr)
	.set _Z35paged_attention_ll4mi_reduce_kernelI14__hip_bfloat16S0_Li128ELi128ELi256ELi4EEvPT0_PKfS4_PKT_PKiS9_iS4_.num_named_barrier, max(0, .L__assert_fail.num_named_barrier)
	.set _Z35paged_attention_ll4mi_reduce_kernelI14__hip_bfloat16S0_Li128ELi128ELi256ELi4EEvPT0_PKfS4_PKT_PKiS9_iS4_.private_seg_size, 0+max(.L__assert_fail.private_seg_size)
	.set _Z35paged_attention_ll4mi_reduce_kernelI14__hip_bfloat16S0_Li128ELi128ELi256ELi4EEvPT0_PKfS4_PKT_PKiS9_iS4_.uses_vcc, or(1, .L__assert_fail.uses_vcc)
	.set _Z35paged_attention_ll4mi_reduce_kernelI14__hip_bfloat16S0_Li128ELi128ELi256ELi4EEvPT0_PKfS4_PKT_PKiS9_iS4_.uses_flat_scratch, or(0, .L__assert_fail.uses_flat_scratch)
	.set _Z35paged_attention_ll4mi_reduce_kernelI14__hip_bfloat16S0_Li128ELi128ELi256ELi4EEvPT0_PKfS4_PKT_PKiS9_iS4_.has_dyn_sized_stack, or(0, .L__assert_fail.has_dyn_sized_stack)
	.set _Z35paged_attention_ll4mi_reduce_kernelI14__hip_bfloat16S0_Li128ELi128ELi256ELi4EEvPT0_PKfS4_PKT_PKiS9_iS4_.has_recursion, or(0, .L__assert_fail.has_recursion)
	.set _Z35paged_attention_ll4mi_reduce_kernelI14__hip_bfloat16S0_Li128ELi128ELi256ELi4EEvPT0_PKfS4_PKT_PKiS9_iS4_.has_indirect_call, or(0, .L__assert_fail.has_indirect_call)
	.section	.AMDGPU.csdata,"",@progbits
; Kernel info:
; codeLenInByte = 64
; TotalNumSgprs: 36
; NumVgprs: 51
; ScratchSize: 64
; MemoryBound: 0
; FloatMode: 240
; IeeeMode: 1
; LDSByteSize: 0 bytes/workgroup (compile time only)
; SGPRBlocks: 0
; VGPRBlocks: 3
; NumSGPRsForWavesPerEU: 36
; NumVGPRsForWavesPerEU: 51
; NamedBarCnt: 0
; Occupancy: 16
; WaveLimiterHint : 1
; COMPUTE_PGM_RSRC2:SCRATCH_EN: 1
; COMPUTE_PGM_RSRC2:USER_SGPR: 2
; COMPUTE_PGM_RSRC2:TRAP_HANDLER: 0
; COMPUTE_PGM_RSRC2:TGID_X_EN: 1
; COMPUTE_PGM_RSRC2:TGID_Y_EN: 0
; COMPUTE_PGM_RSRC2:TGID_Z_EN: 0
; COMPUTE_PGM_RSRC2:TIDIG_COMP_CNT: 0
	.section	.text._Z35paged_attention_ll4mi_reduce_kernelI14__hip_bfloat16S0_Li128ELi128ELi256ELi5EEvPT0_PKfS4_PKT_PKiS9_iS4_,"axG",@progbits,_Z35paged_attention_ll4mi_reduce_kernelI14__hip_bfloat16S0_Li128ELi128ELi256ELi5EEvPT0_PKfS4_PKT_PKiS9_iS4_,comdat
	.protected	_Z35paged_attention_ll4mi_reduce_kernelI14__hip_bfloat16S0_Li128ELi128ELi256ELi5EEvPT0_PKfS4_PKT_PKiS9_iS4_ ; -- Begin function _Z35paged_attention_ll4mi_reduce_kernelI14__hip_bfloat16S0_Li128ELi128ELi256ELi5EEvPT0_PKfS4_PKT_PKiS9_iS4_
	.globl	_Z35paged_attention_ll4mi_reduce_kernelI14__hip_bfloat16S0_Li128ELi128ELi256ELi5EEvPT0_PKfS4_PKT_PKiS9_iS4_
	.p2align	8
	.type	_Z35paged_attention_ll4mi_reduce_kernelI14__hip_bfloat16S0_Li128ELi128ELi256ELi5EEvPT0_PKfS4_PKT_PKiS9_iS4_,@function
_Z35paged_attention_ll4mi_reduce_kernelI14__hip_bfloat16S0_Li128ELi128ELi256ELi5EEvPT0_PKfS4_PKT_PKiS9_iS4_: ; @_Z35paged_attention_ll4mi_reduce_kernelI14__hip_bfloat16S0_Li128ELi128ELi256ELi5EEvPT0_PKfS4_PKT_PKiS9_iS4_
; %bb.0:
	s_get_pc_i64 s[2:3]
	s_add_nc_u64 s[2:3], s[2:3], __PRETTY_FUNCTION__._Z35paged_attention_ll4mi_reduce_kernelI14__hip_bfloat16S0_Li128ELi128ELi256ELi5EEvPT0_PKfS4_PKT_PKiS9_iS4_@rel64+4
	s_delay_alu instid0(SALU_CYCLE_1)
	v_dual_mov_b32 v0, 0xbdd :: v_dual_mov_b32 v1, s2
	v_mov_b32_e32 v2, s3
	s_add_nc_u64 s[8:9], s[0:1], 64
	s_get_pc_i64 s[0:1]
	s_add_nc_u64 s[0:1], s[0:1], __assert_fail@rel64+4
	s_mov_b32 s32, 0
	s_swap_pc_i64 s[30:31], s[0:1]
	.section	.rodata,"a",@progbits
	.p2align	6, 0x0
	.amdhsa_kernel _Z35paged_attention_ll4mi_reduce_kernelI14__hip_bfloat16S0_Li128ELi128ELi256ELi5EEvPT0_PKfS4_PKT_PKiS9_iS4_
		.amdhsa_group_segment_fixed_size 0
		.amdhsa_private_segment_fixed_size 64
		.amdhsa_kernarg_size 320
		.amdhsa_user_sgpr_count 2
		.amdhsa_user_sgpr_dispatch_ptr 0
		.amdhsa_user_sgpr_queue_ptr 0
		.amdhsa_user_sgpr_kernarg_segment_ptr 1
		.amdhsa_user_sgpr_dispatch_id 0
		.amdhsa_user_sgpr_kernarg_preload_length 0
		.amdhsa_user_sgpr_kernarg_preload_offset 0
		.amdhsa_user_sgpr_private_segment_size 0
		.amdhsa_wavefront_size32 1
		.amdhsa_uses_dynamic_stack 0
		.amdhsa_enable_private_segment 1
		.amdhsa_system_sgpr_workgroup_id_x 1
		.amdhsa_system_sgpr_workgroup_id_y 0
		.amdhsa_system_sgpr_workgroup_id_z 0
		.amdhsa_system_sgpr_workgroup_info 0
		.amdhsa_system_vgpr_workitem_id 0
		.amdhsa_next_free_vgpr 51
		.amdhsa_next_free_sgpr 34
		.amdhsa_named_barrier_count 0
		.amdhsa_reserve_vcc 1
		.amdhsa_float_round_mode_32 0
		.amdhsa_float_round_mode_16_64 0
		.amdhsa_float_denorm_mode_32 3
		.amdhsa_float_denorm_mode_16_64 3
		.amdhsa_fp16_overflow 0
		.amdhsa_memory_ordered 1
		.amdhsa_forward_progress 1
		.amdhsa_inst_pref_size 1
		.amdhsa_round_robin_scheduling 0
		.amdhsa_exception_fp_ieee_invalid_op 0
		.amdhsa_exception_fp_denorm_src 0
		.amdhsa_exception_fp_ieee_div_zero 0
		.amdhsa_exception_fp_ieee_overflow 0
		.amdhsa_exception_fp_ieee_underflow 0
		.amdhsa_exception_fp_ieee_inexact 0
		.amdhsa_exception_int_div_zero 0
	.end_amdhsa_kernel
	.section	.text._Z35paged_attention_ll4mi_reduce_kernelI14__hip_bfloat16S0_Li128ELi128ELi256ELi5EEvPT0_PKfS4_PKT_PKiS9_iS4_,"axG",@progbits,_Z35paged_attention_ll4mi_reduce_kernelI14__hip_bfloat16S0_Li128ELi128ELi256ELi5EEvPT0_PKfS4_PKT_PKiS9_iS4_,comdat
.Lfunc_end654:
	.size	_Z35paged_attention_ll4mi_reduce_kernelI14__hip_bfloat16S0_Li128ELi128ELi256ELi5EEvPT0_PKfS4_PKT_PKiS9_iS4_, .Lfunc_end654-_Z35paged_attention_ll4mi_reduce_kernelI14__hip_bfloat16S0_Li128ELi128ELi256ELi5EEvPT0_PKfS4_PKT_PKiS9_iS4_
                                        ; -- End function
	.set _Z35paged_attention_ll4mi_reduce_kernelI14__hip_bfloat16S0_Li128ELi128ELi256ELi5EEvPT0_PKfS4_PKT_PKiS9_iS4_.num_vgpr, max(3, .L__assert_fail.num_vgpr)
	.set _Z35paged_attention_ll4mi_reduce_kernelI14__hip_bfloat16S0_Li128ELi128ELi256ELi5EEvPT0_PKfS4_PKT_PKiS9_iS4_.num_agpr, max(0, .L__assert_fail.num_agpr)
	.set _Z35paged_attention_ll4mi_reduce_kernelI14__hip_bfloat16S0_Li128ELi128ELi256ELi5EEvPT0_PKfS4_PKT_PKiS9_iS4_.numbered_sgpr, max(33, .L__assert_fail.numbered_sgpr)
	.set _Z35paged_attention_ll4mi_reduce_kernelI14__hip_bfloat16S0_Li128ELi128ELi256ELi5EEvPT0_PKfS4_PKT_PKiS9_iS4_.num_named_barrier, max(0, .L__assert_fail.num_named_barrier)
	.set _Z35paged_attention_ll4mi_reduce_kernelI14__hip_bfloat16S0_Li128ELi128ELi256ELi5EEvPT0_PKfS4_PKT_PKiS9_iS4_.private_seg_size, 0+max(.L__assert_fail.private_seg_size)
	.set _Z35paged_attention_ll4mi_reduce_kernelI14__hip_bfloat16S0_Li128ELi128ELi256ELi5EEvPT0_PKfS4_PKT_PKiS9_iS4_.uses_vcc, or(1, .L__assert_fail.uses_vcc)
	.set _Z35paged_attention_ll4mi_reduce_kernelI14__hip_bfloat16S0_Li128ELi128ELi256ELi5EEvPT0_PKfS4_PKT_PKiS9_iS4_.uses_flat_scratch, or(0, .L__assert_fail.uses_flat_scratch)
	.set _Z35paged_attention_ll4mi_reduce_kernelI14__hip_bfloat16S0_Li128ELi128ELi256ELi5EEvPT0_PKfS4_PKT_PKiS9_iS4_.has_dyn_sized_stack, or(0, .L__assert_fail.has_dyn_sized_stack)
	.set _Z35paged_attention_ll4mi_reduce_kernelI14__hip_bfloat16S0_Li128ELi128ELi256ELi5EEvPT0_PKfS4_PKT_PKiS9_iS4_.has_recursion, or(0, .L__assert_fail.has_recursion)
	.set _Z35paged_attention_ll4mi_reduce_kernelI14__hip_bfloat16S0_Li128ELi128ELi256ELi5EEvPT0_PKfS4_PKT_PKiS9_iS4_.has_indirect_call, or(0, .L__assert_fail.has_indirect_call)
	.section	.AMDGPU.csdata,"",@progbits
; Kernel info:
; codeLenInByte = 64
; TotalNumSgprs: 36
; NumVgprs: 51
; ScratchSize: 64
; MemoryBound: 0
; FloatMode: 240
; IeeeMode: 1
; LDSByteSize: 0 bytes/workgroup (compile time only)
; SGPRBlocks: 0
; VGPRBlocks: 3
; NumSGPRsForWavesPerEU: 36
; NumVGPRsForWavesPerEU: 51
; NamedBarCnt: 0
; Occupancy: 16
; WaveLimiterHint : 1
; COMPUTE_PGM_RSRC2:SCRATCH_EN: 1
; COMPUTE_PGM_RSRC2:USER_SGPR: 2
; COMPUTE_PGM_RSRC2:TRAP_HANDLER: 0
; COMPUTE_PGM_RSRC2:TGID_X_EN: 1
; COMPUTE_PGM_RSRC2:TGID_Y_EN: 0
; COMPUTE_PGM_RSRC2:TGID_Z_EN: 0
; COMPUTE_PGM_RSRC2:TIDIG_COMP_CNT: 0
	.section	.text._Z35paged_attention_ll4mi_reduce_kernelI14__hip_bfloat16S0_Li128ELi128ELi256ELi6EEvPT0_PKfS4_PKT_PKiS9_iS4_,"axG",@progbits,_Z35paged_attention_ll4mi_reduce_kernelI14__hip_bfloat16S0_Li128ELi128ELi256ELi6EEvPT0_PKfS4_PKT_PKiS9_iS4_,comdat
	.protected	_Z35paged_attention_ll4mi_reduce_kernelI14__hip_bfloat16S0_Li128ELi128ELi256ELi6EEvPT0_PKfS4_PKT_PKiS9_iS4_ ; -- Begin function _Z35paged_attention_ll4mi_reduce_kernelI14__hip_bfloat16S0_Li128ELi128ELi256ELi6EEvPT0_PKfS4_PKT_PKiS9_iS4_
	.globl	_Z35paged_attention_ll4mi_reduce_kernelI14__hip_bfloat16S0_Li128ELi128ELi256ELi6EEvPT0_PKfS4_PKT_PKiS9_iS4_
	.p2align	8
	.type	_Z35paged_attention_ll4mi_reduce_kernelI14__hip_bfloat16S0_Li128ELi128ELi256ELi6EEvPT0_PKfS4_PKT_PKiS9_iS4_,@function
_Z35paged_attention_ll4mi_reduce_kernelI14__hip_bfloat16S0_Li128ELi128ELi256ELi6EEvPT0_PKfS4_PKT_PKiS9_iS4_: ; @_Z35paged_attention_ll4mi_reduce_kernelI14__hip_bfloat16S0_Li128ELi128ELi256ELi6EEvPT0_PKfS4_PKT_PKiS9_iS4_
; %bb.0:
	s_get_pc_i64 s[2:3]
	s_add_nc_u64 s[2:3], s[2:3], __PRETTY_FUNCTION__._Z35paged_attention_ll4mi_reduce_kernelI14__hip_bfloat16S0_Li128ELi128ELi256ELi6EEvPT0_PKfS4_PKT_PKiS9_iS4_@rel64+4
	s_delay_alu instid0(SALU_CYCLE_1)
	v_dual_mov_b32 v0, 0xbdd :: v_dual_mov_b32 v1, s2
	v_mov_b32_e32 v2, s3
	s_add_nc_u64 s[8:9], s[0:1], 64
	s_get_pc_i64 s[0:1]
	s_add_nc_u64 s[0:1], s[0:1], __assert_fail@rel64+4
	s_mov_b32 s32, 0
	s_swap_pc_i64 s[30:31], s[0:1]
	.section	.rodata,"a",@progbits
	.p2align	6, 0x0
	.amdhsa_kernel _Z35paged_attention_ll4mi_reduce_kernelI14__hip_bfloat16S0_Li128ELi128ELi256ELi6EEvPT0_PKfS4_PKT_PKiS9_iS4_
		.amdhsa_group_segment_fixed_size 0
		.amdhsa_private_segment_fixed_size 64
		.amdhsa_kernarg_size 320
		.amdhsa_user_sgpr_count 2
		.amdhsa_user_sgpr_dispatch_ptr 0
		.amdhsa_user_sgpr_queue_ptr 0
		.amdhsa_user_sgpr_kernarg_segment_ptr 1
		.amdhsa_user_sgpr_dispatch_id 0
		.amdhsa_user_sgpr_kernarg_preload_length 0
		.amdhsa_user_sgpr_kernarg_preload_offset 0
		.amdhsa_user_sgpr_private_segment_size 0
		.amdhsa_wavefront_size32 1
		.amdhsa_uses_dynamic_stack 0
		.amdhsa_enable_private_segment 1
		.amdhsa_system_sgpr_workgroup_id_x 1
		.amdhsa_system_sgpr_workgroup_id_y 0
		.amdhsa_system_sgpr_workgroup_id_z 0
		.amdhsa_system_sgpr_workgroup_info 0
		.amdhsa_system_vgpr_workitem_id 0
		.amdhsa_next_free_vgpr 51
		.amdhsa_next_free_sgpr 34
		.amdhsa_named_barrier_count 0
		.amdhsa_reserve_vcc 1
		.amdhsa_float_round_mode_32 0
		.amdhsa_float_round_mode_16_64 0
		.amdhsa_float_denorm_mode_32 3
		.amdhsa_float_denorm_mode_16_64 3
		.amdhsa_fp16_overflow 0
		.amdhsa_memory_ordered 1
		.amdhsa_forward_progress 1
		.amdhsa_inst_pref_size 1
		.amdhsa_round_robin_scheduling 0
		.amdhsa_exception_fp_ieee_invalid_op 0
		.amdhsa_exception_fp_denorm_src 0
		.amdhsa_exception_fp_ieee_div_zero 0
		.amdhsa_exception_fp_ieee_overflow 0
		.amdhsa_exception_fp_ieee_underflow 0
		.amdhsa_exception_fp_ieee_inexact 0
		.amdhsa_exception_int_div_zero 0
	.end_amdhsa_kernel
	.section	.text._Z35paged_attention_ll4mi_reduce_kernelI14__hip_bfloat16S0_Li128ELi128ELi256ELi6EEvPT0_PKfS4_PKT_PKiS9_iS4_,"axG",@progbits,_Z35paged_attention_ll4mi_reduce_kernelI14__hip_bfloat16S0_Li128ELi128ELi256ELi6EEvPT0_PKfS4_PKT_PKiS9_iS4_,comdat
.Lfunc_end655:
	.size	_Z35paged_attention_ll4mi_reduce_kernelI14__hip_bfloat16S0_Li128ELi128ELi256ELi6EEvPT0_PKfS4_PKT_PKiS9_iS4_, .Lfunc_end655-_Z35paged_attention_ll4mi_reduce_kernelI14__hip_bfloat16S0_Li128ELi128ELi256ELi6EEvPT0_PKfS4_PKT_PKiS9_iS4_
                                        ; -- End function
	.set _Z35paged_attention_ll4mi_reduce_kernelI14__hip_bfloat16S0_Li128ELi128ELi256ELi6EEvPT0_PKfS4_PKT_PKiS9_iS4_.num_vgpr, max(3, .L__assert_fail.num_vgpr)
	.set _Z35paged_attention_ll4mi_reduce_kernelI14__hip_bfloat16S0_Li128ELi128ELi256ELi6EEvPT0_PKfS4_PKT_PKiS9_iS4_.num_agpr, max(0, .L__assert_fail.num_agpr)
	.set _Z35paged_attention_ll4mi_reduce_kernelI14__hip_bfloat16S0_Li128ELi128ELi256ELi6EEvPT0_PKfS4_PKT_PKiS9_iS4_.numbered_sgpr, max(33, .L__assert_fail.numbered_sgpr)
	.set _Z35paged_attention_ll4mi_reduce_kernelI14__hip_bfloat16S0_Li128ELi128ELi256ELi6EEvPT0_PKfS4_PKT_PKiS9_iS4_.num_named_barrier, max(0, .L__assert_fail.num_named_barrier)
	.set _Z35paged_attention_ll4mi_reduce_kernelI14__hip_bfloat16S0_Li128ELi128ELi256ELi6EEvPT0_PKfS4_PKT_PKiS9_iS4_.private_seg_size, 0+max(.L__assert_fail.private_seg_size)
	.set _Z35paged_attention_ll4mi_reduce_kernelI14__hip_bfloat16S0_Li128ELi128ELi256ELi6EEvPT0_PKfS4_PKT_PKiS9_iS4_.uses_vcc, or(1, .L__assert_fail.uses_vcc)
	.set _Z35paged_attention_ll4mi_reduce_kernelI14__hip_bfloat16S0_Li128ELi128ELi256ELi6EEvPT0_PKfS4_PKT_PKiS9_iS4_.uses_flat_scratch, or(0, .L__assert_fail.uses_flat_scratch)
	.set _Z35paged_attention_ll4mi_reduce_kernelI14__hip_bfloat16S0_Li128ELi128ELi256ELi6EEvPT0_PKfS4_PKT_PKiS9_iS4_.has_dyn_sized_stack, or(0, .L__assert_fail.has_dyn_sized_stack)
	.set _Z35paged_attention_ll4mi_reduce_kernelI14__hip_bfloat16S0_Li128ELi128ELi256ELi6EEvPT0_PKfS4_PKT_PKiS9_iS4_.has_recursion, or(0, .L__assert_fail.has_recursion)
	.set _Z35paged_attention_ll4mi_reduce_kernelI14__hip_bfloat16S0_Li128ELi128ELi256ELi6EEvPT0_PKfS4_PKT_PKiS9_iS4_.has_indirect_call, or(0, .L__assert_fail.has_indirect_call)
	.section	.AMDGPU.csdata,"",@progbits
; Kernel info:
; codeLenInByte = 64
; TotalNumSgprs: 36
; NumVgprs: 51
; ScratchSize: 64
; MemoryBound: 0
; FloatMode: 240
; IeeeMode: 1
; LDSByteSize: 0 bytes/workgroup (compile time only)
; SGPRBlocks: 0
; VGPRBlocks: 3
; NumSGPRsForWavesPerEU: 36
; NumVGPRsForWavesPerEU: 51
; NamedBarCnt: 0
; Occupancy: 16
; WaveLimiterHint : 1
; COMPUTE_PGM_RSRC2:SCRATCH_EN: 1
; COMPUTE_PGM_RSRC2:USER_SGPR: 2
; COMPUTE_PGM_RSRC2:TRAP_HANDLER: 0
; COMPUTE_PGM_RSRC2:TGID_X_EN: 1
; COMPUTE_PGM_RSRC2:TGID_Y_EN: 0
; COMPUTE_PGM_RSRC2:TGID_Z_EN: 0
; COMPUTE_PGM_RSRC2:TIDIG_COMP_CNT: 0
	.section	.text._Z35paged_attention_ll4mi_reduce_kernelI14__hip_bfloat16S0_Li128ELi128ELi256ELi7EEvPT0_PKfS4_PKT_PKiS9_iS4_,"axG",@progbits,_Z35paged_attention_ll4mi_reduce_kernelI14__hip_bfloat16S0_Li128ELi128ELi256ELi7EEvPT0_PKfS4_PKT_PKiS9_iS4_,comdat
	.protected	_Z35paged_attention_ll4mi_reduce_kernelI14__hip_bfloat16S0_Li128ELi128ELi256ELi7EEvPT0_PKfS4_PKT_PKiS9_iS4_ ; -- Begin function _Z35paged_attention_ll4mi_reduce_kernelI14__hip_bfloat16S0_Li128ELi128ELi256ELi7EEvPT0_PKfS4_PKT_PKiS9_iS4_
	.globl	_Z35paged_attention_ll4mi_reduce_kernelI14__hip_bfloat16S0_Li128ELi128ELi256ELi7EEvPT0_PKfS4_PKT_PKiS9_iS4_
	.p2align	8
	.type	_Z35paged_attention_ll4mi_reduce_kernelI14__hip_bfloat16S0_Li128ELi128ELi256ELi7EEvPT0_PKfS4_PKT_PKiS9_iS4_,@function
_Z35paged_attention_ll4mi_reduce_kernelI14__hip_bfloat16S0_Li128ELi128ELi256ELi7EEvPT0_PKfS4_PKT_PKiS9_iS4_: ; @_Z35paged_attention_ll4mi_reduce_kernelI14__hip_bfloat16S0_Li128ELi128ELi256ELi7EEvPT0_PKfS4_PKT_PKiS9_iS4_
; %bb.0:
	s_get_pc_i64 s[2:3]
	s_add_nc_u64 s[2:3], s[2:3], __PRETTY_FUNCTION__._Z35paged_attention_ll4mi_reduce_kernelI14__hip_bfloat16S0_Li128ELi128ELi256ELi7EEvPT0_PKfS4_PKT_PKiS9_iS4_@rel64+4
	s_delay_alu instid0(SALU_CYCLE_1)
	v_dual_mov_b32 v0, 0xbdd :: v_dual_mov_b32 v1, s2
	v_mov_b32_e32 v2, s3
	s_add_nc_u64 s[8:9], s[0:1], 64
	s_get_pc_i64 s[0:1]
	s_add_nc_u64 s[0:1], s[0:1], __assert_fail@rel64+4
	s_mov_b32 s32, 0
	s_swap_pc_i64 s[30:31], s[0:1]
	.section	.rodata,"a",@progbits
	.p2align	6, 0x0
	.amdhsa_kernel _Z35paged_attention_ll4mi_reduce_kernelI14__hip_bfloat16S0_Li128ELi128ELi256ELi7EEvPT0_PKfS4_PKT_PKiS9_iS4_
		.amdhsa_group_segment_fixed_size 0
		.amdhsa_private_segment_fixed_size 64
		.amdhsa_kernarg_size 320
		.amdhsa_user_sgpr_count 2
		.amdhsa_user_sgpr_dispatch_ptr 0
		.amdhsa_user_sgpr_queue_ptr 0
		.amdhsa_user_sgpr_kernarg_segment_ptr 1
		.amdhsa_user_sgpr_dispatch_id 0
		.amdhsa_user_sgpr_kernarg_preload_length 0
		.amdhsa_user_sgpr_kernarg_preload_offset 0
		.amdhsa_user_sgpr_private_segment_size 0
		.amdhsa_wavefront_size32 1
		.amdhsa_uses_dynamic_stack 0
		.amdhsa_enable_private_segment 1
		.amdhsa_system_sgpr_workgroup_id_x 1
		.amdhsa_system_sgpr_workgroup_id_y 0
		.amdhsa_system_sgpr_workgroup_id_z 0
		.amdhsa_system_sgpr_workgroup_info 0
		.amdhsa_system_vgpr_workitem_id 0
		.amdhsa_next_free_vgpr 51
		.amdhsa_next_free_sgpr 34
		.amdhsa_named_barrier_count 0
		.amdhsa_reserve_vcc 1
		.amdhsa_float_round_mode_32 0
		.amdhsa_float_round_mode_16_64 0
		.amdhsa_float_denorm_mode_32 3
		.amdhsa_float_denorm_mode_16_64 3
		.amdhsa_fp16_overflow 0
		.amdhsa_memory_ordered 1
		.amdhsa_forward_progress 1
		.amdhsa_inst_pref_size 1
		.amdhsa_round_robin_scheduling 0
		.amdhsa_exception_fp_ieee_invalid_op 0
		.amdhsa_exception_fp_denorm_src 0
		.amdhsa_exception_fp_ieee_div_zero 0
		.amdhsa_exception_fp_ieee_overflow 0
		.amdhsa_exception_fp_ieee_underflow 0
		.amdhsa_exception_fp_ieee_inexact 0
		.amdhsa_exception_int_div_zero 0
	.end_amdhsa_kernel
	.section	.text._Z35paged_attention_ll4mi_reduce_kernelI14__hip_bfloat16S0_Li128ELi128ELi256ELi7EEvPT0_PKfS4_PKT_PKiS9_iS4_,"axG",@progbits,_Z35paged_attention_ll4mi_reduce_kernelI14__hip_bfloat16S0_Li128ELi128ELi256ELi7EEvPT0_PKfS4_PKT_PKiS9_iS4_,comdat
.Lfunc_end656:
	.size	_Z35paged_attention_ll4mi_reduce_kernelI14__hip_bfloat16S0_Li128ELi128ELi256ELi7EEvPT0_PKfS4_PKT_PKiS9_iS4_, .Lfunc_end656-_Z35paged_attention_ll4mi_reduce_kernelI14__hip_bfloat16S0_Li128ELi128ELi256ELi7EEvPT0_PKfS4_PKT_PKiS9_iS4_
                                        ; -- End function
	.set _Z35paged_attention_ll4mi_reduce_kernelI14__hip_bfloat16S0_Li128ELi128ELi256ELi7EEvPT0_PKfS4_PKT_PKiS9_iS4_.num_vgpr, max(3, .L__assert_fail.num_vgpr)
	.set _Z35paged_attention_ll4mi_reduce_kernelI14__hip_bfloat16S0_Li128ELi128ELi256ELi7EEvPT0_PKfS4_PKT_PKiS9_iS4_.num_agpr, max(0, .L__assert_fail.num_agpr)
	.set _Z35paged_attention_ll4mi_reduce_kernelI14__hip_bfloat16S0_Li128ELi128ELi256ELi7EEvPT0_PKfS4_PKT_PKiS9_iS4_.numbered_sgpr, max(33, .L__assert_fail.numbered_sgpr)
	.set _Z35paged_attention_ll4mi_reduce_kernelI14__hip_bfloat16S0_Li128ELi128ELi256ELi7EEvPT0_PKfS4_PKT_PKiS9_iS4_.num_named_barrier, max(0, .L__assert_fail.num_named_barrier)
	.set _Z35paged_attention_ll4mi_reduce_kernelI14__hip_bfloat16S0_Li128ELi128ELi256ELi7EEvPT0_PKfS4_PKT_PKiS9_iS4_.private_seg_size, 0+max(.L__assert_fail.private_seg_size)
	.set _Z35paged_attention_ll4mi_reduce_kernelI14__hip_bfloat16S0_Li128ELi128ELi256ELi7EEvPT0_PKfS4_PKT_PKiS9_iS4_.uses_vcc, or(1, .L__assert_fail.uses_vcc)
	.set _Z35paged_attention_ll4mi_reduce_kernelI14__hip_bfloat16S0_Li128ELi128ELi256ELi7EEvPT0_PKfS4_PKT_PKiS9_iS4_.uses_flat_scratch, or(0, .L__assert_fail.uses_flat_scratch)
	.set _Z35paged_attention_ll4mi_reduce_kernelI14__hip_bfloat16S0_Li128ELi128ELi256ELi7EEvPT0_PKfS4_PKT_PKiS9_iS4_.has_dyn_sized_stack, or(0, .L__assert_fail.has_dyn_sized_stack)
	.set _Z35paged_attention_ll4mi_reduce_kernelI14__hip_bfloat16S0_Li128ELi128ELi256ELi7EEvPT0_PKfS4_PKT_PKiS9_iS4_.has_recursion, or(0, .L__assert_fail.has_recursion)
	.set _Z35paged_attention_ll4mi_reduce_kernelI14__hip_bfloat16S0_Li128ELi128ELi256ELi7EEvPT0_PKfS4_PKT_PKiS9_iS4_.has_indirect_call, or(0, .L__assert_fail.has_indirect_call)
	.section	.AMDGPU.csdata,"",@progbits
; Kernel info:
; codeLenInByte = 64
; TotalNumSgprs: 36
; NumVgprs: 51
; ScratchSize: 64
; MemoryBound: 0
; FloatMode: 240
; IeeeMode: 1
; LDSByteSize: 0 bytes/workgroup (compile time only)
; SGPRBlocks: 0
; VGPRBlocks: 3
; NumSGPRsForWavesPerEU: 36
; NumVGPRsForWavesPerEU: 51
; NamedBarCnt: 0
; Occupancy: 16
; WaveLimiterHint : 1
; COMPUTE_PGM_RSRC2:SCRATCH_EN: 1
; COMPUTE_PGM_RSRC2:USER_SGPR: 2
; COMPUTE_PGM_RSRC2:TRAP_HANDLER: 0
; COMPUTE_PGM_RSRC2:TGID_X_EN: 1
; COMPUTE_PGM_RSRC2:TGID_Y_EN: 0
; COMPUTE_PGM_RSRC2:TGID_Z_EN: 0
; COMPUTE_PGM_RSRC2:TIDIG_COMP_CNT: 0
	.section	.text._Z35paged_attention_ll4mi_reduce_kernelI14__hip_bfloat16S0_Li128ELi128ELi256ELi8EEvPT0_PKfS4_PKT_PKiS9_iS4_,"axG",@progbits,_Z35paged_attention_ll4mi_reduce_kernelI14__hip_bfloat16S0_Li128ELi128ELi256ELi8EEvPT0_PKfS4_PKT_PKiS9_iS4_,comdat
	.protected	_Z35paged_attention_ll4mi_reduce_kernelI14__hip_bfloat16S0_Li128ELi128ELi256ELi8EEvPT0_PKfS4_PKT_PKiS9_iS4_ ; -- Begin function _Z35paged_attention_ll4mi_reduce_kernelI14__hip_bfloat16S0_Li128ELi128ELi256ELi8EEvPT0_PKfS4_PKT_PKiS9_iS4_
	.globl	_Z35paged_attention_ll4mi_reduce_kernelI14__hip_bfloat16S0_Li128ELi128ELi256ELi8EEvPT0_PKfS4_PKT_PKiS9_iS4_
	.p2align	8
	.type	_Z35paged_attention_ll4mi_reduce_kernelI14__hip_bfloat16S0_Li128ELi128ELi256ELi8EEvPT0_PKfS4_PKT_PKiS9_iS4_,@function
_Z35paged_attention_ll4mi_reduce_kernelI14__hip_bfloat16S0_Li128ELi128ELi256ELi8EEvPT0_PKfS4_PKT_PKiS9_iS4_: ; @_Z35paged_attention_ll4mi_reduce_kernelI14__hip_bfloat16S0_Li128ELi128ELi256ELi8EEvPT0_PKfS4_PKT_PKiS9_iS4_
; %bb.0:
	s_get_pc_i64 s[2:3]
	s_add_nc_u64 s[2:3], s[2:3], __PRETTY_FUNCTION__._Z35paged_attention_ll4mi_reduce_kernelI14__hip_bfloat16S0_Li128ELi128ELi256ELi8EEvPT0_PKfS4_PKT_PKiS9_iS4_@rel64+4
	s_delay_alu instid0(SALU_CYCLE_1)
	v_dual_mov_b32 v0, 0xbdd :: v_dual_mov_b32 v1, s2
	v_mov_b32_e32 v2, s3
	s_add_nc_u64 s[8:9], s[0:1], 64
	s_get_pc_i64 s[0:1]
	s_add_nc_u64 s[0:1], s[0:1], __assert_fail@rel64+4
	s_mov_b32 s32, 0
	s_swap_pc_i64 s[30:31], s[0:1]
	.section	.rodata,"a",@progbits
	.p2align	6, 0x0
	.amdhsa_kernel _Z35paged_attention_ll4mi_reduce_kernelI14__hip_bfloat16S0_Li128ELi128ELi256ELi8EEvPT0_PKfS4_PKT_PKiS9_iS4_
		.amdhsa_group_segment_fixed_size 0
		.amdhsa_private_segment_fixed_size 64
		.amdhsa_kernarg_size 320
		.amdhsa_user_sgpr_count 2
		.amdhsa_user_sgpr_dispatch_ptr 0
		.amdhsa_user_sgpr_queue_ptr 0
		.amdhsa_user_sgpr_kernarg_segment_ptr 1
		.amdhsa_user_sgpr_dispatch_id 0
		.amdhsa_user_sgpr_kernarg_preload_length 0
		.amdhsa_user_sgpr_kernarg_preload_offset 0
		.amdhsa_user_sgpr_private_segment_size 0
		.amdhsa_wavefront_size32 1
		.amdhsa_uses_dynamic_stack 0
		.amdhsa_enable_private_segment 1
		.amdhsa_system_sgpr_workgroup_id_x 1
		.amdhsa_system_sgpr_workgroup_id_y 0
		.amdhsa_system_sgpr_workgroup_id_z 0
		.amdhsa_system_sgpr_workgroup_info 0
		.amdhsa_system_vgpr_workitem_id 0
		.amdhsa_next_free_vgpr 51
		.amdhsa_next_free_sgpr 34
		.amdhsa_named_barrier_count 0
		.amdhsa_reserve_vcc 1
		.amdhsa_float_round_mode_32 0
		.amdhsa_float_round_mode_16_64 0
		.amdhsa_float_denorm_mode_32 3
		.amdhsa_float_denorm_mode_16_64 3
		.amdhsa_fp16_overflow 0
		.amdhsa_memory_ordered 1
		.amdhsa_forward_progress 1
		.amdhsa_inst_pref_size 1
		.amdhsa_round_robin_scheduling 0
		.amdhsa_exception_fp_ieee_invalid_op 0
		.amdhsa_exception_fp_denorm_src 0
		.amdhsa_exception_fp_ieee_div_zero 0
		.amdhsa_exception_fp_ieee_overflow 0
		.amdhsa_exception_fp_ieee_underflow 0
		.amdhsa_exception_fp_ieee_inexact 0
		.amdhsa_exception_int_div_zero 0
	.end_amdhsa_kernel
	.section	.text._Z35paged_attention_ll4mi_reduce_kernelI14__hip_bfloat16S0_Li128ELi128ELi256ELi8EEvPT0_PKfS4_PKT_PKiS9_iS4_,"axG",@progbits,_Z35paged_attention_ll4mi_reduce_kernelI14__hip_bfloat16S0_Li128ELi128ELi256ELi8EEvPT0_PKfS4_PKT_PKiS9_iS4_,comdat
.Lfunc_end657:
	.size	_Z35paged_attention_ll4mi_reduce_kernelI14__hip_bfloat16S0_Li128ELi128ELi256ELi8EEvPT0_PKfS4_PKT_PKiS9_iS4_, .Lfunc_end657-_Z35paged_attention_ll4mi_reduce_kernelI14__hip_bfloat16S0_Li128ELi128ELi256ELi8EEvPT0_PKfS4_PKT_PKiS9_iS4_
                                        ; -- End function
	.set _Z35paged_attention_ll4mi_reduce_kernelI14__hip_bfloat16S0_Li128ELi128ELi256ELi8EEvPT0_PKfS4_PKT_PKiS9_iS4_.num_vgpr, max(3, .L__assert_fail.num_vgpr)
	.set _Z35paged_attention_ll4mi_reduce_kernelI14__hip_bfloat16S0_Li128ELi128ELi256ELi8EEvPT0_PKfS4_PKT_PKiS9_iS4_.num_agpr, max(0, .L__assert_fail.num_agpr)
	.set _Z35paged_attention_ll4mi_reduce_kernelI14__hip_bfloat16S0_Li128ELi128ELi256ELi8EEvPT0_PKfS4_PKT_PKiS9_iS4_.numbered_sgpr, max(33, .L__assert_fail.numbered_sgpr)
	.set _Z35paged_attention_ll4mi_reduce_kernelI14__hip_bfloat16S0_Li128ELi128ELi256ELi8EEvPT0_PKfS4_PKT_PKiS9_iS4_.num_named_barrier, max(0, .L__assert_fail.num_named_barrier)
	.set _Z35paged_attention_ll4mi_reduce_kernelI14__hip_bfloat16S0_Li128ELi128ELi256ELi8EEvPT0_PKfS4_PKT_PKiS9_iS4_.private_seg_size, 0+max(.L__assert_fail.private_seg_size)
	.set _Z35paged_attention_ll4mi_reduce_kernelI14__hip_bfloat16S0_Li128ELi128ELi256ELi8EEvPT0_PKfS4_PKT_PKiS9_iS4_.uses_vcc, or(1, .L__assert_fail.uses_vcc)
	.set _Z35paged_attention_ll4mi_reduce_kernelI14__hip_bfloat16S0_Li128ELi128ELi256ELi8EEvPT0_PKfS4_PKT_PKiS9_iS4_.uses_flat_scratch, or(0, .L__assert_fail.uses_flat_scratch)
	.set _Z35paged_attention_ll4mi_reduce_kernelI14__hip_bfloat16S0_Li128ELi128ELi256ELi8EEvPT0_PKfS4_PKT_PKiS9_iS4_.has_dyn_sized_stack, or(0, .L__assert_fail.has_dyn_sized_stack)
	.set _Z35paged_attention_ll4mi_reduce_kernelI14__hip_bfloat16S0_Li128ELi128ELi256ELi8EEvPT0_PKfS4_PKT_PKiS9_iS4_.has_recursion, or(0, .L__assert_fail.has_recursion)
	.set _Z35paged_attention_ll4mi_reduce_kernelI14__hip_bfloat16S0_Li128ELi128ELi256ELi8EEvPT0_PKfS4_PKT_PKiS9_iS4_.has_indirect_call, or(0, .L__assert_fail.has_indirect_call)
	.section	.AMDGPU.csdata,"",@progbits
; Kernel info:
; codeLenInByte = 64
; TotalNumSgprs: 36
; NumVgprs: 51
; ScratchSize: 64
; MemoryBound: 0
; FloatMode: 240
; IeeeMode: 1
; LDSByteSize: 0 bytes/workgroup (compile time only)
; SGPRBlocks: 0
; VGPRBlocks: 3
; NumSGPRsForWavesPerEU: 36
; NumVGPRsForWavesPerEU: 51
; NamedBarCnt: 0
; Occupancy: 16
; WaveLimiterHint : 1
; COMPUTE_PGM_RSRC2:SCRATCH_EN: 1
; COMPUTE_PGM_RSRC2:USER_SGPR: 2
; COMPUTE_PGM_RSRC2:TRAP_HANDLER: 0
; COMPUTE_PGM_RSRC2:TGID_X_EN: 1
; COMPUTE_PGM_RSRC2:TGID_Y_EN: 0
; COMPUTE_PGM_RSRC2:TGID_Z_EN: 0
; COMPUTE_PGM_RSRC2:TIDIG_COMP_CNT: 0
	.section	.text._Z39paged_attention_ll4mi_QKV_mfma16_kernelI14__hip_bfloat16S0_LN4vllm18Fp8KVCacheDataTypeE0ES0_Li16ELi128ELi256ELb1ELi1EEvPKT_PKT0_S8_ifPKiSA_SA_iPKfiiiPfSD_PS3_PT2_iSC_SC_,"axG",@progbits,_Z39paged_attention_ll4mi_QKV_mfma16_kernelI14__hip_bfloat16S0_LN4vllm18Fp8KVCacheDataTypeE0ES0_Li16ELi128ELi256ELb1ELi1EEvPKT_PKT0_S8_ifPKiSA_SA_iPKfiiiPfSD_PS3_PT2_iSC_SC_,comdat
	.protected	_Z39paged_attention_ll4mi_QKV_mfma16_kernelI14__hip_bfloat16S0_LN4vllm18Fp8KVCacheDataTypeE0ES0_Li16ELi128ELi256ELb1ELi1EEvPKT_PKT0_S8_ifPKiSA_SA_iPKfiiiPfSD_PS3_PT2_iSC_SC_ ; -- Begin function _Z39paged_attention_ll4mi_QKV_mfma16_kernelI14__hip_bfloat16S0_LN4vllm18Fp8KVCacheDataTypeE0ES0_Li16ELi128ELi256ELb1ELi1EEvPKT_PKT0_S8_ifPKiSA_SA_iPKfiiiPfSD_PS3_PT2_iSC_SC_
	.globl	_Z39paged_attention_ll4mi_QKV_mfma16_kernelI14__hip_bfloat16S0_LN4vllm18Fp8KVCacheDataTypeE0ES0_Li16ELi128ELi256ELb1ELi1EEvPKT_PKT0_S8_ifPKiSA_SA_iPKfiiiPfSD_PS3_PT2_iSC_SC_
	.p2align	8
	.type	_Z39paged_attention_ll4mi_QKV_mfma16_kernelI14__hip_bfloat16S0_LN4vllm18Fp8KVCacheDataTypeE0ES0_Li16ELi128ELi256ELb1ELi1EEvPKT_PKT0_S8_ifPKiSA_SA_iPKfiiiPfSD_PS3_PT2_iSC_SC_,@function
_Z39paged_attention_ll4mi_QKV_mfma16_kernelI14__hip_bfloat16S0_LN4vllm18Fp8KVCacheDataTypeE0ES0_Li16ELi128ELi256ELb1ELi1EEvPKT_PKT0_S8_ifPKiSA_SA_iPKfiiiPfSD_PS3_PT2_iSC_SC_: ; @_Z39paged_attention_ll4mi_QKV_mfma16_kernelI14__hip_bfloat16S0_LN4vllm18Fp8KVCacheDataTypeE0ES0_Li16ELi128ELi256ELb1ELi1EEvPKT_PKT0_S8_ifPKiSA_SA_iPKfiiiPfSD_PS3_PT2_iSC_SC_
; %bb.0:
	s_get_pc_i64 s[2:3]
	s_add_nc_u64 s[2:3], s[2:3], __PRETTY_FUNCTION__._Z39paged_attention_ll4mi_QKV_mfma16_kernelI14__hip_bfloat16S0_LN4vllm18Fp8KVCacheDataTypeE0ES0_Li16ELi128ELi256ELb1ELi1EEvPKT_PKT0_S8_ifPKiSA_SA_iPKfiiiPfSD_PS3_PT2_iSC_SC_@rel64+4
	s_delay_alu instid0(SALU_CYCLE_1)
	v_dual_mov_b32 v0, 0xbb3 :: v_dual_mov_b32 v1, s2
	v_mov_b32_e32 v2, s3
	s_add_nc_u64 s[8:9], s[0:1], 0x90
	s_get_pc_i64 s[0:1]
	s_add_nc_u64 s[0:1], s[0:1], __assert_fail@rel64+4
	s_mov_b32 s32, 0
	s_swap_pc_i64 s[30:31], s[0:1]
	.section	.rodata,"a",@progbits
	.p2align	6, 0x0
	.amdhsa_kernel _Z39paged_attention_ll4mi_QKV_mfma16_kernelI14__hip_bfloat16S0_LN4vllm18Fp8KVCacheDataTypeE0ES0_Li16ELi128ELi256ELb1ELi1EEvPKT_PKT0_S8_ifPKiSA_SA_iPKfiiiPfSD_PS3_PT2_iSC_SC_
		.amdhsa_group_segment_fixed_size 0
		.amdhsa_private_segment_fixed_size 64
		.amdhsa_kernarg_size 400
		.amdhsa_user_sgpr_count 2
		.amdhsa_user_sgpr_dispatch_ptr 0
		.amdhsa_user_sgpr_queue_ptr 0
		.amdhsa_user_sgpr_kernarg_segment_ptr 1
		.amdhsa_user_sgpr_dispatch_id 0
		.amdhsa_user_sgpr_kernarg_preload_length 0
		.amdhsa_user_sgpr_kernarg_preload_offset 0
		.amdhsa_user_sgpr_private_segment_size 0
		.amdhsa_wavefront_size32 1
		.amdhsa_uses_dynamic_stack 0
		.amdhsa_enable_private_segment 1
		.amdhsa_system_sgpr_workgroup_id_x 1
		.amdhsa_system_sgpr_workgroup_id_y 0
		.amdhsa_system_sgpr_workgroup_id_z 0
		.amdhsa_system_sgpr_workgroup_info 0
		.amdhsa_system_vgpr_workitem_id 0
		.amdhsa_next_free_vgpr 51
		.amdhsa_next_free_sgpr 34
		.amdhsa_named_barrier_count 0
		.amdhsa_reserve_vcc 1
		.amdhsa_float_round_mode_32 0
		.amdhsa_float_round_mode_16_64 0
		.amdhsa_float_denorm_mode_32 3
		.amdhsa_float_denorm_mode_16_64 3
		.amdhsa_fp16_overflow 0
		.amdhsa_memory_ordered 1
		.amdhsa_forward_progress 1
		.amdhsa_inst_pref_size 1
		.amdhsa_round_robin_scheduling 0
		.amdhsa_exception_fp_ieee_invalid_op 0
		.amdhsa_exception_fp_denorm_src 0
		.amdhsa_exception_fp_ieee_div_zero 0
		.amdhsa_exception_fp_ieee_overflow 0
		.amdhsa_exception_fp_ieee_underflow 0
		.amdhsa_exception_fp_ieee_inexact 0
		.amdhsa_exception_int_div_zero 0
	.end_amdhsa_kernel
	.section	.text._Z39paged_attention_ll4mi_QKV_mfma16_kernelI14__hip_bfloat16S0_LN4vllm18Fp8KVCacheDataTypeE0ES0_Li16ELi128ELi256ELb1ELi1EEvPKT_PKT0_S8_ifPKiSA_SA_iPKfiiiPfSD_PS3_PT2_iSC_SC_,"axG",@progbits,_Z39paged_attention_ll4mi_QKV_mfma16_kernelI14__hip_bfloat16S0_LN4vllm18Fp8KVCacheDataTypeE0ES0_Li16ELi128ELi256ELb1ELi1EEvPKT_PKT0_S8_ifPKiSA_SA_iPKfiiiPfSD_PS3_PT2_iSC_SC_,comdat
.Lfunc_end658:
	.size	_Z39paged_attention_ll4mi_QKV_mfma16_kernelI14__hip_bfloat16S0_LN4vllm18Fp8KVCacheDataTypeE0ES0_Li16ELi128ELi256ELb1ELi1EEvPKT_PKT0_S8_ifPKiSA_SA_iPKfiiiPfSD_PS3_PT2_iSC_SC_, .Lfunc_end658-_Z39paged_attention_ll4mi_QKV_mfma16_kernelI14__hip_bfloat16S0_LN4vllm18Fp8KVCacheDataTypeE0ES0_Li16ELi128ELi256ELb1ELi1EEvPKT_PKT0_S8_ifPKiSA_SA_iPKfiiiPfSD_PS3_PT2_iSC_SC_
                                        ; -- End function
	.set _Z39paged_attention_ll4mi_QKV_mfma16_kernelI14__hip_bfloat16S0_LN4vllm18Fp8KVCacheDataTypeE0ES0_Li16ELi128ELi256ELb1ELi1EEvPKT_PKT0_S8_ifPKiSA_SA_iPKfiiiPfSD_PS3_PT2_iSC_SC_.num_vgpr, max(3, .L__assert_fail.num_vgpr)
	.set _Z39paged_attention_ll4mi_QKV_mfma16_kernelI14__hip_bfloat16S0_LN4vllm18Fp8KVCacheDataTypeE0ES0_Li16ELi128ELi256ELb1ELi1EEvPKT_PKT0_S8_ifPKiSA_SA_iPKfiiiPfSD_PS3_PT2_iSC_SC_.num_agpr, max(0, .L__assert_fail.num_agpr)
	.set _Z39paged_attention_ll4mi_QKV_mfma16_kernelI14__hip_bfloat16S0_LN4vllm18Fp8KVCacheDataTypeE0ES0_Li16ELi128ELi256ELb1ELi1EEvPKT_PKT0_S8_ifPKiSA_SA_iPKfiiiPfSD_PS3_PT2_iSC_SC_.numbered_sgpr, max(33, .L__assert_fail.numbered_sgpr)
	.set _Z39paged_attention_ll4mi_QKV_mfma16_kernelI14__hip_bfloat16S0_LN4vllm18Fp8KVCacheDataTypeE0ES0_Li16ELi128ELi256ELb1ELi1EEvPKT_PKT0_S8_ifPKiSA_SA_iPKfiiiPfSD_PS3_PT2_iSC_SC_.num_named_barrier, max(0, .L__assert_fail.num_named_barrier)
	.set _Z39paged_attention_ll4mi_QKV_mfma16_kernelI14__hip_bfloat16S0_LN4vllm18Fp8KVCacheDataTypeE0ES0_Li16ELi128ELi256ELb1ELi1EEvPKT_PKT0_S8_ifPKiSA_SA_iPKfiiiPfSD_PS3_PT2_iSC_SC_.private_seg_size, 0+max(.L__assert_fail.private_seg_size)
	.set _Z39paged_attention_ll4mi_QKV_mfma16_kernelI14__hip_bfloat16S0_LN4vllm18Fp8KVCacheDataTypeE0ES0_Li16ELi128ELi256ELb1ELi1EEvPKT_PKT0_S8_ifPKiSA_SA_iPKfiiiPfSD_PS3_PT2_iSC_SC_.uses_vcc, or(1, .L__assert_fail.uses_vcc)
	.set _Z39paged_attention_ll4mi_QKV_mfma16_kernelI14__hip_bfloat16S0_LN4vllm18Fp8KVCacheDataTypeE0ES0_Li16ELi128ELi256ELb1ELi1EEvPKT_PKT0_S8_ifPKiSA_SA_iPKfiiiPfSD_PS3_PT2_iSC_SC_.uses_flat_scratch, or(0, .L__assert_fail.uses_flat_scratch)
	.set _Z39paged_attention_ll4mi_QKV_mfma16_kernelI14__hip_bfloat16S0_LN4vllm18Fp8KVCacheDataTypeE0ES0_Li16ELi128ELi256ELb1ELi1EEvPKT_PKT0_S8_ifPKiSA_SA_iPKfiiiPfSD_PS3_PT2_iSC_SC_.has_dyn_sized_stack, or(0, .L__assert_fail.has_dyn_sized_stack)
	.set _Z39paged_attention_ll4mi_QKV_mfma16_kernelI14__hip_bfloat16S0_LN4vllm18Fp8KVCacheDataTypeE0ES0_Li16ELi128ELi256ELb1ELi1EEvPKT_PKT0_S8_ifPKiSA_SA_iPKfiiiPfSD_PS3_PT2_iSC_SC_.has_recursion, or(0, .L__assert_fail.has_recursion)
	.set _Z39paged_attention_ll4mi_QKV_mfma16_kernelI14__hip_bfloat16S0_LN4vllm18Fp8KVCacheDataTypeE0ES0_Li16ELi128ELi256ELb1ELi1EEvPKT_PKT0_S8_ifPKiSA_SA_iPKfiiiPfSD_PS3_PT2_iSC_SC_.has_indirect_call, or(0, .L__assert_fail.has_indirect_call)
	.section	.AMDGPU.csdata,"",@progbits
; Kernel info:
; codeLenInByte = 68
; TotalNumSgprs: 36
; NumVgprs: 51
; ScratchSize: 64
; MemoryBound: 0
; FloatMode: 240
; IeeeMode: 1
; LDSByteSize: 0 bytes/workgroup (compile time only)
; SGPRBlocks: 0
; VGPRBlocks: 3
; NumSGPRsForWavesPerEU: 36
; NumVGPRsForWavesPerEU: 51
; NamedBarCnt: 0
; Occupancy: 16
; WaveLimiterHint : 1
; COMPUTE_PGM_RSRC2:SCRATCH_EN: 1
; COMPUTE_PGM_RSRC2:USER_SGPR: 2
; COMPUTE_PGM_RSRC2:TRAP_HANDLER: 0
; COMPUTE_PGM_RSRC2:TGID_X_EN: 1
; COMPUTE_PGM_RSRC2:TGID_Y_EN: 0
; COMPUTE_PGM_RSRC2:TGID_Z_EN: 0
; COMPUTE_PGM_RSRC2:TIDIG_COMP_CNT: 0
	.section	.text._Z39paged_attention_ll4mi_QKV_mfma16_kernelI14__hip_bfloat16S0_LN4vllm18Fp8KVCacheDataTypeE0ES0_Li16ELi128ELi256ELb1ELi2EEvPKT_PKT0_S8_ifPKiSA_SA_iPKfiiiPfSD_PS3_PT2_iSC_SC_,"axG",@progbits,_Z39paged_attention_ll4mi_QKV_mfma16_kernelI14__hip_bfloat16S0_LN4vllm18Fp8KVCacheDataTypeE0ES0_Li16ELi128ELi256ELb1ELi2EEvPKT_PKT0_S8_ifPKiSA_SA_iPKfiiiPfSD_PS3_PT2_iSC_SC_,comdat
	.protected	_Z39paged_attention_ll4mi_QKV_mfma16_kernelI14__hip_bfloat16S0_LN4vllm18Fp8KVCacheDataTypeE0ES0_Li16ELi128ELi256ELb1ELi2EEvPKT_PKT0_S8_ifPKiSA_SA_iPKfiiiPfSD_PS3_PT2_iSC_SC_ ; -- Begin function _Z39paged_attention_ll4mi_QKV_mfma16_kernelI14__hip_bfloat16S0_LN4vllm18Fp8KVCacheDataTypeE0ES0_Li16ELi128ELi256ELb1ELi2EEvPKT_PKT0_S8_ifPKiSA_SA_iPKfiiiPfSD_PS3_PT2_iSC_SC_
	.globl	_Z39paged_attention_ll4mi_QKV_mfma16_kernelI14__hip_bfloat16S0_LN4vllm18Fp8KVCacheDataTypeE0ES0_Li16ELi128ELi256ELb1ELi2EEvPKT_PKT0_S8_ifPKiSA_SA_iPKfiiiPfSD_PS3_PT2_iSC_SC_
	.p2align	8
	.type	_Z39paged_attention_ll4mi_QKV_mfma16_kernelI14__hip_bfloat16S0_LN4vllm18Fp8KVCacheDataTypeE0ES0_Li16ELi128ELi256ELb1ELi2EEvPKT_PKT0_S8_ifPKiSA_SA_iPKfiiiPfSD_PS3_PT2_iSC_SC_,@function
_Z39paged_attention_ll4mi_QKV_mfma16_kernelI14__hip_bfloat16S0_LN4vllm18Fp8KVCacheDataTypeE0ES0_Li16ELi128ELi256ELb1ELi2EEvPKT_PKT0_S8_ifPKiSA_SA_iPKfiiiPfSD_PS3_PT2_iSC_SC_: ; @_Z39paged_attention_ll4mi_QKV_mfma16_kernelI14__hip_bfloat16S0_LN4vllm18Fp8KVCacheDataTypeE0ES0_Li16ELi128ELi256ELb1ELi2EEvPKT_PKT0_S8_ifPKiSA_SA_iPKfiiiPfSD_PS3_PT2_iSC_SC_
; %bb.0:
	s_get_pc_i64 s[2:3]
	s_add_nc_u64 s[2:3], s[2:3], __PRETTY_FUNCTION__._Z39paged_attention_ll4mi_QKV_mfma16_kernelI14__hip_bfloat16S0_LN4vllm18Fp8KVCacheDataTypeE0ES0_Li16ELi128ELi256ELb1ELi2EEvPKT_PKT0_S8_ifPKiSA_SA_iPKfiiiPfSD_PS3_PT2_iSC_SC_@rel64+4
	s_delay_alu instid0(SALU_CYCLE_1)
	v_dual_mov_b32 v0, 0xbb3 :: v_dual_mov_b32 v1, s2
	v_mov_b32_e32 v2, s3
	s_add_nc_u64 s[8:9], s[0:1], 0x90
	s_get_pc_i64 s[0:1]
	s_add_nc_u64 s[0:1], s[0:1], __assert_fail@rel64+4
	s_mov_b32 s32, 0
	s_swap_pc_i64 s[30:31], s[0:1]
	.section	.rodata,"a",@progbits
	.p2align	6, 0x0
	.amdhsa_kernel _Z39paged_attention_ll4mi_QKV_mfma16_kernelI14__hip_bfloat16S0_LN4vllm18Fp8KVCacheDataTypeE0ES0_Li16ELi128ELi256ELb1ELi2EEvPKT_PKT0_S8_ifPKiSA_SA_iPKfiiiPfSD_PS3_PT2_iSC_SC_
		.amdhsa_group_segment_fixed_size 0
		.amdhsa_private_segment_fixed_size 64
		.amdhsa_kernarg_size 400
		.amdhsa_user_sgpr_count 2
		.amdhsa_user_sgpr_dispatch_ptr 0
		.amdhsa_user_sgpr_queue_ptr 0
		.amdhsa_user_sgpr_kernarg_segment_ptr 1
		.amdhsa_user_sgpr_dispatch_id 0
		.amdhsa_user_sgpr_kernarg_preload_length 0
		.amdhsa_user_sgpr_kernarg_preload_offset 0
		.amdhsa_user_sgpr_private_segment_size 0
		.amdhsa_wavefront_size32 1
		.amdhsa_uses_dynamic_stack 0
		.amdhsa_enable_private_segment 1
		.amdhsa_system_sgpr_workgroup_id_x 1
		.amdhsa_system_sgpr_workgroup_id_y 0
		.amdhsa_system_sgpr_workgroup_id_z 0
		.amdhsa_system_sgpr_workgroup_info 0
		.amdhsa_system_vgpr_workitem_id 0
		.amdhsa_next_free_vgpr 51
		.amdhsa_next_free_sgpr 34
		.amdhsa_named_barrier_count 0
		.amdhsa_reserve_vcc 1
		.amdhsa_float_round_mode_32 0
		.amdhsa_float_round_mode_16_64 0
		.amdhsa_float_denorm_mode_32 3
		.amdhsa_float_denorm_mode_16_64 3
		.amdhsa_fp16_overflow 0
		.amdhsa_memory_ordered 1
		.amdhsa_forward_progress 1
		.amdhsa_inst_pref_size 1
		.amdhsa_round_robin_scheduling 0
		.amdhsa_exception_fp_ieee_invalid_op 0
		.amdhsa_exception_fp_denorm_src 0
		.amdhsa_exception_fp_ieee_div_zero 0
		.amdhsa_exception_fp_ieee_overflow 0
		.amdhsa_exception_fp_ieee_underflow 0
		.amdhsa_exception_fp_ieee_inexact 0
		.amdhsa_exception_int_div_zero 0
	.end_amdhsa_kernel
	.section	.text._Z39paged_attention_ll4mi_QKV_mfma16_kernelI14__hip_bfloat16S0_LN4vllm18Fp8KVCacheDataTypeE0ES0_Li16ELi128ELi256ELb1ELi2EEvPKT_PKT0_S8_ifPKiSA_SA_iPKfiiiPfSD_PS3_PT2_iSC_SC_,"axG",@progbits,_Z39paged_attention_ll4mi_QKV_mfma16_kernelI14__hip_bfloat16S0_LN4vllm18Fp8KVCacheDataTypeE0ES0_Li16ELi128ELi256ELb1ELi2EEvPKT_PKT0_S8_ifPKiSA_SA_iPKfiiiPfSD_PS3_PT2_iSC_SC_,comdat
.Lfunc_end659:
	.size	_Z39paged_attention_ll4mi_QKV_mfma16_kernelI14__hip_bfloat16S0_LN4vllm18Fp8KVCacheDataTypeE0ES0_Li16ELi128ELi256ELb1ELi2EEvPKT_PKT0_S8_ifPKiSA_SA_iPKfiiiPfSD_PS3_PT2_iSC_SC_, .Lfunc_end659-_Z39paged_attention_ll4mi_QKV_mfma16_kernelI14__hip_bfloat16S0_LN4vllm18Fp8KVCacheDataTypeE0ES0_Li16ELi128ELi256ELb1ELi2EEvPKT_PKT0_S8_ifPKiSA_SA_iPKfiiiPfSD_PS3_PT2_iSC_SC_
                                        ; -- End function
	.set _Z39paged_attention_ll4mi_QKV_mfma16_kernelI14__hip_bfloat16S0_LN4vllm18Fp8KVCacheDataTypeE0ES0_Li16ELi128ELi256ELb1ELi2EEvPKT_PKT0_S8_ifPKiSA_SA_iPKfiiiPfSD_PS3_PT2_iSC_SC_.num_vgpr, max(3, .L__assert_fail.num_vgpr)
	.set _Z39paged_attention_ll4mi_QKV_mfma16_kernelI14__hip_bfloat16S0_LN4vllm18Fp8KVCacheDataTypeE0ES0_Li16ELi128ELi256ELb1ELi2EEvPKT_PKT0_S8_ifPKiSA_SA_iPKfiiiPfSD_PS3_PT2_iSC_SC_.num_agpr, max(0, .L__assert_fail.num_agpr)
	.set _Z39paged_attention_ll4mi_QKV_mfma16_kernelI14__hip_bfloat16S0_LN4vllm18Fp8KVCacheDataTypeE0ES0_Li16ELi128ELi256ELb1ELi2EEvPKT_PKT0_S8_ifPKiSA_SA_iPKfiiiPfSD_PS3_PT2_iSC_SC_.numbered_sgpr, max(33, .L__assert_fail.numbered_sgpr)
	.set _Z39paged_attention_ll4mi_QKV_mfma16_kernelI14__hip_bfloat16S0_LN4vllm18Fp8KVCacheDataTypeE0ES0_Li16ELi128ELi256ELb1ELi2EEvPKT_PKT0_S8_ifPKiSA_SA_iPKfiiiPfSD_PS3_PT2_iSC_SC_.num_named_barrier, max(0, .L__assert_fail.num_named_barrier)
	.set _Z39paged_attention_ll4mi_QKV_mfma16_kernelI14__hip_bfloat16S0_LN4vllm18Fp8KVCacheDataTypeE0ES0_Li16ELi128ELi256ELb1ELi2EEvPKT_PKT0_S8_ifPKiSA_SA_iPKfiiiPfSD_PS3_PT2_iSC_SC_.private_seg_size, 0+max(.L__assert_fail.private_seg_size)
	.set _Z39paged_attention_ll4mi_QKV_mfma16_kernelI14__hip_bfloat16S0_LN4vllm18Fp8KVCacheDataTypeE0ES0_Li16ELi128ELi256ELb1ELi2EEvPKT_PKT0_S8_ifPKiSA_SA_iPKfiiiPfSD_PS3_PT2_iSC_SC_.uses_vcc, or(1, .L__assert_fail.uses_vcc)
	.set _Z39paged_attention_ll4mi_QKV_mfma16_kernelI14__hip_bfloat16S0_LN4vllm18Fp8KVCacheDataTypeE0ES0_Li16ELi128ELi256ELb1ELi2EEvPKT_PKT0_S8_ifPKiSA_SA_iPKfiiiPfSD_PS3_PT2_iSC_SC_.uses_flat_scratch, or(0, .L__assert_fail.uses_flat_scratch)
	.set _Z39paged_attention_ll4mi_QKV_mfma16_kernelI14__hip_bfloat16S0_LN4vllm18Fp8KVCacheDataTypeE0ES0_Li16ELi128ELi256ELb1ELi2EEvPKT_PKT0_S8_ifPKiSA_SA_iPKfiiiPfSD_PS3_PT2_iSC_SC_.has_dyn_sized_stack, or(0, .L__assert_fail.has_dyn_sized_stack)
	.set _Z39paged_attention_ll4mi_QKV_mfma16_kernelI14__hip_bfloat16S0_LN4vllm18Fp8KVCacheDataTypeE0ES0_Li16ELi128ELi256ELb1ELi2EEvPKT_PKT0_S8_ifPKiSA_SA_iPKfiiiPfSD_PS3_PT2_iSC_SC_.has_recursion, or(0, .L__assert_fail.has_recursion)
	.set _Z39paged_attention_ll4mi_QKV_mfma16_kernelI14__hip_bfloat16S0_LN4vllm18Fp8KVCacheDataTypeE0ES0_Li16ELi128ELi256ELb1ELi2EEvPKT_PKT0_S8_ifPKiSA_SA_iPKfiiiPfSD_PS3_PT2_iSC_SC_.has_indirect_call, or(0, .L__assert_fail.has_indirect_call)
	.section	.AMDGPU.csdata,"",@progbits
; Kernel info:
; codeLenInByte = 68
; TotalNumSgprs: 36
; NumVgprs: 51
; ScratchSize: 64
; MemoryBound: 0
; FloatMode: 240
; IeeeMode: 1
; LDSByteSize: 0 bytes/workgroup (compile time only)
; SGPRBlocks: 0
; VGPRBlocks: 3
; NumSGPRsForWavesPerEU: 36
; NumVGPRsForWavesPerEU: 51
; NamedBarCnt: 0
; Occupancy: 16
; WaveLimiterHint : 1
; COMPUTE_PGM_RSRC2:SCRATCH_EN: 1
; COMPUTE_PGM_RSRC2:USER_SGPR: 2
; COMPUTE_PGM_RSRC2:TRAP_HANDLER: 0
; COMPUTE_PGM_RSRC2:TGID_X_EN: 1
; COMPUTE_PGM_RSRC2:TGID_Y_EN: 0
; COMPUTE_PGM_RSRC2:TGID_Z_EN: 0
; COMPUTE_PGM_RSRC2:TIDIG_COMP_CNT: 0
	.section	.text._Z39paged_attention_ll4mi_QKV_mfma16_kernelI14__hip_bfloat16S0_LN4vllm18Fp8KVCacheDataTypeE0ES0_Li16ELi128ELi256ELb1ELi3EEvPKT_PKT0_S8_ifPKiSA_SA_iPKfiiiPfSD_PS3_PT2_iSC_SC_,"axG",@progbits,_Z39paged_attention_ll4mi_QKV_mfma16_kernelI14__hip_bfloat16S0_LN4vllm18Fp8KVCacheDataTypeE0ES0_Li16ELi128ELi256ELb1ELi3EEvPKT_PKT0_S8_ifPKiSA_SA_iPKfiiiPfSD_PS3_PT2_iSC_SC_,comdat
	.protected	_Z39paged_attention_ll4mi_QKV_mfma16_kernelI14__hip_bfloat16S0_LN4vllm18Fp8KVCacheDataTypeE0ES0_Li16ELi128ELi256ELb1ELi3EEvPKT_PKT0_S8_ifPKiSA_SA_iPKfiiiPfSD_PS3_PT2_iSC_SC_ ; -- Begin function _Z39paged_attention_ll4mi_QKV_mfma16_kernelI14__hip_bfloat16S0_LN4vllm18Fp8KVCacheDataTypeE0ES0_Li16ELi128ELi256ELb1ELi3EEvPKT_PKT0_S8_ifPKiSA_SA_iPKfiiiPfSD_PS3_PT2_iSC_SC_
	.globl	_Z39paged_attention_ll4mi_QKV_mfma16_kernelI14__hip_bfloat16S0_LN4vllm18Fp8KVCacheDataTypeE0ES0_Li16ELi128ELi256ELb1ELi3EEvPKT_PKT0_S8_ifPKiSA_SA_iPKfiiiPfSD_PS3_PT2_iSC_SC_
	.p2align	8
	.type	_Z39paged_attention_ll4mi_QKV_mfma16_kernelI14__hip_bfloat16S0_LN4vllm18Fp8KVCacheDataTypeE0ES0_Li16ELi128ELi256ELb1ELi3EEvPKT_PKT0_S8_ifPKiSA_SA_iPKfiiiPfSD_PS3_PT2_iSC_SC_,@function
_Z39paged_attention_ll4mi_QKV_mfma16_kernelI14__hip_bfloat16S0_LN4vllm18Fp8KVCacheDataTypeE0ES0_Li16ELi128ELi256ELb1ELi3EEvPKT_PKT0_S8_ifPKiSA_SA_iPKfiiiPfSD_PS3_PT2_iSC_SC_: ; @_Z39paged_attention_ll4mi_QKV_mfma16_kernelI14__hip_bfloat16S0_LN4vllm18Fp8KVCacheDataTypeE0ES0_Li16ELi128ELi256ELb1ELi3EEvPKT_PKT0_S8_ifPKiSA_SA_iPKfiiiPfSD_PS3_PT2_iSC_SC_
; %bb.0:
	s_get_pc_i64 s[2:3]
	s_add_nc_u64 s[2:3], s[2:3], __PRETTY_FUNCTION__._Z39paged_attention_ll4mi_QKV_mfma16_kernelI14__hip_bfloat16S0_LN4vllm18Fp8KVCacheDataTypeE0ES0_Li16ELi128ELi256ELb1ELi3EEvPKT_PKT0_S8_ifPKiSA_SA_iPKfiiiPfSD_PS3_PT2_iSC_SC_@rel64+4
	s_delay_alu instid0(SALU_CYCLE_1)
	v_dual_mov_b32 v0, 0xbb3 :: v_dual_mov_b32 v1, s2
	v_mov_b32_e32 v2, s3
	s_add_nc_u64 s[8:9], s[0:1], 0x90
	s_get_pc_i64 s[0:1]
	s_add_nc_u64 s[0:1], s[0:1], __assert_fail@rel64+4
	s_mov_b32 s32, 0
	s_swap_pc_i64 s[30:31], s[0:1]
	.section	.rodata,"a",@progbits
	.p2align	6, 0x0
	.amdhsa_kernel _Z39paged_attention_ll4mi_QKV_mfma16_kernelI14__hip_bfloat16S0_LN4vllm18Fp8KVCacheDataTypeE0ES0_Li16ELi128ELi256ELb1ELi3EEvPKT_PKT0_S8_ifPKiSA_SA_iPKfiiiPfSD_PS3_PT2_iSC_SC_
		.amdhsa_group_segment_fixed_size 0
		.amdhsa_private_segment_fixed_size 64
		.amdhsa_kernarg_size 400
		.amdhsa_user_sgpr_count 2
		.amdhsa_user_sgpr_dispatch_ptr 0
		.amdhsa_user_sgpr_queue_ptr 0
		.amdhsa_user_sgpr_kernarg_segment_ptr 1
		.amdhsa_user_sgpr_dispatch_id 0
		.amdhsa_user_sgpr_kernarg_preload_length 0
		.amdhsa_user_sgpr_kernarg_preload_offset 0
		.amdhsa_user_sgpr_private_segment_size 0
		.amdhsa_wavefront_size32 1
		.amdhsa_uses_dynamic_stack 0
		.amdhsa_enable_private_segment 1
		.amdhsa_system_sgpr_workgroup_id_x 1
		.amdhsa_system_sgpr_workgroup_id_y 0
		.amdhsa_system_sgpr_workgroup_id_z 0
		.amdhsa_system_sgpr_workgroup_info 0
		.amdhsa_system_vgpr_workitem_id 0
		.amdhsa_next_free_vgpr 51
		.amdhsa_next_free_sgpr 34
		.amdhsa_named_barrier_count 0
		.amdhsa_reserve_vcc 1
		.amdhsa_float_round_mode_32 0
		.amdhsa_float_round_mode_16_64 0
		.amdhsa_float_denorm_mode_32 3
		.amdhsa_float_denorm_mode_16_64 3
		.amdhsa_fp16_overflow 0
		.amdhsa_memory_ordered 1
		.amdhsa_forward_progress 1
		.amdhsa_inst_pref_size 1
		.amdhsa_round_robin_scheduling 0
		.amdhsa_exception_fp_ieee_invalid_op 0
		.amdhsa_exception_fp_denorm_src 0
		.amdhsa_exception_fp_ieee_div_zero 0
		.amdhsa_exception_fp_ieee_overflow 0
		.amdhsa_exception_fp_ieee_underflow 0
		.amdhsa_exception_fp_ieee_inexact 0
		.amdhsa_exception_int_div_zero 0
	.end_amdhsa_kernel
	.section	.text._Z39paged_attention_ll4mi_QKV_mfma16_kernelI14__hip_bfloat16S0_LN4vllm18Fp8KVCacheDataTypeE0ES0_Li16ELi128ELi256ELb1ELi3EEvPKT_PKT0_S8_ifPKiSA_SA_iPKfiiiPfSD_PS3_PT2_iSC_SC_,"axG",@progbits,_Z39paged_attention_ll4mi_QKV_mfma16_kernelI14__hip_bfloat16S0_LN4vllm18Fp8KVCacheDataTypeE0ES0_Li16ELi128ELi256ELb1ELi3EEvPKT_PKT0_S8_ifPKiSA_SA_iPKfiiiPfSD_PS3_PT2_iSC_SC_,comdat
.Lfunc_end660:
	.size	_Z39paged_attention_ll4mi_QKV_mfma16_kernelI14__hip_bfloat16S0_LN4vllm18Fp8KVCacheDataTypeE0ES0_Li16ELi128ELi256ELb1ELi3EEvPKT_PKT0_S8_ifPKiSA_SA_iPKfiiiPfSD_PS3_PT2_iSC_SC_, .Lfunc_end660-_Z39paged_attention_ll4mi_QKV_mfma16_kernelI14__hip_bfloat16S0_LN4vllm18Fp8KVCacheDataTypeE0ES0_Li16ELi128ELi256ELb1ELi3EEvPKT_PKT0_S8_ifPKiSA_SA_iPKfiiiPfSD_PS3_PT2_iSC_SC_
                                        ; -- End function
	.set _Z39paged_attention_ll4mi_QKV_mfma16_kernelI14__hip_bfloat16S0_LN4vllm18Fp8KVCacheDataTypeE0ES0_Li16ELi128ELi256ELb1ELi3EEvPKT_PKT0_S8_ifPKiSA_SA_iPKfiiiPfSD_PS3_PT2_iSC_SC_.num_vgpr, max(3, .L__assert_fail.num_vgpr)
	.set _Z39paged_attention_ll4mi_QKV_mfma16_kernelI14__hip_bfloat16S0_LN4vllm18Fp8KVCacheDataTypeE0ES0_Li16ELi128ELi256ELb1ELi3EEvPKT_PKT0_S8_ifPKiSA_SA_iPKfiiiPfSD_PS3_PT2_iSC_SC_.num_agpr, max(0, .L__assert_fail.num_agpr)
	.set _Z39paged_attention_ll4mi_QKV_mfma16_kernelI14__hip_bfloat16S0_LN4vllm18Fp8KVCacheDataTypeE0ES0_Li16ELi128ELi256ELb1ELi3EEvPKT_PKT0_S8_ifPKiSA_SA_iPKfiiiPfSD_PS3_PT2_iSC_SC_.numbered_sgpr, max(33, .L__assert_fail.numbered_sgpr)
	.set _Z39paged_attention_ll4mi_QKV_mfma16_kernelI14__hip_bfloat16S0_LN4vllm18Fp8KVCacheDataTypeE0ES0_Li16ELi128ELi256ELb1ELi3EEvPKT_PKT0_S8_ifPKiSA_SA_iPKfiiiPfSD_PS3_PT2_iSC_SC_.num_named_barrier, max(0, .L__assert_fail.num_named_barrier)
	.set _Z39paged_attention_ll4mi_QKV_mfma16_kernelI14__hip_bfloat16S0_LN4vllm18Fp8KVCacheDataTypeE0ES0_Li16ELi128ELi256ELb1ELi3EEvPKT_PKT0_S8_ifPKiSA_SA_iPKfiiiPfSD_PS3_PT2_iSC_SC_.private_seg_size, 0+max(.L__assert_fail.private_seg_size)
	.set _Z39paged_attention_ll4mi_QKV_mfma16_kernelI14__hip_bfloat16S0_LN4vllm18Fp8KVCacheDataTypeE0ES0_Li16ELi128ELi256ELb1ELi3EEvPKT_PKT0_S8_ifPKiSA_SA_iPKfiiiPfSD_PS3_PT2_iSC_SC_.uses_vcc, or(1, .L__assert_fail.uses_vcc)
	.set _Z39paged_attention_ll4mi_QKV_mfma16_kernelI14__hip_bfloat16S0_LN4vllm18Fp8KVCacheDataTypeE0ES0_Li16ELi128ELi256ELb1ELi3EEvPKT_PKT0_S8_ifPKiSA_SA_iPKfiiiPfSD_PS3_PT2_iSC_SC_.uses_flat_scratch, or(0, .L__assert_fail.uses_flat_scratch)
	.set _Z39paged_attention_ll4mi_QKV_mfma16_kernelI14__hip_bfloat16S0_LN4vllm18Fp8KVCacheDataTypeE0ES0_Li16ELi128ELi256ELb1ELi3EEvPKT_PKT0_S8_ifPKiSA_SA_iPKfiiiPfSD_PS3_PT2_iSC_SC_.has_dyn_sized_stack, or(0, .L__assert_fail.has_dyn_sized_stack)
	.set _Z39paged_attention_ll4mi_QKV_mfma16_kernelI14__hip_bfloat16S0_LN4vllm18Fp8KVCacheDataTypeE0ES0_Li16ELi128ELi256ELb1ELi3EEvPKT_PKT0_S8_ifPKiSA_SA_iPKfiiiPfSD_PS3_PT2_iSC_SC_.has_recursion, or(0, .L__assert_fail.has_recursion)
	.set _Z39paged_attention_ll4mi_QKV_mfma16_kernelI14__hip_bfloat16S0_LN4vllm18Fp8KVCacheDataTypeE0ES0_Li16ELi128ELi256ELb1ELi3EEvPKT_PKT0_S8_ifPKiSA_SA_iPKfiiiPfSD_PS3_PT2_iSC_SC_.has_indirect_call, or(0, .L__assert_fail.has_indirect_call)
	.section	.AMDGPU.csdata,"",@progbits
; Kernel info:
; codeLenInByte = 68
; TotalNumSgprs: 36
; NumVgprs: 51
; ScratchSize: 64
; MemoryBound: 0
; FloatMode: 240
; IeeeMode: 1
; LDSByteSize: 0 bytes/workgroup (compile time only)
; SGPRBlocks: 0
; VGPRBlocks: 3
; NumSGPRsForWavesPerEU: 36
; NumVGPRsForWavesPerEU: 51
; NamedBarCnt: 0
; Occupancy: 16
; WaveLimiterHint : 1
; COMPUTE_PGM_RSRC2:SCRATCH_EN: 1
; COMPUTE_PGM_RSRC2:USER_SGPR: 2
; COMPUTE_PGM_RSRC2:TRAP_HANDLER: 0
; COMPUTE_PGM_RSRC2:TGID_X_EN: 1
; COMPUTE_PGM_RSRC2:TGID_Y_EN: 0
; COMPUTE_PGM_RSRC2:TGID_Z_EN: 0
; COMPUTE_PGM_RSRC2:TIDIG_COMP_CNT: 0
	.section	.text._Z39paged_attention_ll4mi_QKV_mfma16_kernelI14__hip_bfloat16S0_LN4vllm18Fp8KVCacheDataTypeE0ES0_Li16ELi128ELi256ELb1ELi4EEvPKT_PKT0_S8_ifPKiSA_SA_iPKfiiiPfSD_PS3_PT2_iSC_SC_,"axG",@progbits,_Z39paged_attention_ll4mi_QKV_mfma16_kernelI14__hip_bfloat16S0_LN4vllm18Fp8KVCacheDataTypeE0ES0_Li16ELi128ELi256ELb1ELi4EEvPKT_PKT0_S8_ifPKiSA_SA_iPKfiiiPfSD_PS3_PT2_iSC_SC_,comdat
	.protected	_Z39paged_attention_ll4mi_QKV_mfma16_kernelI14__hip_bfloat16S0_LN4vllm18Fp8KVCacheDataTypeE0ES0_Li16ELi128ELi256ELb1ELi4EEvPKT_PKT0_S8_ifPKiSA_SA_iPKfiiiPfSD_PS3_PT2_iSC_SC_ ; -- Begin function _Z39paged_attention_ll4mi_QKV_mfma16_kernelI14__hip_bfloat16S0_LN4vllm18Fp8KVCacheDataTypeE0ES0_Li16ELi128ELi256ELb1ELi4EEvPKT_PKT0_S8_ifPKiSA_SA_iPKfiiiPfSD_PS3_PT2_iSC_SC_
	.globl	_Z39paged_attention_ll4mi_QKV_mfma16_kernelI14__hip_bfloat16S0_LN4vllm18Fp8KVCacheDataTypeE0ES0_Li16ELi128ELi256ELb1ELi4EEvPKT_PKT0_S8_ifPKiSA_SA_iPKfiiiPfSD_PS3_PT2_iSC_SC_
	.p2align	8
	.type	_Z39paged_attention_ll4mi_QKV_mfma16_kernelI14__hip_bfloat16S0_LN4vllm18Fp8KVCacheDataTypeE0ES0_Li16ELi128ELi256ELb1ELi4EEvPKT_PKT0_S8_ifPKiSA_SA_iPKfiiiPfSD_PS3_PT2_iSC_SC_,@function
_Z39paged_attention_ll4mi_QKV_mfma16_kernelI14__hip_bfloat16S0_LN4vllm18Fp8KVCacheDataTypeE0ES0_Li16ELi128ELi256ELb1ELi4EEvPKT_PKT0_S8_ifPKiSA_SA_iPKfiiiPfSD_PS3_PT2_iSC_SC_: ; @_Z39paged_attention_ll4mi_QKV_mfma16_kernelI14__hip_bfloat16S0_LN4vllm18Fp8KVCacheDataTypeE0ES0_Li16ELi128ELi256ELb1ELi4EEvPKT_PKT0_S8_ifPKiSA_SA_iPKfiiiPfSD_PS3_PT2_iSC_SC_
; %bb.0:
	s_get_pc_i64 s[2:3]
	s_add_nc_u64 s[2:3], s[2:3], __PRETTY_FUNCTION__._Z39paged_attention_ll4mi_QKV_mfma16_kernelI14__hip_bfloat16S0_LN4vllm18Fp8KVCacheDataTypeE0ES0_Li16ELi128ELi256ELb1ELi4EEvPKT_PKT0_S8_ifPKiSA_SA_iPKfiiiPfSD_PS3_PT2_iSC_SC_@rel64+4
	s_delay_alu instid0(SALU_CYCLE_1)
	v_dual_mov_b32 v0, 0xbb3 :: v_dual_mov_b32 v1, s2
	v_mov_b32_e32 v2, s3
	s_add_nc_u64 s[8:9], s[0:1], 0x90
	s_get_pc_i64 s[0:1]
	s_add_nc_u64 s[0:1], s[0:1], __assert_fail@rel64+4
	s_mov_b32 s32, 0
	s_swap_pc_i64 s[30:31], s[0:1]
	.section	.rodata,"a",@progbits
	.p2align	6, 0x0
	.amdhsa_kernel _Z39paged_attention_ll4mi_QKV_mfma16_kernelI14__hip_bfloat16S0_LN4vllm18Fp8KVCacheDataTypeE0ES0_Li16ELi128ELi256ELb1ELi4EEvPKT_PKT0_S8_ifPKiSA_SA_iPKfiiiPfSD_PS3_PT2_iSC_SC_
		.amdhsa_group_segment_fixed_size 0
		.amdhsa_private_segment_fixed_size 64
		.amdhsa_kernarg_size 400
		.amdhsa_user_sgpr_count 2
		.amdhsa_user_sgpr_dispatch_ptr 0
		.amdhsa_user_sgpr_queue_ptr 0
		.amdhsa_user_sgpr_kernarg_segment_ptr 1
		.amdhsa_user_sgpr_dispatch_id 0
		.amdhsa_user_sgpr_kernarg_preload_length 0
		.amdhsa_user_sgpr_kernarg_preload_offset 0
		.amdhsa_user_sgpr_private_segment_size 0
		.amdhsa_wavefront_size32 1
		.amdhsa_uses_dynamic_stack 0
		.amdhsa_enable_private_segment 1
		.amdhsa_system_sgpr_workgroup_id_x 1
		.amdhsa_system_sgpr_workgroup_id_y 0
		.amdhsa_system_sgpr_workgroup_id_z 0
		.amdhsa_system_sgpr_workgroup_info 0
		.amdhsa_system_vgpr_workitem_id 0
		.amdhsa_next_free_vgpr 51
		.amdhsa_next_free_sgpr 34
		.amdhsa_named_barrier_count 0
		.amdhsa_reserve_vcc 1
		.amdhsa_float_round_mode_32 0
		.amdhsa_float_round_mode_16_64 0
		.amdhsa_float_denorm_mode_32 3
		.amdhsa_float_denorm_mode_16_64 3
		.amdhsa_fp16_overflow 0
		.amdhsa_memory_ordered 1
		.amdhsa_forward_progress 1
		.amdhsa_inst_pref_size 1
		.amdhsa_round_robin_scheduling 0
		.amdhsa_exception_fp_ieee_invalid_op 0
		.amdhsa_exception_fp_denorm_src 0
		.amdhsa_exception_fp_ieee_div_zero 0
		.amdhsa_exception_fp_ieee_overflow 0
		.amdhsa_exception_fp_ieee_underflow 0
		.amdhsa_exception_fp_ieee_inexact 0
		.amdhsa_exception_int_div_zero 0
	.end_amdhsa_kernel
	.section	.text._Z39paged_attention_ll4mi_QKV_mfma16_kernelI14__hip_bfloat16S0_LN4vllm18Fp8KVCacheDataTypeE0ES0_Li16ELi128ELi256ELb1ELi4EEvPKT_PKT0_S8_ifPKiSA_SA_iPKfiiiPfSD_PS3_PT2_iSC_SC_,"axG",@progbits,_Z39paged_attention_ll4mi_QKV_mfma16_kernelI14__hip_bfloat16S0_LN4vllm18Fp8KVCacheDataTypeE0ES0_Li16ELi128ELi256ELb1ELi4EEvPKT_PKT0_S8_ifPKiSA_SA_iPKfiiiPfSD_PS3_PT2_iSC_SC_,comdat
.Lfunc_end661:
	.size	_Z39paged_attention_ll4mi_QKV_mfma16_kernelI14__hip_bfloat16S0_LN4vllm18Fp8KVCacheDataTypeE0ES0_Li16ELi128ELi256ELb1ELi4EEvPKT_PKT0_S8_ifPKiSA_SA_iPKfiiiPfSD_PS3_PT2_iSC_SC_, .Lfunc_end661-_Z39paged_attention_ll4mi_QKV_mfma16_kernelI14__hip_bfloat16S0_LN4vllm18Fp8KVCacheDataTypeE0ES0_Li16ELi128ELi256ELb1ELi4EEvPKT_PKT0_S8_ifPKiSA_SA_iPKfiiiPfSD_PS3_PT2_iSC_SC_
                                        ; -- End function
	.set _Z39paged_attention_ll4mi_QKV_mfma16_kernelI14__hip_bfloat16S0_LN4vllm18Fp8KVCacheDataTypeE0ES0_Li16ELi128ELi256ELb1ELi4EEvPKT_PKT0_S8_ifPKiSA_SA_iPKfiiiPfSD_PS3_PT2_iSC_SC_.num_vgpr, max(3, .L__assert_fail.num_vgpr)
	.set _Z39paged_attention_ll4mi_QKV_mfma16_kernelI14__hip_bfloat16S0_LN4vllm18Fp8KVCacheDataTypeE0ES0_Li16ELi128ELi256ELb1ELi4EEvPKT_PKT0_S8_ifPKiSA_SA_iPKfiiiPfSD_PS3_PT2_iSC_SC_.num_agpr, max(0, .L__assert_fail.num_agpr)
	.set _Z39paged_attention_ll4mi_QKV_mfma16_kernelI14__hip_bfloat16S0_LN4vllm18Fp8KVCacheDataTypeE0ES0_Li16ELi128ELi256ELb1ELi4EEvPKT_PKT0_S8_ifPKiSA_SA_iPKfiiiPfSD_PS3_PT2_iSC_SC_.numbered_sgpr, max(33, .L__assert_fail.numbered_sgpr)
	.set _Z39paged_attention_ll4mi_QKV_mfma16_kernelI14__hip_bfloat16S0_LN4vllm18Fp8KVCacheDataTypeE0ES0_Li16ELi128ELi256ELb1ELi4EEvPKT_PKT0_S8_ifPKiSA_SA_iPKfiiiPfSD_PS3_PT2_iSC_SC_.num_named_barrier, max(0, .L__assert_fail.num_named_barrier)
	.set _Z39paged_attention_ll4mi_QKV_mfma16_kernelI14__hip_bfloat16S0_LN4vllm18Fp8KVCacheDataTypeE0ES0_Li16ELi128ELi256ELb1ELi4EEvPKT_PKT0_S8_ifPKiSA_SA_iPKfiiiPfSD_PS3_PT2_iSC_SC_.private_seg_size, 0+max(.L__assert_fail.private_seg_size)
	.set _Z39paged_attention_ll4mi_QKV_mfma16_kernelI14__hip_bfloat16S0_LN4vllm18Fp8KVCacheDataTypeE0ES0_Li16ELi128ELi256ELb1ELi4EEvPKT_PKT0_S8_ifPKiSA_SA_iPKfiiiPfSD_PS3_PT2_iSC_SC_.uses_vcc, or(1, .L__assert_fail.uses_vcc)
	.set _Z39paged_attention_ll4mi_QKV_mfma16_kernelI14__hip_bfloat16S0_LN4vllm18Fp8KVCacheDataTypeE0ES0_Li16ELi128ELi256ELb1ELi4EEvPKT_PKT0_S8_ifPKiSA_SA_iPKfiiiPfSD_PS3_PT2_iSC_SC_.uses_flat_scratch, or(0, .L__assert_fail.uses_flat_scratch)
	.set _Z39paged_attention_ll4mi_QKV_mfma16_kernelI14__hip_bfloat16S0_LN4vllm18Fp8KVCacheDataTypeE0ES0_Li16ELi128ELi256ELb1ELi4EEvPKT_PKT0_S8_ifPKiSA_SA_iPKfiiiPfSD_PS3_PT2_iSC_SC_.has_dyn_sized_stack, or(0, .L__assert_fail.has_dyn_sized_stack)
	.set _Z39paged_attention_ll4mi_QKV_mfma16_kernelI14__hip_bfloat16S0_LN4vllm18Fp8KVCacheDataTypeE0ES0_Li16ELi128ELi256ELb1ELi4EEvPKT_PKT0_S8_ifPKiSA_SA_iPKfiiiPfSD_PS3_PT2_iSC_SC_.has_recursion, or(0, .L__assert_fail.has_recursion)
	.set _Z39paged_attention_ll4mi_QKV_mfma16_kernelI14__hip_bfloat16S0_LN4vllm18Fp8KVCacheDataTypeE0ES0_Li16ELi128ELi256ELb1ELi4EEvPKT_PKT0_S8_ifPKiSA_SA_iPKfiiiPfSD_PS3_PT2_iSC_SC_.has_indirect_call, or(0, .L__assert_fail.has_indirect_call)
	.section	.AMDGPU.csdata,"",@progbits
; Kernel info:
; codeLenInByte = 68
; TotalNumSgprs: 36
; NumVgprs: 51
; ScratchSize: 64
; MemoryBound: 0
; FloatMode: 240
; IeeeMode: 1
; LDSByteSize: 0 bytes/workgroup (compile time only)
; SGPRBlocks: 0
; VGPRBlocks: 3
; NumSGPRsForWavesPerEU: 36
; NumVGPRsForWavesPerEU: 51
; NamedBarCnt: 0
; Occupancy: 16
; WaveLimiterHint : 1
; COMPUTE_PGM_RSRC2:SCRATCH_EN: 1
; COMPUTE_PGM_RSRC2:USER_SGPR: 2
; COMPUTE_PGM_RSRC2:TRAP_HANDLER: 0
; COMPUTE_PGM_RSRC2:TGID_X_EN: 1
; COMPUTE_PGM_RSRC2:TGID_Y_EN: 0
; COMPUTE_PGM_RSRC2:TGID_Z_EN: 0
; COMPUTE_PGM_RSRC2:TIDIG_COMP_CNT: 0
	.section	.text._Z35paged_attention_ll4mi_reduce_kernelI14__hip_bfloat16S0_Li128ELi128ELi256ELi9EEvPT0_PKfS4_PKT_PKiS9_iS4_,"axG",@progbits,_Z35paged_attention_ll4mi_reduce_kernelI14__hip_bfloat16S0_Li128ELi128ELi256ELi9EEvPT0_PKfS4_PKT_PKiS9_iS4_,comdat
	.protected	_Z35paged_attention_ll4mi_reduce_kernelI14__hip_bfloat16S0_Li128ELi128ELi256ELi9EEvPT0_PKfS4_PKT_PKiS9_iS4_ ; -- Begin function _Z35paged_attention_ll4mi_reduce_kernelI14__hip_bfloat16S0_Li128ELi128ELi256ELi9EEvPT0_PKfS4_PKT_PKiS9_iS4_
	.globl	_Z35paged_attention_ll4mi_reduce_kernelI14__hip_bfloat16S0_Li128ELi128ELi256ELi9EEvPT0_PKfS4_PKT_PKiS9_iS4_
	.p2align	8
	.type	_Z35paged_attention_ll4mi_reduce_kernelI14__hip_bfloat16S0_Li128ELi128ELi256ELi9EEvPT0_PKfS4_PKT_PKiS9_iS4_,@function
_Z35paged_attention_ll4mi_reduce_kernelI14__hip_bfloat16S0_Li128ELi128ELi256ELi9EEvPT0_PKfS4_PKT_PKiS9_iS4_: ; @_Z35paged_attention_ll4mi_reduce_kernelI14__hip_bfloat16S0_Li128ELi128ELi256ELi9EEvPT0_PKfS4_PKT_PKiS9_iS4_
; %bb.0:
	s_get_pc_i64 s[2:3]
	s_add_nc_u64 s[2:3], s[2:3], __PRETTY_FUNCTION__._Z35paged_attention_ll4mi_reduce_kernelI14__hip_bfloat16S0_Li128ELi128ELi256ELi9EEvPT0_PKfS4_PKT_PKiS9_iS4_@rel64+4
	s_delay_alu instid0(SALU_CYCLE_1)
	v_dual_mov_b32 v0, 0xbdd :: v_dual_mov_b32 v1, s2
	v_mov_b32_e32 v2, s3
	s_add_nc_u64 s[8:9], s[0:1], 64
	s_get_pc_i64 s[0:1]
	s_add_nc_u64 s[0:1], s[0:1], __assert_fail@rel64+4
	s_mov_b32 s32, 0
	s_swap_pc_i64 s[30:31], s[0:1]
	.section	.rodata,"a",@progbits
	.p2align	6, 0x0
	.amdhsa_kernel _Z35paged_attention_ll4mi_reduce_kernelI14__hip_bfloat16S0_Li128ELi128ELi256ELi9EEvPT0_PKfS4_PKT_PKiS9_iS4_
		.amdhsa_group_segment_fixed_size 0
		.amdhsa_private_segment_fixed_size 64
		.amdhsa_kernarg_size 320
		.amdhsa_user_sgpr_count 2
		.amdhsa_user_sgpr_dispatch_ptr 0
		.amdhsa_user_sgpr_queue_ptr 0
		.amdhsa_user_sgpr_kernarg_segment_ptr 1
		.amdhsa_user_sgpr_dispatch_id 0
		.amdhsa_user_sgpr_kernarg_preload_length 0
		.amdhsa_user_sgpr_kernarg_preload_offset 0
		.amdhsa_user_sgpr_private_segment_size 0
		.amdhsa_wavefront_size32 1
		.amdhsa_uses_dynamic_stack 0
		.amdhsa_enable_private_segment 1
		.amdhsa_system_sgpr_workgroup_id_x 1
		.amdhsa_system_sgpr_workgroup_id_y 0
		.amdhsa_system_sgpr_workgroup_id_z 0
		.amdhsa_system_sgpr_workgroup_info 0
		.amdhsa_system_vgpr_workitem_id 0
		.amdhsa_next_free_vgpr 51
		.amdhsa_next_free_sgpr 34
		.amdhsa_named_barrier_count 0
		.amdhsa_reserve_vcc 1
		.amdhsa_float_round_mode_32 0
		.amdhsa_float_round_mode_16_64 0
		.amdhsa_float_denorm_mode_32 3
		.amdhsa_float_denorm_mode_16_64 3
		.amdhsa_fp16_overflow 0
		.amdhsa_memory_ordered 1
		.amdhsa_forward_progress 1
		.amdhsa_inst_pref_size 1
		.amdhsa_round_robin_scheduling 0
		.amdhsa_exception_fp_ieee_invalid_op 0
		.amdhsa_exception_fp_denorm_src 0
		.amdhsa_exception_fp_ieee_div_zero 0
		.amdhsa_exception_fp_ieee_overflow 0
		.amdhsa_exception_fp_ieee_underflow 0
		.amdhsa_exception_fp_ieee_inexact 0
		.amdhsa_exception_int_div_zero 0
	.end_amdhsa_kernel
	.section	.text._Z35paged_attention_ll4mi_reduce_kernelI14__hip_bfloat16S0_Li128ELi128ELi256ELi9EEvPT0_PKfS4_PKT_PKiS9_iS4_,"axG",@progbits,_Z35paged_attention_ll4mi_reduce_kernelI14__hip_bfloat16S0_Li128ELi128ELi256ELi9EEvPT0_PKfS4_PKT_PKiS9_iS4_,comdat
.Lfunc_end662:
	.size	_Z35paged_attention_ll4mi_reduce_kernelI14__hip_bfloat16S0_Li128ELi128ELi256ELi9EEvPT0_PKfS4_PKT_PKiS9_iS4_, .Lfunc_end662-_Z35paged_attention_ll4mi_reduce_kernelI14__hip_bfloat16S0_Li128ELi128ELi256ELi9EEvPT0_PKfS4_PKT_PKiS9_iS4_
                                        ; -- End function
	.set _Z35paged_attention_ll4mi_reduce_kernelI14__hip_bfloat16S0_Li128ELi128ELi256ELi9EEvPT0_PKfS4_PKT_PKiS9_iS4_.num_vgpr, max(3, .L__assert_fail.num_vgpr)
	.set _Z35paged_attention_ll4mi_reduce_kernelI14__hip_bfloat16S0_Li128ELi128ELi256ELi9EEvPT0_PKfS4_PKT_PKiS9_iS4_.num_agpr, max(0, .L__assert_fail.num_agpr)
	.set _Z35paged_attention_ll4mi_reduce_kernelI14__hip_bfloat16S0_Li128ELi128ELi256ELi9EEvPT0_PKfS4_PKT_PKiS9_iS4_.numbered_sgpr, max(33, .L__assert_fail.numbered_sgpr)
	.set _Z35paged_attention_ll4mi_reduce_kernelI14__hip_bfloat16S0_Li128ELi128ELi256ELi9EEvPT0_PKfS4_PKT_PKiS9_iS4_.num_named_barrier, max(0, .L__assert_fail.num_named_barrier)
	.set _Z35paged_attention_ll4mi_reduce_kernelI14__hip_bfloat16S0_Li128ELi128ELi256ELi9EEvPT0_PKfS4_PKT_PKiS9_iS4_.private_seg_size, 0+max(.L__assert_fail.private_seg_size)
	.set _Z35paged_attention_ll4mi_reduce_kernelI14__hip_bfloat16S0_Li128ELi128ELi256ELi9EEvPT0_PKfS4_PKT_PKiS9_iS4_.uses_vcc, or(1, .L__assert_fail.uses_vcc)
	.set _Z35paged_attention_ll4mi_reduce_kernelI14__hip_bfloat16S0_Li128ELi128ELi256ELi9EEvPT0_PKfS4_PKT_PKiS9_iS4_.uses_flat_scratch, or(0, .L__assert_fail.uses_flat_scratch)
	.set _Z35paged_attention_ll4mi_reduce_kernelI14__hip_bfloat16S0_Li128ELi128ELi256ELi9EEvPT0_PKfS4_PKT_PKiS9_iS4_.has_dyn_sized_stack, or(0, .L__assert_fail.has_dyn_sized_stack)
	.set _Z35paged_attention_ll4mi_reduce_kernelI14__hip_bfloat16S0_Li128ELi128ELi256ELi9EEvPT0_PKfS4_PKT_PKiS9_iS4_.has_recursion, or(0, .L__assert_fail.has_recursion)
	.set _Z35paged_attention_ll4mi_reduce_kernelI14__hip_bfloat16S0_Li128ELi128ELi256ELi9EEvPT0_PKfS4_PKT_PKiS9_iS4_.has_indirect_call, or(0, .L__assert_fail.has_indirect_call)
	.section	.AMDGPU.csdata,"",@progbits
; Kernel info:
; codeLenInByte = 64
; TotalNumSgprs: 36
; NumVgprs: 51
; ScratchSize: 64
; MemoryBound: 0
; FloatMode: 240
; IeeeMode: 1
; LDSByteSize: 0 bytes/workgroup (compile time only)
; SGPRBlocks: 0
; VGPRBlocks: 3
; NumSGPRsForWavesPerEU: 36
; NumVGPRsForWavesPerEU: 51
; NamedBarCnt: 0
; Occupancy: 16
; WaveLimiterHint : 1
; COMPUTE_PGM_RSRC2:SCRATCH_EN: 1
; COMPUTE_PGM_RSRC2:USER_SGPR: 2
; COMPUTE_PGM_RSRC2:TRAP_HANDLER: 0
; COMPUTE_PGM_RSRC2:TGID_X_EN: 1
; COMPUTE_PGM_RSRC2:TGID_Y_EN: 0
; COMPUTE_PGM_RSRC2:TGID_Z_EN: 0
; COMPUTE_PGM_RSRC2:TIDIG_COMP_CNT: 0
	.section	.text._Z35paged_attention_ll4mi_reduce_kernelI14__hip_bfloat16S0_Li128ELi128ELi256ELi10EEvPT0_PKfS4_PKT_PKiS9_iS4_,"axG",@progbits,_Z35paged_attention_ll4mi_reduce_kernelI14__hip_bfloat16S0_Li128ELi128ELi256ELi10EEvPT0_PKfS4_PKT_PKiS9_iS4_,comdat
	.protected	_Z35paged_attention_ll4mi_reduce_kernelI14__hip_bfloat16S0_Li128ELi128ELi256ELi10EEvPT0_PKfS4_PKT_PKiS9_iS4_ ; -- Begin function _Z35paged_attention_ll4mi_reduce_kernelI14__hip_bfloat16S0_Li128ELi128ELi256ELi10EEvPT0_PKfS4_PKT_PKiS9_iS4_
	.globl	_Z35paged_attention_ll4mi_reduce_kernelI14__hip_bfloat16S0_Li128ELi128ELi256ELi10EEvPT0_PKfS4_PKT_PKiS9_iS4_
	.p2align	8
	.type	_Z35paged_attention_ll4mi_reduce_kernelI14__hip_bfloat16S0_Li128ELi128ELi256ELi10EEvPT0_PKfS4_PKT_PKiS9_iS4_,@function
_Z35paged_attention_ll4mi_reduce_kernelI14__hip_bfloat16S0_Li128ELi128ELi256ELi10EEvPT0_PKfS4_PKT_PKiS9_iS4_: ; @_Z35paged_attention_ll4mi_reduce_kernelI14__hip_bfloat16S0_Li128ELi128ELi256ELi10EEvPT0_PKfS4_PKT_PKiS9_iS4_
; %bb.0:
	s_get_pc_i64 s[2:3]
	s_add_nc_u64 s[2:3], s[2:3], __PRETTY_FUNCTION__._Z35paged_attention_ll4mi_reduce_kernelI14__hip_bfloat16S0_Li128ELi128ELi256ELi10EEvPT0_PKfS4_PKT_PKiS9_iS4_@rel64+4
	s_delay_alu instid0(SALU_CYCLE_1)
	v_dual_mov_b32 v0, 0xbdd :: v_dual_mov_b32 v1, s2
	v_mov_b32_e32 v2, s3
	s_add_nc_u64 s[8:9], s[0:1], 64
	s_get_pc_i64 s[0:1]
	s_add_nc_u64 s[0:1], s[0:1], __assert_fail@rel64+4
	s_mov_b32 s32, 0
	s_swap_pc_i64 s[30:31], s[0:1]
	.section	.rodata,"a",@progbits
	.p2align	6, 0x0
	.amdhsa_kernel _Z35paged_attention_ll4mi_reduce_kernelI14__hip_bfloat16S0_Li128ELi128ELi256ELi10EEvPT0_PKfS4_PKT_PKiS9_iS4_
		.amdhsa_group_segment_fixed_size 0
		.amdhsa_private_segment_fixed_size 64
		.amdhsa_kernarg_size 320
		.amdhsa_user_sgpr_count 2
		.amdhsa_user_sgpr_dispatch_ptr 0
		.amdhsa_user_sgpr_queue_ptr 0
		.amdhsa_user_sgpr_kernarg_segment_ptr 1
		.amdhsa_user_sgpr_dispatch_id 0
		.amdhsa_user_sgpr_kernarg_preload_length 0
		.amdhsa_user_sgpr_kernarg_preload_offset 0
		.amdhsa_user_sgpr_private_segment_size 0
		.amdhsa_wavefront_size32 1
		.amdhsa_uses_dynamic_stack 0
		.amdhsa_enable_private_segment 1
		.amdhsa_system_sgpr_workgroup_id_x 1
		.amdhsa_system_sgpr_workgroup_id_y 0
		.amdhsa_system_sgpr_workgroup_id_z 0
		.amdhsa_system_sgpr_workgroup_info 0
		.amdhsa_system_vgpr_workitem_id 0
		.amdhsa_next_free_vgpr 51
		.amdhsa_next_free_sgpr 34
		.amdhsa_named_barrier_count 0
		.amdhsa_reserve_vcc 1
		.amdhsa_float_round_mode_32 0
		.amdhsa_float_round_mode_16_64 0
		.amdhsa_float_denorm_mode_32 3
		.amdhsa_float_denorm_mode_16_64 3
		.amdhsa_fp16_overflow 0
		.amdhsa_memory_ordered 1
		.amdhsa_forward_progress 1
		.amdhsa_inst_pref_size 1
		.amdhsa_round_robin_scheduling 0
		.amdhsa_exception_fp_ieee_invalid_op 0
		.amdhsa_exception_fp_denorm_src 0
		.amdhsa_exception_fp_ieee_div_zero 0
		.amdhsa_exception_fp_ieee_overflow 0
		.amdhsa_exception_fp_ieee_underflow 0
		.amdhsa_exception_fp_ieee_inexact 0
		.amdhsa_exception_int_div_zero 0
	.end_amdhsa_kernel
	.section	.text._Z35paged_attention_ll4mi_reduce_kernelI14__hip_bfloat16S0_Li128ELi128ELi256ELi10EEvPT0_PKfS4_PKT_PKiS9_iS4_,"axG",@progbits,_Z35paged_attention_ll4mi_reduce_kernelI14__hip_bfloat16S0_Li128ELi128ELi256ELi10EEvPT0_PKfS4_PKT_PKiS9_iS4_,comdat
.Lfunc_end663:
	.size	_Z35paged_attention_ll4mi_reduce_kernelI14__hip_bfloat16S0_Li128ELi128ELi256ELi10EEvPT0_PKfS4_PKT_PKiS9_iS4_, .Lfunc_end663-_Z35paged_attention_ll4mi_reduce_kernelI14__hip_bfloat16S0_Li128ELi128ELi256ELi10EEvPT0_PKfS4_PKT_PKiS9_iS4_
                                        ; -- End function
	.set _Z35paged_attention_ll4mi_reduce_kernelI14__hip_bfloat16S0_Li128ELi128ELi256ELi10EEvPT0_PKfS4_PKT_PKiS9_iS4_.num_vgpr, max(3, .L__assert_fail.num_vgpr)
	.set _Z35paged_attention_ll4mi_reduce_kernelI14__hip_bfloat16S0_Li128ELi128ELi256ELi10EEvPT0_PKfS4_PKT_PKiS9_iS4_.num_agpr, max(0, .L__assert_fail.num_agpr)
	.set _Z35paged_attention_ll4mi_reduce_kernelI14__hip_bfloat16S0_Li128ELi128ELi256ELi10EEvPT0_PKfS4_PKT_PKiS9_iS4_.numbered_sgpr, max(33, .L__assert_fail.numbered_sgpr)
	.set _Z35paged_attention_ll4mi_reduce_kernelI14__hip_bfloat16S0_Li128ELi128ELi256ELi10EEvPT0_PKfS4_PKT_PKiS9_iS4_.num_named_barrier, max(0, .L__assert_fail.num_named_barrier)
	.set _Z35paged_attention_ll4mi_reduce_kernelI14__hip_bfloat16S0_Li128ELi128ELi256ELi10EEvPT0_PKfS4_PKT_PKiS9_iS4_.private_seg_size, 0+max(.L__assert_fail.private_seg_size)
	.set _Z35paged_attention_ll4mi_reduce_kernelI14__hip_bfloat16S0_Li128ELi128ELi256ELi10EEvPT0_PKfS4_PKT_PKiS9_iS4_.uses_vcc, or(1, .L__assert_fail.uses_vcc)
	.set _Z35paged_attention_ll4mi_reduce_kernelI14__hip_bfloat16S0_Li128ELi128ELi256ELi10EEvPT0_PKfS4_PKT_PKiS9_iS4_.uses_flat_scratch, or(0, .L__assert_fail.uses_flat_scratch)
	.set _Z35paged_attention_ll4mi_reduce_kernelI14__hip_bfloat16S0_Li128ELi128ELi256ELi10EEvPT0_PKfS4_PKT_PKiS9_iS4_.has_dyn_sized_stack, or(0, .L__assert_fail.has_dyn_sized_stack)
	.set _Z35paged_attention_ll4mi_reduce_kernelI14__hip_bfloat16S0_Li128ELi128ELi256ELi10EEvPT0_PKfS4_PKT_PKiS9_iS4_.has_recursion, or(0, .L__assert_fail.has_recursion)
	.set _Z35paged_attention_ll4mi_reduce_kernelI14__hip_bfloat16S0_Li128ELi128ELi256ELi10EEvPT0_PKfS4_PKT_PKiS9_iS4_.has_indirect_call, or(0, .L__assert_fail.has_indirect_call)
	.section	.AMDGPU.csdata,"",@progbits
; Kernel info:
; codeLenInByte = 64
; TotalNumSgprs: 36
; NumVgprs: 51
; ScratchSize: 64
; MemoryBound: 0
; FloatMode: 240
; IeeeMode: 1
; LDSByteSize: 0 bytes/workgroup (compile time only)
; SGPRBlocks: 0
; VGPRBlocks: 3
; NumSGPRsForWavesPerEU: 36
; NumVGPRsForWavesPerEU: 51
; NamedBarCnt: 0
; Occupancy: 16
; WaveLimiterHint : 1
; COMPUTE_PGM_RSRC2:SCRATCH_EN: 1
; COMPUTE_PGM_RSRC2:USER_SGPR: 2
; COMPUTE_PGM_RSRC2:TRAP_HANDLER: 0
; COMPUTE_PGM_RSRC2:TGID_X_EN: 1
; COMPUTE_PGM_RSRC2:TGID_Y_EN: 0
; COMPUTE_PGM_RSRC2:TGID_Z_EN: 0
; COMPUTE_PGM_RSRC2:TIDIG_COMP_CNT: 0
	.section	.text._Z35paged_attention_ll4mi_reduce_kernelI14__hip_bfloat16S0_Li128ELi128ELi256ELi11EEvPT0_PKfS4_PKT_PKiS9_iS4_,"axG",@progbits,_Z35paged_attention_ll4mi_reduce_kernelI14__hip_bfloat16S0_Li128ELi128ELi256ELi11EEvPT0_PKfS4_PKT_PKiS9_iS4_,comdat
	.protected	_Z35paged_attention_ll4mi_reduce_kernelI14__hip_bfloat16S0_Li128ELi128ELi256ELi11EEvPT0_PKfS4_PKT_PKiS9_iS4_ ; -- Begin function _Z35paged_attention_ll4mi_reduce_kernelI14__hip_bfloat16S0_Li128ELi128ELi256ELi11EEvPT0_PKfS4_PKT_PKiS9_iS4_
	.globl	_Z35paged_attention_ll4mi_reduce_kernelI14__hip_bfloat16S0_Li128ELi128ELi256ELi11EEvPT0_PKfS4_PKT_PKiS9_iS4_
	.p2align	8
	.type	_Z35paged_attention_ll4mi_reduce_kernelI14__hip_bfloat16S0_Li128ELi128ELi256ELi11EEvPT0_PKfS4_PKT_PKiS9_iS4_,@function
_Z35paged_attention_ll4mi_reduce_kernelI14__hip_bfloat16S0_Li128ELi128ELi256ELi11EEvPT0_PKfS4_PKT_PKiS9_iS4_: ; @_Z35paged_attention_ll4mi_reduce_kernelI14__hip_bfloat16S0_Li128ELi128ELi256ELi11EEvPT0_PKfS4_PKT_PKiS9_iS4_
; %bb.0:
	s_get_pc_i64 s[2:3]
	s_add_nc_u64 s[2:3], s[2:3], __PRETTY_FUNCTION__._Z35paged_attention_ll4mi_reduce_kernelI14__hip_bfloat16S0_Li128ELi128ELi256ELi11EEvPT0_PKfS4_PKT_PKiS9_iS4_@rel64+4
	s_delay_alu instid0(SALU_CYCLE_1)
	v_dual_mov_b32 v0, 0xbdd :: v_dual_mov_b32 v1, s2
	v_mov_b32_e32 v2, s3
	s_add_nc_u64 s[8:9], s[0:1], 64
	s_get_pc_i64 s[0:1]
	s_add_nc_u64 s[0:1], s[0:1], __assert_fail@rel64+4
	s_mov_b32 s32, 0
	s_swap_pc_i64 s[30:31], s[0:1]
	.section	.rodata,"a",@progbits
	.p2align	6, 0x0
	.amdhsa_kernel _Z35paged_attention_ll4mi_reduce_kernelI14__hip_bfloat16S0_Li128ELi128ELi256ELi11EEvPT0_PKfS4_PKT_PKiS9_iS4_
		.amdhsa_group_segment_fixed_size 0
		.amdhsa_private_segment_fixed_size 64
		.amdhsa_kernarg_size 320
		.amdhsa_user_sgpr_count 2
		.amdhsa_user_sgpr_dispatch_ptr 0
		.amdhsa_user_sgpr_queue_ptr 0
		.amdhsa_user_sgpr_kernarg_segment_ptr 1
		.amdhsa_user_sgpr_dispatch_id 0
		.amdhsa_user_sgpr_kernarg_preload_length 0
		.amdhsa_user_sgpr_kernarg_preload_offset 0
		.amdhsa_user_sgpr_private_segment_size 0
		.amdhsa_wavefront_size32 1
		.amdhsa_uses_dynamic_stack 0
		.amdhsa_enable_private_segment 1
		.amdhsa_system_sgpr_workgroup_id_x 1
		.amdhsa_system_sgpr_workgroup_id_y 0
		.amdhsa_system_sgpr_workgroup_id_z 0
		.amdhsa_system_sgpr_workgroup_info 0
		.amdhsa_system_vgpr_workitem_id 0
		.amdhsa_next_free_vgpr 51
		.amdhsa_next_free_sgpr 34
		.amdhsa_named_barrier_count 0
		.amdhsa_reserve_vcc 1
		.amdhsa_float_round_mode_32 0
		.amdhsa_float_round_mode_16_64 0
		.amdhsa_float_denorm_mode_32 3
		.amdhsa_float_denorm_mode_16_64 3
		.amdhsa_fp16_overflow 0
		.amdhsa_memory_ordered 1
		.amdhsa_forward_progress 1
		.amdhsa_inst_pref_size 1
		.amdhsa_round_robin_scheduling 0
		.amdhsa_exception_fp_ieee_invalid_op 0
		.amdhsa_exception_fp_denorm_src 0
		.amdhsa_exception_fp_ieee_div_zero 0
		.amdhsa_exception_fp_ieee_overflow 0
		.amdhsa_exception_fp_ieee_underflow 0
		.amdhsa_exception_fp_ieee_inexact 0
		.amdhsa_exception_int_div_zero 0
	.end_amdhsa_kernel
	.section	.text._Z35paged_attention_ll4mi_reduce_kernelI14__hip_bfloat16S0_Li128ELi128ELi256ELi11EEvPT0_PKfS4_PKT_PKiS9_iS4_,"axG",@progbits,_Z35paged_attention_ll4mi_reduce_kernelI14__hip_bfloat16S0_Li128ELi128ELi256ELi11EEvPT0_PKfS4_PKT_PKiS9_iS4_,comdat
.Lfunc_end664:
	.size	_Z35paged_attention_ll4mi_reduce_kernelI14__hip_bfloat16S0_Li128ELi128ELi256ELi11EEvPT0_PKfS4_PKT_PKiS9_iS4_, .Lfunc_end664-_Z35paged_attention_ll4mi_reduce_kernelI14__hip_bfloat16S0_Li128ELi128ELi256ELi11EEvPT0_PKfS4_PKT_PKiS9_iS4_
                                        ; -- End function
	.set _Z35paged_attention_ll4mi_reduce_kernelI14__hip_bfloat16S0_Li128ELi128ELi256ELi11EEvPT0_PKfS4_PKT_PKiS9_iS4_.num_vgpr, max(3, .L__assert_fail.num_vgpr)
	.set _Z35paged_attention_ll4mi_reduce_kernelI14__hip_bfloat16S0_Li128ELi128ELi256ELi11EEvPT0_PKfS4_PKT_PKiS9_iS4_.num_agpr, max(0, .L__assert_fail.num_agpr)
	.set _Z35paged_attention_ll4mi_reduce_kernelI14__hip_bfloat16S0_Li128ELi128ELi256ELi11EEvPT0_PKfS4_PKT_PKiS9_iS4_.numbered_sgpr, max(33, .L__assert_fail.numbered_sgpr)
	.set _Z35paged_attention_ll4mi_reduce_kernelI14__hip_bfloat16S0_Li128ELi128ELi256ELi11EEvPT0_PKfS4_PKT_PKiS9_iS4_.num_named_barrier, max(0, .L__assert_fail.num_named_barrier)
	.set _Z35paged_attention_ll4mi_reduce_kernelI14__hip_bfloat16S0_Li128ELi128ELi256ELi11EEvPT0_PKfS4_PKT_PKiS9_iS4_.private_seg_size, 0+max(.L__assert_fail.private_seg_size)
	.set _Z35paged_attention_ll4mi_reduce_kernelI14__hip_bfloat16S0_Li128ELi128ELi256ELi11EEvPT0_PKfS4_PKT_PKiS9_iS4_.uses_vcc, or(1, .L__assert_fail.uses_vcc)
	.set _Z35paged_attention_ll4mi_reduce_kernelI14__hip_bfloat16S0_Li128ELi128ELi256ELi11EEvPT0_PKfS4_PKT_PKiS9_iS4_.uses_flat_scratch, or(0, .L__assert_fail.uses_flat_scratch)
	.set _Z35paged_attention_ll4mi_reduce_kernelI14__hip_bfloat16S0_Li128ELi128ELi256ELi11EEvPT0_PKfS4_PKT_PKiS9_iS4_.has_dyn_sized_stack, or(0, .L__assert_fail.has_dyn_sized_stack)
	.set _Z35paged_attention_ll4mi_reduce_kernelI14__hip_bfloat16S0_Li128ELi128ELi256ELi11EEvPT0_PKfS4_PKT_PKiS9_iS4_.has_recursion, or(0, .L__assert_fail.has_recursion)
	.set _Z35paged_attention_ll4mi_reduce_kernelI14__hip_bfloat16S0_Li128ELi128ELi256ELi11EEvPT0_PKfS4_PKT_PKiS9_iS4_.has_indirect_call, or(0, .L__assert_fail.has_indirect_call)
	.section	.AMDGPU.csdata,"",@progbits
; Kernel info:
; codeLenInByte = 64
; TotalNumSgprs: 36
; NumVgprs: 51
; ScratchSize: 64
; MemoryBound: 0
; FloatMode: 240
; IeeeMode: 1
; LDSByteSize: 0 bytes/workgroup (compile time only)
; SGPRBlocks: 0
; VGPRBlocks: 3
; NumSGPRsForWavesPerEU: 36
; NumVGPRsForWavesPerEU: 51
; NamedBarCnt: 0
; Occupancy: 16
; WaveLimiterHint : 1
; COMPUTE_PGM_RSRC2:SCRATCH_EN: 1
; COMPUTE_PGM_RSRC2:USER_SGPR: 2
; COMPUTE_PGM_RSRC2:TRAP_HANDLER: 0
; COMPUTE_PGM_RSRC2:TGID_X_EN: 1
; COMPUTE_PGM_RSRC2:TGID_Y_EN: 0
; COMPUTE_PGM_RSRC2:TGID_Z_EN: 0
; COMPUTE_PGM_RSRC2:TIDIG_COMP_CNT: 0
	.section	.text._Z35paged_attention_ll4mi_reduce_kernelI14__hip_bfloat16S0_Li128ELi128ELi256ELi12EEvPT0_PKfS4_PKT_PKiS9_iS4_,"axG",@progbits,_Z35paged_attention_ll4mi_reduce_kernelI14__hip_bfloat16S0_Li128ELi128ELi256ELi12EEvPT0_PKfS4_PKT_PKiS9_iS4_,comdat
	.protected	_Z35paged_attention_ll4mi_reduce_kernelI14__hip_bfloat16S0_Li128ELi128ELi256ELi12EEvPT0_PKfS4_PKT_PKiS9_iS4_ ; -- Begin function _Z35paged_attention_ll4mi_reduce_kernelI14__hip_bfloat16S0_Li128ELi128ELi256ELi12EEvPT0_PKfS4_PKT_PKiS9_iS4_
	.globl	_Z35paged_attention_ll4mi_reduce_kernelI14__hip_bfloat16S0_Li128ELi128ELi256ELi12EEvPT0_PKfS4_PKT_PKiS9_iS4_
	.p2align	8
	.type	_Z35paged_attention_ll4mi_reduce_kernelI14__hip_bfloat16S0_Li128ELi128ELi256ELi12EEvPT0_PKfS4_PKT_PKiS9_iS4_,@function
_Z35paged_attention_ll4mi_reduce_kernelI14__hip_bfloat16S0_Li128ELi128ELi256ELi12EEvPT0_PKfS4_PKT_PKiS9_iS4_: ; @_Z35paged_attention_ll4mi_reduce_kernelI14__hip_bfloat16S0_Li128ELi128ELi256ELi12EEvPT0_PKfS4_PKT_PKiS9_iS4_
; %bb.0:
	s_get_pc_i64 s[2:3]
	s_add_nc_u64 s[2:3], s[2:3], __PRETTY_FUNCTION__._Z35paged_attention_ll4mi_reduce_kernelI14__hip_bfloat16S0_Li128ELi128ELi256ELi12EEvPT0_PKfS4_PKT_PKiS9_iS4_@rel64+4
	s_delay_alu instid0(SALU_CYCLE_1)
	v_dual_mov_b32 v0, 0xbdd :: v_dual_mov_b32 v1, s2
	v_mov_b32_e32 v2, s3
	s_add_nc_u64 s[8:9], s[0:1], 64
	s_get_pc_i64 s[0:1]
	s_add_nc_u64 s[0:1], s[0:1], __assert_fail@rel64+4
	s_mov_b32 s32, 0
	s_swap_pc_i64 s[30:31], s[0:1]
	.section	.rodata,"a",@progbits
	.p2align	6, 0x0
	.amdhsa_kernel _Z35paged_attention_ll4mi_reduce_kernelI14__hip_bfloat16S0_Li128ELi128ELi256ELi12EEvPT0_PKfS4_PKT_PKiS9_iS4_
		.amdhsa_group_segment_fixed_size 0
		.amdhsa_private_segment_fixed_size 64
		.amdhsa_kernarg_size 320
		.amdhsa_user_sgpr_count 2
		.amdhsa_user_sgpr_dispatch_ptr 0
		.amdhsa_user_sgpr_queue_ptr 0
		.amdhsa_user_sgpr_kernarg_segment_ptr 1
		.amdhsa_user_sgpr_dispatch_id 0
		.amdhsa_user_sgpr_kernarg_preload_length 0
		.amdhsa_user_sgpr_kernarg_preload_offset 0
		.amdhsa_user_sgpr_private_segment_size 0
		.amdhsa_wavefront_size32 1
		.amdhsa_uses_dynamic_stack 0
		.amdhsa_enable_private_segment 1
		.amdhsa_system_sgpr_workgroup_id_x 1
		.amdhsa_system_sgpr_workgroup_id_y 0
		.amdhsa_system_sgpr_workgroup_id_z 0
		.amdhsa_system_sgpr_workgroup_info 0
		.amdhsa_system_vgpr_workitem_id 0
		.amdhsa_next_free_vgpr 51
		.amdhsa_next_free_sgpr 34
		.amdhsa_named_barrier_count 0
		.amdhsa_reserve_vcc 1
		.amdhsa_float_round_mode_32 0
		.amdhsa_float_round_mode_16_64 0
		.amdhsa_float_denorm_mode_32 3
		.amdhsa_float_denorm_mode_16_64 3
		.amdhsa_fp16_overflow 0
		.amdhsa_memory_ordered 1
		.amdhsa_forward_progress 1
		.amdhsa_inst_pref_size 1
		.amdhsa_round_robin_scheduling 0
		.amdhsa_exception_fp_ieee_invalid_op 0
		.amdhsa_exception_fp_denorm_src 0
		.amdhsa_exception_fp_ieee_div_zero 0
		.amdhsa_exception_fp_ieee_overflow 0
		.amdhsa_exception_fp_ieee_underflow 0
		.amdhsa_exception_fp_ieee_inexact 0
		.amdhsa_exception_int_div_zero 0
	.end_amdhsa_kernel
	.section	.text._Z35paged_attention_ll4mi_reduce_kernelI14__hip_bfloat16S0_Li128ELi128ELi256ELi12EEvPT0_PKfS4_PKT_PKiS9_iS4_,"axG",@progbits,_Z35paged_attention_ll4mi_reduce_kernelI14__hip_bfloat16S0_Li128ELi128ELi256ELi12EEvPT0_PKfS4_PKT_PKiS9_iS4_,comdat
.Lfunc_end665:
	.size	_Z35paged_attention_ll4mi_reduce_kernelI14__hip_bfloat16S0_Li128ELi128ELi256ELi12EEvPT0_PKfS4_PKT_PKiS9_iS4_, .Lfunc_end665-_Z35paged_attention_ll4mi_reduce_kernelI14__hip_bfloat16S0_Li128ELi128ELi256ELi12EEvPT0_PKfS4_PKT_PKiS9_iS4_
                                        ; -- End function
	.set _Z35paged_attention_ll4mi_reduce_kernelI14__hip_bfloat16S0_Li128ELi128ELi256ELi12EEvPT0_PKfS4_PKT_PKiS9_iS4_.num_vgpr, max(3, .L__assert_fail.num_vgpr)
	.set _Z35paged_attention_ll4mi_reduce_kernelI14__hip_bfloat16S0_Li128ELi128ELi256ELi12EEvPT0_PKfS4_PKT_PKiS9_iS4_.num_agpr, max(0, .L__assert_fail.num_agpr)
	.set _Z35paged_attention_ll4mi_reduce_kernelI14__hip_bfloat16S0_Li128ELi128ELi256ELi12EEvPT0_PKfS4_PKT_PKiS9_iS4_.numbered_sgpr, max(33, .L__assert_fail.numbered_sgpr)
	.set _Z35paged_attention_ll4mi_reduce_kernelI14__hip_bfloat16S0_Li128ELi128ELi256ELi12EEvPT0_PKfS4_PKT_PKiS9_iS4_.num_named_barrier, max(0, .L__assert_fail.num_named_barrier)
	.set _Z35paged_attention_ll4mi_reduce_kernelI14__hip_bfloat16S0_Li128ELi128ELi256ELi12EEvPT0_PKfS4_PKT_PKiS9_iS4_.private_seg_size, 0+max(.L__assert_fail.private_seg_size)
	.set _Z35paged_attention_ll4mi_reduce_kernelI14__hip_bfloat16S0_Li128ELi128ELi256ELi12EEvPT0_PKfS4_PKT_PKiS9_iS4_.uses_vcc, or(1, .L__assert_fail.uses_vcc)
	.set _Z35paged_attention_ll4mi_reduce_kernelI14__hip_bfloat16S0_Li128ELi128ELi256ELi12EEvPT0_PKfS4_PKT_PKiS9_iS4_.uses_flat_scratch, or(0, .L__assert_fail.uses_flat_scratch)
	.set _Z35paged_attention_ll4mi_reduce_kernelI14__hip_bfloat16S0_Li128ELi128ELi256ELi12EEvPT0_PKfS4_PKT_PKiS9_iS4_.has_dyn_sized_stack, or(0, .L__assert_fail.has_dyn_sized_stack)
	.set _Z35paged_attention_ll4mi_reduce_kernelI14__hip_bfloat16S0_Li128ELi128ELi256ELi12EEvPT0_PKfS4_PKT_PKiS9_iS4_.has_recursion, or(0, .L__assert_fail.has_recursion)
	.set _Z35paged_attention_ll4mi_reduce_kernelI14__hip_bfloat16S0_Li128ELi128ELi256ELi12EEvPT0_PKfS4_PKT_PKiS9_iS4_.has_indirect_call, or(0, .L__assert_fail.has_indirect_call)
	.section	.AMDGPU.csdata,"",@progbits
; Kernel info:
; codeLenInByte = 64
; TotalNumSgprs: 36
; NumVgprs: 51
; ScratchSize: 64
; MemoryBound: 0
; FloatMode: 240
; IeeeMode: 1
; LDSByteSize: 0 bytes/workgroup (compile time only)
; SGPRBlocks: 0
; VGPRBlocks: 3
; NumSGPRsForWavesPerEU: 36
; NumVGPRsForWavesPerEU: 51
; NamedBarCnt: 0
; Occupancy: 16
; WaveLimiterHint : 1
; COMPUTE_PGM_RSRC2:SCRATCH_EN: 1
; COMPUTE_PGM_RSRC2:USER_SGPR: 2
; COMPUTE_PGM_RSRC2:TRAP_HANDLER: 0
; COMPUTE_PGM_RSRC2:TGID_X_EN: 1
; COMPUTE_PGM_RSRC2:TGID_Y_EN: 0
; COMPUTE_PGM_RSRC2:TGID_Z_EN: 0
; COMPUTE_PGM_RSRC2:TIDIG_COMP_CNT: 0
	.section	.text._Z35paged_attention_ll4mi_reduce_kernelI14__hip_bfloat16S0_Li128ELi128ELi256ELi13EEvPT0_PKfS4_PKT_PKiS9_iS4_,"axG",@progbits,_Z35paged_attention_ll4mi_reduce_kernelI14__hip_bfloat16S0_Li128ELi128ELi256ELi13EEvPT0_PKfS4_PKT_PKiS9_iS4_,comdat
	.protected	_Z35paged_attention_ll4mi_reduce_kernelI14__hip_bfloat16S0_Li128ELi128ELi256ELi13EEvPT0_PKfS4_PKT_PKiS9_iS4_ ; -- Begin function _Z35paged_attention_ll4mi_reduce_kernelI14__hip_bfloat16S0_Li128ELi128ELi256ELi13EEvPT0_PKfS4_PKT_PKiS9_iS4_
	.globl	_Z35paged_attention_ll4mi_reduce_kernelI14__hip_bfloat16S0_Li128ELi128ELi256ELi13EEvPT0_PKfS4_PKT_PKiS9_iS4_
	.p2align	8
	.type	_Z35paged_attention_ll4mi_reduce_kernelI14__hip_bfloat16S0_Li128ELi128ELi256ELi13EEvPT0_PKfS4_PKT_PKiS9_iS4_,@function
_Z35paged_attention_ll4mi_reduce_kernelI14__hip_bfloat16S0_Li128ELi128ELi256ELi13EEvPT0_PKfS4_PKT_PKiS9_iS4_: ; @_Z35paged_attention_ll4mi_reduce_kernelI14__hip_bfloat16S0_Li128ELi128ELi256ELi13EEvPT0_PKfS4_PKT_PKiS9_iS4_
; %bb.0:
	s_get_pc_i64 s[2:3]
	s_add_nc_u64 s[2:3], s[2:3], __PRETTY_FUNCTION__._Z35paged_attention_ll4mi_reduce_kernelI14__hip_bfloat16S0_Li128ELi128ELi256ELi13EEvPT0_PKfS4_PKT_PKiS9_iS4_@rel64+4
	s_delay_alu instid0(SALU_CYCLE_1)
	v_dual_mov_b32 v0, 0xbdd :: v_dual_mov_b32 v1, s2
	v_mov_b32_e32 v2, s3
	s_add_nc_u64 s[8:9], s[0:1], 64
	s_get_pc_i64 s[0:1]
	s_add_nc_u64 s[0:1], s[0:1], __assert_fail@rel64+4
	s_mov_b32 s32, 0
	s_swap_pc_i64 s[30:31], s[0:1]
	.section	.rodata,"a",@progbits
	.p2align	6, 0x0
	.amdhsa_kernel _Z35paged_attention_ll4mi_reduce_kernelI14__hip_bfloat16S0_Li128ELi128ELi256ELi13EEvPT0_PKfS4_PKT_PKiS9_iS4_
		.amdhsa_group_segment_fixed_size 0
		.amdhsa_private_segment_fixed_size 64
		.amdhsa_kernarg_size 320
		.amdhsa_user_sgpr_count 2
		.amdhsa_user_sgpr_dispatch_ptr 0
		.amdhsa_user_sgpr_queue_ptr 0
		.amdhsa_user_sgpr_kernarg_segment_ptr 1
		.amdhsa_user_sgpr_dispatch_id 0
		.amdhsa_user_sgpr_kernarg_preload_length 0
		.amdhsa_user_sgpr_kernarg_preload_offset 0
		.amdhsa_user_sgpr_private_segment_size 0
		.amdhsa_wavefront_size32 1
		.amdhsa_uses_dynamic_stack 0
		.amdhsa_enable_private_segment 1
		.amdhsa_system_sgpr_workgroup_id_x 1
		.amdhsa_system_sgpr_workgroup_id_y 0
		.amdhsa_system_sgpr_workgroup_id_z 0
		.amdhsa_system_sgpr_workgroup_info 0
		.amdhsa_system_vgpr_workitem_id 0
		.amdhsa_next_free_vgpr 51
		.amdhsa_next_free_sgpr 34
		.amdhsa_named_barrier_count 0
		.amdhsa_reserve_vcc 1
		.amdhsa_float_round_mode_32 0
		.amdhsa_float_round_mode_16_64 0
		.amdhsa_float_denorm_mode_32 3
		.amdhsa_float_denorm_mode_16_64 3
		.amdhsa_fp16_overflow 0
		.amdhsa_memory_ordered 1
		.amdhsa_forward_progress 1
		.amdhsa_inst_pref_size 1
		.amdhsa_round_robin_scheduling 0
		.amdhsa_exception_fp_ieee_invalid_op 0
		.amdhsa_exception_fp_denorm_src 0
		.amdhsa_exception_fp_ieee_div_zero 0
		.amdhsa_exception_fp_ieee_overflow 0
		.amdhsa_exception_fp_ieee_underflow 0
		.amdhsa_exception_fp_ieee_inexact 0
		.amdhsa_exception_int_div_zero 0
	.end_amdhsa_kernel
	.section	.text._Z35paged_attention_ll4mi_reduce_kernelI14__hip_bfloat16S0_Li128ELi128ELi256ELi13EEvPT0_PKfS4_PKT_PKiS9_iS4_,"axG",@progbits,_Z35paged_attention_ll4mi_reduce_kernelI14__hip_bfloat16S0_Li128ELi128ELi256ELi13EEvPT0_PKfS4_PKT_PKiS9_iS4_,comdat
.Lfunc_end666:
	.size	_Z35paged_attention_ll4mi_reduce_kernelI14__hip_bfloat16S0_Li128ELi128ELi256ELi13EEvPT0_PKfS4_PKT_PKiS9_iS4_, .Lfunc_end666-_Z35paged_attention_ll4mi_reduce_kernelI14__hip_bfloat16S0_Li128ELi128ELi256ELi13EEvPT0_PKfS4_PKT_PKiS9_iS4_
                                        ; -- End function
	.set _Z35paged_attention_ll4mi_reduce_kernelI14__hip_bfloat16S0_Li128ELi128ELi256ELi13EEvPT0_PKfS4_PKT_PKiS9_iS4_.num_vgpr, max(3, .L__assert_fail.num_vgpr)
	.set _Z35paged_attention_ll4mi_reduce_kernelI14__hip_bfloat16S0_Li128ELi128ELi256ELi13EEvPT0_PKfS4_PKT_PKiS9_iS4_.num_agpr, max(0, .L__assert_fail.num_agpr)
	.set _Z35paged_attention_ll4mi_reduce_kernelI14__hip_bfloat16S0_Li128ELi128ELi256ELi13EEvPT0_PKfS4_PKT_PKiS9_iS4_.numbered_sgpr, max(33, .L__assert_fail.numbered_sgpr)
	.set _Z35paged_attention_ll4mi_reduce_kernelI14__hip_bfloat16S0_Li128ELi128ELi256ELi13EEvPT0_PKfS4_PKT_PKiS9_iS4_.num_named_barrier, max(0, .L__assert_fail.num_named_barrier)
	.set _Z35paged_attention_ll4mi_reduce_kernelI14__hip_bfloat16S0_Li128ELi128ELi256ELi13EEvPT0_PKfS4_PKT_PKiS9_iS4_.private_seg_size, 0+max(.L__assert_fail.private_seg_size)
	.set _Z35paged_attention_ll4mi_reduce_kernelI14__hip_bfloat16S0_Li128ELi128ELi256ELi13EEvPT0_PKfS4_PKT_PKiS9_iS4_.uses_vcc, or(1, .L__assert_fail.uses_vcc)
	.set _Z35paged_attention_ll4mi_reduce_kernelI14__hip_bfloat16S0_Li128ELi128ELi256ELi13EEvPT0_PKfS4_PKT_PKiS9_iS4_.uses_flat_scratch, or(0, .L__assert_fail.uses_flat_scratch)
	.set _Z35paged_attention_ll4mi_reduce_kernelI14__hip_bfloat16S0_Li128ELi128ELi256ELi13EEvPT0_PKfS4_PKT_PKiS9_iS4_.has_dyn_sized_stack, or(0, .L__assert_fail.has_dyn_sized_stack)
	.set _Z35paged_attention_ll4mi_reduce_kernelI14__hip_bfloat16S0_Li128ELi128ELi256ELi13EEvPT0_PKfS4_PKT_PKiS9_iS4_.has_recursion, or(0, .L__assert_fail.has_recursion)
	.set _Z35paged_attention_ll4mi_reduce_kernelI14__hip_bfloat16S0_Li128ELi128ELi256ELi13EEvPT0_PKfS4_PKT_PKiS9_iS4_.has_indirect_call, or(0, .L__assert_fail.has_indirect_call)
	.section	.AMDGPU.csdata,"",@progbits
; Kernel info:
; codeLenInByte = 64
; TotalNumSgprs: 36
; NumVgprs: 51
; ScratchSize: 64
; MemoryBound: 0
; FloatMode: 240
; IeeeMode: 1
; LDSByteSize: 0 bytes/workgroup (compile time only)
; SGPRBlocks: 0
; VGPRBlocks: 3
; NumSGPRsForWavesPerEU: 36
; NumVGPRsForWavesPerEU: 51
; NamedBarCnt: 0
; Occupancy: 16
; WaveLimiterHint : 1
; COMPUTE_PGM_RSRC2:SCRATCH_EN: 1
; COMPUTE_PGM_RSRC2:USER_SGPR: 2
; COMPUTE_PGM_RSRC2:TRAP_HANDLER: 0
; COMPUTE_PGM_RSRC2:TGID_X_EN: 1
; COMPUTE_PGM_RSRC2:TGID_Y_EN: 0
; COMPUTE_PGM_RSRC2:TGID_Z_EN: 0
; COMPUTE_PGM_RSRC2:TIDIG_COMP_CNT: 0
	.section	.text._Z35paged_attention_ll4mi_reduce_kernelI14__hip_bfloat16S0_Li128ELi128ELi256ELi14EEvPT0_PKfS4_PKT_PKiS9_iS4_,"axG",@progbits,_Z35paged_attention_ll4mi_reduce_kernelI14__hip_bfloat16S0_Li128ELi128ELi256ELi14EEvPT0_PKfS4_PKT_PKiS9_iS4_,comdat
	.protected	_Z35paged_attention_ll4mi_reduce_kernelI14__hip_bfloat16S0_Li128ELi128ELi256ELi14EEvPT0_PKfS4_PKT_PKiS9_iS4_ ; -- Begin function _Z35paged_attention_ll4mi_reduce_kernelI14__hip_bfloat16S0_Li128ELi128ELi256ELi14EEvPT0_PKfS4_PKT_PKiS9_iS4_
	.globl	_Z35paged_attention_ll4mi_reduce_kernelI14__hip_bfloat16S0_Li128ELi128ELi256ELi14EEvPT0_PKfS4_PKT_PKiS9_iS4_
	.p2align	8
	.type	_Z35paged_attention_ll4mi_reduce_kernelI14__hip_bfloat16S0_Li128ELi128ELi256ELi14EEvPT0_PKfS4_PKT_PKiS9_iS4_,@function
_Z35paged_attention_ll4mi_reduce_kernelI14__hip_bfloat16S0_Li128ELi128ELi256ELi14EEvPT0_PKfS4_PKT_PKiS9_iS4_: ; @_Z35paged_attention_ll4mi_reduce_kernelI14__hip_bfloat16S0_Li128ELi128ELi256ELi14EEvPT0_PKfS4_PKT_PKiS9_iS4_
; %bb.0:
	s_get_pc_i64 s[2:3]
	s_add_nc_u64 s[2:3], s[2:3], __PRETTY_FUNCTION__._Z35paged_attention_ll4mi_reduce_kernelI14__hip_bfloat16S0_Li128ELi128ELi256ELi14EEvPT0_PKfS4_PKT_PKiS9_iS4_@rel64+4
	s_delay_alu instid0(SALU_CYCLE_1)
	v_dual_mov_b32 v0, 0xbdd :: v_dual_mov_b32 v1, s2
	v_mov_b32_e32 v2, s3
	s_add_nc_u64 s[8:9], s[0:1], 64
	s_get_pc_i64 s[0:1]
	s_add_nc_u64 s[0:1], s[0:1], __assert_fail@rel64+4
	s_mov_b32 s32, 0
	s_swap_pc_i64 s[30:31], s[0:1]
	.section	.rodata,"a",@progbits
	.p2align	6, 0x0
	.amdhsa_kernel _Z35paged_attention_ll4mi_reduce_kernelI14__hip_bfloat16S0_Li128ELi128ELi256ELi14EEvPT0_PKfS4_PKT_PKiS9_iS4_
		.amdhsa_group_segment_fixed_size 0
		.amdhsa_private_segment_fixed_size 64
		.amdhsa_kernarg_size 320
		.amdhsa_user_sgpr_count 2
		.amdhsa_user_sgpr_dispatch_ptr 0
		.amdhsa_user_sgpr_queue_ptr 0
		.amdhsa_user_sgpr_kernarg_segment_ptr 1
		.amdhsa_user_sgpr_dispatch_id 0
		.amdhsa_user_sgpr_kernarg_preload_length 0
		.amdhsa_user_sgpr_kernarg_preload_offset 0
		.amdhsa_user_sgpr_private_segment_size 0
		.amdhsa_wavefront_size32 1
		.amdhsa_uses_dynamic_stack 0
		.amdhsa_enable_private_segment 1
		.amdhsa_system_sgpr_workgroup_id_x 1
		.amdhsa_system_sgpr_workgroup_id_y 0
		.amdhsa_system_sgpr_workgroup_id_z 0
		.amdhsa_system_sgpr_workgroup_info 0
		.amdhsa_system_vgpr_workitem_id 0
		.amdhsa_next_free_vgpr 51
		.amdhsa_next_free_sgpr 34
		.amdhsa_named_barrier_count 0
		.amdhsa_reserve_vcc 1
		.amdhsa_float_round_mode_32 0
		.amdhsa_float_round_mode_16_64 0
		.amdhsa_float_denorm_mode_32 3
		.amdhsa_float_denorm_mode_16_64 3
		.amdhsa_fp16_overflow 0
		.amdhsa_memory_ordered 1
		.amdhsa_forward_progress 1
		.amdhsa_inst_pref_size 1
		.amdhsa_round_robin_scheduling 0
		.amdhsa_exception_fp_ieee_invalid_op 0
		.amdhsa_exception_fp_denorm_src 0
		.amdhsa_exception_fp_ieee_div_zero 0
		.amdhsa_exception_fp_ieee_overflow 0
		.amdhsa_exception_fp_ieee_underflow 0
		.amdhsa_exception_fp_ieee_inexact 0
		.amdhsa_exception_int_div_zero 0
	.end_amdhsa_kernel
	.section	.text._Z35paged_attention_ll4mi_reduce_kernelI14__hip_bfloat16S0_Li128ELi128ELi256ELi14EEvPT0_PKfS4_PKT_PKiS9_iS4_,"axG",@progbits,_Z35paged_attention_ll4mi_reduce_kernelI14__hip_bfloat16S0_Li128ELi128ELi256ELi14EEvPT0_PKfS4_PKT_PKiS9_iS4_,comdat
.Lfunc_end667:
	.size	_Z35paged_attention_ll4mi_reduce_kernelI14__hip_bfloat16S0_Li128ELi128ELi256ELi14EEvPT0_PKfS4_PKT_PKiS9_iS4_, .Lfunc_end667-_Z35paged_attention_ll4mi_reduce_kernelI14__hip_bfloat16S0_Li128ELi128ELi256ELi14EEvPT0_PKfS4_PKT_PKiS9_iS4_
                                        ; -- End function
	.set _Z35paged_attention_ll4mi_reduce_kernelI14__hip_bfloat16S0_Li128ELi128ELi256ELi14EEvPT0_PKfS4_PKT_PKiS9_iS4_.num_vgpr, max(3, .L__assert_fail.num_vgpr)
	.set _Z35paged_attention_ll4mi_reduce_kernelI14__hip_bfloat16S0_Li128ELi128ELi256ELi14EEvPT0_PKfS4_PKT_PKiS9_iS4_.num_agpr, max(0, .L__assert_fail.num_agpr)
	.set _Z35paged_attention_ll4mi_reduce_kernelI14__hip_bfloat16S0_Li128ELi128ELi256ELi14EEvPT0_PKfS4_PKT_PKiS9_iS4_.numbered_sgpr, max(33, .L__assert_fail.numbered_sgpr)
	.set _Z35paged_attention_ll4mi_reduce_kernelI14__hip_bfloat16S0_Li128ELi128ELi256ELi14EEvPT0_PKfS4_PKT_PKiS9_iS4_.num_named_barrier, max(0, .L__assert_fail.num_named_barrier)
	.set _Z35paged_attention_ll4mi_reduce_kernelI14__hip_bfloat16S0_Li128ELi128ELi256ELi14EEvPT0_PKfS4_PKT_PKiS9_iS4_.private_seg_size, 0+max(.L__assert_fail.private_seg_size)
	.set _Z35paged_attention_ll4mi_reduce_kernelI14__hip_bfloat16S0_Li128ELi128ELi256ELi14EEvPT0_PKfS4_PKT_PKiS9_iS4_.uses_vcc, or(1, .L__assert_fail.uses_vcc)
	.set _Z35paged_attention_ll4mi_reduce_kernelI14__hip_bfloat16S0_Li128ELi128ELi256ELi14EEvPT0_PKfS4_PKT_PKiS9_iS4_.uses_flat_scratch, or(0, .L__assert_fail.uses_flat_scratch)
	.set _Z35paged_attention_ll4mi_reduce_kernelI14__hip_bfloat16S0_Li128ELi128ELi256ELi14EEvPT0_PKfS4_PKT_PKiS9_iS4_.has_dyn_sized_stack, or(0, .L__assert_fail.has_dyn_sized_stack)
	.set _Z35paged_attention_ll4mi_reduce_kernelI14__hip_bfloat16S0_Li128ELi128ELi256ELi14EEvPT0_PKfS4_PKT_PKiS9_iS4_.has_recursion, or(0, .L__assert_fail.has_recursion)
	.set _Z35paged_attention_ll4mi_reduce_kernelI14__hip_bfloat16S0_Li128ELi128ELi256ELi14EEvPT0_PKfS4_PKT_PKiS9_iS4_.has_indirect_call, or(0, .L__assert_fail.has_indirect_call)
	.section	.AMDGPU.csdata,"",@progbits
; Kernel info:
; codeLenInByte = 64
; TotalNumSgprs: 36
; NumVgprs: 51
; ScratchSize: 64
; MemoryBound: 0
; FloatMode: 240
; IeeeMode: 1
; LDSByteSize: 0 bytes/workgroup (compile time only)
; SGPRBlocks: 0
; VGPRBlocks: 3
; NumSGPRsForWavesPerEU: 36
; NumVGPRsForWavesPerEU: 51
; NamedBarCnt: 0
; Occupancy: 16
; WaveLimiterHint : 1
; COMPUTE_PGM_RSRC2:SCRATCH_EN: 1
; COMPUTE_PGM_RSRC2:USER_SGPR: 2
; COMPUTE_PGM_RSRC2:TRAP_HANDLER: 0
; COMPUTE_PGM_RSRC2:TGID_X_EN: 1
; COMPUTE_PGM_RSRC2:TGID_Y_EN: 0
; COMPUTE_PGM_RSRC2:TGID_Z_EN: 0
; COMPUTE_PGM_RSRC2:TIDIG_COMP_CNT: 0
	.section	.text._Z35paged_attention_ll4mi_reduce_kernelI14__hip_bfloat16S0_Li128ELi128ELi256ELi15EEvPT0_PKfS4_PKT_PKiS9_iS4_,"axG",@progbits,_Z35paged_attention_ll4mi_reduce_kernelI14__hip_bfloat16S0_Li128ELi128ELi256ELi15EEvPT0_PKfS4_PKT_PKiS9_iS4_,comdat
	.protected	_Z35paged_attention_ll4mi_reduce_kernelI14__hip_bfloat16S0_Li128ELi128ELi256ELi15EEvPT0_PKfS4_PKT_PKiS9_iS4_ ; -- Begin function _Z35paged_attention_ll4mi_reduce_kernelI14__hip_bfloat16S0_Li128ELi128ELi256ELi15EEvPT0_PKfS4_PKT_PKiS9_iS4_
	.globl	_Z35paged_attention_ll4mi_reduce_kernelI14__hip_bfloat16S0_Li128ELi128ELi256ELi15EEvPT0_PKfS4_PKT_PKiS9_iS4_
	.p2align	8
	.type	_Z35paged_attention_ll4mi_reduce_kernelI14__hip_bfloat16S0_Li128ELi128ELi256ELi15EEvPT0_PKfS4_PKT_PKiS9_iS4_,@function
_Z35paged_attention_ll4mi_reduce_kernelI14__hip_bfloat16S0_Li128ELi128ELi256ELi15EEvPT0_PKfS4_PKT_PKiS9_iS4_: ; @_Z35paged_attention_ll4mi_reduce_kernelI14__hip_bfloat16S0_Li128ELi128ELi256ELi15EEvPT0_PKfS4_PKT_PKiS9_iS4_
; %bb.0:
	s_get_pc_i64 s[2:3]
	s_add_nc_u64 s[2:3], s[2:3], __PRETTY_FUNCTION__._Z35paged_attention_ll4mi_reduce_kernelI14__hip_bfloat16S0_Li128ELi128ELi256ELi15EEvPT0_PKfS4_PKT_PKiS9_iS4_@rel64+4
	s_delay_alu instid0(SALU_CYCLE_1)
	v_dual_mov_b32 v0, 0xbdd :: v_dual_mov_b32 v1, s2
	v_mov_b32_e32 v2, s3
	s_add_nc_u64 s[8:9], s[0:1], 64
	s_get_pc_i64 s[0:1]
	s_add_nc_u64 s[0:1], s[0:1], __assert_fail@rel64+4
	s_mov_b32 s32, 0
	s_swap_pc_i64 s[30:31], s[0:1]
	.section	.rodata,"a",@progbits
	.p2align	6, 0x0
	.amdhsa_kernel _Z35paged_attention_ll4mi_reduce_kernelI14__hip_bfloat16S0_Li128ELi128ELi256ELi15EEvPT0_PKfS4_PKT_PKiS9_iS4_
		.amdhsa_group_segment_fixed_size 0
		.amdhsa_private_segment_fixed_size 64
		.amdhsa_kernarg_size 320
		.amdhsa_user_sgpr_count 2
		.amdhsa_user_sgpr_dispatch_ptr 0
		.amdhsa_user_sgpr_queue_ptr 0
		.amdhsa_user_sgpr_kernarg_segment_ptr 1
		.amdhsa_user_sgpr_dispatch_id 0
		.amdhsa_user_sgpr_kernarg_preload_length 0
		.amdhsa_user_sgpr_kernarg_preload_offset 0
		.amdhsa_user_sgpr_private_segment_size 0
		.amdhsa_wavefront_size32 1
		.amdhsa_uses_dynamic_stack 0
		.amdhsa_enable_private_segment 1
		.amdhsa_system_sgpr_workgroup_id_x 1
		.amdhsa_system_sgpr_workgroup_id_y 0
		.amdhsa_system_sgpr_workgroup_id_z 0
		.amdhsa_system_sgpr_workgroup_info 0
		.amdhsa_system_vgpr_workitem_id 0
		.amdhsa_next_free_vgpr 51
		.amdhsa_next_free_sgpr 34
		.amdhsa_named_barrier_count 0
		.amdhsa_reserve_vcc 1
		.amdhsa_float_round_mode_32 0
		.amdhsa_float_round_mode_16_64 0
		.amdhsa_float_denorm_mode_32 3
		.amdhsa_float_denorm_mode_16_64 3
		.amdhsa_fp16_overflow 0
		.amdhsa_memory_ordered 1
		.amdhsa_forward_progress 1
		.amdhsa_inst_pref_size 1
		.amdhsa_round_robin_scheduling 0
		.amdhsa_exception_fp_ieee_invalid_op 0
		.amdhsa_exception_fp_denorm_src 0
		.amdhsa_exception_fp_ieee_div_zero 0
		.amdhsa_exception_fp_ieee_overflow 0
		.amdhsa_exception_fp_ieee_underflow 0
		.amdhsa_exception_fp_ieee_inexact 0
		.amdhsa_exception_int_div_zero 0
	.end_amdhsa_kernel
	.section	.text._Z35paged_attention_ll4mi_reduce_kernelI14__hip_bfloat16S0_Li128ELi128ELi256ELi15EEvPT0_PKfS4_PKT_PKiS9_iS4_,"axG",@progbits,_Z35paged_attention_ll4mi_reduce_kernelI14__hip_bfloat16S0_Li128ELi128ELi256ELi15EEvPT0_PKfS4_PKT_PKiS9_iS4_,comdat
.Lfunc_end668:
	.size	_Z35paged_attention_ll4mi_reduce_kernelI14__hip_bfloat16S0_Li128ELi128ELi256ELi15EEvPT0_PKfS4_PKT_PKiS9_iS4_, .Lfunc_end668-_Z35paged_attention_ll4mi_reduce_kernelI14__hip_bfloat16S0_Li128ELi128ELi256ELi15EEvPT0_PKfS4_PKT_PKiS9_iS4_
                                        ; -- End function
	.set _Z35paged_attention_ll4mi_reduce_kernelI14__hip_bfloat16S0_Li128ELi128ELi256ELi15EEvPT0_PKfS4_PKT_PKiS9_iS4_.num_vgpr, max(3, .L__assert_fail.num_vgpr)
	.set _Z35paged_attention_ll4mi_reduce_kernelI14__hip_bfloat16S0_Li128ELi128ELi256ELi15EEvPT0_PKfS4_PKT_PKiS9_iS4_.num_agpr, max(0, .L__assert_fail.num_agpr)
	.set _Z35paged_attention_ll4mi_reduce_kernelI14__hip_bfloat16S0_Li128ELi128ELi256ELi15EEvPT0_PKfS4_PKT_PKiS9_iS4_.numbered_sgpr, max(33, .L__assert_fail.numbered_sgpr)
	.set _Z35paged_attention_ll4mi_reduce_kernelI14__hip_bfloat16S0_Li128ELi128ELi256ELi15EEvPT0_PKfS4_PKT_PKiS9_iS4_.num_named_barrier, max(0, .L__assert_fail.num_named_barrier)
	.set _Z35paged_attention_ll4mi_reduce_kernelI14__hip_bfloat16S0_Li128ELi128ELi256ELi15EEvPT0_PKfS4_PKT_PKiS9_iS4_.private_seg_size, 0+max(.L__assert_fail.private_seg_size)
	.set _Z35paged_attention_ll4mi_reduce_kernelI14__hip_bfloat16S0_Li128ELi128ELi256ELi15EEvPT0_PKfS4_PKT_PKiS9_iS4_.uses_vcc, or(1, .L__assert_fail.uses_vcc)
	.set _Z35paged_attention_ll4mi_reduce_kernelI14__hip_bfloat16S0_Li128ELi128ELi256ELi15EEvPT0_PKfS4_PKT_PKiS9_iS4_.uses_flat_scratch, or(0, .L__assert_fail.uses_flat_scratch)
	.set _Z35paged_attention_ll4mi_reduce_kernelI14__hip_bfloat16S0_Li128ELi128ELi256ELi15EEvPT0_PKfS4_PKT_PKiS9_iS4_.has_dyn_sized_stack, or(0, .L__assert_fail.has_dyn_sized_stack)
	.set _Z35paged_attention_ll4mi_reduce_kernelI14__hip_bfloat16S0_Li128ELi128ELi256ELi15EEvPT0_PKfS4_PKT_PKiS9_iS4_.has_recursion, or(0, .L__assert_fail.has_recursion)
	.set _Z35paged_attention_ll4mi_reduce_kernelI14__hip_bfloat16S0_Li128ELi128ELi256ELi15EEvPT0_PKfS4_PKT_PKiS9_iS4_.has_indirect_call, or(0, .L__assert_fail.has_indirect_call)
	.section	.AMDGPU.csdata,"",@progbits
; Kernel info:
; codeLenInByte = 64
; TotalNumSgprs: 36
; NumVgprs: 51
; ScratchSize: 64
; MemoryBound: 0
; FloatMode: 240
; IeeeMode: 1
; LDSByteSize: 0 bytes/workgroup (compile time only)
; SGPRBlocks: 0
; VGPRBlocks: 3
; NumSGPRsForWavesPerEU: 36
; NumVGPRsForWavesPerEU: 51
; NamedBarCnt: 0
; Occupancy: 16
; WaveLimiterHint : 1
; COMPUTE_PGM_RSRC2:SCRATCH_EN: 1
; COMPUTE_PGM_RSRC2:USER_SGPR: 2
; COMPUTE_PGM_RSRC2:TRAP_HANDLER: 0
; COMPUTE_PGM_RSRC2:TGID_X_EN: 1
; COMPUTE_PGM_RSRC2:TGID_Y_EN: 0
; COMPUTE_PGM_RSRC2:TGID_Z_EN: 0
; COMPUTE_PGM_RSRC2:TIDIG_COMP_CNT: 0
	.section	.text._Z35paged_attention_ll4mi_reduce_kernelI14__hip_bfloat16S0_Li128ELi128ELi256ELi16EEvPT0_PKfS4_PKT_PKiS9_iS4_,"axG",@progbits,_Z35paged_attention_ll4mi_reduce_kernelI14__hip_bfloat16S0_Li128ELi128ELi256ELi16EEvPT0_PKfS4_PKT_PKiS9_iS4_,comdat
	.protected	_Z35paged_attention_ll4mi_reduce_kernelI14__hip_bfloat16S0_Li128ELi128ELi256ELi16EEvPT0_PKfS4_PKT_PKiS9_iS4_ ; -- Begin function _Z35paged_attention_ll4mi_reduce_kernelI14__hip_bfloat16S0_Li128ELi128ELi256ELi16EEvPT0_PKfS4_PKT_PKiS9_iS4_
	.globl	_Z35paged_attention_ll4mi_reduce_kernelI14__hip_bfloat16S0_Li128ELi128ELi256ELi16EEvPT0_PKfS4_PKT_PKiS9_iS4_
	.p2align	8
	.type	_Z35paged_attention_ll4mi_reduce_kernelI14__hip_bfloat16S0_Li128ELi128ELi256ELi16EEvPT0_PKfS4_PKT_PKiS9_iS4_,@function
_Z35paged_attention_ll4mi_reduce_kernelI14__hip_bfloat16S0_Li128ELi128ELi256ELi16EEvPT0_PKfS4_PKT_PKiS9_iS4_: ; @_Z35paged_attention_ll4mi_reduce_kernelI14__hip_bfloat16S0_Li128ELi128ELi256ELi16EEvPT0_PKfS4_PKT_PKiS9_iS4_
; %bb.0:
	s_get_pc_i64 s[2:3]
	s_add_nc_u64 s[2:3], s[2:3], __PRETTY_FUNCTION__._Z35paged_attention_ll4mi_reduce_kernelI14__hip_bfloat16S0_Li128ELi128ELi256ELi16EEvPT0_PKfS4_PKT_PKiS9_iS4_@rel64+4
	s_delay_alu instid0(SALU_CYCLE_1)
	v_dual_mov_b32 v0, 0xbdd :: v_dual_mov_b32 v1, s2
	v_mov_b32_e32 v2, s3
	s_add_nc_u64 s[8:9], s[0:1], 64
	s_get_pc_i64 s[0:1]
	s_add_nc_u64 s[0:1], s[0:1], __assert_fail@rel64+4
	s_mov_b32 s32, 0
	s_swap_pc_i64 s[30:31], s[0:1]
	.section	.rodata,"a",@progbits
	.p2align	6, 0x0
	.amdhsa_kernel _Z35paged_attention_ll4mi_reduce_kernelI14__hip_bfloat16S0_Li128ELi128ELi256ELi16EEvPT0_PKfS4_PKT_PKiS9_iS4_
		.amdhsa_group_segment_fixed_size 0
		.amdhsa_private_segment_fixed_size 64
		.amdhsa_kernarg_size 320
		.amdhsa_user_sgpr_count 2
		.amdhsa_user_sgpr_dispatch_ptr 0
		.amdhsa_user_sgpr_queue_ptr 0
		.amdhsa_user_sgpr_kernarg_segment_ptr 1
		.amdhsa_user_sgpr_dispatch_id 0
		.amdhsa_user_sgpr_kernarg_preload_length 0
		.amdhsa_user_sgpr_kernarg_preload_offset 0
		.amdhsa_user_sgpr_private_segment_size 0
		.amdhsa_wavefront_size32 1
		.amdhsa_uses_dynamic_stack 0
		.amdhsa_enable_private_segment 1
		.amdhsa_system_sgpr_workgroup_id_x 1
		.amdhsa_system_sgpr_workgroup_id_y 0
		.amdhsa_system_sgpr_workgroup_id_z 0
		.amdhsa_system_sgpr_workgroup_info 0
		.amdhsa_system_vgpr_workitem_id 0
		.amdhsa_next_free_vgpr 51
		.amdhsa_next_free_sgpr 34
		.amdhsa_named_barrier_count 0
		.amdhsa_reserve_vcc 1
		.amdhsa_float_round_mode_32 0
		.amdhsa_float_round_mode_16_64 0
		.amdhsa_float_denorm_mode_32 3
		.amdhsa_float_denorm_mode_16_64 3
		.amdhsa_fp16_overflow 0
		.amdhsa_memory_ordered 1
		.amdhsa_forward_progress 1
		.amdhsa_inst_pref_size 1
		.amdhsa_round_robin_scheduling 0
		.amdhsa_exception_fp_ieee_invalid_op 0
		.amdhsa_exception_fp_denorm_src 0
		.amdhsa_exception_fp_ieee_div_zero 0
		.amdhsa_exception_fp_ieee_overflow 0
		.amdhsa_exception_fp_ieee_underflow 0
		.amdhsa_exception_fp_ieee_inexact 0
		.amdhsa_exception_int_div_zero 0
	.end_amdhsa_kernel
	.section	.text._Z35paged_attention_ll4mi_reduce_kernelI14__hip_bfloat16S0_Li128ELi128ELi256ELi16EEvPT0_PKfS4_PKT_PKiS9_iS4_,"axG",@progbits,_Z35paged_attention_ll4mi_reduce_kernelI14__hip_bfloat16S0_Li128ELi128ELi256ELi16EEvPT0_PKfS4_PKT_PKiS9_iS4_,comdat
.Lfunc_end669:
	.size	_Z35paged_attention_ll4mi_reduce_kernelI14__hip_bfloat16S0_Li128ELi128ELi256ELi16EEvPT0_PKfS4_PKT_PKiS9_iS4_, .Lfunc_end669-_Z35paged_attention_ll4mi_reduce_kernelI14__hip_bfloat16S0_Li128ELi128ELi256ELi16EEvPT0_PKfS4_PKT_PKiS9_iS4_
                                        ; -- End function
	.set _Z35paged_attention_ll4mi_reduce_kernelI14__hip_bfloat16S0_Li128ELi128ELi256ELi16EEvPT0_PKfS4_PKT_PKiS9_iS4_.num_vgpr, max(3, .L__assert_fail.num_vgpr)
	.set _Z35paged_attention_ll4mi_reduce_kernelI14__hip_bfloat16S0_Li128ELi128ELi256ELi16EEvPT0_PKfS4_PKT_PKiS9_iS4_.num_agpr, max(0, .L__assert_fail.num_agpr)
	.set _Z35paged_attention_ll4mi_reduce_kernelI14__hip_bfloat16S0_Li128ELi128ELi256ELi16EEvPT0_PKfS4_PKT_PKiS9_iS4_.numbered_sgpr, max(33, .L__assert_fail.numbered_sgpr)
	.set _Z35paged_attention_ll4mi_reduce_kernelI14__hip_bfloat16S0_Li128ELi128ELi256ELi16EEvPT0_PKfS4_PKT_PKiS9_iS4_.num_named_barrier, max(0, .L__assert_fail.num_named_barrier)
	.set _Z35paged_attention_ll4mi_reduce_kernelI14__hip_bfloat16S0_Li128ELi128ELi256ELi16EEvPT0_PKfS4_PKT_PKiS9_iS4_.private_seg_size, 0+max(.L__assert_fail.private_seg_size)
	.set _Z35paged_attention_ll4mi_reduce_kernelI14__hip_bfloat16S0_Li128ELi128ELi256ELi16EEvPT0_PKfS4_PKT_PKiS9_iS4_.uses_vcc, or(1, .L__assert_fail.uses_vcc)
	.set _Z35paged_attention_ll4mi_reduce_kernelI14__hip_bfloat16S0_Li128ELi128ELi256ELi16EEvPT0_PKfS4_PKT_PKiS9_iS4_.uses_flat_scratch, or(0, .L__assert_fail.uses_flat_scratch)
	.set _Z35paged_attention_ll4mi_reduce_kernelI14__hip_bfloat16S0_Li128ELi128ELi256ELi16EEvPT0_PKfS4_PKT_PKiS9_iS4_.has_dyn_sized_stack, or(0, .L__assert_fail.has_dyn_sized_stack)
	.set _Z35paged_attention_ll4mi_reduce_kernelI14__hip_bfloat16S0_Li128ELi128ELi256ELi16EEvPT0_PKfS4_PKT_PKiS9_iS4_.has_recursion, or(0, .L__assert_fail.has_recursion)
	.set _Z35paged_attention_ll4mi_reduce_kernelI14__hip_bfloat16S0_Li128ELi128ELi256ELi16EEvPT0_PKfS4_PKT_PKiS9_iS4_.has_indirect_call, or(0, .L__assert_fail.has_indirect_call)
	.section	.AMDGPU.csdata,"",@progbits
; Kernel info:
; codeLenInByte = 64
; TotalNumSgprs: 36
; NumVgprs: 51
; ScratchSize: 64
; MemoryBound: 0
; FloatMode: 240
; IeeeMode: 1
; LDSByteSize: 0 bytes/workgroup (compile time only)
; SGPRBlocks: 0
; VGPRBlocks: 3
; NumSGPRsForWavesPerEU: 36
; NumVGPRsForWavesPerEU: 51
; NamedBarCnt: 0
; Occupancy: 16
; WaveLimiterHint : 1
; COMPUTE_PGM_RSRC2:SCRATCH_EN: 1
; COMPUTE_PGM_RSRC2:USER_SGPR: 2
; COMPUTE_PGM_RSRC2:TRAP_HANDLER: 0
; COMPUTE_PGM_RSRC2:TGID_X_EN: 1
; COMPUTE_PGM_RSRC2:TGID_Y_EN: 0
; COMPUTE_PGM_RSRC2:TGID_Z_EN: 0
; COMPUTE_PGM_RSRC2:TIDIG_COMP_CNT: 0
	.section	.text._Z38paged_attention_ll4mi_QKV_mfma4_kernelI14__hip_bfloat16S0_LN4vllm18Fp8KVCacheDataTypeE0ES0_Li16ELi128ELi256ELb0ELi1EEvPKT_PKT0_S8_ifPKiSA_SA_iPKfiiiPfSD_PS3_PT2_iSC_SC_,"axG",@progbits,_Z38paged_attention_ll4mi_QKV_mfma4_kernelI14__hip_bfloat16S0_LN4vllm18Fp8KVCacheDataTypeE0ES0_Li16ELi128ELi256ELb0ELi1EEvPKT_PKT0_S8_ifPKiSA_SA_iPKfiiiPfSD_PS3_PT2_iSC_SC_,comdat
	.protected	_Z38paged_attention_ll4mi_QKV_mfma4_kernelI14__hip_bfloat16S0_LN4vllm18Fp8KVCacheDataTypeE0ES0_Li16ELi128ELi256ELb0ELi1EEvPKT_PKT0_S8_ifPKiSA_SA_iPKfiiiPfSD_PS3_PT2_iSC_SC_ ; -- Begin function _Z38paged_attention_ll4mi_QKV_mfma4_kernelI14__hip_bfloat16S0_LN4vllm18Fp8KVCacheDataTypeE0ES0_Li16ELi128ELi256ELb0ELi1EEvPKT_PKT0_S8_ifPKiSA_SA_iPKfiiiPfSD_PS3_PT2_iSC_SC_
	.globl	_Z38paged_attention_ll4mi_QKV_mfma4_kernelI14__hip_bfloat16S0_LN4vllm18Fp8KVCacheDataTypeE0ES0_Li16ELi128ELi256ELb0ELi1EEvPKT_PKT0_S8_ifPKiSA_SA_iPKfiiiPfSD_PS3_PT2_iSC_SC_
	.p2align	8
	.type	_Z38paged_attention_ll4mi_QKV_mfma4_kernelI14__hip_bfloat16S0_LN4vllm18Fp8KVCacheDataTypeE0ES0_Li16ELi128ELi256ELb0ELi1EEvPKT_PKT0_S8_ifPKiSA_SA_iPKfiiiPfSD_PS3_PT2_iSC_SC_,@function
_Z38paged_attention_ll4mi_QKV_mfma4_kernelI14__hip_bfloat16S0_LN4vllm18Fp8KVCacheDataTypeE0ES0_Li16ELi128ELi256ELb0ELi1EEvPKT_PKT0_S8_ifPKiSA_SA_iPKfiiiPfSD_PS3_PT2_iSC_SC_: ; @_Z38paged_attention_ll4mi_QKV_mfma4_kernelI14__hip_bfloat16S0_LN4vllm18Fp8KVCacheDataTypeE0ES0_Li16ELi128ELi256ELb0ELi1EEvPKT_PKT0_S8_ifPKiSA_SA_iPKfiiiPfSD_PS3_PT2_iSC_SC_
; %bb.0:
	s_get_pc_i64 s[2:3]
	s_add_nc_u64 s[2:3], s[2:3], __PRETTY_FUNCTION__._Z38paged_attention_ll4mi_QKV_mfma4_kernelI14__hip_bfloat16S0_LN4vllm18Fp8KVCacheDataTypeE0ES0_Li16ELi128ELi256ELb0ELi1EEvPKT_PKT0_S8_ifPKiSA_SA_iPKfiiiPfSD_PS3_PT2_iSC_SC_@rel64+4
	s_delay_alu instid0(SALU_CYCLE_1)
	v_dual_mov_b32 v0, 0xbce :: v_dual_mov_b32 v1, s2
	v_mov_b32_e32 v2, s3
	s_add_nc_u64 s[8:9], s[0:1], 0x90
	s_get_pc_i64 s[0:1]
	s_add_nc_u64 s[0:1], s[0:1], __assert_fail@rel64+4
	s_mov_b32 s32, 0
	s_swap_pc_i64 s[30:31], s[0:1]
	.section	.rodata,"a",@progbits
	.p2align	6, 0x0
	.amdhsa_kernel _Z38paged_attention_ll4mi_QKV_mfma4_kernelI14__hip_bfloat16S0_LN4vllm18Fp8KVCacheDataTypeE0ES0_Li16ELi128ELi256ELb0ELi1EEvPKT_PKT0_S8_ifPKiSA_SA_iPKfiiiPfSD_PS3_PT2_iSC_SC_
		.amdhsa_group_segment_fixed_size 0
		.amdhsa_private_segment_fixed_size 64
		.amdhsa_kernarg_size 400
		.amdhsa_user_sgpr_count 2
		.amdhsa_user_sgpr_dispatch_ptr 0
		.amdhsa_user_sgpr_queue_ptr 0
		.amdhsa_user_sgpr_kernarg_segment_ptr 1
		.amdhsa_user_sgpr_dispatch_id 0
		.amdhsa_user_sgpr_kernarg_preload_length 0
		.amdhsa_user_sgpr_kernarg_preload_offset 0
		.amdhsa_user_sgpr_private_segment_size 0
		.amdhsa_wavefront_size32 1
		.amdhsa_uses_dynamic_stack 0
		.amdhsa_enable_private_segment 1
		.amdhsa_system_sgpr_workgroup_id_x 1
		.amdhsa_system_sgpr_workgroup_id_y 0
		.amdhsa_system_sgpr_workgroup_id_z 0
		.amdhsa_system_sgpr_workgroup_info 0
		.amdhsa_system_vgpr_workitem_id 0
		.amdhsa_next_free_vgpr 51
		.amdhsa_next_free_sgpr 34
		.amdhsa_named_barrier_count 0
		.amdhsa_reserve_vcc 1
		.amdhsa_float_round_mode_32 0
		.amdhsa_float_round_mode_16_64 0
		.amdhsa_float_denorm_mode_32 3
		.amdhsa_float_denorm_mode_16_64 3
		.amdhsa_fp16_overflow 0
		.amdhsa_memory_ordered 1
		.amdhsa_forward_progress 1
		.amdhsa_inst_pref_size 1
		.amdhsa_round_robin_scheduling 0
		.amdhsa_exception_fp_ieee_invalid_op 0
		.amdhsa_exception_fp_denorm_src 0
		.amdhsa_exception_fp_ieee_div_zero 0
		.amdhsa_exception_fp_ieee_overflow 0
		.amdhsa_exception_fp_ieee_underflow 0
		.amdhsa_exception_fp_ieee_inexact 0
		.amdhsa_exception_int_div_zero 0
	.end_amdhsa_kernel
	.section	.text._Z38paged_attention_ll4mi_QKV_mfma4_kernelI14__hip_bfloat16S0_LN4vllm18Fp8KVCacheDataTypeE0ES0_Li16ELi128ELi256ELb0ELi1EEvPKT_PKT0_S8_ifPKiSA_SA_iPKfiiiPfSD_PS3_PT2_iSC_SC_,"axG",@progbits,_Z38paged_attention_ll4mi_QKV_mfma4_kernelI14__hip_bfloat16S0_LN4vllm18Fp8KVCacheDataTypeE0ES0_Li16ELi128ELi256ELb0ELi1EEvPKT_PKT0_S8_ifPKiSA_SA_iPKfiiiPfSD_PS3_PT2_iSC_SC_,comdat
.Lfunc_end670:
	.size	_Z38paged_attention_ll4mi_QKV_mfma4_kernelI14__hip_bfloat16S0_LN4vllm18Fp8KVCacheDataTypeE0ES0_Li16ELi128ELi256ELb0ELi1EEvPKT_PKT0_S8_ifPKiSA_SA_iPKfiiiPfSD_PS3_PT2_iSC_SC_, .Lfunc_end670-_Z38paged_attention_ll4mi_QKV_mfma4_kernelI14__hip_bfloat16S0_LN4vllm18Fp8KVCacheDataTypeE0ES0_Li16ELi128ELi256ELb0ELi1EEvPKT_PKT0_S8_ifPKiSA_SA_iPKfiiiPfSD_PS3_PT2_iSC_SC_
                                        ; -- End function
	.set _Z38paged_attention_ll4mi_QKV_mfma4_kernelI14__hip_bfloat16S0_LN4vllm18Fp8KVCacheDataTypeE0ES0_Li16ELi128ELi256ELb0ELi1EEvPKT_PKT0_S8_ifPKiSA_SA_iPKfiiiPfSD_PS3_PT2_iSC_SC_.num_vgpr, max(3, .L__assert_fail.num_vgpr)
	.set _Z38paged_attention_ll4mi_QKV_mfma4_kernelI14__hip_bfloat16S0_LN4vllm18Fp8KVCacheDataTypeE0ES0_Li16ELi128ELi256ELb0ELi1EEvPKT_PKT0_S8_ifPKiSA_SA_iPKfiiiPfSD_PS3_PT2_iSC_SC_.num_agpr, max(0, .L__assert_fail.num_agpr)
	.set _Z38paged_attention_ll4mi_QKV_mfma4_kernelI14__hip_bfloat16S0_LN4vllm18Fp8KVCacheDataTypeE0ES0_Li16ELi128ELi256ELb0ELi1EEvPKT_PKT0_S8_ifPKiSA_SA_iPKfiiiPfSD_PS3_PT2_iSC_SC_.numbered_sgpr, max(33, .L__assert_fail.numbered_sgpr)
	.set _Z38paged_attention_ll4mi_QKV_mfma4_kernelI14__hip_bfloat16S0_LN4vllm18Fp8KVCacheDataTypeE0ES0_Li16ELi128ELi256ELb0ELi1EEvPKT_PKT0_S8_ifPKiSA_SA_iPKfiiiPfSD_PS3_PT2_iSC_SC_.num_named_barrier, max(0, .L__assert_fail.num_named_barrier)
	.set _Z38paged_attention_ll4mi_QKV_mfma4_kernelI14__hip_bfloat16S0_LN4vllm18Fp8KVCacheDataTypeE0ES0_Li16ELi128ELi256ELb0ELi1EEvPKT_PKT0_S8_ifPKiSA_SA_iPKfiiiPfSD_PS3_PT2_iSC_SC_.private_seg_size, 0+max(.L__assert_fail.private_seg_size)
	.set _Z38paged_attention_ll4mi_QKV_mfma4_kernelI14__hip_bfloat16S0_LN4vllm18Fp8KVCacheDataTypeE0ES0_Li16ELi128ELi256ELb0ELi1EEvPKT_PKT0_S8_ifPKiSA_SA_iPKfiiiPfSD_PS3_PT2_iSC_SC_.uses_vcc, or(1, .L__assert_fail.uses_vcc)
	.set _Z38paged_attention_ll4mi_QKV_mfma4_kernelI14__hip_bfloat16S0_LN4vllm18Fp8KVCacheDataTypeE0ES0_Li16ELi128ELi256ELb0ELi1EEvPKT_PKT0_S8_ifPKiSA_SA_iPKfiiiPfSD_PS3_PT2_iSC_SC_.uses_flat_scratch, or(0, .L__assert_fail.uses_flat_scratch)
	.set _Z38paged_attention_ll4mi_QKV_mfma4_kernelI14__hip_bfloat16S0_LN4vllm18Fp8KVCacheDataTypeE0ES0_Li16ELi128ELi256ELb0ELi1EEvPKT_PKT0_S8_ifPKiSA_SA_iPKfiiiPfSD_PS3_PT2_iSC_SC_.has_dyn_sized_stack, or(0, .L__assert_fail.has_dyn_sized_stack)
	.set _Z38paged_attention_ll4mi_QKV_mfma4_kernelI14__hip_bfloat16S0_LN4vllm18Fp8KVCacheDataTypeE0ES0_Li16ELi128ELi256ELb0ELi1EEvPKT_PKT0_S8_ifPKiSA_SA_iPKfiiiPfSD_PS3_PT2_iSC_SC_.has_recursion, or(0, .L__assert_fail.has_recursion)
	.set _Z38paged_attention_ll4mi_QKV_mfma4_kernelI14__hip_bfloat16S0_LN4vllm18Fp8KVCacheDataTypeE0ES0_Li16ELi128ELi256ELb0ELi1EEvPKT_PKT0_S8_ifPKiSA_SA_iPKfiiiPfSD_PS3_PT2_iSC_SC_.has_indirect_call, or(0, .L__assert_fail.has_indirect_call)
	.section	.AMDGPU.csdata,"",@progbits
; Kernel info:
; codeLenInByte = 68
; TotalNumSgprs: 36
; NumVgprs: 51
; ScratchSize: 64
; MemoryBound: 0
; FloatMode: 240
; IeeeMode: 1
; LDSByteSize: 0 bytes/workgroup (compile time only)
; SGPRBlocks: 0
; VGPRBlocks: 3
; NumSGPRsForWavesPerEU: 36
; NumVGPRsForWavesPerEU: 51
; NamedBarCnt: 0
; Occupancy: 16
; WaveLimiterHint : 1
; COMPUTE_PGM_RSRC2:SCRATCH_EN: 1
; COMPUTE_PGM_RSRC2:USER_SGPR: 2
; COMPUTE_PGM_RSRC2:TRAP_HANDLER: 0
; COMPUTE_PGM_RSRC2:TGID_X_EN: 1
; COMPUTE_PGM_RSRC2:TGID_Y_EN: 0
; COMPUTE_PGM_RSRC2:TGID_Z_EN: 0
; COMPUTE_PGM_RSRC2:TIDIG_COMP_CNT: 0
	.section	.text._Z38paged_attention_ll4mi_QKV_mfma4_kernelI14__hip_bfloat16S0_LN4vllm18Fp8KVCacheDataTypeE0ES0_Li16ELi128ELi256ELb0ELi2EEvPKT_PKT0_S8_ifPKiSA_SA_iPKfiiiPfSD_PS3_PT2_iSC_SC_,"axG",@progbits,_Z38paged_attention_ll4mi_QKV_mfma4_kernelI14__hip_bfloat16S0_LN4vllm18Fp8KVCacheDataTypeE0ES0_Li16ELi128ELi256ELb0ELi2EEvPKT_PKT0_S8_ifPKiSA_SA_iPKfiiiPfSD_PS3_PT2_iSC_SC_,comdat
	.protected	_Z38paged_attention_ll4mi_QKV_mfma4_kernelI14__hip_bfloat16S0_LN4vllm18Fp8KVCacheDataTypeE0ES0_Li16ELi128ELi256ELb0ELi2EEvPKT_PKT0_S8_ifPKiSA_SA_iPKfiiiPfSD_PS3_PT2_iSC_SC_ ; -- Begin function _Z38paged_attention_ll4mi_QKV_mfma4_kernelI14__hip_bfloat16S0_LN4vllm18Fp8KVCacheDataTypeE0ES0_Li16ELi128ELi256ELb0ELi2EEvPKT_PKT0_S8_ifPKiSA_SA_iPKfiiiPfSD_PS3_PT2_iSC_SC_
	.globl	_Z38paged_attention_ll4mi_QKV_mfma4_kernelI14__hip_bfloat16S0_LN4vllm18Fp8KVCacheDataTypeE0ES0_Li16ELi128ELi256ELb0ELi2EEvPKT_PKT0_S8_ifPKiSA_SA_iPKfiiiPfSD_PS3_PT2_iSC_SC_
	.p2align	8
	.type	_Z38paged_attention_ll4mi_QKV_mfma4_kernelI14__hip_bfloat16S0_LN4vllm18Fp8KVCacheDataTypeE0ES0_Li16ELi128ELi256ELb0ELi2EEvPKT_PKT0_S8_ifPKiSA_SA_iPKfiiiPfSD_PS3_PT2_iSC_SC_,@function
_Z38paged_attention_ll4mi_QKV_mfma4_kernelI14__hip_bfloat16S0_LN4vllm18Fp8KVCacheDataTypeE0ES0_Li16ELi128ELi256ELb0ELi2EEvPKT_PKT0_S8_ifPKiSA_SA_iPKfiiiPfSD_PS3_PT2_iSC_SC_: ; @_Z38paged_attention_ll4mi_QKV_mfma4_kernelI14__hip_bfloat16S0_LN4vllm18Fp8KVCacheDataTypeE0ES0_Li16ELi128ELi256ELb0ELi2EEvPKT_PKT0_S8_ifPKiSA_SA_iPKfiiiPfSD_PS3_PT2_iSC_SC_
; %bb.0:
	s_get_pc_i64 s[2:3]
	s_add_nc_u64 s[2:3], s[2:3], __PRETTY_FUNCTION__._Z38paged_attention_ll4mi_QKV_mfma4_kernelI14__hip_bfloat16S0_LN4vllm18Fp8KVCacheDataTypeE0ES0_Li16ELi128ELi256ELb0ELi2EEvPKT_PKT0_S8_ifPKiSA_SA_iPKfiiiPfSD_PS3_PT2_iSC_SC_@rel64+4
	s_delay_alu instid0(SALU_CYCLE_1)
	v_dual_mov_b32 v0, 0xbce :: v_dual_mov_b32 v1, s2
	v_mov_b32_e32 v2, s3
	s_add_nc_u64 s[8:9], s[0:1], 0x90
	s_get_pc_i64 s[0:1]
	s_add_nc_u64 s[0:1], s[0:1], __assert_fail@rel64+4
	s_mov_b32 s32, 0
	s_swap_pc_i64 s[30:31], s[0:1]
	.section	.rodata,"a",@progbits
	.p2align	6, 0x0
	.amdhsa_kernel _Z38paged_attention_ll4mi_QKV_mfma4_kernelI14__hip_bfloat16S0_LN4vllm18Fp8KVCacheDataTypeE0ES0_Li16ELi128ELi256ELb0ELi2EEvPKT_PKT0_S8_ifPKiSA_SA_iPKfiiiPfSD_PS3_PT2_iSC_SC_
		.amdhsa_group_segment_fixed_size 0
		.amdhsa_private_segment_fixed_size 64
		.amdhsa_kernarg_size 400
		.amdhsa_user_sgpr_count 2
		.amdhsa_user_sgpr_dispatch_ptr 0
		.amdhsa_user_sgpr_queue_ptr 0
		.amdhsa_user_sgpr_kernarg_segment_ptr 1
		.amdhsa_user_sgpr_dispatch_id 0
		.amdhsa_user_sgpr_kernarg_preload_length 0
		.amdhsa_user_sgpr_kernarg_preload_offset 0
		.amdhsa_user_sgpr_private_segment_size 0
		.amdhsa_wavefront_size32 1
		.amdhsa_uses_dynamic_stack 0
		.amdhsa_enable_private_segment 1
		.amdhsa_system_sgpr_workgroup_id_x 1
		.amdhsa_system_sgpr_workgroup_id_y 0
		.amdhsa_system_sgpr_workgroup_id_z 0
		.amdhsa_system_sgpr_workgroup_info 0
		.amdhsa_system_vgpr_workitem_id 0
		.amdhsa_next_free_vgpr 51
		.amdhsa_next_free_sgpr 34
		.amdhsa_named_barrier_count 0
		.amdhsa_reserve_vcc 1
		.amdhsa_float_round_mode_32 0
		.amdhsa_float_round_mode_16_64 0
		.amdhsa_float_denorm_mode_32 3
		.amdhsa_float_denorm_mode_16_64 3
		.amdhsa_fp16_overflow 0
		.amdhsa_memory_ordered 1
		.amdhsa_forward_progress 1
		.amdhsa_inst_pref_size 1
		.amdhsa_round_robin_scheduling 0
		.amdhsa_exception_fp_ieee_invalid_op 0
		.amdhsa_exception_fp_denorm_src 0
		.amdhsa_exception_fp_ieee_div_zero 0
		.amdhsa_exception_fp_ieee_overflow 0
		.amdhsa_exception_fp_ieee_underflow 0
		.amdhsa_exception_fp_ieee_inexact 0
		.amdhsa_exception_int_div_zero 0
	.end_amdhsa_kernel
	.section	.text._Z38paged_attention_ll4mi_QKV_mfma4_kernelI14__hip_bfloat16S0_LN4vllm18Fp8KVCacheDataTypeE0ES0_Li16ELi128ELi256ELb0ELi2EEvPKT_PKT0_S8_ifPKiSA_SA_iPKfiiiPfSD_PS3_PT2_iSC_SC_,"axG",@progbits,_Z38paged_attention_ll4mi_QKV_mfma4_kernelI14__hip_bfloat16S0_LN4vllm18Fp8KVCacheDataTypeE0ES0_Li16ELi128ELi256ELb0ELi2EEvPKT_PKT0_S8_ifPKiSA_SA_iPKfiiiPfSD_PS3_PT2_iSC_SC_,comdat
.Lfunc_end671:
	.size	_Z38paged_attention_ll4mi_QKV_mfma4_kernelI14__hip_bfloat16S0_LN4vllm18Fp8KVCacheDataTypeE0ES0_Li16ELi128ELi256ELb0ELi2EEvPKT_PKT0_S8_ifPKiSA_SA_iPKfiiiPfSD_PS3_PT2_iSC_SC_, .Lfunc_end671-_Z38paged_attention_ll4mi_QKV_mfma4_kernelI14__hip_bfloat16S0_LN4vllm18Fp8KVCacheDataTypeE0ES0_Li16ELi128ELi256ELb0ELi2EEvPKT_PKT0_S8_ifPKiSA_SA_iPKfiiiPfSD_PS3_PT2_iSC_SC_
                                        ; -- End function
	.set _Z38paged_attention_ll4mi_QKV_mfma4_kernelI14__hip_bfloat16S0_LN4vllm18Fp8KVCacheDataTypeE0ES0_Li16ELi128ELi256ELb0ELi2EEvPKT_PKT0_S8_ifPKiSA_SA_iPKfiiiPfSD_PS3_PT2_iSC_SC_.num_vgpr, max(3, .L__assert_fail.num_vgpr)
	.set _Z38paged_attention_ll4mi_QKV_mfma4_kernelI14__hip_bfloat16S0_LN4vllm18Fp8KVCacheDataTypeE0ES0_Li16ELi128ELi256ELb0ELi2EEvPKT_PKT0_S8_ifPKiSA_SA_iPKfiiiPfSD_PS3_PT2_iSC_SC_.num_agpr, max(0, .L__assert_fail.num_agpr)
	.set _Z38paged_attention_ll4mi_QKV_mfma4_kernelI14__hip_bfloat16S0_LN4vllm18Fp8KVCacheDataTypeE0ES0_Li16ELi128ELi256ELb0ELi2EEvPKT_PKT0_S8_ifPKiSA_SA_iPKfiiiPfSD_PS3_PT2_iSC_SC_.numbered_sgpr, max(33, .L__assert_fail.numbered_sgpr)
	.set _Z38paged_attention_ll4mi_QKV_mfma4_kernelI14__hip_bfloat16S0_LN4vllm18Fp8KVCacheDataTypeE0ES0_Li16ELi128ELi256ELb0ELi2EEvPKT_PKT0_S8_ifPKiSA_SA_iPKfiiiPfSD_PS3_PT2_iSC_SC_.num_named_barrier, max(0, .L__assert_fail.num_named_barrier)
	.set _Z38paged_attention_ll4mi_QKV_mfma4_kernelI14__hip_bfloat16S0_LN4vllm18Fp8KVCacheDataTypeE0ES0_Li16ELi128ELi256ELb0ELi2EEvPKT_PKT0_S8_ifPKiSA_SA_iPKfiiiPfSD_PS3_PT2_iSC_SC_.private_seg_size, 0+max(.L__assert_fail.private_seg_size)
	.set _Z38paged_attention_ll4mi_QKV_mfma4_kernelI14__hip_bfloat16S0_LN4vllm18Fp8KVCacheDataTypeE0ES0_Li16ELi128ELi256ELb0ELi2EEvPKT_PKT0_S8_ifPKiSA_SA_iPKfiiiPfSD_PS3_PT2_iSC_SC_.uses_vcc, or(1, .L__assert_fail.uses_vcc)
	.set _Z38paged_attention_ll4mi_QKV_mfma4_kernelI14__hip_bfloat16S0_LN4vllm18Fp8KVCacheDataTypeE0ES0_Li16ELi128ELi256ELb0ELi2EEvPKT_PKT0_S8_ifPKiSA_SA_iPKfiiiPfSD_PS3_PT2_iSC_SC_.uses_flat_scratch, or(0, .L__assert_fail.uses_flat_scratch)
	.set _Z38paged_attention_ll4mi_QKV_mfma4_kernelI14__hip_bfloat16S0_LN4vllm18Fp8KVCacheDataTypeE0ES0_Li16ELi128ELi256ELb0ELi2EEvPKT_PKT0_S8_ifPKiSA_SA_iPKfiiiPfSD_PS3_PT2_iSC_SC_.has_dyn_sized_stack, or(0, .L__assert_fail.has_dyn_sized_stack)
	.set _Z38paged_attention_ll4mi_QKV_mfma4_kernelI14__hip_bfloat16S0_LN4vllm18Fp8KVCacheDataTypeE0ES0_Li16ELi128ELi256ELb0ELi2EEvPKT_PKT0_S8_ifPKiSA_SA_iPKfiiiPfSD_PS3_PT2_iSC_SC_.has_recursion, or(0, .L__assert_fail.has_recursion)
	.set _Z38paged_attention_ll4mi_QKV_mfma4_kernelI14__hip_bfloat16S0_LN4vllm18Fp8KVCacheDataTypeE0ES0_Li16ELi128ELi256ELb0ELi2EEvPKT_PKT0_S8_ifPKiSA_SA_iPKfiiiPfSD_PS3_PT2_iSC_SC_.has_indirect_call, or(0, .L__assert_fail.has_indirect_call)
	.section	.AMDGPU.csdata,"",@progbits
; Kernel info:
; codeLenInByte = 68
; TotalNumSgprs: 36
; NumVgprs: 51
; ScratchSize: 64
; MemoryBound: 0
; FloatMode: 240
; IeeeMode: 1
; LDSByteSize: 0 bytes/workgroup (compile time only)
; SGPRBlocks: 0
; VGPRBlocks: 3
; NumSGPRsForWavesPerEU: 36
; NumVGPRsForWavesPerEU: 51
; NamedBarCnt: 0
; Occupancy: 16
; WaveLimiterHint : 1
; COMPUTE_PGM_RSRC2:SCRATCH_EN: 1
; COMPUTE_PGM_RSRC2:USER_SGPR: 2
; COMPUTE_PGM_RSRC2:TRAP_HANDLER: 0
; COMPUTE_PGM_RSRC2:TGID_X_EN: 1
; COMPUTE_PGM_RSRC2:TGID_Y_EN: 0
; COMPUTE_PGM_RSRC2:TGID_Z_EN: 0
; COMPUTE_PGM_RSRC2:TIDIG_COMP_CNT: 0
	.section	.text._Z38paged_attention_ll4mi_QKV_mfma4_kernelI14__hip_bfloat16S0_LN4vllm18Fp8KVCacheDataTypeE0ES0_Li16ELi128ELi256ELb0ELi3EEvPKT_PKT0_S8_ifPKiSA_SA_iPKfiiiPfSD_PS3_PT2_iSC_SC_,"axG",@progbits,_Z38paged_attention_ll4mi_QKV_mfma4_kernelI14__hip_bfloat16S0_LN4vllm18Fp8KVCacheDataTypeE0ES0_Li16ELi128ELi256ELb0ELi3EEvPKT_PKT0_S8_ifPKiSA_SA_iPKfiiiPfSD_PS3_PT2_iSC_SC_,comdat
	.protected	_Z38paged_attention_ll4mi_QKV_mfma4_kernelI14__hip_bfloat16S0_LN4vllm18Fp8KVCacheDataTypeE0ES0_Li16ELi128ELi256ELb0ELi3EEvPKT_PKT0_S8_ifPKiSA_SA_iPKfiiiPfSD_PS3_PT2_iSC_SC_ ; -- Begin function _Z38paged_attention_ll4mi_QKV_mfma4_kernelI14__hip_bfloat16S0_LN4vllm18Fp8KVCacheDataTypeE0ES0_Li16ELi128ELi256ELb0ELi3EEvPKT_PKT0_S8_ifPKiSA_SA_iPKfiiiPfSD_PS3_PT2_iSC_SC_
	.globl	_Z38paged_attention_ll4mi_QKV_mfma4_kernelI14__hip_bfloat16S0_LN4vllm18Fp8KVCacheDataTypeE0ES0_Li16ELi128ELi256ELb0ELi3EEvPKT_PKT0_S8_ifPKiSA_SA_iPKfiiiPfSD_PS3_PT2_iSC_SC_
	.p2align	8
	.type	_Z38paged_attention_ll4mi_QKV_mfma4_kernelI14__hip_bfloat16S0_LN4vllm18Fp8KVCacheDataTypeE0ES0_Li16ELi128ELi256ELb0ELi3EEvPKT_PKT0_S8_ifPKiSA_SA_iPKfiiiPfSD_PS3_PT2_iSC_SC_,@function
_Z38paged_attention_ll4mi_QKV_mfma4_kernelI14__hip_bfloat16S0_LN4vllm18Fp8KVCacheDataTypeE0ES0_Li16ELi128ELi256ELb0ELi3EEvPKT_PKT0_S8_ifPKiSA_SA_iPKfiiiPfSD_PS3_PT2_iSC_SC_: ; @_Z38paged_attention_ll4mi_QKV_mfma4_kernelI14__hip_bfloat16S0_LN4vllm18Fp8KVCacheDataTypeE0ES0_Li16ELi128ELi256ELb0ELi3EEvPKT_PKT0_S8_ifPKiSA_SA_iPKfiiiPfSD_PS3_PT2_iSC_SC_
; %bb.0:
	s_get_pc_i64 s[2:3]
	s_add_nc_u64 s[2:3], s[2:3], __PRETTY_FUNCTION__._Z38paged_attention_ll4mi_QKV_mfma4_kernelI14__hip_bfloat16S0_LN4vllm18Fp8KVCacheDataTypeE0ES0_Li16ELi128ELi256ELb0ELi3EEvPKT_PKT0_S8_ifPKiSA_SA_iPKfiiiPfSD_PS3_PT2_iSC_SC_@rel64+4
	s_delay_alu instid0(SALU_CYCLE_1)
	v_dual_mov_b32 v0, 0xbce :: v_dual_mov_b32 v1, s2
	v_mov_b32_e32 v2, s3
	s_add_nc_u64 s[8:9], s[0:1], 0x90
	s_get_pc_i64 s[0:1]
	s_add_nc_u64 s[0:1], s[0:1], __assert_fail@rel64+4
	s_mov_b32 s32, 0
	s_swap_pc_i64 s[30:31], s[0:1]
	.section	.rodata,"a",@progbits
	.p2align	6, 0x0
	.amdhsa_kernel _Z38paged_attention_ll4mi_QKV_mfma4_kernelI14__hip_bfloat16S0_LN4vllm18Fp8KVCacheDataTypeE0ES0_Li16ELi128ELi256ELb0ELi3EEvPKT_PKT0_S8_ifPKiSA_SA_iPKfiiiPfSD_PS3_PT2_iSC_SC_
		.amdhsa_group_segment_fixed_size 0
		.amdhsa_private_segment_fixed_size 64
		.amdhsa_kernarg_size 400
		.amdhsa_user_sgpr_count 2
		.amdhsa_user_sgpr_dispatch_ptr 0
		.amdhsa_user_sgpr_queue_ptr 0
		.amdhsa_user_sgpr_kernarg_segment_ptr 1
		.amdhsa_user_sgpr_dispatch_id 0
		.amdhsa_user_sgpr_kernarg_preload_length 0
		.amdhsa_user_sgpr_kernarg_preload_offset 0
		.amdhsa_user_sgpr_private_segment_size 0
		.amdhsa_wavefront_size32 1
		.amdhsa_uses_dynamic_stack 0
		.amdhsa_enable_private_segment 1
		.amdhsa_system_sgpr_workgroup_id_x 1
		.amdhsa_system_sgpr_workgroup_id_y 0
		.amdhsa_system_sgpr_workgroup_id_z 0
		.amdhsa_system_sgpr_workgroup_info 0
		.amdhsa_system_vgpr_workitem_id 0
		.amdhsa_next_free_vgpr 51
		.amdhsa_next_free_sgpr 34
		.amdhsa_named_barrier_count 0
		.amdhsa_reserve_vcc 1
		.amdhsa_float_round_mode_32 0
		.amdhsa_float_round_mode_16_64 0
		.amdhsa_float_denorm_mode_32 3
		.amdhsa_float_denorm_mode_16_64 3
		.amdhsa_fp16_overflow 0
		.amdhsa_memory_ordered 1
		.amdhsa_forward_progress 1
		.amdhsa_inst_pref_size 1
		.amdhsa_round_robin_scheduling 0
		.amdhsa_exception_fp_ieee_invalid_op 0
		.amdhsa_exception_fp_denorm_src 0
		.amdhsa_exception_fp_ieee_div_zero 0
		.amdhsa_exception_fp_ieee_overflow 0
		.amdhsa_exception_fp_ieee_underflow 0
		.amdhsa_exception_fp_ieee_inexact 0
		.amdhsa_exception_int_div_zero 0
	.end_amdhsa_kernel
	.section	.text._Z38paged_attention_ll4mi_QKV_mfma4_kernelI14__hip_bfloat16S0_LN4vllm18Fp8KVCacheDataTypeE0ES0_Li16ELi128ELi256ELb0ELi3EEvPKT_PKT0_S8_ifPKiSA_SA_iPKfiiiPfSD_PS3_PT2_iSC_SC_,"axG",@progbits,_Z38paged_attention_ll4mi_QKV_mfma4_kernelI14__hip_bfloat16S0_LN4vllm18Fp8KVCacheDataTypeE0ES0_Li16ELi128ELi256ELb0ELi3EEvPKT_PKT0_S8_ifPKiSA_SA_iPKfiiiPfSD_PS3_PT2_iSC_SC_,comdat
.Lfunc_end672:
	.size	_Z38paged_attention_ll4mi_QKV_mfma4_kernelI14__hip_bfloat16S0_LN4vllm18Fp8KVCacheDataTypeE0ES0_Li16ELi128ELi256ELb0ELi3EEvPKT_PKT0_S8_ifPKiSA_SA_iPKfiiiPfSD_PS3_PT2_iSC_SC_, .Lfunc_end672-_Z38paged_attention_ll4mi_QKV_mfma4_kernelI14__hip_bfloat16S0_LN4vllm18Fp8KVCacheDataTypeE0ES0_Li16ELi128ELi256ELb0ELi3EEvPKT_PKT0_S8_ifPKiSA_SA_iPKfiiiPfSD_PS3_PT2_iSC_SC_
                                        ; -- End function
	.set _Z38paged_attention_ll4mi_QKV_mfma4_kernelI14__hip_bfloat16S0_LN4vllm18Fp8KVCacheDataTypeE0ES0_Li16ELi128ELi256ELb0ELi3EEvPKT_PKT0_S8_ifPKiSA_SA_iPKfiiiPfSD_PS3_PT2_iSC_SC_.num_vgpr, max(3, .L__assert_fail.num_vgpr)
	.set _Z38paged_attention_ll4mi_QKV_mfma4_kernelI14__hip_bfloat16S0_LN4vllm18Fp8KVCacheDataTypeE0ES0_Li16ELi128ELi256ELb0ELi3EEvPKT_PKT0_S8_ifPKiSA_SA_iPKfiiiPfSD_PS3_PT2_iSC_SC_.num_agpr, max(0, .L__assert_fail.num_agpr)
	.set _Z38paged_attention_ll4mi_QKV_mfma4_kernelI14__hip_bfloat16S0_LN4vllm18Fp8KVCacheDataTypeE0ES0_Li16ELi128ELi256ELb0ELi3EEvPKT_PKT0_S8_ifPKiSA_SA_iPKfiiiPfSD_PS3_PT2_iSC_SC_.numbered_sgpr, max(33, .L__assert_fail.numbered_sgpr)
	.set _Z38paged_attention_ll4mi_QKV_mfma4_kernelI14__hip_bfloat16S0_LN4vllm18Fp8KVCacheDataTypeE0ES0_Li16ELi128ELi256ELb0ELi3EEvPKT_PKT0_S8_ifPKiSA_SA_iPKfiiiPfSD_PS3_PT2_iSC_SC_.num_named_barrier, max(0, .L__assert_fail.num_named_barrier)
	.set _Z38paged_attention_ll4mi_QKV_mfma4_kernelI14__hip_bfloat16S0_LN4vllm18Fp8KVCacheDataTypeE0ES0_Li16ELi128ELi256ELb0ELi3EEvPKT_PKT0_S8_ifPKiSA_SA_iPKfiiiPfSD_PS3_PT2_iSC_SC_.private_seg_size, 0+max(.L__assert_fail.private_seg_size)
	.set _Z38paged_attention_ll4mi_QKV_mfma4_kernelI14__hip_bfloat16S0_LN4vllm18Fp8KVCacheDataTypeE0ES0_Li16ELi128ELi256ELb0ELi3EEvPKT_PKT0_S8_ifPKiSA_SA_iPKfiiiPfSD_PS3_PT2_iSC_SC_.uses_vcc, or(1, .L__assert_fail.uses_vcc)
	.set _Z38paged_attention_ll4mi_QKV_mfma4_kernelI14__hip_bfloat16S0_LN4vllm18Fp8KVCacheDataTypeE0ES0_Li16ELi128ELi256ELb0ELi3EEvPKT_PKT0_S8_ifPKiSA_SA_iPKfiiiPfSD_PS3_PT2_iSC_SC_.uses_flat_scratch, or(0, .L__assert_fail.uses_flat_scratch)
	.set _Z38paged_attention_ll4mi_QKV_mfma4_kernelI14__hip_bfloat16S0_LN4vllm18Fp8KVCacheDataTypeE0ES0_Li16ELi128ELi256ELb0ELi3EEvPKT_PKT0_S8_ifPKiSA_SA_iPKfiiiPfSD_PS3_PT2_iSC_SC_.has_dyn_sized_stack, or(0, .L__assert_fail.has_dyn_sized_stack)
	.set _Z38paged_attention_ll4mi_QKV_mfma4_kernelI14__hip_bfloat16S0_LN4vllm18Fp8KVCacheDataTypeE0ES0_Li16ELi128ELi256ELb0ELi3EEvPKT_PKT0_S8_ifPKiSA_SA_iPKfiiiPfSD_PS3_PT2_iSC_SC_.has_recursion, or(0, .L__assert_fail.has_recursion)
	.set _Z38paged_attention_ll4mi_QKV_mfma4_kernelI14__hip_bfloat16S0_LN4vllm18Fp8KVCacheDataTypeE0ES0_Li16ELi128ELi256ELb0ELi3EEvPKT_PKT0_S8_ifPKiSA_SA_iPKfiiiPfSD_PS3_PT2_iSC_SC_.has_indirect_call, or(0, .L__assert_fail.has_indirect_call)
	.section	.AMDGPU.csdata,"",@progbits
; Kernel info:
; codeLenInByte = 68
; TotalNumSgprs: 36
; NumVgprs: 51
; ScratchSize: 64
; MemoryBound: 0
; FloatMode: 240
; IeeeMode: 1
; LDSByteSize: 0 bytes/workgroup (compile time only)
; SGPRBlocks: 0
; VGPRBlocks: 3
; NumSGPRsForWavesPerEU: 36
; NumVGPRsForWavesPerEU: 51
; NamedBarCnt: 0
; Occupancy: 16
; WaveLimiterHint : 1
; COMPUTE_PGM_RSRC2:SCRATCH_EN: 1
; COMPUTE_PGM_RSRC2:USER_SGPR: 2
; COMPUTE_PGM_RSRC2:TRAP_HANDLER: 0
; COMPUTE_PGM_RSRC2:TGID_X_EN: 1
; COMPUTE_PGM_RSRC2:TGID_Y_EN: 0
; COMPUTE_PGM_RSRC2:TGID_Z_EN: 0
; COMPUTE_PGM_RSRC2:TIDIG_COMP_CNT: 0
	.section	.text._Z38paged_attention_ll4mi_QKV_mfma4_kernelI14__hip_bfloat16S0_LN4vllm18Fp8KVCacheDataTypeE0ES0_Li16ELi128ELi256ELb0ELi4EEvPKT_PKT0_S8_ifPKiSA_SA_iPKfiiiPfSD_PS3_PT2_iSC_SC_,"axG",@progbits,_Z38paged_attention_ll4mi_QKV_mfma4_kernelI14__hip_bfloat16S0_LN4vllm18Fp8KVCacheDataTypeE0ES0_Li16ELi128ELi256ELb0ELi4EEvPKT_PKT0_S8_ifPKiSA_SA_iPKfiiiPfSD_PS3_PT2_iSC_SC_,comdat
	.protected	_Z38paged_attention_ll4mi_QKV_mfma4_kernelI14__hip_bfloat16S0_LN4vllm18Fp8KVCacheDataTypeE0ES0_Li16ELi128ELi256ELb0ELi4EEvPKT_PKT0_S8_ifPKiSA_SA_iPKfiiiPfSD_PS3_PT2_iSC_SC_ ; -- Begin function _Z38paged_attention_ll4mi_QKV_mfma4_kernelI14__hip_bfloat16S0_LN4vllm18Fp8KVCacheDataTypeE0ES0_Li16ELi128ELi256ELb0ELi4EEvPKT_PKT0_S8_ifPKiSA_SA_iPKfiiiPfSD_PS3_PT2_iSC_SC_
	.globl	_Z38paged_attention_ll4mi_QKV_mfma4_kernelI14__hip_bfloat16S0_LN4vllm18Fp8KVCacheDataTypeE0ES0_Li16ELi128ELi256ELb0ELi4EEvPKT_PKT0_S8_ifPKiSA_SA_iPKfiiiPfSD_PS3_PT2_iSC_SC_
	.p2align	8
	.type	_Z38paged_attention_ll4mi_QKV_mfma4_kernelI14__hip_bfloat16S0_LN4vllm18Fp8KVCacheDataTypeE0ES0_Li16ELi128ELi256ELb0ELi4EEvPKT_PKT0_S8_ifPKiSA_SA_iPKfiiiPfSD_PS3_PT2_iSC_SC_,@function
_Z38paged_attention_ll4mi_QKV_mfma4_kernelI14__hip_bfloat16S0_LN4vllm18Fp8KVCacheDataTypeE0ES0_Li16ELi128ELi256ELb0ELi4EEvPKT_PKT0_S8_ifPKiSA_SA_iPKfiiiPfSD_PS3_PT2_iSC_SC_: ; @_Z38paged_attention_ll4mi_QKV_mfma4_kernelI14__hip_bfloat16S0_LN4vllm18Fp8KVCacheDataTypeE0ES0_Li16ELi128ELi256ELb0ELi4EEvPKT_PKT0_S8_ifPKiSA_SA_iPKfiiiPfSD_PS3_PT2_iSC_SC_
; %bb.0:
	s_get_pc_i64 s[2:3]
	s_add_nc_u64 s[2:3], s[2:3], __PRETTY_FUNCTION__._Z38paged_attention_ll4mi_QKV_mfma4_kernelI14__hip_bfloat16S0_LN4vllm18Fp8KVCacheDataTypeE0ES0_Li16ELi128ELi256ELb0ELi4EEvPKT_PKT0_S8_ifPKiSA_SA_iPKfiiiPfSD_PS3_PT2_iSC_SC_@rel64+4
	s_delay_alu instid0(SALU_CYCLE_1)
	v_dual_mov_b32 v0, 0xbce :: v_dual_mov_b32 v1, s2
	v_mov_b32_e32 v2, s3
	s_add_nc_u64 s[8:9], s[0:1], 0x90
	s_get_pc_i64 s[0:1]
	s_add_nc_u64 s[0:1], s[0:1], __assert_fail@rel64+4
	s_mov_b32 s32, 0
	s_swap_pc_i64 s[30:31], s[0:1]
	.section	.rodata,"a",@progbits
	.p2align	6, 0x0
	.amdhsa_kernel _Z38paged_attention_ll4mi_QKV_mfma4_kernelI14__hip_bfloat16S0_LN4vllm18Fp8KVCacheDataTypeE0ES0_Li16ELi128ELi256ELb0ELi4EEvPKT_PKT0_S8_ifPKiSA_SA_iPKfiiiPfSD_PS3_PT2_iSC_SC_
		.amdhsa_group_segment_fixed_size 0
		.amdhsa_private_segment_fixed_size 64
		.amdhsa_kernarg_size 400
		.amdhsa_user_sgpr_count 2
		.amdhsa_user_sgpr_dispatch_ptr 0
		.amdhsa_user_sgpr_queue_ptr 0
		.amdhsa_user_sgpr_kernarg_segment_ptr 1
		.amdhsa_user_sgpr_dispatch_id 0
		.amdhsa_user_sgpr_kernarg_preload_length 0
		.amdhsa_user_sgpr_kernarg_preload_offset 0
		.amdhsa_user_sgpr_private_segment_size 0
		.amdhsa_wavefront_size32 1
		.amdhsa_uses_dynamic_stack 0
		.amdhsa_enable_private_segment 1
		.amdhsa_system_sgpr_workgroup_id_x 1
		.amdhsa_system_sgpr_workgroup_id_y 0
		.amdhsa_system_sgpr_workgroup_id_z 0
		.amdhsa_system_sgpr_workgroup_info 0
		.amdhsa_system_vgpr_workitem_id 0
		.amdhsa_next_free_vgpr 51
		.amdhsa_next_free_sgpr 34
		.amdhsa_named_barrier_count 0
		.amdhsa_reserve_vcc 1
		.amdhsa_float_round_mode_32 0
		.amdhsa_float_round_mode_16_64 0
		.amdhsa_float_denorm_mode_32 3
		.amdhsa_float_denorm_mode_16_64 3
		.amdhsa_fp16_overflow 0
		.amdhsa_memory_ordered 1
		.amdhsa_forward_progress 1
		.amdhsa_inst_pref_size 1
		.amdhsa_round_robin_scheduling 0
		.amdhsa_exception_fp_ieee_invalid_op 0
		.amdhsa_exception_fp_denorm_src 0
		.amdhsa_exception_fp_ieee_div_zero 0
		.amdhsa_exception_fp_ieee_overflow 0
		.amdhsa_exception_fp_ieee_underflow 0
		.amdhsa_exception_fp_ieee_inexact 0
		.amdhsa_exception_int_div_zero 0
	.end_amdhsa_kernel
	.section	.text._Z38paged_attention_ll4mi_QKV_mfma4_kernelI14__hip_bfloat16S0_LN4vllm18Fp8KVCacheDataTypeE0ES0_Li16ELi128ELi256ELb0ELi4EEvPKT_PKT0_S8_ifPKiSA_SA_iPKfiiiPfSD_PS3_PT2_iSC_SC_,"axG",@progbits,_Z38paged_attention_ll4mi_QKV_mfma4_kernelI14__hip_bfloat16S0_LN4vllm18Fp8KVCacheDataTypeE0ES0_Li16ELi128ELi256ELb0ELi4EEvPKT_PKT0_S8_ifPKiSA_SA_iPKfiiiPfSD_PS3_PT2_iSC_SC_,comdat
.Lfunc_end673:
	.size	_Z38paged_attention_ll4mi_QKV_mfma4_kernelI14__hip_bfloat16S0_LN4vllm18Fp8KVCacheDataTypeE0ES0_Li16ELi128ELi256ELb0ELi4EEvPKT_PKT0_S8_ifPKiSA_SA_iPKfiiiPfSD_PS3_PT2_iSC_SC_, .Lfunc_end673-_Z38paged_attention_ll4mi_QKV_mfma4_kernelI14__hip_bfloat16S0_LN4vllm18Fp8KVCacheDataTypeE0ES0_Li16ELi128ELi256ELb0ELi4EEvPKT_PKT0_S8_ifPKiSA_SA_iPKfiiiPfSD_PS3_PT2_iSC_SC_
                                        ; -- End function
	.set _Z38paged_attention_ll4mi_QKV_mfma4_kernelI14__hip_bfloat16S0_LN4vllm18Fp8KVCacheDataTypeE0ES0_Li16ELi128ELi256ELb0ELi4EEvPKT_PKT0_S8_ifPKiSA_SA_iPKfiiiPfSD_PS3_PT2_iSC_SC_.num_vgpr, max(3, .L__assert_fail.num_vgpr)
	.set _Z38paged_attention_ll4mi_QKV_mfma4_kernelI14__hip_bfloat16S0_LN4vllm18Fp8KVCacheDataTypeE0ES0_Li16ELi128ELi256ELb0ELi4EEvPKT_PKT0_S8_ifPKiSA_SA_iPKfiiiPfSD_PS3_PT2_iSC_SC_.num_agpr, max(0, .L__assert_fail.num_agpr)
	.set _Z38paged_attention_ll4mi_QKV_mfma4_kernelI14__hip_bfloat16S0_LN4vllm18Fp8KVCacheDataTypeE0ES0_Li16ELi128ELi256ELb0ELi4EEvPKT_PKT0_S8_ifPKiSA_SA_iPKfiiiPfSD_PS3_PT2_iSC_SC_.numbered_sgpr, max(33, .L__assert_fail.numbered_sgpr)
	.set _Z38paged_attention_ll4mi_QKV_mfma4_kernelI14__hip_bfloat16S0_LN4vllm18Fp8KVCacheDataTypeE0ES0_Li16ELi128ELi256ELb0ELi4EEvPKT_PKT0_S8_ifPKiSA_SA_iPKfiiiPfSD_PS3_PT2_iSC_SC_.num_named_barrier, max(0, .L__assert_fail.num_named_barrier)
	.set _Z38paged_attention_ll4mi_QKV_mfma4_kernelI14__hip_bfloat16S0_LN4vllm18Fp8KVCacheDataTypeE0ES0_Li16ELi128ELi256ELb0ELi4EEvPKT_PKT0_S8_ifPKiSA_SA_iPKfiiiPfSD_PS3_PT2_iSC_SC_.private_seg_size, 0+max(.L__assert_fail.private_seg_size)
	.set _Z38paged_attention_ll4mi_QKV_mfma4_kernelI14__hip_bfloat16S0_LN4vllm18Fp8KVCacheDataTypeE0ES0_Li16ELi128ELi256ELb0ELi4EEvPKT_PKT0_S8_ifPKiSA_SA_iPKfiiiPfSD_PS3_PT2_iSC_SC_.uses_vcc, or(1, .L__assert_fail.uses_vcc)
	.set _Z38paged_attention_ll4mi_QKV_mfma4_kernelI14__hip_bfloat16S0_LN4vllm18Fp8KVCacheDataTypeE0ES0_Li16ELi128ELi256ELb0ELi4EEvPKT_PKT0_S8_ifPKiSA_SA_iPKfiiiPfSD_PS3_PT2_iSC_SC_.uses_flat_scratch, or(0, .L__assert_fail.uses_flat_scratch)
	.set _Z38paged_attention_ll4mi_QKV_mfma4_kernelI14__hip_bfloat16S0_LN4vllm18Fp8KVCacheDataTypeE0ES0_Li16ELi128ELi256ELb0ELi4EEvPKT_PKT0_S8_ifPKiSA_SA_iPKfiiiPfSD_PS3_PT2_iSC_SC_.has_dyn_sized_stack, or(0, .L__assert_fail.has_dyn_sized_stack)
	.set _Z38paged_attention_ll4mi_QKV_mfma4_kernelI14__hip_bfloat16S0_LN4vllm18Fp8KVCacheDataTypeE0ES0_Li16ELi128ELi256ELb0ELi4EEvPKT_PKT0_S8_ifPKiSA_SA_iPKfiiiPfSD_PS3_PT2_iSC_SC_.has_recursion, or(0, .L__assert_fail.has_recursion)
	.set _Z38paged_attention_ll4mi_QKV_mfma4_kernelI14__hip_bfloat16S0_LN4vllm18Fp8KVCacheDataTypeE0ES0_Li16ELi128ELi256ELb0ELi4EEvPKT_PKT0_S8_ifPKiSA_SA_iPKfiiiPfSD_PS3_PT2_iSC_SC_.has_indirect_call, or(0, .L__assert_fail.has_indirect_call)
	.section	.AMDGPU.csdata,"",@progbits
; Kernel info:
; codeLenInByte = 68
; TotalNumSgprs: 36
; NumVgprs: 51
; ScratchSize: 64
; MemoryBound: 0
; FloatMode: 240
; IeeeMode: 1
; LDSByteSize: 0 bytes/workgroup (compile time only)
; SGPRBlocks: 0
; VGPRBlocks: 3
; NumSGPRsForWavesPerEU: 36
; NumVGPRsForWavesPerEU: 51
; NamedBarCnt: 0
; Occupancy: 16
; WaveLimiterHint : 1
; COMPUTE_PGM_RSRC2:SCRATCH_EN: 1
; COMPUTE_PGM_RSRC2:USER_SGPR: 2
; COMPUTE_PGM_RSRC2:TRAP_HANDLER: 0
; COMPUTE_PGM_RSRC2:TGID_X_EN: 1
; COMPUTE_PGM_RSRC2:TGID_Y_EN: 0
; COMPUTE_PGM_RSRC2:TGID_Z_EN: 0
; COMPUTE_PGM_RSRC2:TIDIG_COMP_CNT: 0
	.section	.text._Z39paged_attention_ll4mi_QKV_mfma16_kernelI14__hip_bfloat16S0_LN4vllm18Fp8KVCacheDataTypeE0ES0_Li16ELi128ELi256ELb0ELi5EEvPKT_PKT0_S8_ifPKiSA_SA_iPKfiiiPfSD_PS3_PT2_iSC_SC_,"axG",@progbits,_Z39paged_attention_ll4mi_QKV_mfma16_kernelI14__hip_bfloat16S0_LN4vllm18Fp8KVCacheDataTypeE0ES0_Li16ELi128ELi256ELb0ELi5EEvPKT_PKT0_S8_ifPKiSA_SA_iPKfiiiPfSD_PS3_PT2_iSC_SC_,comdat
	.protected	_Z39paged_attention_ll4mi_QKV_mfma16_kernelI14__hip_bfloat16S0_LN4vllm18Fp8KVCacheDataTypeE0ES0_Li16ELi128ELi256ELb0ELi5EEvPKT_PKT0_S8_ifPKiSA_SA_iPKfiiiPfSD_PS3_PT2_iSC_SC_ ; -- Begin function _Z39paged_attention_ll4mi_QKV_mfma16_kernelI14__hip_bfloat16S0_LN4vllm18Fp8KVCacheDataTypeE0ES0_Li16ELi128ELi256ELb0ELi5EEvPKT_PKT0_S8_ifPKiSA_SA_iPKfiiiPfSD_PS3_PT2_iSC_SC_
	.globl	_Z39paged_attention_ll4mi_QKV_mfma16_kernelI14__hip_bfloat16S0_LN4vllm18Fp8KVCacheDataTypeE0ES0_Li16ELi128ELi256ELb0ELi5EEvPKT_PKT0_S8_ifPKiSA_SA_iPKfiiiPfSD_PS3_PT2_iSC_SC_
	.p2align	8
	.type	_Z39paged_attention_ll4mi_QKV_mfma16_kernelI14__hip_bfloat16S0_LN4vllm18Fp8KVCacheDataTypeE0ES0_Li16ELi128ELi256ELb0ELi5EEvPKT_PKT0_S8_ifPKiSA_SA_iPKfiiiPfSD_PS3_PT2_iSC_SC_,@function
_Z39paged_attention_ll4mi_QKV_mfma16_kernelI14__hip_bfloat16S0_LN4vllm18Fp8KVCacheDataTypeE0ES0_Li16ELi128ELi256ELb0ELi5EEvPKT_PKT0_S8_ifPKiSA_SA_iPKfiiiPfSD_PS3_PT2_iSC_SC_: ; @_Z39paged_attention_ll4mi_QKV_mfma16_kernelI14__hip_bfloat16S0_LN4vllm18Fp8KVCacheDataTypeE0ES0_Li16ELi128ELi256ELb0ELi5EEvPKT_PKT0_S8_ifPKiSA_SA_iPKfiiiPfSD_PS3_PT2_iSC_SC_
; %bb.0:
	s_get_pc_i64 s[2:3]
	s_add_nc_u64 s[2:3], s[2:3], __PRETTY_FUNCTION__._Z39paged_attention_ll4mi_QKV_mfma16_kernelI14__hip_bfloat16S0_LN4vllm18Fp8KVCacheDataTypeE0ES0_Li16ELi128ELi256ELb0ELi5EEvPKT_PKT0_S8_ifPKiSA_SA_iPKfiiiPfSD_PS3_PT2_iSC_SC_@rel64+4
	s_delay_alu instid0(SALU_CYCLE_1)
	v_dual_mov_b32 v0, 0xbb3 :: v_dual_mov_b32 v1, s2
	v_mov_b32_e32 v2, s3
	s_add_nc_u64 s[8:9], s[0:1], 0x90
	s_get_pc_i64 s[0:1]
	s_add_nc_u64 s[0:1], s[0:1], __assert_fail@rel64+4
	s_mov_b32 s32, 0
	s_swap_pc_i64 s[30:31], s[0:1]
	.section	.rodata,"a",@progbits
	.p2align	6, 0x0
	.amdhsa_kernel _Z39paged_attention_ll4mi_QKV_mfma16_kernelI14__hip_bfloat16S0_LN4vllm18Fp8KVCacheDataTypeE0ES0_Li16ELi128ELi256ELb0ELi5EEvPKT_PKT0_S8_ifPKiSA_SA_iPKfiiiPfSD_PS3_PT2_iSC_SC_
		.amdhsa_group_segment_fixed_size 0
		.amdhsa_private_segment_fixed_size 64
		.amdhsa_kernarg_size 400
		.amdhsa_user_sgpr_count 2
		.amdhsa_user_sgpr_dispatch_ptr 0
		.amdhsa_user_sgpr_queue_ptr 0
		.amdhsa_user_sgpr_kernarg_segment_ptr 1
		.amdhsa_user_sgpr_dispatch_id 0
		.amdhsa_user_sgpr_kernarg_preload_length 0
		.amdhsa_user_sgpr_kernarg_preload_offset 0
		.amdhsa_user_sgpr_private_segment_size 0
		.amdhsa_wavefront_size32 1
		.amdhsa_uses_dynamic_stack 0
		.amdhsa_enable_private_segment 1
		.amdhsa_system_sgpr_workgroup_id_x 1
		.amdhsa_system_sgpr_workgroup_id_y 0
		.amdhsa_system_sgpr_workgroup_id_z 0
		.amdhsa_system_sgpr_workgroup_info 0
		.amdhsa_system_vgpr_workitem_id 0
		.amdhsa_next_free_vgpr 51
		.amdhsa_next_free_sgpr 34
		.amdhsa_named_barrier_count 0
		.amdhsa_reserve_vcc 1
		.amdhsa_float_round_mode_32 0
		.amdhsa_float_round_mode_16_64 0
		.amdhsa_float_denorm_mode_32 3
		.amdhsa_float_denorm_mode_16_64 3
		.amdhsa_fp16_overflow 0
		.amdhsa_memory_ordered 1
		.amdhsa_forward_progress 1
		.amdhsa_inst_pref_size 1
		.amdhsa_round_robin_scheduling 0
		.amdhsa_exception_fp_ieee_invalid_op 0
		.amdhsa_exception_fp_denorm_src 0
		.amdhsa_exception_fp_ieee_div_zero 0
		.amdhsa_exception_fp_ieee_overflow 0
		.amdhsa_exception_fp_ieee_underflow 0
		.amdhsa_exception_fp_ieee_inexact 0
		.amdhsa_exception_int_div_zero 0
	.end_amdhsa_kernel
	.section	.text._Z39paged_attention_ll4mi_QKV_mfma16_kernelI14__hip_bfloat16S0_LN4vllm18Fp8KVCacheDataTypeE0ES0_Li16ELi128ELi256ELb0ELi5EEvPKT_PKT0_S8_ifPKiSA_SA_iPKfiiiPfSD_PS3_PT2_iSC_SC_,"axG",@progbits,_Z39paged_attention_ll4mi_QKV_mfma16_kernelI14__hip_bfloat16S0_LN4vllm18Fp8KVCacheDataTypeE0ES0_Li16ELi128ELi256ELb0ELi5EEvPKT_PKT0_S8_ifPKiSA_SA_iPKfiiiPfSD_PS3_PT2_iSC_SC_,comdat
.Lfunc_end674:
	.size	_Z39paged_attention_ll4mi_QKV_mfma16_kernelI14__hip_bfloat16S0_LN4vllm18Fp8KVCacheDataTypeE0ES0_Li16ELi128ELi256ELb0ELi5EEvPKT_PKT0_S8_ifPKiSA_SA_iPKfiiiPfSD_PS3_PT2_iSC_SC_, .Lfunc_end674-_Z39paged_attention_ll4mi_QKV_mfma16_kernelI14__hip_bfloat16S0_LN4vllm18Fp8KVCacheDataTypeE0ES0_Li16ELi128ELi256ELb0ELi5EEvPKT_PKT0_S8_ifPKiSA_SA_iPKfiiiPfSD_PS3_PT2_iSC_SC_
                                        ; -- End function
	.set _Z39paged_attention_ll4mi_QKV_mfma16_kernelI14__hip_bfloat16S0_LN4vllm18Fp8KVCacheDataTypeE0ES0_Li16ELi128ELi256ELb0ELi5EEvPKT_PKT0_S8_ifPKiSA_SA_iPKfiiiPfSD_PS3_PT2_iSC_SC_.num_vgpr, max(3, .L__assert_fail.num_vgpr)
	.set _Z39paged_attention_ll4mi_QKV_mfma16_kernelI14__hip_bfloat16S0_LN4vllm18Fp8KVCacheDataTypeE0ES0_Li16ELi128ELi256ELb0ELi5EEvPKT_PKT0_S8_ifPKiSA_SA_iPKfiiiPfSD_PS3_PT2_iSC_SC_.num_agpr, max(0, .L__assert_fail.num_agpr)
	.set _Z39paged_attention_ll4mi_QKV_mfma16_kernelI14__hip_bfloat16S0_LN4vllm18Fp8KVCacheDataTypeE0ES0_Li16ELi128ELi256ELb0ELi5EEvPKT_PKT0_S8_ifPKiSA_SA_iPKfiiiPfSD_PS3_PT2_iSC_SC_.numbered_sgpr, max(33, .L__assert_fail.numbered_sgpr)
	.set _Z39paged_attention_ll4mi_QKV_mfma16_kernelI14__hip_bfloat16S0_LN4vllm18Fp8KVCacheDataTypeE0ES0_Li16ELi128ELi256ELb0ELi5EEvPKT_PKT0_S8_ifPKiSA_SA_iPKfiiiPfSD_PS3_PT2_iSC_SC_.num_named_barrier, max(0, .L__assert_fail.num_named_barrier)
	.set _Z39paged_attention_ll4mi_QKV_mfma16_kernelI14__hip_bfloat16S0_LN4vllm18Fp8KVCacheDataTypeE0ES0_Li16ELi128ELi256ELb0ELi5EEvPKT_PKT0_S8_ifPKiSA_SA_iPKfiiiPfSD_PS3_PT2_iSC_SC_.private_seg_size, 0+max(.L__assert_fail.private_seg_size)
	.set _Z39paged_attention_ll4mi_QKV_mfma16_kernelI14__hip_bfloat16S0_LN4vllm18Fp8KVCacheDataTypeE0ES0_Li16ELi128ELi256ELb0ELi5EEvPKT_PKT0_S8_ifPKiSA_SA_iPKfiiiPfSD_PS3_PT2_iSC_SC_.uses_vcc, or(1, .L__assert_fail.uses_vcc)
	.set _Z39paged_attention_ll4mi_QKV_mfma16_kernelI14__hip_bfloat16S0_LN4vllm18Fp8KVCacheDataTypeE0ES0_Li16ELi128ELi256ELb0ELi5EEvPKT_PKT0_S8_ifPKiSA_SA_iPKfiiiPfSD_PS3_PT2_iSC_SC_.uses_flat_scratch, or(0, .L__assert_fail.uses_flat_scratch)
	.set _Z39paged_attention_ll4mi_QKV_mfma16_kernelI14__hip_bfloat16S0_LN4vllm18Fp8KVCacheDataTypeE0ES0_Li16ELi128ELi256ELb0ELi5EEvPKT_PKT0_S8_ifPKiSA_SA_iPKfiiiPfSD_PS3_PT2_iSC_SC_.has_dyn_sized_stack, or(0, .L__assert_fail.has_dyn_sized_stack)
	.set _Z39paged_attention_ll4mi_QKV_mfma16_kernelI14__hip_bfloat16S0_LN4vllm18Fp8KVCacheDataTypeE0ES0_Li16ELi128ELi256ELb0ELi5EEvPKT_PKT0_S8_ifPKiSA_SA_iPKfiiiPfSD_PS3_PT2_iSC_SC_.has_recursion, or(0, .L__assert_fail.has_recursion)
	.set _Z39paged_attention_ll4mi_QKV_mfma16_kernelI14__hip_bfloat16S0_LN4vllm18Fp8KVCacheDataTypeE0ES0_Li16ELi128ELi256ELb0ELi5EEvPKT_PKT0_S8_ifPKiSA_SA_iPKfiiiPfSD_PS3_PT2_iSC_SC_.has_indirect_call, or(0, .L__assert_fail.has_indirect_call)
	.section	.AMDGPU.csdata,"",@progbits
; Kernel info:
; codeLenInByte = 68
; TotalNumSgprs: 36
; NumVgprs: 51
; ScratchSize: 64
; MemoryBound: 0
; FloatMode: 240
; IeeeMode: 1
; LDSByteSize: 0 bytes/workgroup (compile time only)
; SGPRBlocks: 0
; VGPRBlocks: 3
; NumSGPRsForWavesPerEU: 36
; NumVGPRsForWavesPerEU: 51
; NamedBarCnt: 0
; Occupancy: 16
; WaveLimiterHint : 1
; COMPUTE_PGM_RSRC2:SCRATCH_EN: 1
; COMPUTE_PGM_RSRC2:USER_SGPR: 2
; COMPUTE_PGM_RSRC2:TRAP_HANDLER: 0
; COMPUTE_PGM_RSRC2:TGID_X_EN: 1
; COMPUTE_PGM_RSRC2:TGID_Y_EN: 0
; COMPUTE_PGM_RSRC2:TGID_Z_EN: 0
; COMPUTE_PGM_RSRC2:TIDIG_COMP_CNT: 0
	.section	.text._Z39paged_attention_ll4mi_QKV_mfma16_kernelI14__hip_bfloat16S0_LN4vllm18Fp8KVCacheDataTypeE0ES0_Li16ELi128ELi256ELb0ELi6EEvPKT_PKT0_S8_ifPKiSA_SA_iPKfiiiPfSD_PS3_PT2_iSC_SC_,"axG",@progbits,_Z39paged_attention_ll4mi_QKV_mfma16_kernelI14__hip_bfloat16S0_LN4vllm18Fp8KVCacheDataTypeE0ES0_Li16ELi128ELi256ELb0ELi6EEvPKT_PKT0_S8_ifPKiSA_SA_iPKfiiiPfSD_PS3_PT2_iSC_SC_,comdat
	.protected	_Z39paged_attention_ll4mi_QKV_mfma16_kernelI14__hip_bfloat16S0_LN4vllm18Fp8KVCacheDataTypeE0ES0_Li16ELi128ELi256ELb0ELi6EEvPKT_PKT0_S8_ifPKiSA_SA_iPKfiiiPfSD_PS3_PT2_iSC_SC_ ; -- Begin function _Z39paged_attention_ll4mi_QKV_mfma16_kernelI14__hip_bfloat16S0_LN4vllm18Fp8KVCacheDataTypeE0ES0_Li16ELi128ELi256ELb0ELi6EEvPKT_PKT0_S8_ifPKiSA_SA_iPKfiiiPfSD_PS3_PT2_iSC_SC_
	.globl	_Z39paged_attention_ll4mi_QKV_mfma16_kernelI14__hip_bfloat16S0_LN4vllm18Fp8KVCacheDataTypeE0ES0_Li16ELi128ELi256ELb0ELi6EEvPKT_PKT0_S8_ifPKiSA_SA_iPKfiiiPfSD_PS3_PT2_iSC_SC_
	.p2align	8
	.type	_Z39paged_attention_ll4mi_QKV_mfma16_kernelI14__hip_bfloat16S0_LN4vllm18Fp8KVCacheDataTypeE0ES0_Li16ELi128ELi256ELb0ELi6EEvPKT_PKT0_S8_ifPKiSA_SA_iPKfiiiPfSD_PS3_PT2_iSC_SC_,@function
_Z39paged_attention_ll4mi_QKV_mfma16_kernelI14__hip_bfloat16S0_LN4vllm18Fp8KVCacheDataTypeE0ES0_Li16ELi128ELi256ELb0ELi6EEvPKT_PKT0_S8_ifPKiSA_SA_iPKfiiiPfSD_PS3_PT2_iSC_SC_: ; @_Z39paged_attention_ll4mi_QKV_mfma16_kernelI14__hip_bfloat16S0_LN4vllm18Fp8KVCacheDataTypeE0ES0_Li16ELi128ELi256ELb0ELi6EEvPKT_PKT0_S8_ifPKiSA_SA_iPKfiiiPfSD_PS3_PT2_iSC_SC_
; %bb.0:
	s_get_pc_i64 s[2:3]
	s_add_nc_u64 s[2:3], s[2:3], __PRETTY_FUNCTION__._Z39paged_attention_ll4mi_QKV_mfma16_kernelI14__hip_bfloat16S0_LN4vllm18Fp8KVCacheDataTypeE0ES0_Li16ELi128ELi256ELb0ELi6EEvPKT_PKT0_S8_ifPKiSA_SA_iPKfiiiPfSD_PS3_PT2_iSC_SC_@rel64+4
	s_delay_alu instid0(SALU_CYCLE_1)
	v_dual_mov_b32 v0, 0xbb3 :: v_dual_mov_b32 v1, s2
	v_mov_b32_e32 v2, s3
	s_add_nc_u64 s[8:9], s[0:1], 0x90
	s_get_pc_i64 s[0:1]
	s_add_nc_u64 s[0:1], s[0:1], __assert_fail@rel64+4
	s_mov_b32 s32, 0
	s_swap_pc_i64 s[30:31], s[0:1]
	.section	.rodata,"a",@progbits
	.p2align	6, 0x0
	.amdhsa_kernel _Z39paged_attention_ll4mi_QKV_mfma16_kernelI14__hip_bfloat16S0_LN4vllm18Fp8KVCacheDataTypeE0ES0_Li16ELi128ELi256ELb0ELi6EEvPKT_PKT0_S8_ifPKiSA_SA_iPKfiiiPfSD_PS3_PT2_iSC_SC_
		.amdhsa_group_segment_fixed_size 0
		.amdhsa_private_segment_fixed_size 64
		.amdhsa_kernarg_size 400
		.amdhsa_user_sgpr_count 2
		.amdhsa_user_sgpr_dispatch_ptr 0
		.amdhsa_user_sgpr_queue_ptr 0
		.amdhsa_user_sgpr_kernarg_segment_ptr 1
		.amdhsa_user_sgpr_dispatch_id 0
		.amdhsa_user_sgpr_kernarg_preload_length 0
		.amdhsa_user_sgpr_kernarg_preload_offset 0
		.amdhsa_user_sgpr_private_segment_size 0
		.amdhsa_wavefront_size32 1
		.amdhsa_uses_dynamic_stack 0
		.amdhsa_enable_private_segment 1
		.amdhsa_system_sgpr_workgroup_id_x 1
		.amdhsa_system_sgpr_workgroup_id_y 0
		.amdhsa_system_sgpr_workgroup_id_z 0
		.amdhsa_system_sgpr_workgroup_info 0
		.amdhsa_system_vgpr_workitem_id 0
		.amdhsa_next_free_vgpr 51
		.amdhsa_next_free_sgpr 34
		.amdhsa_named_barrier_count 0
		.amdhsa_reserve_vcc 1
		.amdhsa_float_round_mode_32 0
		.amdhsa_float_round_mode_16_64 0
		.amdhsa_float_denorm_mode_32 3
		.amdhsa_float_denorm_mode_16_64 3
		.amdhsa_fp16_overflow 0
		.amdhsa_memory_ordered 1
		.amdhsa_forward_progress 1
		.amdhsa_inst_pref_size 1
		.amdhsa_round_robin_scheduling 0
		.amdhsa_exception_fp_ieee_invalid_op 0
		.amdhsa_exception_fp_denorm_src 0
		.amdhsa_exception_fp_ieee_div_zero 0
		.amdhsa_exception_fp_ieee_overflow 0
		.amdhsa_exception_fp_ieee_underflow 0
		.amdhsa_exception_fp_ieee_inexact 0
		.amdhsa_exception_int_div_zero 0
	.end_amdhsa_kernel
	.section	.text._Z39paged_attention_ll4mi_QKV_mfma16_kernelI14__hip_bfloat16S0_LN4vllm18Fp8KVCacheDataTypeE0ES0_Li16ELi128ELi256ELb0ELi6EEvPKT_PKT0_S8_ifPKiSA_SA_iPKfiiiPfSD_PS3_PT2_iSC_SC_,"axG",@progbits,_Z39paged_attention_ll4mi_QKV_mfma16_kernelI14__hip_bfloat16S0_LN4vllm18Fp8KVCacheDataTypeE0ES0_Li16ELi128ELi256ELb0ELi6EEvPKT_PKT0_S8_ifPKiSA_SA_iPKfiiiPfSD_PS3_PT2_iSC_SC_,comdat
.Lfunc_end675:
	.size	_Z39paged_attention_ll4mi_QKV_mfma16_kernelI14__hip_bfloat16S0_LN4vllm18Fp8KVCacheDataTypeE0ES0_Li16ELi128ELi256ELb0ELi6EEvPKT_PKT0_S8_ifPKiSA_SA_iPKfiiiPfSD_PS3_PT2_iSC_SC_, .Lfunc_end675-_Z39paged_attention_ll4mi_QKV_mfma16_kernelI14__hip_bfloat16S0_LN4vllm18Fp8KVCacheDataTypeE0ES0_Li16ELi128ELi256ELb0ELi6EEvPKT_PKT0_S8_ifPKiSA_SA_iPKfiiiPfSD_PS3_PT2_iSC_SC_
                                        ; -- End function
	.set _Z39paged_attention_ll4mi_QKV_mfma16_kernelI14__hip_bfloat16S0_LN4vllm18Fp8KVCacheDataTypeE0ES0_Li16ELi128ELi256ELb0ELi6EEvPKT_PKT0_S8_ifPKiSA_SA_iPKfiiiPfSD_PS3_PT2_iSC_SC_.num_vgpr, max(3, .L__assert_fail.num_vgpr)
	.set _Z39paged_attention_ll4mi_QKV_mfma16_kernelI14__hip_bfloat16S0_LN4vllm18Fp8KVCacheDataTypeE0ES0_Li16ELi128ELi256ELb0ELi6EEvPKT_PKT0_S8_ifPKiSA_SA_iPKfiiiPfSD_PS3_PT2_iSC_SC_.num_agpr, max(0, .L__assert_fail.num_agpr)
	.set _Z39paged_attention_ll4mi_QKV_mfma16_kernelI14__hip_bfloat16S0_LN4vllm18Fp8KVCacheDataTypeE0ES0_Li16ELi128ELi256ELb0ELi6EEvPKT_PKT0_S8_ifPKiSA_SA_iPKfiiiPfSD_PS3_PT2_iSC_SC_.numbered_sgpr, max(33, .L__assert_fail.numbered_sgpr)
	.set _Z39paged_attention_ll4mi_QKV_mfma16_kernelI14__hip_bfloat16S0_LN4vllm18Fp8KVCacheDataTypeE0ES0_Li16ELi128ELi256ELb0ELi6EEvPKT_PKT0_S8_ifPKiSA_SA_iPKfiiiPfSD_PS3_PT2_iSC_SC_.num_named_barrier, max(0, .L__assert_fail.num_named_barrier)
	.set _Z39paged_attention_ll4mi_QKV_mfma16_kernelI14__hip_bfloat16S0_LN4vllm18Fp8KVCacheDataTypeE0ES0_Li16ELi128ELi256ELb0ELi6EEvPKT_PKT0_S8_ifPKiSA_SA_iPKfiiiPfSD_PS3_PT2_iSC_SC_.private_seg_size, 0+max(.L__assert_fail.private_seg_size)
	.set _Z39paged_attention_ll4mi_QKV_mfma16_kernelI14__hip_bfloat16S0_LN4vllm18Fp8KVCacheDataTypeE0ES0_Li16ELi128ELi256ELb0ELi6EEvPKT_PKT0_S8_ifPKiSA_SA_iPKfiiiPfSD_PS3_PT2_iSC_SC_.uses_vcc, or(1, .L__assert_fail.uses_vcc)
	.set _Z39paged_attention_ll4mi_QKV_mfma16_kernelI14__hip_bfloat16S0_LN4vllm18Fp8KVCacheDataTypeE0ES0_Li16ELi128ELi256ELb0ELi6EEvPKT_PKT0_S8_ifPKiSA_SA_iPKfiiiPfSD_PS3_PT2_iSC_SC_.uses_flat_scratch, or(0, .L__assert_fail.uses_flat_scratch)
	.set _Z39paged_attention_ll4mi_QKV_mfma16_kernelI14__hip_bfloat16S0_LN4vllm18Fp8KVCacheDataTypeE0ES0_Li16ELi128ELi256ELb0ELi6EEvPKT_PKT0_S8_ifPKiSA_SA_iPKfiiiPfSD_PS3_PT2_iSC_SC_.has_dyn_sized_stack, or(0, .L__assert_fail.has_dyn_sized_stack)
	.set _Z39paged_attention_ll4mi_QKV_mfma16_kernelI14__hip_bfloat16S0_LN4vllm18Fp8KVCacheDataTypeE0ES0_Li16ELi128ELi256ELb0ELi6EEvPKT_PKT0_S8_ifPKiSA_SA_iPKfiiiPfSD_PS3_PT2_iSC_SC_.has_recursion, or(0, .L__assert_fail.has_recursion)
	.set _Z39paged_attention_ll4mi_QKV_mfma16_kernelI14__hip_bfloat16S0_LN4vllm18Fp8KVCacheDataTypeE0ES0_Li16ELi128ELi256ELb0ELi6EEvPKT_PKT0_S8_ifPKiSA_SA_iPKfiiiPfSD_PS3_PT2_iSC_SC_.has_indirect_call, or(0, .L__assert_fail.has_indirect_call)
	.section	.AMDGPU.csdata,"",@progbits
; Kernel info:
; codeLenInByte = 68
; TotalNumSgprs: 36
; NumVgprs: 51
; ScratchSize: 64
; MemoryBound: 0
; FloatMode: 240
; IeeeMode: 1
; LDSByteSize: 0 bytes/workgroup (compile time only)
; SGPRBlocks: 0
; VGPRBlocks: 3
; NumSGPRsForWavesPerEU: 36
; NumVGPRsForWavesPerEU: 51
; NamedBarCnt: 0
; Occupancy: 16
; WaveLimiterHint : 1
; COMPUTE_PGM_RSRC2:SCRATCH_EN: 1
; COMPUTE_PGM_RSRC2:USER_SGPR: 2
; COMPUTE_PGM_RSRC2:TRAP_HANDLER: 0
; COMPUTE_PGM_RSRC2:TGID_X_EN: 1
; COMPUTE_PGM_RSRC2:TGID_Y_EN: 0
; COMPUTE_PGM_RSRC2:TGID_Z_EN: 0
; COMPUTE_PGM_RSRC2:TIDIG_COMP_CNT: 0
	.section	.text._Z39paged_attention_ll4mi_QKV_mfma16_kernelI14__hip_bfloat16S0_LN4vllm18Fp8KVCacheDataTypeE0ES0_Li16ELi128ELi256ELb0ELi7EEvPKT_PKT0_S8_ifPKiSA_SA_iPKfiiiPfSD_PS3_PT2_iSC_SC_,"axG",@progbits,_Z39paged_attention_ll4mi_QKV_mfma16_kernelI14__hip_bfloat16S0_LN4vllm18Fp8KVCacheDataTypeE0ES0_Li16ELi128ELi256ELb0ELi7EEvPKT_PKT0_S8_ifPKiSA_SA_iPKfiiiPfSD_PS3_PT2_iSC_SC_,comdat
	.protected	_Z39paged_attention_ll4mi_QKV_mfma16_kernelI14__hip_bfloat16S0_LN4vllm18Fp8KVCacheDataTypeE0ES0_Li16ELi128ELi256ELb0ELi7EEvPKT_PKT0_S8_ifPKiSA_SA_iPKfiiiPfSD_PS3_PT2_iSC_SC_ ; -- Begin function _Z39paged_attention_ll4mi_QKV_mfma16_kernelI14__hip_bfloat16S0_LN4vllm18Fp8KVCacheDataTypeE0ES0_Li16ELi128ELi256ELb0ELi7EEvPKT_PKT0_S8_ifPKiSA_SA_iPKfiiiPfSD_PS3_PT2_iSC_SC_
	.globl	_Z39paged_attention_ll4mi_QKV_mfma16_kernelI14__hip_bfloat16S0_LN4vllm18Fp8KVCacheDataTypeE0ES0_Li16ELi128ELi256ELb0ELi7EEvPKT_PKT0_S8_ifPKiSA_SA_iPKfiiiPfSD_PS3_PT2_iSC_SC_
	.p2align	8
	.type	_Z39paged_attention_ll4mi_QKV_mfma16_kernelI14__hip_bfloat16S0_LN4vllm18Fp8KVCacheDataTypeE0ES0_Li16ELi128ELi256ELb0ELi7EEvPKT_PKT0_S8_ifPKiSA_SA_iPKfiiiPfSD_PS3_PT2_iSC_SC_,@function
_Z39paged_attention_ll4mi_QKV_mfma16_kernelI14__hip_bfloat16S0_LN4vllm18Fp8KVCacheDataTypeE0ES0_Li16ELi128ELi256ELb0ELi7EEvPKT_PKT0_S8_ifPKiSA_SA_iPKfiiiPfSD_PS3_PT2_iSC_SC_: ; @_Z39paged_attention_ll4mi_QKV_mfma16_kernelI14__hip_bfloat16S0_LN4vllm18Fp8KVCacheDataTypeE0ES0_Li16ELi128ELi256ELb0ELi7EEvPKT_PKT0_S8_ifPKiSA_SA_iPKfiiiPfSD_PS3_PT2_iSC_SC_
; %bb.0:
	s_get_pc_i64 s[2:3]
	s_add_nc_u64 s[2:3], s[2:3], __PRETTY_FUNCTION__._Z39paged_attention_ll4mi_QKV_mfma16_kernelI14__hip_bfloat16S0_LN4vllm18Fp8KVCacheDataTypeE0ES0_Li16ELi128ELi256ELb0ELi7EEvPKT_PKT0_S8_ifPKiSA_SA_iPKfiiiPfSD_PS3_PT2_iSC_SC_@rel64+4
	s_delay_alu instid0(SALU_CYCLE_1)
	v_dual_mov_b32 v0, 0xbb3 :: v_dual_mov_b32 v1, s2
	v_mov_b32_e32 v2, s3
	s_add_nc_u64 s[8:9], s[0:1], 0x90
	s_get_pc_i64 s[0:1]
	s_add_nc_u64 s[0:1], s[0:1], __assert_fail@rel64+4
	s_mov_b32 s32, 0
	s_swap_pc_i64 s[30:31], s[0:1]
	.section	.rodata,"a",@progbits
	.p2align	6, 0x0
	.amdhsa_kernel _Z39paged_attention_ll4mi_QKV_mfma16_kernelI14__hip_bfloat16S0_LN4vllm18Fp8KVCacheDataTypeE0ES0_Li16ELi128ELi256ELb0ELi7EEvPKT_PKT0_S8_ifPKiSA_SA_iPKfiiiPfSD_PS3_PT2_iSC_SC_
		.amdhsa_group_segment_fixed_size 0
		.amdhsa_private_segment_fixed_size 64
		.amdhsa_kernarg_size 400
		.amdhsa_user_sgpr_count 2
		.amdhsa_user_sgpr_dispatch_ptr 0
		.amdhsa_user_sgpr_queue_ptr 0
		.amdhsa_user_sgpr_kernarg_segment_ptr 1
		.amdhsa_user_sgpr_dispatch_id 0
		.amdhsa_user_sgpr_kernarg_preload_length 0
		.amdhsa_user_sgpr_kernarg_preload_offset 0
		.amdhsa_user_sgpr_private_segment_size 0
		.amdhsa_wavefront_size32 1
		.amdhsa_uses_dynamic_stack 0
		.amdhsa_enable_private_segment 1
		.amdhsa_system_sgpr_workgroup_id_x 1
		.amdhsa_system_sgpr_workgroup_id_y 0
		.amdhsa_system_sgpr_workgroup_id_z 0
		.amdhsa_system_sgpr_workgroup_info 0
		.amdhsa_system_vgpr_workitem_id 0
		.amdhsa_next_free_vgpr 51
		.amdhsa_next_free_sgpr 34
		.amdhsa_named_barrier_count 0
		.amdhsa_reserve_vcc 1
		.amdhsa_float_round_mode_32 0
		.amdhsa_float_round_mode_16_64 0
		.amdhsa_float_denorm_mode_32 3
		.amdhsa_float_denorm_mode_16_64 3
		.amdhsa_fp16_overflow 0
		.amdhsa_memory_ordered 1
		.amdhsa_forward_progress 1
		.amdhsa_inst_pref_size 1
		.amdhsa_round_robin_scheduling 0
		.amdhsa_exception_fp_ieee_invalid_op 0
		.amdhsa_exception_fp_denorm_src 0
		.amdhsa_exception_fp_ieee_div_zero 0
		.amdhsa_exception_fp_ieee_overflow 0
		.amdhsa_exception_fp_ieee_underflow 0
		.amdhsa_exception_fp_ieee_inexact 0
		.amdhsa_exception_int_div_zero 0
	.end_amdhsa_kernel
	.section	.text._Z39paged_attention_ll4mi_QKV_mfma16_kernelI14__hip_bfloat16S0_LN4vllm18Fp8KVCacheDataTypeE0ES0_Li16ELi128ELi256ELb0ELi7EEvPKT_PKT0_S8_ifPKiSA_SA_iPKfiiiPfSD_PS3_PT2_iSC_SC_,"axG",@progbits,_Z39paged_attention_ll4mi_QKV_mfma16_kernelI14__hip_bfloat16S0_LN4vllm18Fp8KVCacheDataTypeE0ES0_Li16ELi128ELi256ELb0ELi7EEvPKT_PKT0_S8_ifPKiSA_SA_iPKfiiiPfSD_PS3_PT2_iSC_SC_,comdat
.Lfunc_end676:
	.size	_Z39paged_attention_ll4mi_QKV_mfma16_kernelI14__hip_bfloat16S0_LN4vllm18Fp8KVCacheDataTypeE0ES0_Li16ELi128ELi256ELb0ELi7EEvPKT_PKT0_S8_ifPKiSA_SA_iPKfiiiPfSD_PS3_PT2_iSC_SC_, .Lfunc_end676-_Z39paged_attention_ll4mi_QKV_mfma16_kernelI14__hip_bfloat16S0_LN4vllm18Fp8KVCacheDataTypeE0ES0_Li16ELi128ELi256ELb0ELi7EEvPKT_PKT0_S8_ifPKiSA_SA_iPKfiiiPfSD_PS3_PT2_iSC_SC_
                                        ; -- End function
	.set _Z39paged_attention_ll4mi_QKV_mfma16_kernelI14__hip_bfloat16S0_LN4vllm18Fp8KVCacheDataTypeE0ES0_Li16ELi128ELi256ELb0ELi7EEvPKT_PKT0_S8_ifPKiSA_SA_iPKfiiiPfSD_PS3_PT2_iSC_SC_.num_vgpr, max(3, .L__assert_fail.num_vgpr)
	.set _Z39paged_attention_ll4mi_QKV_mfma16_kernelI14__hip_bfloat16S0_LN4vllm18Fp8KVCacheDataTypeE0ES0_Li16ELi128ELi256ELb0ELi7EEvPKT_PKT0_S8_ifPKiSA_SA_iPKfiiiPfSD_PS3_PT2_iSC_SC_.num_agpr, max(0, .L__assert_fail.num_agpr)
	.set _Z39paged_attention_ll4mi_QKV_mfma16_kernelI14__hip_bfloat16S0_LN4vllm18Fp8KVCacheDataTypeE0ES0_Li16ELi128ELi256ELb0ELi7EEvPKT_PKT0_S8_ifPKiSA_SA_iPKfiiiPfSD_PS3_PT2_iSC_SC_.numbered_sgpr, max(33, .L__assert_fail.numbered_sgpr)
	.set _Z39paged_attention_ll4mi_QKV_mfma16_kernelI14__hip_bfloat16S0_LN4vllm18Fp8KVCacheDataTypeE0ES0_Li16ELi128ELi256ELb0ELi7EEvPKT_PKT0_S8_ifPKiSA_SA_iPKfiiiPfSD_PS3_PT2_iSC_SC_.num_named_barrier, max(0, .L__assert_fail.num_named_barrier)
	.set _Z39paged_attention_ll4mi_QKV_mfma16_kernelI14__hip_bfloat16S0_LN4vllm18Fp8KVCacheDataTypeE0ES0_Li16ELi128ELi256ELb0ELi7EEvPKT_PKT0_S8_ifPKiSA_SA_iPKfiiiPfSD_PS3_PT2_iSC_SC_.private_seg_size, 0+max(.L__assert_fail.private_seg_size)
	.set _Z39paged_attention_ll4mi_QKV_mfma16_kernelI14__hip_bfloat16S0_LN4vllm18Fp8KVCacheDataTypeE0ES0_Li16ELi128ELi256ELb0ELi7EEvPKT_PKT0_S8_ifPKiSA_SA_iPKfiiiPfSD_PS3_PT2_iSC_SC_.uses_vcc, or(1, .L__assert_fail.uses_vcc)
	.set _Z39paged_attention_ll4mi_QKV_mfma16_kernelI14__hip_bfloat16S0_LN4vllm18Fp8KVCacheDataTypeE0ES0_Li16ELi128ELi256ELb0ELi7EEvPKT_PKT0_S8_ifPKiSA_SA_iPKfiiiPfSD_PS3_PT2_iSC_SC_.uses_flat_scratch, or(0, .L__assert_fail.uses_flat_scratch)
	.set _Z39paged_attention_ll4mi_QKV_mfma16_kernelI14__hip_bfloat16S0_LN4vllm18Fp8KVCacheDataTypeE0ES0_Li16ELi128ELi256ELb0ELi7EEvPKT_PKT0_S8_ifPKiSA_SA_iPKfiiiPfSD_PS3_PT2_iSC_SC_.has_dyn_sized_stack, or(0, .L__assert_fail.has_dyn_sized_stack)
	.set _Z39paged_attention_ll4mi_QKV_mfma16_kernelI14__hip_bfloat16S0_LN4vllm18Fp8KVCacheDataTypeE0ES0_Li16ELi128ELi256ELb0ELi7EEvPKT_PKT0_S8_ifPKiSA_SA_iPKfiiiPfSD_PS3_PT2_iSC_SC_.has_recursion, or(0, .L__assert_fail.has_recursion)
	.set _Z39paged_attention_ll4mi_QKV_mfma16_kernelI14__hip_bfloat16S0_LN4vllm18Fp8KVCacheDataTypeE0ES0_Li16ELi128ELi256ELb0ELi7EEvPKT_PKT0_S8_ifPKiSA_SA_iPKfiiiPfSD_PS3_PT2_iSC_SC_.has_indirect_call, or(0, .L__assert_fail.has_indirect_call)
	.section	.AMDGPU.csdata,"",@progbits
; Kernel info:
; codeLenInByte = 68
; TotalNumSgprs: 36
; NumVgprs: 51
; ScratchSize: 64
; MemoryBound: 0
; FloatMode: 240
; IeeeMode: 1
; LDSByteSize: 0 bytes/workgroup (compile time only)
; SGPRBlocks: 0
; VGPRBlocks: 3
; NumSGPRsForWavesPerEU: 36
; NumVGPRsForWavesPerEU: 51
; NamedBarCnt: 0
; Occupancy: 16
; WaveLimiterHint : 1
; COMPUTE_PGM_RSRC2:SCRATCH_EN: 1
; COMPUTE_PGM_RSRC2:USER_SGPR: 2
; COMPUTE_PGM_RSRC2:TRAP_HANDLER: 0
; COMPUTE_PGM_RSRC2:TGID_X_EN: 1
; COMPUTE_PGM_RSRC2:TGID_Y_EN: 0
; COMPUTE_PGM_RSRC2:TGID_Z_EN: 0
; COMPUTE_PGM_RSRC2:TIDIG_COMP_CNT: 0
	.section	.text._Z39paged_attention_ll4mi_QKV_mfma16_kernelI14__hip_bfloat16S0_LN4vllm18Fp8KVCacheDataTypeE0ES0_Li16ELi128ELi256ELb0ELi8EEvPKT_PKT0_S8_ifPKiSA_SA_iPKfiiiPfSD_PS3_PT2_iSC_SC_,"axG",@progbits,_Z39paged_attention_ll4mi_QKV_mfma16_kernelI14__hip_bfloat16S0_LN4vllm18Fp8KVCacheDataTypeE0ES0_Li16ELi128ELi256ELb0ELi8EEvPKT_PKT0_S8_ifPKiSA_SA_iPKfiiiPfSD_PS3_PT2_iSC_SC_,comdat
	.protected	_Z39paged_attention_ll4mi_QKV_mfma16_kernelI14__hip_bfloat16S0_LN4vllm18Fp8KVCacheDataTypeE0ES0_Li16ELi128ELi256ELb0ELi8EEvPKT_PKT0_S8_ifPKiSA_SA_iPKfiiiPfSD_PS3_PT2_iSC_SC_ ; -- Begin function _Z39paged_attention_ll4mi_QKV_mfma16_kernelI14__hip_bfloat16S0_LN4vllm18Fp8KVCacheDataTypeE0ES0_Li16ELi128ELi256ELb0ELi8EEvPKT_PKT0_S8_ifPKiSA_SA_iPKfiiiPfSD_PS3_PT2_iSC_SC_
	.globl	_Z39paged_attention_ll4mi_QKV_mfma16_kernelI14__hip_bfloat16S0_LN4vllm18Fp8KVCacheDataTypeE0ES0_Li16ELi128ELi256ELb0ELi8EEvPKT_PKT0_S8_ifPKiSA_SA_iPKfiiiPfSD_PS3_PT2_iSC_SC_
	.p2align	8
	.type	_Z39paged_attention_ll4mi_QKV_mfma16_kernelI14__hip_bfloat16S0_LN4vllm18Fp8KVCacheDataTypeE0ES0_Li16ELi128ELi256ELb0ELi8EEvPKT_PKT0_S8_ifPKiSA_SA_iPKfiiiPfSD_PS3_PT2_iSC_SC_,@function
_Z39paged_attention_ll4mi_QKV_mfma16_kernelI14__hip_bfloat16S0_LN4vllm18Fp8KVCacheDataTypeE0ES0_Li16ELi128ELi256ELb0ELi8EEvPKT_PKT0_S8_ifPKiSA_SA_iPKfiiiPfSD_PS3_PT2_iSC_SC_: ; @_Z39paged_attention_ll4mi_QKV_mfma16_kernelI14__hip_bfloat16S0_LN4vllm18Fp8KVCacheDataTypeE0ES0_Li16ELi128ELi256ELb0ELi8EEvPKT_PKT0_S8_ifPKiSA_SA_iPKfiiiPfSD_PS3_PT2_iSC_SC_
; %bb.0:
	s_get_pc_i64 s[2:3]
	s_add_nc_u64 s[2:3], s[2:3], __PRETTY_FUNCTION__._Z39paged_attention_ll4mi_QKV_mfma16_kernelI14__hip_bfloat16S0_LN4vllm18Fp8KVCacheDataTypeE0ES0_Li16ELi128ELi256ELb0ELi8EEvPKT_PKT0_S8_ifPKiSA_SA_iPKfiiiPfSD_PS3_PT2_iSC_SC_@rel64+4
	s_delay_alu instid0(SALU_CYCLE_1)
	v_dual_mov_b32 v0, 0xbb3 :: v_dual_mov_b32 v1, s2
	v_mov_b32_e32 v2, s3
	s_add_nc_u64 s[8:9], s[0:1], 0x90
	s_get_pc_i64 s[0:1]
	s_add_nc_u64 s[0:1], s[0:1], __assert_fail@rel64+4
	s_mov_b32 s32, 0
	s_swap_pc_i64 s[30:31], s[0:1]
	.section	.rodata,"a",@progbits
	.p2align	6, 0x0
	.amdhsa_kernel _Z39paged_attention_ll4mi_QKV_mfma16_kernelI14__hip_bfloat16S0_LN4vllm18Fp8KVCacheDataTypeE0ES0_Li16ELi128ELi256ELb0ELi8EEvPKT_PKT0_S8_ifPKiSA_SA_iPKfiiiPfSD_PS3_PT2_iSC_SC_
		.amdhsa_group_segment_fixed_size 0
		.amdhsa_private_segment_fixed_size 64
		.amdhsa_kernarg_size 400
		.amdhsa_user_sgpr_count 2
		.amdhsa_user_sgpr_dispatch_ptr 0
		.amdhsa_user_sgpr_queue_ptr 0
		.amdhsa_user_sgpr_kernarg_segment_ptr 1
		.amdhsa_user_sgpr_dispatch_id 0
		.amdhsa_user_sgpr_kernarg_preload_length 0
		.amdhsa_user_sgpr_kernarg_preload_offset 0
		.amdhsa_user_sgpr_private_segment_size 0
		.amdhsa_wavefront_size32 1
		.amdhsa_uses_dynamic_stack 0
		.amdhsa_enable_private_segment 1
		.amdhsa_system_sgpr_workgroup_id_x 1
		.amdhsa_system_sgpr_workgroup_id_y 0
		.amdhsa_system_sgpr_workgroup_id_z 0
		.amdhsa_system_sgpr_workgroup_info 0
		.amdhsa_system_vgpr_workitem_id 0
		.amdhsa_next_free_vgpr 51
		.amdhsa_next_free_sgpr 34
		.amdhsa_named_barrier_count 0
		.amdhsa_reserve_vcc 1
		.amdhsa_float_round_mode_32 0
		.amdhsa_float_round_mode_16_64 0
		.amdhsa_float_denorm_mode_32 3
		.amdhsa_float_denorm_mode_16_64 3
		.amdhsa_fp16_overflow 0
		.amdhsa_memory_ordered 1
		.amdhsa_forward_progress 1
		.amdhsa_inst_pref_size 1
		.amdhsa_round_robin_scheduling 0
		.amdhsa_exception_fp_ieee_invalid_op 0
		.amdhsa_exception_fp_denorm_src 0
		.amdhsa_exception_fp_ieee_div_zero 0
		.amdhsa_exception_fp_ieee_overflow 0
		.amdhsa_exception_fp_ieee_underflow 0
		.amdhsa_exception_fp_ieee_inexact 0
		.amdhsa_exception_int_div_zero 0
	.end_amdhsa_kernel
	.section	.text._Z39paged_attention_ll4mi_QKV_mfma16_kernelI14__hip_bfloat16S0_LN4vllm18Fp8KVCacheDataTypeE0ES0_Li16ELi128ELi256ELb0ELi8EEvPKT_PKT0_S8_ifPKiSA_SA_iPKfiiiPfSD_PS3_PT2_iSC_SC_,"axG",@progbits,_Z39paged_attention_ll4mi_QKV_mfma16_kernelI14__hip_bfloat16S0_LN4vllm18Fp8KVCacheDataTypeE0ES0_Li16ELi128ELi256ELb0ELi8EEvPKT_PKT0_S8_ifPKiSA_SA_iPKfiiiPfSD_PS3_PT2_iSC_SC_,comdat
.Lfunc_end677:
	.size	_Z39paged_attention_ll4mi_QKV_mfma16_kernelI14__hip_bfloat16S0_LN4vllm18Fp8KVCacheDataTypeE0ES0_Li16ELi128ELi256ELb0ELi8EEvPKT_PKT0_S8_ifPKiSA_SA_iPKfiiiPfSD_PS3_PT2_iSC_SC_, .Lfunc_end677-_Z39paged_attention_ll4mi_QKV_mfma16_kernelI14__hip_bfloat16S0_LN4vllm18Fp8KVCacheDataTypeE0ES0_Li16ELi128ELi256ELb0ELi8EEvPKT_PKT0_S8_ifPKiSA_SA_iPKfiiiPfSD_PS3_PT2_iSC_SC_
                                        ; -- End function
	.set _Z39paged_attention_ll4mi_QKV_mfma16_kernelI14__hip_bfloat16S0_LN4vllm18Fp8KVCacheDataTypeE0ES0_Li16ELi128ELi256ELb0ELi8EEvPKT_PKT0_S8_ifPKiSA_SA_iPKfiiiPfSD_PS3_PT2_iSC_SC_.num_vgpr, max(3, .L__assert_fail.num_vgpr)
	.set _Z39paged_attention_ll4mi_QKV_mfma16_kernelI14__hip_bfloat16S0_LN4vllm18Fp8KVCacheDataTypeE0ES0_Li16ELi128ELi256ELb0ELi8EEvPKT_PKT0_S8_ifPKiSA_SA_iPKfiiiPfSD_PS3_PT2_iSC_SC_.num_agpr, max(0, .L__assert_fail.num_agpr)
	.set _Z39paged_attention_ll4mi_QKV_mfma16_kernelI14__hip_bfloat16S0_LN4vllm18Fp8KVCacheDataTypeE0ES0_Li16ELi128ELi256ELb0ELi8EEvPKT_PKT0_S8_ifPKiSA_SA_iPKfiiiPfSD_PS3_PT2_iSC_SC_.numbered_sgpr, max(33, .L__assert_fail.numbered_sgpr)
	.set _Z39paged_attention_ll4mi_QKV_mfma16_kernelI14__hip_bfloat16S0_LN4vllm18Fp8KVCacheDataTypeE0ES0_Li16ELi128ELi256ELb0ELi8EEvPKT_PKT0_S8_ifPKiSA_SA_iPKfiiiPfSD_PS3_PT2_iSC_SC_.num_named_barrier, max(0, .L__assert_fail.num_named_barrier)
	.set _Z39paged_attention_ll4mi_QKV_mfma16_kernelI14__hip_bfloat16S0_LN4vllm18Fp8KVCacheDataTypeE0ES0_Li16ELi128ELi256ELb0ELi8EEvPKT_PKT0_S8_ifPKiSA_SA_iPKfiiiPfSD_PS3_PT2_iSC_SC_.private_seg_size, 0+max(.L__assert_fail.private_seg_size)
	.set _Z39paged_attention_ll4mi_QKV_mfma16_kernelI14__hip_bfloat16S0_LN4vllm18Fp8KVCacheDataTypeE0ES0_Li16ELi128ELi256ELb0ELi8EEvPKT_PKT0_S8_ifPKiSA_SA_iPKfiiiPfSD_PS3_PT2_iSC_SC_.uses_vcc, or(1, .L__assert_fail.uses_vcc)
	.set _Z39paged_attention_ll4mi_QKV_mfma16_kernelI14__hip_bfloat16S0_LN4vllm18Fp8KVCacheDataTypeE0ES0_Li16ELi128ELi256ELb0ELi8EEvPKT_PKT0_S8_ifPKiSA_SA_iPKfiiiPfSD_PS3_PT2_iSC_SC_.uses_flat_scratch, or(0, .L__assert_fail.uses_flat_scratch)
	.set _Z39paged_attention_ll4mi_QKV_mfma16_kernelI14__hip_bfloat16S0_LN4vllm18Fp8KVCacheDataTypeE0ES0_Li16ELi128ELi256ELb0ELi8EEvPKT_PKT0_S8_ifPKiSA_SA_iPKfiiiPfSD_PS3_PT2_iSC_SC_.has_dyn_sized_stack, or(0, .L__assert_fail.has_dyn_sized_stack)
	.set _Z39paged_attention_ll4mi_QKV_mfma16_kernelI14__hip_bfloat16S0_LN4vllm18Fp8KVCacheDataTypeE0ES0_Li16ELi128ELi256ELb0ELi8EEvPKT_PKT0_S8_ifPKiSA_SA_iPKfiiiPfSD_PS3_PT2_iSC_SC_.has_recursion, or(0, .L__assert_fail.has_recursion)
	.set _Z39paged_attention_ll4mi_QKV_mfma16_kernelI14__hip_bfloat16S0_LN4vllm18Fp8KVCacheDataTypeE0ES0_Li16ELi128ELi256ELb0ELi8EEvPKT_PKT0_S8_ifPKiSA_SA_iPKfiiiPfSD_PS3_PT2_iSC_SC_.has_indirect_call, or(0, .L__assert_fail.has_indirect_call)
	.section	.AMDGPU.csdata,"",@progbits
; Kernel info:
; codeLenInByte = 68
; TotalNumSgprs: 36
; NumVgprs: 51
; ScratchSize: 64
; MemoryBound: 0
; FloatMode: 240
; IeeeMode: 1
; LDSByteSize: 0 bytes/workgroup (compile time only)
; SGPRBlocks: 0
; VGPRBlocks: 3
; NumSGPRsForWavesPerEU: 36
; NumVGPRsForWavesPerEU: 51
; NamedBarCnt: 0
; Occupancy: 16
; WaveLimiterHint : 1
; COMPUTE_PGM_RSRC2:SCRATCH_EN: 1
; COMPUTE_PGM_RSRC2:USER_SGPR: 2
; COMPUTE_PGM_RSRC2:TRAP_HANDLER: 0
; COMPUTE_PGM_RSRC2:TGID_X_EN: 1
; COMPUTE_PGM_RSRC2:TGID_Y_EN: 0
; COMPUTE_PGM_RSRC2:TGID_Z_EN: 0
; COMPUTE_PGM_RSRC2:TIDIG_COMP_CNT: 0
	.section	.text._Z39paged_attention_ll4mi_QKV_mfma16_kernelI14__hip_bfloat16S0_LN4vllm18Fp8KVCacheDataTypeE0ES0_Li16ELi128ELi256ELb0ELi9EEvPKT_PKT0_S8_ifPKiSA_SA_iPKfiiiPfSD_PS3_PT2_iSC_SC_,"axG",@progbits,_Z39paged_attention_ll4mi_QKV_mfma16_kernelI14__hip_bfloat16S0_LN4vllm18Fp8KVCacheDataTypeE0ES0_Li16ELi128ELi256ELb0ELi9EEvPKT_PKT0_S8_ifPKiSA_SA_iPKfiiiPfSD_PS3_PT2_iSC_SC_,comdat
	.protected	_Z39paged_attention_ll4mi_QKV_mfma16_kernelI14__hip_bfloat16S0_LN4vllm18Fp8KVCacheDataTypeE0ES0_Li16ELi128ELi256ELb0ELi9EEvPKT_PKT0_S8_ifPKiSA_SA_iPKfiiiPfSD_PS3_PT2_iSC_SC_ ; -- Begin function _Z39paged_attention_ll4mi_QKV_mfma16_kernelI14__hip_bfloat16S0_LN4vllm18Fp8KVCacheDataTypeE0ES0_Li16ELi128ELi256ELb0ELi9EEvPKT_PKT0_S8_ifPKiSA_SA_iPKfiiiPfSD_PS3_PT2_iSC_SC_
	.globl	_Z39paged_attention_ll4mi_QKV_mfma16_kernelI14__hip_bfloat16S0_LN4vllm18Fp8KVCacheDataTypeE0ES0_Li16ELi128ELi256ELb0ELi9EEvPKT_PKT0_S8_ifPKiSA_SA_iPKfiiiPfSD_PS3_PT2_iSC_SC_
	.p2align	8
	.type	_Z39paged_attention_ll4mi_QKV_mfma16_kernelI14__hip_bfloat16S0_LN4vllm18Fp8KVCacheDataTypeE0ES0_Li16ELi128ELi256ELb0ELi9EEvPKT_PKT0_S8_ifPKiSA_SA_iPKfiiiPfSD_PS3_PT2_iSC_SC_,@function
_Z39paged_attention_ll4mi_QKV_mfma16_kernelI14__hip_bfloat16S0_LN4vllm18Fp8KVCacheDataTypeE0ES0_Li16ELi128ELi256ELb0ELi9EEvPKT_PKT0_S8_ifPKiSA_SA_iPKfiiiPfSD_PS3_PT2_iSC_SC_: ; @_Z39paged_attention_ll4mi_QKV_mfma16_kernelI14__hip_bfloat16S0_LN4vllm18Fp8KVCacheDataTypeE0ES0_Li16ELi128ELi256ELb0ELi9EEvPKT_PKT0_S8_ifPKiSA_SA_iPKfiiiPfSD_PS3_PT2_iSC_SC_
; %bb.0:
	s_get_pc_i64 s[2:3]
	s_add_nc_u64 s[2:3], s[2:3], __PRETTY_FUNCTION__._Z39paged_attention_ll4mi_QKV_mfma16_kernelI14__hip_bfloat16S0_LN4vllm18Fp8KVCacheDataTypeE0ES0_Li16ELi128ELi256ELb0ELi9EEvPKT_PKT0_S8_ifPKiSA_SA_iPKfiiiPfSD_PS3_PT2_iSC_SC_@rel64+4
	s_delay_alu instid0(SALU_CYCLE_1)
	v_dual_mov_b32 v0, 0xbb3 :: v_dual_mov_b32 v1, s2
	v_mov_b32_e32 v2, s3
	s_add_nc_u64 s[8:9], s[0:1], 0x90
	s_get_pc_i64 s[0:1]
	s_add_nc_u64 s[0:1], s[0:1], __assert_fail@rel64+4
	s_mov_b32 s32, 0
	s_swap_pc_i64 s[30:31], s[0:1]
	.section	.rodata,"a",@progbits
	.p2align	6, 0x0
	.amdhsa_kernel _Z39paged_attention_ll4mi_QKV_mfma16_kernelI14__hip_bfloat16S0_LN4vllm18Fp8KVCacheDataTypeE0ES0_Li16ELi128ELi256ELb0ELi9EEvPKT_PKT0_S8_ifPKiSA_SA_iPKfiiiPfSD_PS3_PT2_iSC_SC_
		.amdhsa_group_segment_fixed_size 0
		.amdhsa_private_segment_fixed_size 64
		.amdhsa_kernarg_size 400
		.amdhsa_user_sgpr_count 2
		.amdhsa_user_sgpr_dispatch_ptr 0
		.amdhsa_user_sgpr_queue_ptr 0
		.amdhsa_user_sgpr_kernarg_segment_ptr 1
		.amdhsa_user_sgpr_dispatch_id 0
		.amdhsa_user_sgpr_kernarg_preload_length 0
		.amdhsa_user_sgpr_kernarg_preload_offset 0
		.amdhsa_user_sgpr_private_segment_size 0
		.amdhsa_wavefront_size32 1
		.amdhsa_uses_dynamic_stack 0
		.amdhsa_enable_private_segment 1
		.amdhsa_system_sgpr_workgroup_id_x 1
		.amdhsa_system_sgpr_workgroup_id_y 0
		.amdhsa_system_sgpr_workgroup_id_z 0
		.amdhsa_system_sgpr_workgroup_info 0
		.amdhsa_system_vgpr_workitem_id 0
		.amdhsa_next_free_vgpr 51
		.amdhsa_next_free_sgpr 34
		.amdhsa_named_barrier_count 0
		.amdhsa_reserve_vcc 1
		.amdhsa_float_round_mode_32 0
		.amdhsa_float_round_mode_16_64 0
		.amdhsa_float_denorm_mode_32 3
		.amdhsa_float_denorm_mode_16_64 3
		.amdhsa_fp16_overflow 0
		.amdhsa_memory_ordered 1
		.amdhsa_forward_progress 1
		.amdhsa_inst_pref_size 1
		.amdhsa_round_robin_scheduling 0
		.amdhsa_exception_fp_ieee_invalid_op 0
		.amdhsa_exception_fp_denorm_src 0
		.amdhsa_exception_fp_ieee_div_zero 0
		.amdhsa_exception_fp_ieee_overflow 0
		.amdhsa_exception_fp_ieee_underflow 0
		.amdhsa_exception_fp_ieee_inexact 0
		.amdhsa_exception_int_div_zero 0
	.end_amdhsa_kernel
	.section	.text._Z39paged_attention_ll4mi_QKV_mfma16_kernelI14__hip_bfloat16S0_LN4vllm18Fp8KVCacheDataTypeE0ES0_Li16ELi128ELi256ELb0ELi9EEvPKT_PKT0_S8_ifPKiSA_SA_iPKfiiiPfSD_PS3_PT2_iSC_SC_,"axG",@progbits,_Z39paged_attention_ll4mi_QKV_mfma16_kernelI14__hip_bfloat16S0_LN4vllm18Fp8KVCacheDataTypeE0ES0_Li16ELi128ELi256ELb0ELi9EEvPKT_PKT0_S8_ifPKiSA_SA_iPKfiiiPfSD_PS3_PT2_iSC_SC_,comdat
.Lfunc_end678:
	.size	_Z39paged_attention_ll4mi_QKV_mfma16_kernelI14__hip_bfloat16S0_LN4vllm18Fp8KVCacheDataTypeE0ES0_Li16ELi128ELi256ELb0ELi9EEvPKT_PKT0_S8_ifPKiSA_SA_iPKfiiiPfSD_PS3_PT2_iSC_SC_, .Lfunc_end678-_Z39paged_attention_ll4mi_QKV_mfma16_kernelI14__hip_bfloat16S0_LN4vllm18Fp8KVCacheDataTypeE0ES0_Li16ELi128ELi256ELb0ELi9EEvPKT_PKT0_S8_ifPKiSA_SA_iPKfiiiPfSD_PS3_PT2_iSC_SC_
                                        ; -- End function
	.set _Z39paged_attention_ll4mi_QKV_mfma16_kernelI14__hip_bfloat16S0_LN4vllm18Fp8KVCacheDataTypeE0ES0_Li16ELi128ELi256ELb0ELi9EEvPKT_PKT0_S8_ifPKiSA_SA_iPKfiiiPfSD_PS3_PT2_iSC_SC_.num_vgpr, max(3, .L__assert_fail.num_vgpr)
	.set _Z39paged_attention_ll4mi_QKV_mfma16_kernelI14__hip_bfloat16S0_LN4vllm18Fp8KVCacheDataTypeE0ES0_Li16ELi128ELi256ELb0ELi9EEvPKT_PKT0_S8_ifPKiSA_SA_iPKfiiiPfSD_PS3_PT2_iSC_SC_.num_agpr, max(0, .L__assert_fail.num_agpr)
	.set _Z39paged_attention_ll4mi_QKV_mfma16_kernelI14__hip_bfloat16S0_LN4vllm18Fp8KVCacheDataTypeE0ES0_Li16ELi128ELi256ELb0ELi9EEvPKT_PKT0_S8_ifPKiSA_SA_iPKfiiiPfSD_PS3_PT2_iSC_SC_.numbered_sgpr, max(33, .L__assert_fail.numbered_sgpr)
	.set _Z39paged_attention_ll4mi_QKV_mfma16_kernelI14__hip_bfloat16S0_LN4vllm18Fp8KVCacheDataTypeE0ES0_Li16ELi128ELi256ELb0ELi9EEvPKT_PKT0_S8_ifPKiSA_SA_iPKfiiiPfSD_PS3_PT2_iSC_SC_.num_named_barrier, max(0, .L__assert_fail.num_named_barrier)
	.set _Z39paged_attention_ll4mi_QKV_mfma16_kernelI14__hip_bfloat16S0_LN4vllm18Fp8KVCacheDataTypeE0ES0_Li16ELi128ELi256ELb0ELi9EEvPKT_PKT0_S8_ifPKiSA_SA_iPKfiiiPfSD_PS3_PT2_iSC_SC_.private_seg_size, 0+max(.L__assert_fail.private_seg_size)
	.set _Z39paged_attention_ll4mi_QKV_mfma16_kernelI14__hip_bfloat16S0_LN4vllm18Fp8KVCacheDataTypeE0ES0_Li16ELi128ELi256ELb0ELi9EEvPKT_PKT0_S8_ifPKiSA_SA_iPKfiiiPfSD_PS3_PT2_iSC_SC_.uses_vcc, or(1, .L__assert_fail.uses_vcc)
	.set _Z39paged_attention_ll4mi_QKV_mfma16_kernelI14__hip_bfloat16S0_LN4vllm18Fp8KVCacheDataTypeE0ES0_Li16ELi128ELi256ELb0ELi9EEvPKT_PKT0_S8_ifPKiSA_SA_iPKfiiiPfSD_PS3_PT2_iSC_SC_.uses_flat_scratch, or(0, .L__assert_fail.uses_flat_scratch)
	.set _Z39paged_attention_ll4mi_QKV_mfma16_kernelI14__hip_bfloat16S0_LN4vllm18Fp8KVCacheDataTypeE0ES0_Li16ELi128ELi256ELb0ELi9EEvPKT_PKT0_S8_ifPKiSA_SA_iPKfiiiPfSD_PS3_PT2_iSC_SC_.has_dyn_sized_stack, or(0, .L__assert_fail.has_dyn_sized_stack)
	.set _Z39paged_attention_ll4mi_QKV_mfma16_kernelI14__hip_bfloat16S0_LN4vllm18Fp8KVCacheDataTypeE0ES0_Li16ELi128ELi256ELb0ELi9EEvPKT_PKT0_S8_ifPKiSA_SA_iPKfiiiPfSD_PS3_PT2_iSC_SC_.has_recursion, or(0, .L__assert_fail.has_recursion)
	.set _Z39paged_attention_ll4mi_QKV_mfma16_kernelI14__hip_bfloat16S0_LN4vllm18Fp8KVCacheDataTypeE0ES0_Li16ELi128ELi256ELb0ELi9EEvPKT_PKT0_S8_ifPKiSA_SA_iPKfiiiPfSD_PS3_PT2_iSC_SC_.has_indirect_call, or(0, .L__assert_fail.has_indirect_call)
	.section	.AMDGPU.csdata,"",@progbits
; Kernel info:
; codeLenInByte = 68
; TotalNumSgprs: 36
; NumVgprs: 51
; ScratchSize: 64
; MemoryBound: 0
; FloatMode: 240
; IeeeMode: 1
; LDSByteSize: 0 bytes/workgroup (compile time only)
; SGPRBlocks: 0
; VGPRBlocks: 3
; NumSGPRsForWavesPerEU: 36
; NumVGPRsForWavesPerEU: 51
; NamedBarCnt: 0
; Occupancy: 16
; WaveLimiterHint : 1
; COMPUTE_PGM_RSRC2:SCRATCH_EN: 1
; COMPUTE_PGM_RSRC2:USER_SGPR: 2
; COMPUTE_PGM_RSRC2:TRAP_HANDLER: 0
; COMPUTE_PGM_RSRC2:TGID_X_EN: 1
; COMPUTE_PGM_RSRC2:TGID_Y_EN: 0
; COMPUTE_PGM_RSRC2:TGID_Z_EN: 0
; COMPUTE_PGM_RSRC2:TIDIG_COMP_CNT: 0
	.section	.text._Z39paged_attention_ll4mi_QKV_mfma16_kernelI14__hip_bfloat16S0_LN4vllm18Fp8KVCacheDataTypeE0ES0_Li16ELi128ELi256ELb0ELi10EEvPKT_PKT0_S8_ifPKiSA_SA_iPKfiiiPfSD_PS3_PT2_iSC_SC_,"axG",@progbits,_Z39paged_attention_ll4mi_QKV_mfma16_kernelI14__hip_bfloat16S0_LN4vllm18Fp8KVCacheDataTypeE0ES0_Li16ELi128ELi256ELb0ELi10EEvPKT_PKT0_S8_ifPKiSA_SA_iPKfiiiPfSD_PS3_PT2_iSC_SC_,comdat
	.protected	_Z39paged_attention_ll4mi_QKV_mfma16_kernelI14__hip_bfloat16S0_LN4vllm18Fp8KVCacheDataTypeE0ES0_Li16ELi128ELi256ELb0ELi10EEvPKT_PKT0_S8_ifPKiSA_SA_iPKfiiiPfSD_PS3_PT2_iSC_SC_ ; -- Begin function _Z39paged_attention_ll4mi_QKV_mfma16_kernelI14__hip_bfloat16S0_LN4vllm18Fp8KVCacheDataTypeE0ES0_Li16ELi128ELi256ELb0ELi10EEvPKT_PKT0_S8_ifPKiSA_SA_iPKfiiiPfSD_PS3_PT2_iSC_SC_
	.globl	_Z39paged_attention_ll4mi_QKV_mfma16_kernelI14__hip_bfloat16S0_LN4vllm18Fp8KVCacheDataTypeE0ES0_Li16ELi128ELi256ELb0ELi10EEvPKT_PKT0_S8_ifPKiSA_SA_iPKfiiiPfSD_PS3_PT2_iSC_SC_
	.p2align	8
	.type	_Z39paged_attention_ll4mi_QKV_mfma16_kernelI14__hip_bfloat16S0_LN4vllm18Fp8KVCacheDataTypeE0ES0_Li16ELi128ELi256ELb0ELi10EEvPKT_PKT0_S8_ifPKiSA_SA_iPKfiiiPfSD_PS3_PT2_iSC_SC_,@function
_Z39paged_attention_ll4mi_QKV_mfma16_kernelI14__hip_bfloat16S0_LN4vllm18Fp8KVCacheDataTypeE0ES0_Li16ELi128ELi256ELb0ELi10EEvPKT_PKT0_S8_ifPKiSA_SA_iPKfiiiPfSD_PS3_PT2_iSC_SC_: ; @_Z39paged_attention_ll4mi_QKV_mfma16_kernelI14__hip_bfloat16S0_LN4vllm18Fp8KVCacheDataTypeE0ES0_Li16ELi128ELi256ELb0ELi10EEvPKT_PKT0_S8_ifPKiSA_SA_iPKfiiiPfSD_PS3_PT2_iSC_SC_
; %bb.0:
	s_get_pc_i64 s[2:3]
	s_add_nc_u64 s[2:3], s[2:3], __PRETTY_FUNCTION__._Z39paged_attention_ll4mi_QKV_mfma16_kernelI14__hip_bfloat16S0_LN4vllm18Fp8KVCacheDataTypeE0ES0_Li16ELi128ELi256ELb0ELi10EEvPKT_PKT0_S8_ifPKiSA_SA_iPKfiiiPfSD_PS3_PT2_iSC_SC_@rel64+4
	s_delay_alu instid0(SALU_CYCLE_1)
	v_dual_mov_b32 v0, 0xbb3 :: v_dual_mov_b32 v1, s2
	v_mov_b32_e32 v2, s3
	s_add_nc_u64 s[8:9], s[0:1], 0x90
	s_get_pc_i64 s[0:1]
	s_add_nc_u64 s[0:1], s[0:1], __assert_fail@rel64+4
	s_mov_b32 s32, 0
	s_swap_pc_i64 s[30:31], s[0:1]
	.section	.rodata,"a",@progbits
	.p2align	6, 0x0
	.amdhsa_kernel _Z39paged_attention_ll4mi_QKV_mfma16_kernelI14__hip_bfloat16S0_LN4vllm18Fp8KVCacheDataTypeE0ES0_Li16ELi128ELi256ELb0ELi10EEvPKT_PKT0_S8_ifPKiSA_SA_iPKfiiiPfSD_PS3_PT2_iSC_SC_
		.amdhsa_group_segment_fixed_size 0
		.amdhsa_private_segment_fixed_size 64
		.amdhsa_kernarg_size 400
		.amdhsa_user_sgpr_count 2
		.amdhsa_user_sgpr_dispatch_ptr 0
		.amdhsa_user_sgpr_queue_ptr 0
		.amdhsa_user_sgpr_kernarg_segment_ptr 1
		.amdhsa_user_sgpr_dispatch_id 0
		.amdhsa_user_sgpr_kernarg_preload_length 0
		.amdhsa_user_sgpr_kernarg_preload_offset 0
		.amdhsa_user_sgpr_private_segment_size 0
		.amdhsa_wavefront_size32 1
		.amdhsa_uses_dynamic_stack 0
		.amdhsa_enable_private_segment 1
		.amdhsa_system_sgpr_workgroup_id_x 1
		.amdhsa_system_sgpr_workgroup_id_y 0
		.amdhsa_system_sgpr_workgroup_id_z 0
		.amdhsa_system_sgpr_workgroup_info 0
		.amdhsa_system_vgpr_workitem_id 0
		.amdhsa_next_free_vgpr 51
		.amdhsa_next_free_sgpr 34
		.amdhsa_named_barrier_count 0
		.amdhsa_reserve_vcc 1
		.amdhsa_float_round_mode_32 0
		.amdhsa_float_round_mode_16_64 0
		.amdhsa_float_denorm_mode_32 3
		.amdhsa_float_denorm_mode_16_64 3
		.amdhsa_fp16_overflow 0
		.amdhsa_memory_ordered 1
		.amdhsa_forward_progress 1
		.amdhsa_inst_pref_size 1
		.amdhsa_round_robin_scheduling 0
		.amdhsa_exception_fp_ieee_invalid_op 0
		.amdhsa_exception_fp_denorm_src 0
		.amdhsa_exception_fp_ieee_div_zero 0
		.amdhsa_exception_fp_ieee_overflow 0
		.amdhsa_exception_fp_ieee_underflow 0
		.amdhsa_exception_fp_ieee_inexact 0
		.amdhsa_exception_int_div_zero 0
	.end_amdhsa_kernel
	.section	.text._Z39paged_attention_ll4mi_QKV_mfma16_kernelI14__hip_bfloat16S0_LN4vllm18Fp8KVCacheDataTypeE0ES0_Li16ELi128ELi256ELb0ELi10EEvPKT_PKT0_S8_ifPKiSA_SA_iPKfiiiPfSD_PS3_PT2_iSC_SC_,"axG",@progbits,_Z39paged_attention_ll4mi_QKV_mfma16_kernelI14__hip_bfloat16S0_LN4vllm18Fp8KVCacheDataTypeE0ES0_Li16ELi128ELi256ELb0ELi10EEvPKT_PKT0_S8_ifPKiSA_SA_iPKfiiiPfSD_PS3_PT2_iSC_SC_,comdat
.Lfunc_end679:
	.size	_Z39paged_attention_ll4mi_QKV_mfma16_kernelI14__hip_bfloat16S0_LN4vllm18Fp8KVCacheDataTypeE0ES0_Li16ELi128ELi256ELb0ELi10EEvPKT_PKT0_S8_ifPKiSA_SA_iPKfiiiPfSD_PS3_PT2_iSC_SC_, .Lfunc_end679-_Z39paged_attention_ll4mi_QKV_mfma16_kernelI14__hip_bfloat16S0_LN4vllm18Fp8KVCacheDataTypeE0ES0_Li16ELi128ELi256ELb0ELi10EEvPKT_PKT0_S8_ifPKiSA_SA_iPKfiiiPfSD_PS3_PT2_iSC_SC_
                                        ; -- End function
	.set _Z39paged_attention_ll4mi_QKV_mfma16_kernelI14__hip_bfloat16S0_LN4vllm18Fp8KVCacheDataTypeE0ES0_Li16ELi128ELi256ELb0ELi10EEvPKT_PKT0_S8_ifPKiSA_SA_iPKfiiiPfSD_PS3_PT2_iSC_SC_.num_vgpr, max(3, .L__assert_fail.num_vgpr)
	.set _Z39paged_attention_ll4mi_QKV_mfma16_kernelI14__hip_bfloat16S0_LN4vllm18Fp8KVCacheDataTypeE0ES0_Li16ELi128ELi256ELb0ELi10EEvPKT_PKT0_S8_ifPKiSA_SA_iPKfiiiPfSD_PS3_PT2_iSC_SC_.num_agpr, max(0, .L__assert_fail.num_agpr)
	.set _Z39paged_attention_ll4mi_QKV_mfma16_kernelI14__hip_bfloat16S0_LN4vllm18Fp8KVCacheDataTypeE0ES0_Li16ELi128ELi256ELb0ELi10EEvPKT_PKT0_S8_ifPKiSA_SA_iPKfiiiPfSD_PS3_PT2_iSC_SC_.numbered_sgpr, max(33, .L__assert_fail.numbered_sgpr)
	.set _Z39paged_attention_ll4mi_QKV_mfma16_kernelI14__hip_bfloat16S0_LN4vllm18Fp8KVCacheDataTypeE0ES0_Li16ELi128ELi256ELb0ELi10EEvPKT_PKT0_S8_ifPKiSA_SA_iPKfiiiPfSD_PS3_PT2_iSC_SC_.num_named_barrier, max(0, .L__assert_fail.num_named_barrier)
	.set _Z39paged_attention_ll4mi_QKV_mfma16_kernelI14__hip_bfloat16S0_LN4vllm18Fp8KVCacheDataTypeE0ES0_Li16ELi128ELi256ELb0ELi10EEvPKT_PKT0_S8_ifPKiSA_SA_iPKfiiiPfSD_PS3_PT2_iSC_SC_.private_seg_size, 0+max(.L__assert_fail.private_seg_size)
	.set _Z39paged_attention_ll4mi_QKV_mfma16_kernelI14__hip_bfloat16S0_LN4vllm18Fp8KVCacheDataTypeE0ES0_Li16ELi128ELi256ELb0ELi10EEvPKT_PKT0_S8_ifPKiSA_SA_iPKfiiiPfSD_PS3_PT2_iSC_SC_.uses_vcc, or(1, .L__assert_fail.uses_vcc)
	.set _Z39paged_attention_ll4mi_QKV_mfma16_kernelI14__hip_bfloat16S0_LN4vllm18Fp8KVCacheDataTypeE0ES0_Li16ELi128ELi256ELb0ELi10EEvPKT_PKT0_S8_ifPKiSA_SA_iPKfiiiPfSD_PS3_PT2_iSC_SC_.uses_flat_scratch, or(0, .L__assert_fail.uses_flat_scratch)
	.set _Z39paged_attention_ll4mi_QKV_mfma16_kernelI14__hip_bfloat16S0_LN4vllm18Fp8KVCacheDataTypeE0ES0_Li16ELi128ELi256ELb0ELi10EEvPKT_PKT0_S8_ifPKiSA_SA_iPKfiiiPfSD_PS3_PT2_iSC_SC_.has_dyn_sized_stack, or(0, .L__assert_fail.has_dyn_sized_stack)
	.set _Z39paged_attention_ll4mi_QKV_mfma16_kernelI14__hip_bfloat16S0_LN4vllm18Fp8KVCacheDataTypeE0ES0_Li16ELi128ELi256ELb0ELi10EEvPKT_PKT0_S8_ifPKiSA_SA_iPKfiiiPfSD_PS3_PT2_iSC_SC_.has_recursion, or(0, .L__assert_fail.has_recursion)
	.set _Z39paged_attention_ll4mi_QKV_mfma16_kernelI14__hip_bfloat16S0_LN4vllm18Fp8KVCacheDataTypeE0ES0_Li16ELi128ELi256ELb0ELi10EEvPKT_PKT0_S8_ifPKiSA_SA_iPKfiiiPfSD_PS3_PT2_iSC_SC_.has_indirect_call, or(0, .L__assert_fail.has_indirect_call)
	.section	.AMDGPU.csdata,"",@progbits
; Kernel info:
; codeLenInByte = 68
; TotalNumSgprs: 36
; NumVgprs: 51
; ScratchSize: 64
; MemoryBound: 0
; FloatMode: 240
; IeeeMode: 1
; LDSByteSize: 0 bytes/workgroup (compile time only)
; SGPRBlocks: 0
; VGPRBlocks: 3
; NumSGPRsForWavesPerEU: 36
; NumVGPRsForWavesPerEU: 51
; NamedBarCnt: 0
; Occupancy: 16
; WaveLimiterHint : 1
; COMPUTE_PGM_RSRC2:SCRATCH_EN: 1
; COMPUTE_PGM_RSRC2:USER_SGPR: 2
; COMPUTE_PGM_RSRC2:TRAP_HANDLER: 0
; COMPUTE_PGM_RSRC2:TGID_X_EN: 1
; COMPUTE_PGM_RSRC2:TGID_Y_EN: 0
; COMPUTE_PGM_RSRC2:TGID_Z_EN: 0
; COMPUTE_PGM_RSRC2:TIDIG_COMP_CNT: 0
	.section	.text._Z39paged_attention_ll4mi_QKV_mfma16_kernelI14__hip_bfloat16S0_LN4vllm18Fp8KVCacheDataTypeE0ES0_Li16ELi128ELi256ELb0ELi11EEvPKT_PKT0_S8_ifPKiSA_SA_iPKfiiiPfSD_PS3_PT2_iSC_SC_,"axG",@progbits,_Z39paged_attention_ll4mi_QKV_mfma16_kernelI14__hip_bfloat16S0_LN4vllm18Fp8KVCacheDataTypeE0ES0_Li16ELi128ELi256ELb0ELi11EEvPKT_PKT0_S8_ifPKiSA_SA_iPKfiiiPfSD_PS3_PT2_iSC_SC_,comdat
	.protected	_Z39paged_attention_ll4mi_QKV_mfma16_kernelI14__hip_bfloat16S0_LN4vllm18Fp8KVCacheDataTypeE0ES0_Li16ELi128ELi256ELb0ELi11EEvPKT_PKT0_S8_ifPKiSA_SA_iPKfiiiPfSD_PS3_PT2_iSC_SC_ ; -- Begin function _Z39paged_attention_ll4mi_QKV_mfma16_kernelI14__hip_bfloat16S0_LN4vllm18Fp8KVCacheDataTypeE0ES0_Li16ELi128ELi256ELb0ELi11EEvPKT_PKT0_S8_ifPKiSA_SA_iPKfiiiPfSD_PS3_PT2_iSC_SC_
	.globl	_Z39paged_attention_ll4mi_QKV_mfma16_kernelI14__hip_bfloat16S0_LN4vllm18Fp8KVCacheDataTypeE0ES0_Li16ELi128ELi256ELb0ELi11EEvPKT_PKT0_S8_ifPKiSA_SA_iPKfiiiPfSD_PS3_PT2_iSC_SC_
	.p2align	8
	.type	_Z39paged_attention_ll4mi_QKV_mfma16_kernelI14__hip_bfloat16S0_LN4vllm18Fp8KVCacheDataTypeE0ES0_Li16ELi128ELi256ELb0ELi11EEvPKT_PKT0_S8_ifPKiSA_SA_iPKfiiiPfSD_PS3_PT2_iSC_SC_,@function
_Z39paged_attention_ll4mi_QKV_mfma16_kernelI14__hip_bfloat16S0_LN4vllm18Fp8KVCacheDataTypeE0ES0_Li16ELi128ELi256ELb0ELi11EEvPKT_PKT0_S8_ifPKiSA_SA_iPKfiiiPfSD_PS3_PT2_iSC_SC_: ; @_Z39paged_attention_ll4mi_QKV_mfma16_kernelI14__hip_bfloat16S0_LN4vllm18Fp8KVCacheDataTypeE0ES0_Li16ELi128ELi256ELb0ELi11EEvPKT_PKT0_S8_ifPKiSA_SA_iPKfiiiPfSD_PS3_PT2_iSC_SC_
; %bb.0:
	s_get_pc_i64 s[2:3]
	s_add_nc_u64 s[2:3], s[2:3], __PRETTY_FUNCTION__._Z39paged_attention_ll4mi_QKV_mfma16_kernelI14__hip_bfloat16S0_LN4vllm18Fp8KVCacheDataTypeE0ES0_Li16ELi128ELi256ELb0ELi11EEvPKT_PKT0_S8_ifPKiSA_SA_iPKfiiiPfSD_PS3_PT2_iSC_SC_@rel64+4
	s_delay_alu instid0(SALU_CYCLE_1)
	v_dual_mov_b32 v0, 0xbb3 :: v_dual_mov_b32 v1, s2
	v_mov_b32_e32 v2, s3
	s_add_nc_u64 s[8:9], s[0:1], 0x90
	s_get_pc_i64 s[0:1]
	s_add_nc_u64 s[0:1], s[0:1], __assert_fail@rel64+4
	s_mov_b32 s32, 0
	s_swap_pc_i64 s[30:31], s[0:1]
	.section	.rodata,"a",@progbits
	.p2align	6, 0x0
	.amdhsa_kernel _Z39paged_attention_ll4mi_QKV_mfma16_kernelI14__hip_bfloat16S0_LN4vllm18Fp8KVCacheDataTypeE0ES0_Li16ELi128ELi256ELb0ELi11EEvPKT_PKT0_S8_ifPKiSA_SA_iPKfiiiPfSD_PS3_PT2_iSC_SC_
		.amdhsa_group_segment_fixed_size 0
		.amdhsa_private_segment_fixed_size 64
		.amdhsa_kernarg_size 400
		.amdhsa_user_sgpr_count 2
		.amdhsa_user_sgpr_dispatch_ptr 0
		.amdhsa_user_sgpr_queue_ptr 0
		.amdhsa_user_sgpr_kernarg_segment_ptr 1
		.amdhsa_user_sgpr_dispatch_id 0
		.amdhsa_user_sgpr_kernarg_preload_length 0
		.amdhsa_user_sgpr_kernarg_preload_offset 0
		.amdhsa_user_sgpr_private_segment_size 0
		.amdhsa_wavefront_size32 1
		.amdhsa_uses_dynamic_stack 0
		.amdhsa_enable_private_segment 1
		.amdhsa_system_sgpr_workgroup_id_x 1
		.amdhsa_system_sgpr_workgroup_id_y 0
		.amdhsa_system_sgpr_workgroup_id_z 0
		.amdhsa_system_sgpr_workgroup_info 0
		.amdhsa_system_vgpr_workitem_id 0
		.amdhsa_next_free_vgpr 51
		.amdhsa_next_free_sgpr 34
		.amdhsa_named_barrier_count 0
		.amdhsa_reserve_vcc 1
		.amdhsa_float_round_mode_32 0
		.amdhsa_float_round_mode_16_64 0
		.amdhsa_float_denorm_mode_32 3
		.amdhsa_float_denorm_mode_16_64 3
		.amdhsa_fp16_overflow 0
		.amdhsa_memory_ordered 1
		.amdhsa_forward_progress 1
		.amdhsa_inst_pref_size 1
		.amdhsa_round_robin_scheduling 0
		.amdhsa_exception_fp_ieee_invalid_op 0
		.amdhsa_exception_fp_denorm_src 0
		.amdhsa_exception_fp_ieee_div_zero 0
		.amdhsa_exception_fp_ieee_overflow 0
		.amdhsa_exception_fp_ieee_underflow 0
		.amdhsa_exception_fp_ieee_inexact 0
		.amdhsa_exception_int_div_zero 0
	.end_amdhsa_kernel
	.section	.text._Z39paged_attention_ll4mi_QKV_mfma16_kernelI14__hip_bfloat16S0_LN4vllm18Fp8KVCacheDataTypeE0ES0_Li16ELi128ELi256ELb0ELi11EEvPKT_PKT0_S8_ifPKiSA_SA_iPKfiiiPfSD_PS3_PT2_iSC_SC_,"axG",@progbits,_Z39paged_attention_ll4mi_QKV_mfma16_kernelI14__hip_bfloat16S0_LN4vllm18Fp8KVCacheDataTypeE0ES0_Li16ELi128ELi256ELb0ELi11EEvPKT_PKT0_S8_ifPKiSA_SA_iPKfiiiPfSD_PS3_PT2_iSC_SC_,comdat
.Lfunc_end680:
	.size	_Z39paged_attention_ll4mi_QKV_mfma16_kernelI14__hip_bfloat16S0_LN4vllm18Fp8KVCacheDataTypeE0ES0_Li16ELi128ELi256ELb0ELi11EEvPKT_PKT0_S8_ifPKiSA_SA_iPKfiiiPfSD_PS3_PT2_iSC_SC_, .Lfunc_end680-_Z39paged_attention_ll4mi_QKV_mfma16_kernelI14__hip_bfloat16S0_LN4vllm18Fp8KVCacheDataTypeE0ES0_Li16ELi128ELi256ELb0ELi11EEvPKT_PKT0_S8_ifPKiSA_SA_iPKfiiiPfSD_PS3_PT2_iSC_SC_
                                        ; -- End function
	.set _Z39paged_attention_ll4mi_QKV_mfma16_kernelI14__hip_bfloat16S0_LN4vllm18Fp8KVCacheDataTypeE0ES0_Li16ELi128ELi256ELb0ELi11EEvPKT_PKT0_S8_ifPKiSA_SA_iPKfiiiPfSD_PS3_PT2_iSC_SC_.num_vgpr, max(3, .L__assert_fail.num_vgpr)
	.set _Z39paged_attention_ll4mi_QKV_mfma16_kernelI14__hip_bfloat16S0_LN4vllm18Fp8KVCacheDataTypeE0ES0_Li16ELi128ELi256ELb0ELi11EEvPKT_PKT0_S8_ifPKiSA_SA_iPKfiiiPfSD_PS3_PT2_iSC_SC_.num_agpr, max(0, .L__assert_fail.num_agpr)
	.set _Z39paged_attention_ll4mi_QKV_mfma16_kernelI14__hip_bfloat16S0_LN4vllm18Fp8KVCacheDataTypeE0ES0_Li16ELi128ELi256ELb0ELi11EEvPKT_PKT0_S8_ifPKiSA_SA_iPKfiiiPfSD_PS3_PT2_iSC_SC_.numbered_sgpr, max(33, .L__assert_fail.numbered_sgpr)
	.set _Z39paged_attention_ll4mi_QKV_mfma16_kernelI14__hip_bfloat16S0_LN4vllm18Fp8KVCacheDataTypeE0ES0_Li16ELi128ELi256ELb0ELi11EEvPKT_PKT0_S8_ifPKiSA_SA_iPKfiiiPfSD_PS3_PT2_iSC_SC_.num_named_barrier, max(0, .L__assert_fail.num_named_barrier)
	.set _Z39paged_attention_ll4mi_QKV_mfma16_kernelI14__hip_bfloat16S0_LN4vllm18Fp8KVCacheDataTypeE0ES0_Li16ELi128ELi256ELb0ELi11EEvPKT_PKT0_S8_ifPKiSA_SA_iPKfiiiPfSD_PS3_PT2_iSC_SC_.private_seg_size, 0+max(.L__assert_fail.private_seg_size)
	.set _Z39paged_attention_ll4mi_QKV_mfma16_kernelI14__hip_bfloat16S0_LN4vllm18Fp8KVCacheDataTypeE0ES0_Li16ELi128ELi256ELb0ELi11EEvPKT_PKT0_S8_ifPKiSA_SA_iPKfiiiPfSD_PS3_PT2_iSC_SC_.uses_vcc, or(1, .L__assert_fail.uses_vcc)
	.set _Z39paged_attention_ll4mi_QKV_mfma16_kernelI14__hip_bfloat16S0_LN4vllm18Fp8KVCacheDataTypeE0ES0_Li16ELi128ELi256ELb0ELi11EEvPKT_PKT0_S8_ifPKiSA_SA_iPKfiiiPfSD_PS3_PT2_iSC_SC_.uses_flat_scratch, or(0, .L__assert_fail.uses_flat_scratch)
	.set _Z39paged_attention_ll4mi_QKV_mfma16_kernelI14__hip_bfloat16S0_LN4vllm18Fp8KVCacheDataTypeE0ES0_Li16ELi128ELi256ELb0ELi11EEvPKT_PKT0_S8_ifPKiSA_SA_iPKfiiiPfSD_PS3_PT2_iSC_SC_.has_dyn_sized_stack, or(0, .L__assert_fail.has_dyn_sized_stack)
	.set _Z39paged_attention_ll4mi_QKV_mfma16_kernelI14__hip_bfloat16S0_LN4vllm18Fp8KVCacheDataTypeE0ES0_Li16ELi128ELi256ELb0ELi11EEvPKT_PKT0_S8_ifPKiSA_SA_iPKfiiiPfSD_PS3_PT2_iSC_SC_.has_recursion, or(0, .L__assert_fail.has_recursion)
	.set _Z39paged_attention_ll4mi_QKV_mfma16_kernelI14__hip_bfloat16S0_LN4vllm18Fp8KVCacheDataTypeE0ES0_Li16ELi128ELi256ELb0ELi11EEvPKT_PKT0_S8_ifPKiSA_SA_iPKfiiiPfSD_PS3_PT2_iSC_SC_.has_indirect_call, or(0, .L__assert_fail.has_indirect_call)
	.section	.AMDGPU.csdata,"",@progbits
; Kernel info:
; codeLenInByte = 68
; TotalNumSgprs: 36
; NumVgprs: 51
; ScratchSize: 64
; MemoryBound: 0
; FloatMode: 240
; IeeeMode: 1
; LDSByteSize: 0 bytes/workgroup (compile time only)
; SGPRBlocks: 0
; VGPRBlocks: 3
; NumSGPRsForWavesPerEU: 36
; NumVGPRsForWavesPerEU: 51
; NamedBarCnt: 0
; Occupancy: 16
; WaveLimiterHint : 1
; COMPUTE_PGM_RSRC2:SCRATCH_EN: 1
; COMPUTE_PGM_RSRC2:USER_SGPR: 2
; COMPUTE_PGM_RSRC2:TRAP_HANDLER: 0
; COMPUTE_PGM_RSRC2:TGID_X_EN: 1
; COMPUTE_PGM_RSRC2:TGID_Y_EN: 0
; COMPUTE_PGM_RSRC2:TGID_Z_EN: 0
; COMPUTE_PGM_RSRC2:TIDIG_COMP_CNT: 0
	.section	.text._Z39paged_attention_ll4mi_QKV_mfma16_kernelI14__hip_bfloat16S0_LN4vllm18Fp8KVCacheDataTypeE0ES0_Li16ELi128ELi256ELb0ELi12EEvPKT_PKT0_S8_ifPKiSA_SA_iPKfiiiPfSD_PS3_PT2_iSC_SC_,"axG",@progbits,_Z39paged_attention_ll4mi_QKV_mfma16_kernelI14__hip_bfloat16S0_LN4vllm18Fp8KVCacheDataTypeE0ES0_Li16ELi128ELi256ELb0ELi12EEvPKT_PKT0_S8_ifPKiSA_SA_iPKfiiiPfSD_PS3_PT2_iSC_SC_,comdat
	.protected	_Z39paged_attention_ll4mi_QKV_mfma16_kernelI14__hip_bfloat16S0_LN4vllm18Fp8KVCacheDataTypeE0ES0_Li16ELi128ELi256ELb0ELi12EEvPKT_PKT0_S8_ifPKiSA_SA_iPKfiiiPfSD_PS3_PT2_iSC_SC_ ; -- Begin function _Z39paged_attention_ll4mi_QKV_mfma16_kernelI14__hip_bfloat16S0_LN4vllm18Fp8KVCacheDataTypeE0ES0_Li16ELi128ELi256ELb0ELi12EEvPKT_PKT0_S8_ifPKiSA_SA_iPKfiiiPfSD_PS3_PT2_iSC_SC_
	.globl	_Z39paged_attention_ll4mi_QKV_mfma16_kernelI14__hip_bfloat16S0_LN4vllm18Fp8KVCacheDataTypeE0ES0_Li16ELi128ELi256ELb0ELi12EEvPKT_PKT0_S8_ifPKiSA_SA_iPKfiiiPfSD_PS3_PT2_iSC_SC_
	.p2align	8
	.type	_Z39paged_attention_ll4mi_QKV_mfma16_kernelI14__hip_bfloat16S0_LN4vllm18Fp8KVCacheDataTypeE0ES0_Li16ELi128ELi256ELb0ELi12EEvPKT_PKT0_S8_ifPKiSA_SA_iPKfiiiPfSD_PS3_PT2_iSC_SC_,@function
_Z39paged_attention_ll4mi_QKV_mfma16_kernelI14__hip_bfloat16S0_LN4vllm18Fp8KVCacheDataTypeE0ES0_Li16ELi128ELi256ELb0ELi12EEvPKT_PKT0_S8_ifPKiSA_SA_iPKfiiiPfSD_PS3_PT2_iSC_SC_: ; @_Z39paged_attention_ll4mi_QKV_mfma16_kernelI14__hip_bfloat16S0_LN4vllm18Fp8KVCacheDataTypeE0ES0_Li16ELi128ELi256ELb0ELi12EEvPKT_PKT0_S8_ifPKiSA_SA_iPKfiiiPfSD_PS3_PT2_iSC_SC_
; %bb.0:
	s_get_pc_i64 s[2:3]
	s_add_nc_u64 s[2:3], s[2:3], __PRETTY_FUNCTION__._Z39paged_attention_ll4mi_QKV_mfma16_kernelI14__hip_bfloat16S0_LN4vllm18Fp8KVCacheDataTypeE0ES0_Li16ELi128ELi256ELb0ELi12EEvPKT_PKT0_S8_ifPKiSA_SA_iPKfiiiPfSD_PS3_PT2_iSC_SC_@rel64+4
	s_delay_alu instid0(SALU_CYCLE_1)
	v_dual_mov_b32 v0, 0xbb3 :: v_dual_mov_b32 v1, s2
	v_mov_b32_e32 v2, s3
	s_add_nc_u64 s[8:9], s[0:1], 0x90
	s_get_pc_i64 s[0:1]
	s_add_nc_u64 s[0:1], s[0:1], __assert_fail@rel64+4
	s_mov_b32 s32, 0
	s_swap_pc_i64 s[30:31], s[0:1]
	.section	.rodata,"a",@progbits
	.p2align	6, 0x0
	.amdhsa_kernel _Z39paged_attention_ll4mi_QKV_mfma16_kernelI14__hip_bfloat16S0_LN4vllm18Fp8KVCacheDataTypeE0ES0_Li16ELi128ELi256ELb0ELi12EEvPKT_PKT0_S8_ifPKiSA_SA_iPKfiiiPfSD_PS3_PT2_iSC_SC_
		.amdhsa_group_segment_fixed_size 0
		.amdhsa_private_segment_fixed_size 64
		.amdhsa_kernarg_size 400
		.amdhsa_user_sgpr_count 2
		.amdhsa_user_sgpr_dispatch_ptr 0
		.amdhsa_user_sgpr_queue_ptr 0
		.amdhsa_user_sgpr_kernarg_segment_ptr 1
		.amdhsa_user_sgpr_dispatch_id 0
		.amdhsa_user_sgpr_kernarg_preload_length 0
		.amdhsa_user_sgpr_kernarg_preload_offset 0
		.amdhsa_user_sgpr_private_segment_size 0
		.amdhsa_wavefront_size32 1
		.amdhsa_uses_dynamic_stack 0
		.amdhsa_enable_private_segment 1
		.amdhsa_system_sgpr_workgroup_id_x 1
		.amdhsa_system_sgpr_workgroup_id_y 0
		.amdhsa_system_sgpr_workgroup_id_z 0
		.amdhsa_system_sgpr_workgroup_info 0
		.amdhsa_system_vgpr_workitem_id 0
		.amdhsa_next_free_vgpr 51
		.amdhsa_next_free_sgpr 34
		.amdhsa_named_barrier_count 0
		.amdhsa_reserve_vcc 1
		.amdhsa_float_round_mode_32 0
		.amdhsa_float_round_mode_16_64 0
		.amdhsa_float_denorm_mode_32 3
		.amdhsa_float_denorm_mode_16_64 3
		.amdhsa_fp16_overflow 0
		.amdhsa_memory_ordered 1
		.amdhsa_forward_progress 1
		.amdhsa_inst_pref_size 1
		.amdhsa_round_robin_scheduling 0
		.amdhsa_exception_fp_ieee_invalid_op 0
		.amdhsa_exception_fp_denorm_src 0
		.amdhsa_exception_fp_ieee_div_zero 0
		.amdhsa_exception_fp_ieee_overflow 0
		.amdhsa_exception_fp_ieee_underflow 0
		.amdhsa_exception_fp_ieee_inexact 0
		.amdhsa_exception_int_div_zero 0
	.end_amdhsa_kernel
	.section	.text._Z39paged_attention_ll4mi_QKV_mfma16_kernelI14__hip_bfloat16S0_LN4vllm18Fp8KVCacheDataTypeE0ES0_Li16ELi128ELi256ELb0ELi12EEvPKT_PKT0_S8_ifPKiSA_SA_iPKfiiiPfSD_PS3_PT2_iSC_SC_,"axG",@progbits,_Z39paged_attention_ll4mi_QKV_mfma16_kernelI14__hip_bfloat16S0_LN4vllm18Fp8KVCacheDataTypeE0ES0_Li16ELi128ELi256ELb0ELi12EEvPKT_PKT0_S8_ifPKiSA_SA_iPKfiiiPfSD_PS3_PT2_iSC_SC_,comdat
.Lfunc_end681:
	.size	_Z39paged_attention_ll4mi_QKV_mfma16_kernelI14__hip_bfloat16S0_LN4vllm18Fp8KVCacheDataTypeE0ES0_Li16ELi128ELi256ELb0ELi12EEvPKT_PKT0_S8_ifPKiSA_SA_iPKfiiiPfSD_PS3_PT2_iSC_SC_, .Lfunc_end681-_Z39paged_attention_ll4mi_QKV_mfma16_kernelI14__hip_bfloat16S0_LN4vllm18Fp8KVCacheDataTypeE0ES0_Li16ELi128ELi256ELb0ELi12EEvPKT_PKT0_S8_ifPKiSA_SA_iPKfiiiPfSD_PS3_PT2_iSC_SC_
                                        ; -- End function
	.set _Z39paged_attention_ll4mi_QKV_mfma16_kernelI14__hip_bfloat16S0_LN4vllm18Fp8KVCacheDataTypeE0ES0_Li16ELi128ELi256ELb0ELi12EEvPKT_PKT0_S8_ifPKiSA_SA_iPKfiiiPfSD_PS3_PT2_iSC_SC_.num_vgpr, max(3, .L__assert_fail.num_vgpr)
	.set _Z39paged_attention_ll4mi_QKV_mfma16_kernelI14__hip_bfloat16S0_LN4vllm18Fp8KVCacheDataTypeE0ES0_Li16ELi128ELi256ELb0ELi12EEvPKT_PKT0_S8_ifPKiSA_SA_iPKfiiiPfSD_PS3_PT2_iSC_SC_.num_agpr, max(0, .L__assert_fail.num_agpr)
	.set _Z39paged_attention_ll4mi_QKV_mfma16_kernelI14__hip_bfloat16S0_LN4vllm18Fp8KVCacheDataTypeE0ES0_Li16ELi128ELi256ELb0ELi12EEvPKT_PKT0_S8_ifPKiSA_SA_iPKfiiiPfSD_PS3_PT2_iSC_SC_.numbered_sgpr, max(33, .L__assert_fail.numbered_sgpr)
	.set _Z39paged_attention_ll4mi_QKV_mfma16_kernelI14__hip_bfloat16S0_LN4vllm18Fp8KVCacheDataTypeE0ES0_Li16ELi128ELi256ELb0ELi12EEvPKT_PKT0_S8_ifPKiSA_SA_iPKfiiiPfSD_PS3_PT2_iSC_SC_.num_named_barrier, max(0, .L__assert_fail.num_named_barrier)
	.set _Z39paged_attention_ll4mi_QKV_mfma16_kernelI14__hip_bfloat16S0_LN4vllm18Fp8KVCacheDataTypeE0ES0_Li16ELi128ELi256ELb0ELi12EEvPKT_PKT0_S8_ifPKiSA_SA_iPKfiiiPfSD_PS3_PT2_iSC_SC_.private_seg_size, 0+max(.L__assert_fail.private_seg_size)
	.set _Z39paged_attention_ll4mi_QKV_mfma16_kernelI14__hip_bfloat16S0_LN4vllm18Fp8KVCacheDataTypeE0ES0_Li16ELi128ELi256ELb0ELi12EEvPKT_PKT0_S8_ifPKiSA_SA_iPKfiiiPfSD_PS3_PT2_iSC_SC_.uses_vcc, or(1, .L__assert_fail.uses_vcc)
	.set _Z39paged_attention_ll4mi_QKV_mfma16_kernelI14__hip_bfloat16S0_LN4vllm18Fp8KVCacheDataTypeE0ES0_Li16ELi128ELi256ELb0ELi12EEvPKT_PKT0_S8_ifPKiSA_SA_iPKfiiiPfSD_PS3_PT2_iSC_SC_.uses_flat_scratch, or(0, .L__assert_fail.uses_flat_scratch)
	.set _Z39paged_attention_ll4mi_QKV_mfma16_kernelI14__hip_bfloat16S0_LN4vllm18Fp8KVCacheDataTypeE0ES0_Li16ELi128ELi256ELb0ELi12EEvPKT_PKT0_S8_ifPKiSA_SA_iPKfiiiPfSD_PS3_PT2_iSC_SC_.has_dyn_sized_stack, or(0, .L__assert_fail.has_dyn_sized_stack)
	.set _Z39paged_attention_ll4mi_QKV_mfma16_kernelI14__hip_bfloat16S0_LN4vllm18Fp8KVCacheDataTypeE0ES0_Li16ELi128ELi256ELb0ELi12EEvPKT_PKT0_S8_ifPKiSA_SA_iPKfiiiPfSD_PS3_PT2_iSC_SC_.has_recursion, or(0, .L__assert_fail.has_recursion)
	.set _Z39paged_attention_ll4mi_QKV_mfma16_kernelI14__hip_bfloat16S0_LN4vllm18Fp8KVCacheDataTypeE0ES0_Li16ELi128ELi256ELb0ELi12EEvPKT_PKT0_S8_ifPKiSA_SA_iPKfiiiPfSD_PS3_PT2_iSC_SC_.has_indirect_call, or(0, .L__assert_fail.has_indirect_call)
	.section	.AMDGPU.csdata,"",@progbits
; Kernel info:
; codeLenInByte = 68
; TotalNumSgprs: 36
; NumVgprs: 51
; ScratchSize: 64
; MemoryBound: 0
; FloatMode: 240
; IeeeMode: 1
; LDSByteSize: 0 bytes/workgroup (compile time only)
; SGPRBlocks: 0
; VGPRBlocks: 3
; NumSGPRsForWavesPerEU: 36
; NumVGPRsForWavesPerEU: 51
; NamedBarCnt: 0
; Occupancy: 16
; WaveLimiterHint : 1
; COMPUTE_PGM_RSRC2:SCRATCH_EN: 1
; COMPUTE_PGM_RSRC2:USER_SGPR: 2
; COMPUTE_PGM_RSRC2:TRAP_HANDLER: 0
; COMPUTE_PGM_RSRC2:TGID_X_EN: 1
; COMPUTE_PGM_RSRC2:TGID_Y_EN: 0
; COMPUTE_PGM_RSRC2:TGID_Z_EN: 0
; COMPUTE_PGM_RSRC2:TIDIG_COMP_CNT: 0
	.section	.text._Z39paged_attention_ll4mi_QKV_mfma16_kernelI14__hip_bfloat16S0_LN4vllm18Fp8KVCacheDataTypeE0ES0_Li16ELi128ELi256ELb0ELi13EEvPKT_PKT0_S8_ifPKiSA_SA_iPKfiiiPfSD_PS3_PT2_iSC_SC_,"axG",@progbits,_Z39paged_attention_ll4mi_QKV_mfma16_kernelI14__hip_bfloat16S0_LN4vllm18Fp8KVCacheDataTypeE0ES0_Li16ELi128ELi256ELb0ELi13EEvPKT_PKT0_S8_ifPKiSA_SA_iPKfiiiPfSD_PS3_PT2_iSC_SC_,comdat
	.protected	_Z39paged_attention_ll4mi_QKV_mfma16_kernelI14__hip_bfloat16S0_LN4vllm18Fp8KVCacheDataTypeE0ES0_Li16ELi128ELi256ELb0ELi13EEvPKT_PKT0_S8_ifPKiSA_SA_iPKfiiiPfSD_PS3_PT2_iSC_SC_ ; -- Begin function _Z39paged_attention_ll4mi_QKV_mfma16_kernelI14__hip_bfloat16S0_LN4vllm18Fp8KVCacheDataTypeE0ES0_Li16ELi128ELi256ELb0ELi13EEvPKT_PKT0_S8_ifPKiSA_SA_iPKfiiiPfSD_PS3_PT2_iSC_SC_
	.globl	_Z39paged_attention_ll4mi_QKV_mfma16_kernelI14__hip_bfloat16S0_LN4vllm18Fp8KVCacheDataTypeE0ES0_Li16ELi128ELi256ELb0ELi13EEvPKT_PKT0_S8_ifPKiSA_SA_iPKfiiiPfSD_PS3_PT2_iSC_SC_
	.p2align	8
	.type	_Z39paged_attention_ll4mi_QKV_mfma16_kernelI14__hip_bfloat16S0_LN4vllm18Fp8KVCacheDataTypeE0ES0_Li16ELi128ELi256ELb0ELi13EEvPKT_PKT0_S8_ifPKiSA_SA_iPKfiiiPfSD_PS3_PT2_iSC_SC_,@function
_Z39paged_attention_ll4mi_QKV_mfma16_kernelI14__hip_bfloat16S0_LN4vllm18Fp8KVCacheDataTypeE0ES0_Li16ELi128ELi256ELb0ELi13EEvPKT_PKT0_S8_ifPKiSA_SA_iPKfiiiPfSD_PS3_PT2_iSC_SC_: ; @_Z39paged_attention_ll4mi_QKV_mfma16_kernelI14__hip_bfloat16S0_LN4vllm18Fp8KVCacheDataTypeE0ES0_Li16ELi128ELi256ELb0ELi13EEvPKT_PKT0_S8_ifPKiSA_SA_iPKfiiiPfSD_PS3_PT2_iSC_SC_
; %bb.0:
	s_get_pc_i64 s[2:3]
	s_add_nc_u64 s[2:3], s[2:3], __PRETTY_FUNCTION__._Z39paged_attention_ll4mi_QKV_mfma16_kernelI14__hip_bfloat16S0_LN4vllm18Fp8KVCacheDataTypeE0ES0_Li16ELi128ELi256ELb0ELi13EEvPKT_PKT0_S8_ifPKiSA_SA_iPKfiiiPfSD_PS3_PT2_iSC_SC_@rel64+4
	s_delay_alu instid0(SALU_CYCLE_1)
	v_dual_mov_b32 v0, 0xbb3 :: v_dual_mov_b32 v1, s2
	v_mov_b32_e32 v2, s3
	s_add_nc_u64 s[8:9], s[0:1], 0x90
	s_get_pc_i64 s[0:1]
	s_add_nc_u64 s[0:1], s[0:1], __assert_fail@rel64+4
	s_mov_b32 s32, 0
	s_swap_pc_i64 s[30:31], s[0:1]
	.section	.rodata,"a",@progbits
	.p2align	6, 0x0
	.amdhsa_kernel _Z39paged_attention_ll4mi_QKV_mfma16_kernelI14__hip_bfloat16S0_LN4vllm18Fp8KVCacheDataTypeE0ES0_Li16ELi128ELi256ELb0ELi13EEvPKT_PKT0_S8_ifPKiSA_SA_iPKfiiiPfSD_PS3_PT2_iSC_SC_
		.amdhsa_group_segment_fixed_size 0
		.amdhsa_private_segment_fixed_size 64
		.amdhsa_kernarg_size 400
		.amdhsa_user_sgpr_count 2
		.amdhsa_user_sgpr_dispatch_ptr 0
		.amdhsa_user_sgpr_queue_ptr 0
		.amdhsa_user_sgpr_kernarg_segment_ptr 1
		.amdhsa_user_sgpr_dispatch_id 0
		.amdhsa_user_sgpr_kernarg_preload_length 0
		.amdhsa_user_sgpr_kernarg_preload_offset 0
		.amdhsa_user_sgpr_private_segment_size 0
		.amdhsa_wavefront_size32 1
		.amdhsa_uses_dynamic_stack 0
		.amdhsa_enable_private_segment 1
		.amdhsa_system_sgpr_workgroup_id_x 1
		.amdhsa_system_sgpr_workgroup_id_y 0
		.amdhsa_system_sgpr_workgroup_id_z 0
		.amdhsa_system_sgpr_workgroup_info 0
		.amdhsa_system_vgpr_workitem_id 0
		.amdhsa_next_free_vgpr 51
		.amdhsa_next_free_sgpr 34
		.amdhsa_named_barrier_count 0
		.amdhsa_reserve_vcc 1
		.amdhsa_float_round_mode_32 0
		.amdhsa_float_round_mode_16_64 0
		.amdhsa_float_denorm_mode_32 3
		.amdhsa_float_denorm_mode_16_64 3
		.amdhsa_fp16_overflow 0
		.amdhsa_memory_ordered 1
		.amdhsa_forward_progress 1
		.amdhsa_inst_pref_size 1
		.amdhsa_round_robin_scheduling 0
		.amdhsa_exception_fp_ieee_invalid_op 0
		.amdhsa_exception_fp_denorm_src 0
		.amdhsa_exception_fp_ieee_div_zero 0
		.amdhsa_exception_fp_ieee_overflow 0
		.amdhsa_exception_fp_ieee_underflow 0
		.amdhsa_exception_fp_ieee_inexact 0
		.amdhsa_exception_int_div_zero 0
	.end_amdhsa_kernel
	.section	.text._Z39paged_attention_ll4mi_QKV_mfma16_kernelI14__hip_bfloat16S0_LN4vllm18Fp8KVCacheDataTypeE0ES0_Li16ELi128ELi256ELb0ELi13EEvPKT_PKT0_S8_ifPKiSA_SA_iPKfiiiPfSD_PS3_PT2_iSC_SC_,"axG",@progbits,_Z39paged_attention_ll4mi_QKV_mfma16_kernelI14__hip_bfloat16S0_LN4vllm18Fp8KVCacheDataTypeE0ES0_Li16ELi128ELi256ELb0ELi13EEvPKT_PKT0_S8_ifPKiSA_SA_iPKfiiiPfSD_PS3_PT2_iSC_SC_,comdat
.Lfunc_end682:
	.size	_Z39paged_attention_ll4mi_QKV_mfma16_kernelI14__hip_bfloat16S0_LN4vllm18Fp8KVCacheDataTypeE0ES0_Li16ELi128ELi256ELb0ELi13EEvPKT_PKT0_S8_ifPKiSA_SA_iPKfiiiPfSD_PS3_PT2_iSC_SC_, .Lfunc_end682-_Z39paged_attention_ll4mi_QKV_mfma16_kernelI14__hip_bfloat16S0_LN4vllm18Fp8KVCacheDataTypeE0ES0_Li16ELi128ELi256ELb0ELi13EEvPKT_PKT0_S8_ifPKiSA_SA_iPKfiiiPfSD_PS3_PT2_iSC_SC_
                                        ; -- End function
	.set _Z39paged_attention_ll4mi_QKV_mfma16_kernelI14__hip_bfloat16S0_LN4vllm18Fp8KVCacheDataTypeE0ES0_Li16ELi128ELi256ELb0ELi13EEvPKT_PKT0_S8_ifPKiSA_SA_iPKfiiiPfSD_PS3_PT2_iSC_SC_.num_vgpr, max(3, .L__assert_fail.num_vgpr)
	.set _Z39paged_attention_ll4mi_QKV_mfma16_kernelI14__hip_bfloat16S0_LN4vllm18Fp8KVCacheDataTypeE0ES0_Li16ELi128ELi256ELb0ELi13EEvPKT_PKT0_S8_ifPKiSA_SA_iPKfiiiPfSD_PS3_PT2_iSC_SC_.num_agpr, max(0, .L__assert_fail.num_agpr)
	.set _Z39paged_attention_ll4mi_QKV_mfma16_kernelI14__hip_bfloat16S0_LN4vllm18Fp8KVCacheDataTypeE0ES0_Li16ELi128ELi256ELb0ELi13EEvPKT_PKT0_S8_ifPKiSA_SA_iPKfiiiPfSD_PS3_PT2_iSC_SC_.numbered_sgpr, max(33, .L__assert_fail.numbered_sgpr)
	.set _Z39paged_attention_ll4mi_QKV_mfma16_kernelI14__hip_bfloat16S0_LN4vllm18Fp8KVCacheDataTypeE0ES0_Li16ELi128ELi256ELb0ELi13EEvPKT_PKT0_S8_ifPKiSA_SA_iPKfiiiPfSD_PS3_PT2_iSC_SC_.num_named_barrier, max(0, .L__assert_fail.num_named_barrier)
	.set _Z39paged_attention_ll4mi_QKV_mfma16_kernelI14__hip_bfloat16S0_LN4vllm18Fp8KVCacheDataTypeE0ES0_Li16ELi128ELi256ELb0ELi13EEvPKT_PKT0_S8_ifPKiSA_SA_iPKfiiiPfSD_PS3_PT2_iSC_SC_.private_seg_size, 0+max(.L__assert_fail.private_seg_size)
	.set _Z39paged_attention_ll4mi_QKV_mfma16_kernelI14__hip_bfloat16S0_LN4vllm18Fp8KVCacheDataTypeE0ES0_Li16ELi128ELi256ELb0ELi13EEvPKT_PKT0_S8_ifPKiSA_SA_iPKfiiiPfSD_PS3_PT2_iSC_SC_.uses_vcc, or(1, .L__assert_fail.uses_vcc)
	.set _Z39paged_attention_ll4mi_QKV_mfma16_kernelI14__hip_bfloat16S0_LN4vllm18Fp8KVCacheDataTypeE0ES0_Li16ELi128ELi256ELb0ELi13EEvPKT_PKT0_S8_ifPKiSA_SA_iPKfiiiPfSD_PS3_PT2_iSC_SC_.uses_flat_scratch, or(0, .L__assert_fail.uses_flat_scratch)
	.set _Z39paged_attention_ll4mi_QKV_mfma16_kernelI14__hip_bfloat16S0_LN4vllm18Fp8KVCacheDataTypeE0ES0_Li16ELi128ELi256ELb0ELi13EEvPKT_PKT0_S8_ifPKiSA_SA_iPKfiiiPfSD_PS3_PT2_iSC_SC_.has_dyn_sized_stack, or(0, .L__assert_fail.has_dyn_sized_stack)
	.set _Z39paged_attention_ll4mi_QKV_mfma16_kernelI14__hip_bfloat16S0_LN4vllm18Fp8KVCacheDataTypeE0ES0_Li16ELi128ELi256ELb0ELi13EEvPKT_PKT0_S8_ifPKiSA_SA_iPKfiiiPfSD_PS3_PT2_iSC_SC_.has_recursion, or(0, .L__assert_fail.has_recursion)
	.set _Z39paged_attention_ll4mi_QKV_mfma16_kernelI14__hip_bfloat16S0_LN4vllm18Fp8KVCacheDataTypeE0ES0_Li16ELi128ELi256ELb0ELi13EEvPKT_PKT0_S8_ifPKiSA_SA_iPKfiiiPfSD_PS3_PT2_iSC_SC_.has_indirect_call, or(0, .L__assert_fail.has_indirect_call)
	.section	.AMDGPU.csdata,"",@progbits
; Kernel info:
; codeLenInByte = 68
; TotalNumSgprs: 36
; NumVgprs: 51
; ScratchSize: 64
; MemoryBound: 0
; FloatMode: 240
; IeeeMode: 1
; LDSByteSize: 0 bytes/workgroup (compile time only)
; SGPRBlocks: 0
; VGPRBlocks: 3
; NumSGPRsForWavesPerEU: 36
; NumVGPRsForWavesPerEU: 51
; NamedBarCnt: 0
; Occupancy: 16
; WaveLimiterHint : 1
; COMPUTE_PGM_RSRC2:SCRATCH_EN: 1
; COMPUTE_PGM_RSRC2:USER_SGPR: 2
; COMPUTE_PGM_RSRC2:TRAP_HANDLER: 0
; COMPUTE_PGM_RSRC2:TGID_X_EN: 1
; COMPUTE_PGM_RSRC2:TGID_Y_EN: 0
; COMPUTE_PGM_RSRC2:TGID_Z_EN: 0
; COMPUTE_PGM_RSRC2:TIDIG_COMP_CNT: 0
	.section	.text._Z39paged_attention_ll4mi_QKV_mfma16_kernelI14__hip_bfloat16S0_LN4vllm18Fp8KVCacheDataTypeE0ES0_Li16ELi128ELi256ELb0ELi14EEvPKT_PKT0_S8_ifPKiSA_SA_iPKfiiiPfSD_PS3_PT2_iSC_SC_,"axG",@progbits,_Z39paged_attention_ll4mi_QKV_mfma16_kernelI14__hip_bfloat16S0_LN4vllm18Fp8KVCacheDataTypeE0ES0_Li16ELi128ELi256ELb0ELi14EEvPKT_PKT0_S8_ifPKiSA_SA_iPKfiiiPfSD_PS3_PT2_iSC_SC_,comdat
	.protected	_Z39paged_attention_ll4mi_QKV_mfma16_kernelI14__hip_bfloat16S0_LN4vllm18Fp8KVCacheDataTypeE0ES0_Li16ELi128ELi256ELb0ELi14EEvPKT_PKT0_S8_ifPKiSA_SA_iPKfiiiPfSD_PS3_PT2_iSC_SC_ ; -- Begin function _Z39paged_attention_ll4mi_QKV_mfma16_kernelI14__hip_bfloat16S0_LN4vllm18Fp8KVCacheDataTypeE0ES0_Li16ELi128ELi256ELb0ELi14EEvPKT_PKT0_S8_ifPKiSA_SA_iPKfiiiPfSD_PS3_PT2_iSC_SC_
	.globl	_Z39paged_attention_ll4mi_QKV_mfma16_kernelI14__hip_bfloat16S0_LN4vllm18Fp8KVCacheDataTypeE0ES0_Li16ELi128ELi256ELb0ELi14EEvPKT_PKT0_S8_ifPKiSA_SA_iPKfiiiPfSD_PS3_PT2_iSC_SC_
	.p2align	8
	.type	_Z39paged_attention_ll4mi_QKV_mfma16_kernelI14__hip_bfloat16S0_LN4vllm18Fp8KVCacheDataTypeE0ES0_Li16ELi128ELi256ELb0ELi14EEvPKT_PKT0_S8_ifPKiSA_SA_iPKfiiiPfSD_PS3_PT2_iSC_SC_,@function
_Z39paged_attention_ll4mi_QKV_mfma16_kernelI14__hip_bfloat16S0_LN4vllm18Fp8KVCacheDataTypeE0ES0_Li16ELi128ELi256ELb0ELi14EEvPKT_PKT0_S8_ifPKiSA_SA_iPKfiiiPfSD_PS3_PT2_iSC_SC_: ; @_Z39paged_attention_ll4mi_QKV_mfma16_kernelI14__hip_bfloat16S0_LN4vllm18Fp8KVCacheDataTypeE0ES0_Li16ELi128ELi256ELb0ELi14EEvPKT_PKT0_S8_ifPKiSA_SA_iPKfiiiPfSD_PS3_PT2_iSC_SC_
; %bb.0:
	s_get_pc_i64 s[2:3]
	s_add_nc_u64 s[2:3], s[2:3], __PRETTY_FUNCTION__._Z39paged_attention_ll4mi_QKV_mfma16_kernelI14__hip_bfloat16S0_LN4vllm18Fp8KVCacheDataTypeE0ES0_Li16ELi128ELi256ELb0ELi14EEvPKT_PKT0_S8_ifPKiSA_SA_iPKfiiiPfSD_PS3_PT2_iSC_SC_@rel64+4
	s_delay_alu instid0(SALU_CYCLE_1)
	v_dual_mov_b32 v0, 0xbb3 :: v_dual_mov_b32 v1, s2
	v_mov_b32_e32 v2, s3
	s_add_nc_u64 s[8:9], s[0:1], 0x90
	s_get_pc_i64 s[0:1]
	s_add_nc_u64 s[0:1], s[0:1], __assert_fail@rel64+4
	s_mov_b32 s32, 0
	s_swap_pc_i64 s[30:31], s[0:1]
	.section	.rodata,"a",@progbits
	.p2align	6, 0x0
	.amdhsa_kernel _Z39paged_attention_ll4mi_QKV_mfma16_kernelI14__hip_bfloat16S0_LN4vllm18Fp8KVCacheDataTypeE0ES0_Li16ELi128ELi256ELb0ELi14EEvPKT_PKT0_S8_ifPKiSA_SA_iPKfiiiPfSD_PS3_PT2_iSC_SC_
		.amdhsa_group_segment_fixed_size 0
		.amdhsa_private_segment_fixed_size 64
		.amdhsa_kernarg_size 400
		.amdhsa_user_sgpr_count 2
		.amdhsa_user_sgpr_dispatch_ptr 0
		.amdhsa_user_sgpr_queue_ptr 0
		.amdhsa_user_sgpr_kernarg_segment_ptr 1
		.amdhsa_user_sgpr_dispatch_id 0
		.amdhsa_user_sgpr_kernarg_preload_length 0
		.amdhsa_user_sgpr_kernarg_preload_offset 0
		.amdhsa_user_sgpr_private_segment_size 0
		.amdhsa_wavefront_size32 1
		.amdhsa_uses_dynamic_stack 0
		.amdhsa_enable_private_segment 1
		.amdhsa_system_sgpr_workgroup_id_x 1
		.amdhsa_system_sgpr_workgroup_id_y 0
		.amdhsa_system_sgpr_workgroup_id_z 0
		.amdhsa_system_sgpr_workgroup_info 0
		.amdhsa_system_vgpr_workitem_id 0
		.amdhsa_next_free_vgpr 51
		.amdhsa_next_free_sgpr 34
		.amdhsa_named_barrier_count 0
		.amdhsa_reserve_vcc 1
		.amdhsa_float_round_mode_32 0
		.amdhsa_float_round_mode_16_64 0
		.amdhsa_float_denorm_mode_32 3
		.amdhsa_float_denorm_mode_16_64 3
		.amdhsa_fp16_overflow 0
		.amdhsa_memory_ordered 1
		.amdhsa_forward_progress 1
		.amdhsa_inst_pref_size 1
		.amdhsa_round_robin_scheduling 0
		.amdhsa_exception_fp_ieee_invalid_op 0
		.amdhsa_exception_fp_denorm_src 0
		.amdhsa_exception_fp_ieee_div_zero 0
		.amdhsa_exception_fp_ieee_overflow 0
		.amdhsa_exception_fp_ieee_underflow 0
		.amdhsa_exception_fp_ieee_inexact 0
		.amdhsa_exception_int_div_zero 0
	.end_amdhsa_kernel
	.section	.text._Z39paged_attention_ll4mi_QKV_mfma16_kernelI14__hip_bfloat16S0_LN4vllm18Fp8KVCacheDataTypeE0ES0_Li16ELi128ELi256ELb0ELi14EEvPKT_PKT0_S8_ifPKiSA_SA_iPKfiiiPfSD_PS3_PT2_iSC_SC_,"axG",@progbits,_Z39paged_attention_ll4mi_QKV_mfma16_kernelI14__hip_bfloat16S0_LN4vllm18Fp8KVCacheDataTypeE0ES0_Li16ELi128ELi256ELb0ELi14EEvPKT_PKT0_S8_ifPKiSA_SA_iPKfiiiPfSD_PS3_PT2_iSC_SC_,comdat
.Lfunc_end683:
	.size	_Z39paged_attention_ll4mi_QKV_mfma16_kernelI14__hip_bfloat16S0_LN4vllm18Fp8KVCacheDataTypeE0ES0_Li16ELi128ELi256ELb0ELi14EEvPKT_PKT0_S8_ifPKiSA_SA_iPKfiiiPfSD_PS3_PT2_iSC_SC_, .Lfunc_end683-_Z39paged_attention_ll4mi_QKV_mfma16_kernelI14__hip_bfloat16S0_LN4vllm18Fp8KVCacheDataTypeE0ES0_Li16ELi128ELi256ELb0ELi14EEvPKT_PKT0_S8_ifPKiSA_SA_iPKfiiiPfSD_PS3_PT2_iSC_SC_
                                        ; -- End function
	.set _Z39paged_attention_ll4mi_QKV_mfma16_kernelI14__hip_bfloat16S0_LN4vllm18Fp8KVCacheDataTypeE0ES0_Li16ELi128ELi256ELb0ELi14EEvPKT_PKT0_S8_ifPKiSA_SA_iPKfiiiPfSD_PS3_PT2_iSC_SC_.num_vgpr, max(3, .L__assert_fail.num_vgpr)
	.set _Z39paged_attention_ll4mi_QKV_mfma16_kernelI14__hip_bfloat16S0_LN4vllm18Fp8KVCacheDataTypeE0ES0_Li16ELi128ELi256ELb0ELi14EEvPKT_PKT0_S8_ifPKiSA_SA_iPKfiiiPfSD_PS3_PT2_iSC_SC_.num_agpr, max(0, .L__assert_fail.num_agpr)
	.set _Z39paged_attention_ll4mi_QKV_mfma16_kernelI14__hip_bfloat16S0_LN4vllm18Fp8KVCacheDataTypeE0ES0_Li16ELi128ELi256ELb0ELi14EEvPKT_PKT0_S8_ifPKiSA_SA_iPKfiiiPfSD_PS3_PT2_iSC_SC_.numbered_sgpr, max(33, .L__assert_fail.numbered_sgpr)
	.set _Z39paged_attention_ll4mi_QKV_mfma16_kernelI14__hip_bfloat16S0_LN4vllm18Fp8KVCacheDataTypeE0ES0_Li16ELi128ELi256ELb0ELi14EEvPKT_PKT0_S8_ifPKiSA_SA_iPKfiiiPfSD_PS3_PT2_iSC_SC_.num_named_barrier, max(0, .L__assert_fail.num_named_barrier)
	.set _Z39paged_attention_ll4mi_QKV_mfma16_kernelI14__hip_bfloat16S0_LN4vllm18Fp8KVCacheDataTypeE0ES0_Li16ELi128ELi256ELb0ELi14EEvPKT_PKT0_S8_ifPKiSA_SA_iPKfiiiPfSD_PS3_PT2_iSC_SC_.private_seg_size, 0+max(.L__assert_fail.private_seg_size)
	.set _Z39paged_attention_ll4mi_QKV_mfma16_kernelI14__hip_bfloat16S0_LN4vllm18Fp8KVCacheDataTypeE0ES0_Li16ELi128ELi256ELb0ELi14EEvPKT_PKT0_S8_ifPKiSA_SA_iPKfiiiPfSD_PS3_PT2_iSC_SC_.uses_vcc, or(1, .L__assert_fail.uses_vcc)
	.set _Z39paged_attention_ll4mi_QKV_mfma16_kernelI14__hip_bfloat16S0_LN4vllm18Fp8KVCacheDataTypeE0ES0_Li16ELi128ELi256ELb0ELi14EEvPKT_PKT0_S8_ifPKiSA_SA_iPKfiiiPfSD_PS3_PT2_iSC_SC_.uses_flat_scratch, or(0, .L__assert_fail.uses_flat_scratch)
	.set _Z39paged_attention_ll4mi_QKV_mfma16_kernelI14__hip_bfloat16S0_LN4vllm18Fp8KVCacheDataTypeE0ES0_Li16ELi128ELi256ELb0ELi14EEvPKT_PKT0_S8_ifPKiSA_SA_iPKfiiiPfSD_PS3_PT2_iSC_SC_.has_dyn_sized_stack, or(0, .L__assert_fail.has_dyn_sized_stack)
	.set _Z39paged_attention_ll4mi_QKV_mfma16_kernelI14__hip_bfloat16S0_LN4vllm18Fp8KVCacheDataTypeE0ES0_Li16ELi128ELi256ELb0ELi14EEvPKT_PKT0_S8_ifPKiSA_SA_iPKfiiiPfSD_PS3_PT2_iSC_SC_.has_recursion, or(0, .L__assert_fail.has_recursion)
	.set _Z39paged_attention_ll4mi_QKV_mfma16_kernelI14__hip_bfloat16S0_LN4vllm18Fp8KVCacheDataTypeE0ES0_Li16ELi128ELi256ELb0ELi14EEvPKT_PKT0_S8_ifPKiSA_SA_iPKfiiiPfSD_PS3_PT2_iSC_SC_.has_indirect_call, or(0, .L__assert_fail.has_indirect_call)
	.section	.AMDGPU.csdata,"",@progbits
; Kernel info:
; codeLenInByte = 68
; TotalNumSgprs: 36
; NumVgprs: 51
; ScratchSize: 64
; MemoryBound: 0
; FloatMode: 240
; IeeeMode: 1
; LDSByteSize: 0 bytes/workgroup (compile time only)
; SGPRBlocks: 0
; VGPRBlocks: 3
; NumSGPRsForWavesPerEU: 36
; NumVGPRsForWavesPerEU: 51
; NamedBarCnt: 0
; Occupancy: 16
; WaveLimiterHint : 1
; COMPUTE_PGM_RSRC2:SCRATCH_EN: 1
; COMPUTE_PGM_RSRC2:USER_SGPR: 2
; COMPUTE_PGM_RSRC2:TRAP_HANDLER: 0
; COMPUTE_PGM_RSRC2:TGID_X_EN: 1
; COMPUTE_PGM_RSRC2:TGID_Y_EN: 0
; COMPUTE_PGM_RSRC2:TGID_Z_EN: 0
; COMPUTE_PGM_RSRC2:TIDIG_COMP_CNT: 0
	.section	.text._Z39paged_attention_ll4mi_QKV_mfma16_kernelI14__hip_bfloat16S0_LN4vllm18Fp8KVCacheDataTypeE0ES0_Li16ELi128ELi256ELb0ELi15EEvPKT_PKT0_S8_ifPKiSA_SA_iPKfiiiPfSD_PS3_PT2_iSC_SC_,"axG",@progbits,_Z39paged_attention_ll4mi_QKV_mfma16_kernelI14__hip_bfloat16S0_LN4vllm18Fp8KVCacheDataTypeE0ES0_Li16ELi128ELi256ELb0ELi15EEvPKT_PKT0_S8_ifPKiSA_SA_iPKfiiiPfSD_PS3_PT2_iSC_SC_,comdat
	.protected	_Z39paged_attention_ll4mi_QKV_mfma16_kernelI14__hip_bfloat16S0_LN4vllm18Fp8KVCacheDataTypeE0ES0_Li16ELi128ELi256ELb0ELi15EEvPKT_PKT0_S8_ifPKiSA_SA_iPKfiiiPfSD_PS3_PT2_iSC_SC_ ; -- Begin function _Z39paged_attention_ll4mi_QKV_mfma16_kernelI14__hip_bfloat16S0_LN4vllm18Fp8KVCacheDataTypeE0ES0_Li16ELi128ELi256ELb0ELi15EEvPKT_PKT0_S8_ifPKiSA_SA_iPKfiiiPfSD_PS3_PT2_iSC_SC_
	.globl	_Z39paged_attention_ll4mi_QKV_mfma16_kernelI14__hip_bfloat16S0_LN4vllm18Fp8KVCacheDataTypeE0ES0_Li16ELi128ELi256ELb0ELi15EEvPKT_PKT0_S8_ifPKiSA_SA_iPKfiiiPfSD_PS3_PT2_iSC_SC_
	.p2align	8
	.type	_Z39paged_attention_ll4mi_QKV_mfma16_kernelI14__hip_bfloat16S0_LN4vllm18Fp8KVCacheDataTypeE0ES0_Li16ELi128ELi256ELb0ELi15EEvPKT_PKT0_S8_ifPKiSA_SA_iPKfiiiPfSD_PS3_PT2_iSC_SC_,@function
_Z39paged_attention_ll4mi_QKV_mfma16_kernelI14__hip_bfloat16S0_LN4vllm18Fp8KVCacheDataTypeE0ES0_Li16ELi128ELi256ELb0ELi15EEvPKT_PKT0_S8_ifPKiSA_SA_iPKfiiiPfSD_PS3_PT2_iSC_SC_: ; @_Z39paged_attention_ll4mi_QKV_mfma16_kernelI14__hip_bfloat16S0_LN4vllm18Fp8KVCacheDataTypeE0ES0_Li16ELi128ELi256ELb0ELi15EEvPKT_PKT0_S8_ifPKiSA_SA_iPKfiiiPfSD_PS3_PT2_iSC_SC_
; %bb.0:
	s_get_pc_i64 s[2:3]
	s_add_nc_u64 s[2:3], s[2:3], __PRETTY_FUNCTION__._Z39paged_attention_ll4mi_QKV_mfma16_kernelI14__hip_bfloat16S0_LN4vllm18Fp8KVCacheDataTypeE0ES0_Li16ELi128ELi256ELb0ELi15EEvPKT_PKT0_S8_ifPKiSA_SA_iPKfiiiPfSD_PS3_PT2_iSC_SC_@rel64+4
	s_delay_alu instid0(SALU_CYCLE_1)
	v_dual_mov_b32 v0, 0xbb3 :: v_dual_mov_b32 v1, s2
	v_mov_b32_e32 v2, s3
	s_add_nc_u64 s[8:9], s[0:1], 0x90
	s_get_pc_i64 s[0:1]
	s_add_nc_u64 s[0:1], s[0:1], __assert_fail@rel64+4
	s_mov_b32 s32, 0
	s_swap_pc_i64 s[30:31], s[0:1]
	.section	.rodata,"a",@progbits
	.p2align	6, 0x0
	.amdhsa_kernel _Z39paged_attention_ll4mi_QKV_mfma16_kernelI14__hip_bfloat16S0_LN4vllm18Fp8KVCacheDataTypeE0ES0_Li16ELi128ELi256ELb0ELi15EEvPKT_PKT0_S8_ifPKiSA_SA_iPKfiiiPfSD_PS3_PT2_iSC_SC_
		.amdhsa_group_segment_fixed_size 0
		.amdhsa_private_segment_fixed_size 64
		.amdhsa_kernarg_size 400
		.amdhsa_user_sgpr_count 2
		.amdhsa_user_sgpr_dispatch_ptr 0
		.amdhsa_user_sgpr_queue_ptr 0
		.amdhsa_user_sgpr_kernarg_segment_ptr 1
		.amdhsa_user_sgpr_dispatch_id 0
		.amdhsa_user_sgpr_kernarg_preload_length 0
		.amdhsa_user_sgpr_kernarg_preload_offset 0
		.amdhsa_user_sgpr_private_segment_size 0
		.amdhsa_wavefront_size32 1
		.amdhsa_uses_dynamic_stack 0
		.amdhsa_enable_private_segment 1
		.amdhsa_system_sgpr_workgroup_id_x 1
		.amdhsa_system_sgpr_workgroup_id_y 0
		.amdhsa_system_sgpr_workgroup_id_z 0
		.amdhsa_system_sgpr_workgroup_info 0
		.amdhsa_system_vgpr_workitem_id 0
		.amdhsa_next_free_vgpr 51
		.amdhsa_next_free_sgpr 34
		.amdhsa_named_barrier_count 0
		.amdhsa_reserve_vcc 1
		.amdhsa_float_round_mode_32 0
		.amdhsa_float_round_mode_16_64 0
		.amdhsa_float_denorm_mode_32 3
		.amdhsa_float_denorm_mode_16_64 3
		.amdhsa_fp16_overflow 0
		.amdhsa_memory_ordered 1
		.amdhsa_forward_progress 1
		.amdhsa_inst_pref_size 1
		.amdhsa_round_robin_scheduling 0
		.amdhsa_exception_fp_ieee_invalid_op 0
		.amdhsa_exception_fp_denorm_src 0
		.amdhsa_exception_fp_ieee_div_zero 0
		.amdhsa_exception_fp_ieee_overflow 0
		.amdhsa_exception_fp_ieee_underflow 0
		.amdhsa_exception_fp_ieee_inexact 0
		.amdhsa_exception_int_div_zero 0
	.end_amdhsa_kernel
	.section	.text._Z39paged_attention_ll4mi_QKV_mfma16_kernelI14__hip_bfloat16S0_LN4vllm18Fp8KVCacheDataTypeE0ES0_Li16ELi128ELi256ELb0ELi15EEvPKT_PKT0_S8_ifPKiSA_SA_iPKfiiiPfSD_PS3_PT2_iSC_SC_,"axG",@progbits,_Z39paged_attention_ll4mi_QKV_mfma16_kernelI14__hip_bfloat16S0_LN4vllm18Fp8KVCacheDataTypeE0ES0_Li16ELi128ELi256ELb0ELi15EEvPKT_PKT0_S8_ifPKiSA_SA_iPKfiiiPfSD_PS3_PT2_iSC_SC_,comdat
.Lfunc_end684:
	.size	_Z39paged_attention_ll4mi_QKV_mfma16_kernelI14__hip_bfloat16S0_LN4vllm18Fp8KVCacheDataTypeE0ES0_Li16ELi128ELi256ELb0ELi15EEvPKT_PKT0_S8_ifPKiSA_SA_iPKfiiiPfSD_PS3_PT2_iSC_SC_, .Lfunc_end684-_Z39paged_attention_ll4mi_QKV_mfma16_kernelI14__hip_bfloat16S0_LN4vllm18Fp8KVCacheDataTypeE0ES0_Li16ELi128ELi256ELb0ELi15EEvPKT_PKT0_S8_ifPKiSA_SA_iPKfiiiPfSD_PS3_PT2_iSC_SC_
                                        ; -- End function
	.set _Z39paged_attention_ll4mi_QKV_mfma16_kernelI14__hip_bfloat16S0_LN4vllm18Fp8KVCacheDataTypeE0ES0_Li16ELi128ELi256ELb0ELi15EEvPKT_PKT0_S8_ifPKiSA_SA_iPKfiiiPfSD_PS3_PT2_iSC_SC_.num_vgpr, max(3, .L__assert_fail.num_vgpr)
	.set _Z39paged_attention_ll4mi_QKV_mfma16_kernelI14__hip_bfloat16S0_LN4vllm18Fp8KVCacheDataTypeE0ES0_Li16ELi128ELi256ELb0ELi15EEvPKT_PKT0_S8_ifPKiSA_SA_iPKfiiiPfSD_PS3_PT2_iSC_SC_.num_agpr, max(0, .L__assert_fail.num_agpr)
	.set _Z39paged_attention_ll4mi_QKV_mfma16_kernelI14__hip_bfloat16S0_LN4vllm18Fp8KVCacheDataTypeE0ES0_Li16ELi128ELi256ELb0ELi15EEvPKT_PKT0_S8_ifPKiSA_SA_iPKfiiiPfSD_PS3_PT2_iSC_SC_.numbered_sgpr, max(33, .L__assert_fail.numbered_sgpr)
	.set _Z39paged_attention_ll4mi_QKV_mfma16_kernelI14__hip_bfloat16S0_LN4vllm18Fp8KVCacheDataTypeE0ES0_Li16ELi128ELi256ELb0ELi15EEvPKT_PKT0_S8_ifPKiSA_SA_iPKfiiiPfSD_PS3_PT2_iSC_SC_.num_named_barrier, max(0, .L__assert_fail.num_named_barrier)
	.set _Z39paged_attention_ll4mi_QKV_mfma16_kernelI14__hip_bfloat16S0_LN4vllm18Fp8KVCacheDataTypeE0ES0_Li16ELi128ELi256ELb0ELi15EEvPKT_PKT0_S8_ifPKiSA_SA_iPKfiiiPfSD_PS3_PT2_iSC_SC_.private_seg_size, 0+max(.L__assert_fail.private_seg_size)
	.set _Z39paged_attention_ll4mi_QKV_mfma16_kernelI14__hip_bfloat16S0_LN4vllm18Fp8KVCacheDataTypeE0ES0_Li16ELi128ELi256ELb0ELi15EEvPKT_PKT0_S8_ifPKiSA_SA_iPKfiiiPfSD_PS3_PT2_iSC_SC_.uses_vcc, or(1, .L__assert_fail.uses_vcc)
	.set _Z39paged_attention_ll4mi_QKV_mfma16_kernelI14__hip_bfloat16S0_LN4vllm18Fp8KVCacheDataTypeE0ES0_Li16ELi128ELi256ELb0ELi15EEvPKT_PKT0_S8_ifPKiSA_SA_iPKfiiiPfSD_PS3_PT2_iSC_SC_.uses_flat_scratch, or(0, .L__assert_fail.uses_flat_scratch)
	.set _Z39paged_attention_ll4mi_QKV_mfma16_kernelI14__hip_bfloat16S0_LN4vllm18Fp8KVCacheDataTypeE0ES0_Li16ELi128ELi256ELb0ELi15EEvPKT_PKT0_S8_ifPKiSA_SA_iPKfiiiPfSD_PS3_PT2_iSC_SC_.has_dyn_sized_stack, or(0, .L__assert_fail.has_dyn_sized_stack)
	.set _Z39paged_attention_ll4mi_QKV_mfma16_kernelI14__hip_bfloat16S0_LN4vllm18Fp8KVCacheDataTypeE0ES0_Li16ELi128ELi256ELb0ELi15EEvPKT_PKT0_S8_ifPKiSA_SA_iPKfiiiPfSD_PS3_PT2_iSC_SC_.has_recursion, or(0, .L__assert_fail.has_recursion)
	.set _Z39paged_attention_ll4mi_QKV_mfma16_kernelI14__hip_bfloat16S0_LN4vllm18Fp8KVCacheDataTypeE0ES0_Li16ELi128ELi256ELb0ELi15EEvPKT_PKT0_S8_ifPKiSA_SA_iPKfiiiPfSD_PS3_PT2_iSC_SC_.has_indirect_call, or(0, .L__assert_fail.has_indirect_call)
	.section	.AMDGPU.csdata,"",@progbits
; Kernel info:
; codeLenInByte = 68
; TotalNumSgprs: 36
; NumVgprs: 51
; ScratchSize: 64
; MemoryBound: 0
; FloatMode: 240
; IeeeMode: 1
; LDSByteSize: 0 bytes/workgroup (compile time only)
; SGPRBlocks: 0
; VGPRBlocks: 3
; NumSGPRsForWavesPerEU: 36
; NumVGPRsForWavesPerEU: 51
; NamedBarCnt: 0
; Occupancy: 16
; WaveLimiterHint : 1
; COMPUTE_PGM_RSRC2:SCRATCH_EN: 1
; COMPUTE_PGM_RSRC2:USER_SGPR: 2
; COMPUTE_PGM_RSRC2:TRAP_HANDLER: 0
; COMPUTE_PGM_RSRC2:TGID_X_EN: 1
; COMPUTE_PGM_RSRC2:TGID_Y_EN: 0
; COMPUTE_PGM_RSRC2:TGID_Z_EN: 0
; COMPUTE_PGM_RSRC2:TIDIG_COMP_CNT: 0
	.section	.text._Z39paged_attention_ll4mi_QKV_mfma16_kernelI14__hip_bfloat16S0_LN4vllm18Fp8KVCacheDataTypeE0ES0_Li16ELi128ELi256ELb0ELi16EEvPKT_PKT0_S8_ifPKiSA_SA_iPKfiiiPfSD_PS3_PT2_iSC_SC_,"axG",@progbits,_Z39paged_attention_ll4mi_QKV_mfma16_kernelI14__hip_bfloat16S0_LN4vllm18Fp8KVCacheDataTypeE0ES0_Li16ELi128ELi256ELb0ELi16EEvPKT_PKT0_S8_ifPKiSA_SA_iPKfiiiPfSD_PS3_PT2_iSC_SC_,comdat
	.protected	_Z39paged_attention_ll4mi_QKV_mfma16_kernelI14__hip_bfloat16S0_LN4vllm18Fp8KVCacheDataTypeE0ES0_Li16ELi128ELi256ELb0ELi16EEvPKT_PKT0_S8_ifPKiSA_SA_iPKfiiiPfSD_PS3_PT2_iSC_SC_ ; -- Begin function _Z39paged_attention_ll4mi_QKV_mfma16_kernelI14__hip_bfloat16S0_LN4vllm18Fp8KVCacheDataTypeE0ES0_Li16ELi128ELi256ELb0ELi16EEvPKT_PKT0_S8_ifPKiSA_SA_iPKfiiiPfSD_PS3_PT2_iSC_SC_
	.globl	_Z39paged_attention_ll4mi_QKV_mfma16_kernelI14__hip_bfloat16S0_LN4vllm18Fp8KVCacheDataTypeE0ES0_Li16ELi128ELi256ELb0ELi16EEvPKT_PKT0_S8_ifPKiSA_SA_iPKfiiiPfSD_PS3_PT2_iSC_SC_
	.p2align	8
	.type	_Z39paged_attention_ll4mi_QKV_mfma16_kernelI14__hip_bfloat16S0_LN4vllm18Fp8KVCacheDataTypeE0ES0_Li16ELi128ELi256ELb0ELi16EEvPKT_PKT0_S8_ifPKiSA_SA_iPKfiiiPfSD_PS3_PT2_iSC_SC_,@function
_Z39paged_attention_ll4mi_QKV_mfma16_kernelI14__hip_bfloat16S0_LN4vllm18Fp8KVCacheDataTypeE0ES0_Li16ELi128ELi256ELb0ELi16EEvPKT_PKT0_S8_ifPKiSA_SA_iPKfiiiPfSD_PS3_PT2_iSC_SC_: ; @_Z39paged_attention_ll4mi_QKV_mfma16_kernelI14__hip_bfloat16S0_LN4vllm18Fp8KVCacheDataTypeE0ES0_Li16ELi128ELi256ELb0ELi16EEvPKT_PKT0_S8_ifPKiSA_SA_iPKfiiiPfSD_PS3_PT2_iSC_SC_
; %bb.0:
	s_get_pc_i64 s[2:3]
	s_add_nc_u64 s[2:3], s[2:3], __PRETTY_FUNCTION__._Z39paged_attention_ll4mi_QKV_mfma16_kernelI14__hip_bfloat16S0_LN4vllm18Fp8KVCacheDataTypeE0ES0_Li16ELi128ELi256ELb0ELi16EEvPKT_PKT0_S8_ifPKiSA_SA_iPKfiiiPfSD_PS3_PT2_iSC_SC_@rel64+4
	s_delay_alu instid0(SALU_CYCLE_1)
	v_dual_mov_b32 v0, 0xbb3 :: v_dual_mov_b32 v1, s2
	v_mov_b32_e32 v2, s3
	s_add_nc_u64 s[8:9], s[0:1], 0x90
	s_get_pc_i64 s[0:1]
	s_add_nc_u64 s[0:1], s[0:1], __assert_fail@rel64+4
	s_mov_b32 s32, 0
	s_swap_pc_i64 s[30:31], s[0:1]
	.section	.rodata,"a",@progbits
	.p2align	6, 0x0
	.amdhsa_kernel _Z39paged_attention_ll4mi_QKV_mfma16_kernelI14__hip_bfloat16S0_LN4vllm18Fp8KVCacheDataTypeE0ES0_Li16ELi128ELi256ELb0ELi16EEvPKT_PKT0_S8_ifPKiSA_SA_iPKfiiiPfSD_PS3_PT2_iSC_SC_
		.amdhsa_group_segment_fixed_size 0
		.amdhsa_private_segment_fixed_size 64
		.amdhsa_kernarg_size 400
		.amdhsa_user_sgpr_count 2
		.amdhsa_user_sgpr_dispatch_ptr 0
		.amdhsa_user_sgpr_queue_ptr 0
		.amdhsa_user_sgpr_kernarg_segment_ptr 1
		.amdhsa_user_sgpr_dispatch_id 0
		.amdhsa_user_sgpr_kernarg_preload_length 0
		.amdhsa_user_sgpr_kernarg_preload_offset 0
		.amdhsa_user_sgpr_private_segment_size 0
		.amdhsa_wavefront_size32 1
		.amdhsa_uses_dynamic_stack 0
		.amdhsa_enable_private_segment 1
		.amdhsa_system_sgpr_workgroup_id_x 1
		.amdhsa_system_sgpr_workgroup_id_y 0
		.amdhsa_system_sgpr_workgroup_id_z 0
		.amdhsa_system_sgpr_workgroup_info 0
		.amdhsa_system_vgpr_workitem_id 0
		.amdhsa_next_free_vgpr 51
		.amdhsa_next_free_sgpr 34
		.amdhsa_named_barrier_count 0
		.amdhsa_reserve_vcc 1
		.amdhsa_float_round_mode_32 0
		.amdhsa_float_round_mode_16_64 0
		.amdhsa_float_denorm_mode_32 3
		.amdhsa_float_denorm_mode_16_64 3
		.amdhsa_fp16_overflow 0
		.amdhsa_memory_ordered 1
		.amdhsa_forward_progress 1
		.amdhsa_inst_pref_size 1
		.amdhsa_round_robin_scheduling 0
		.amdhsa_exception_fp_ieee_invalid_op 0
		.amdhsa_exception_fp_denorm_src 0
		.amdhsa_exception_fp_ieee_div_zero 0
		.amdhsa_exception_fp_ieee_overflow 0
		.amdhsa_exception_fp_ieee_underflow 0
		.amdhsa_exception_fp_ieee_inexact 0
		.amdhsa_exception_int_div_zero 0
	.end_amdhsa_kernel
	.section	.text._Z39paged_attention_ll4mi_QKV_mfma16_kernelI14__hip_bfloat16S0_LN4vllm18Fp8KVCacheDataTypeE0ES0_Li16ELi128ELi256ELb0ELi16EEvPKT_PKT0_S8_ifPKiSA_SA_iPKfiiiPfSD_PS3_PT2_iSC_SC_,"axG",@progbits,_Z39paged_attention_ll4mi_QKV_mfma16_kernelI14__hip_bfloat16S0_LN4vllm18Fp8KVCacheDataTypeE0ES0_Li16ELi128ELi256ELb0ELi16EEvPKT_PKT0_S8_ifPKiSA_SA_iPKfiiiPfSD_PS3_PT2_iSC_SC_,comdat
.Lfunc_end685:
	.size	_Z39paged_attention_ll4mi_QKV_mfma16_kernelI14__hip_bfloat16S0_LN4vllm18Fp8KVCacheDataTypeE0ES0_Li16ELi128ELi256ELb0ELi16EEvPKT_PKT0_S8_ifPKiSA_SA_iPKfiiiPfSD_PS3_PT2_iSC_SC_, .Lfunc_end685-_Z39paged_attention_ll4mi_QKV_mfma16_kernelI14__hip_bfloat16S0_LN4vllm18Fp8KVCacheDataTypeE0ES0_Li16ELi128ELi256ELb0ELi16EEvPKT_PKT0_S8_ifPKiSA_SA_iPKfiiiPfSD_PS3_PT2_iSC_SC_
                                        ; -- End function
	.set _Z39paged_attention_ll4mi_QKV_mfma16_kernelI14__hip_bfloat16S0_LN4vllm18Fp8KVCacheDataTypeE0ES0_Li16ELi128ELi256ELb0ELi16EEvPKT_PKT0_S8_ifPKiSA_SA_iPKfiiiPfSD_PS3_PT2_iSC_SC_.num_vgpr, max(3, .L__assert_fail.num_vgpr)
	.set _Z39paged_attention_ll4mi_QKV_mfma16_kernelI14__hip_bfloat16S0_LN4vllm18Fp8KVCacheDataTypeE0ES0_Li16ELi128ELi256ELb0ELi16EEvPKT_PKT0_S8_ifPKiSA_SA_iPKfiiiPfSD_PS3_PT2_iSC_SC_.num_agpr, max(0, .L__assert_fail.num_agpr)
	.set _Z39paged_attention_ll4mi_QKV_mfma16_kernelI14__hip_bfloat16S0_LN4vllm18Fp8KVCacheDataTypeE0ES0_Li16ELi128ELi256ELb0ELi16EEvPKT_PKT0_S8_ifPKiSA_SA_iPKfiiiPfSD_PS3_PT2_iSC_SC_.numbered_sgpr, max(33, .L__assert_fail.numbered_sgpr)
	.set _Z39paged_attention_ll4mi_QKV_mfma16_kernelI14__hip_bfloat16S0_LN4vllm18Fp8KVCacheDataTypeE0ES0_Li16ELi128ELi256ELb0ELi16EEvPKT_PKT0_S8_ifPKiSA_SA_iPKfiiiPfSD_PS3_PT2_iSC_SC_.num_named_barrier, max(0, .L__assert_fail.num_named_barrier)
	.set _Z39paged_attention_ll4mi_QKV_mfma16_kernelI14__hip_bfloat16S0_LN4vllm18Fp8KVCacheDataTypeE0ES0_Li16ELi128ELi256ELb0ELi16EEvPKT_PKT0_S8_ifPKiSA_SA_iPKfiiiPfSD_PS3_PT2_iSC_SC_.private_seg_size, 0+max(.L__assert_fail.private_seg_size)
	.set _Z39paged_attention_ll4mi_QKV_mfma16_kernelI14__hip_bfloat16S0_LN4vllm18Fp8KVCacheDataTypeE0ES0_Li16ELi128ELi256ELb0ELi16EEvPKT_PKT0_S8_ifPKiSA_SA_iPKfiiiPfSD_PS3_PT2_iSC_SC_.uses_vcc, or(1, .L__assert_fail.uses_vcc)
	.set _Z39paged_attention_ll4mi_QKV_mfma16_kernelI14__hip_bfloat16S0_LN4vllm18Fp8KVCacheDataTypeE0ES0_Li16ELi128ELi256ELb0ELi16EEvPKT_PKT0_S8_ifPKiSA_SA_iPKfiiiPfSD_PS3_PT2_iSC_SC_.uses_flat_scratch, or(0, .L__assert_fail.uses_flat_scratch)
	.set _Z39paged_attention_ll4mi_QKV_mfma16_kernelI14__hip_bfloat16S0_LN4vllm18Fp8KVCacheDataTypeE0ES0_Li16ELi128ELi256ELb0ELi16EEvPKT_PKT0_S8_ifPKiSA_SA_iPKfiiiPfSD_PS3_PT2_iSC_SC_.has_dyn_sized_stack, or(0, .L__assert_fail.has_dyn_sized_stack)
	.set _Z39paged_attention_ll4mi_QKV_mfma16_kernelI14__hip_bfloat16S0_LN4vllm18Fp8KVCacheDataTypeE0ES0_Li16ELi128ELi256ELb0ELi16EEvPKT_PKT0_S8_ifPKiSA_SA_iPKfiiiPfSD_PS3_PT2_iSC_SC_.has_recursion, or(0, .L__assert_fail.has_recursion)
	.set _Z39paged_attention_ll4mi_QKV_mfma16_kernelI14__hip_bfloat16S0_LN4vllm18Fp8KVCacheDataTypeE0ES0_Li16ELi128ELi256ELb0ELi16EEvPKT_PKT0_S8_ifPKiSA_SA_iPKfiiiPfSD_PS3_PT2_iSC_SC_.has_indirect_call, or(0, .L__assert_fail.has_indirect_call)
	.section	.AMDGPU.csdata,"",@progbits
; Kernel info:
; codeLenInByte = 68
; TotalNumSgprs: 36
; NumVgprs: 51
; ScratchSize: 64
; MemoryBound: 0
; FloatMode: 240
; IeeeMode: 1
; LDSByteSize: 0 bytes/workgroup (compile time only)
; SGPRBlocks: 0
; VGPRBlocks: 3
; NumSGPRsForWavesPerEU: 36
; NumVGPRsForWavesPerEU: 51
; NamedBarCnt: 0
; Occupancy: 16
; WaveLimiterHint : 1
; COMPUTE_PGM_RSRC2:SCRATCH_EN: 1
; COMPUTE_PGM_RSRC2:USER_SGPR: 2
; COMPUTE_PGM_RSRC2:TRAP_HANDLER: 0
; COMPUTE_PGM_RSRC2:TGID_X_EN: 1
; COMPUTE_PGM_RSRC2:TGID_Y_EN: 0
; COMPUTE_PGM_RSRC2:TGID_Z_EN: 0
; COMPUTE_PGM_RSRC2:TIDIG_COMP_CNT: 0
	.section	.text._Z39paged_attention_ll4mi_QKV_mfma16_kernelI14__hip_bfloat16S0_LN4vllm18Fp8KVCacheDataTypeE0ES0_Li16ELi128ELi256ELb0ELi1EEvPKT_PKT0_S8_ifPKiSA_SA_iPKfiiiPfSD_PS3_PT2_iSC_SC_,"axG",@progbits,_Z39paged_attention_ll4mi_QKV_mfma16_kernelI14__hip_bfloat16S0_LN4vllm18Fp8KVCacheDataTypeE0ES0_Li16ELi128ELi256ELb0ELi1EEvPKT_PKT0_S8_ifPKiSA_SA_iPKfiiiPfSD_PS3_PT2_iSC_SC_,comdat
	.protected	_Z39paged_attention_ll4mi_QKV_mfma16_kernelI14__hip_bfloat16S0_LN4vllm18Fp8KVCacheDataTypeE0ES0_Li16ELi128ELi256ELb0ELi1EEvPKT_PKT0_S8_ifPKiSA_SA_iPKfiiiPfSD_PS3_PT2_iSC_SC_ ; -- Begin function _Z39paged_attention_ll4mi_QKV_mfma16_kernelI14__hip_bfloat16S0_LN4vllm18Fp8KVCacheDataTypeE0ES0_Li16ELi128ELi256ELb0ELi1EEvPKT_PKT0_S8_ifPKiSA_SA_iPKfiiiPfSD_PS3_PT2_iSC_SC_
	.globl	_Z39paged_attention_ll4mi_QKV_mfma16_kernelI14__hip_bfloat16S0_LN4vllm18Fp8KVCacheDataTypeE0ES0_Li16ELi128ELi256ELb0ELi1EEvPKT_PKT0_S8_ifPKiSA_SA_iPKfiiiPfSD_PS3_PT2_iSC_SC_
	.p2align	8
	.type	_Z39paged_attention_ll4mi_QKV_mfma16_kernelI14__hip_bfloat16S0_LN4vllm18Fp8KVCacheDataTypeE0ES0_Li16ELi128ELi256ELb0ELi1EEvPKT_PKT0_S8_ifPKiSA_SA_iPKfiiiPfSD_PS3_PT2_iSC_SC_,@function
_Z39paged_attention_ll4mi_QKV_mfma16_kernelI14__hip_bfloat16S0_LN4vllm18Fp8KVCacheDataTypeE0ES0_Li16ELi128ELi256ELb0ELi1EEvPKT_PKT0_S8_ifPKiSA_SA_iPKfiiiPfSD_PS3_PT2_iSC_SC_: ; @_Z39paged_attention_ll4mi_QKV_mfma16_kernelI14__hip_bfloat16S0_LN4vllm18Fp8KVCacheDataTypeE0ES0_Li16ELi128ELi256ELb0ELi1EEvPKT_PKT0_S8_ifPKiSA_SA_iPKfiiiPfSD_PS3_PT2_iSC_SC_
; %bb.0:
	s_get_pc_i64 s[2:3]
	s_add_nc_u64 s[2:3], s[2:3], __PRETTY_FUNCTION__._Z39paged_attention_ll4mi_QKV_mfma16_kernelI14__hip_bfloat16S0_LN4vllm18Fp8KVCacheDataTypeE0ES0_Li16ELi128ELi256ELb0ELi1EEvPKT_PKT0_S8_ifPKiSA_SA_iPKfiiiPfSD_PS3_PT2_iSC_SC_@rel64+4
	s_delay_alu instid0(SALU_CYCLE_1)
	v_dual_mov_b32 v0, 0xbb3 :: v_dual_mov_b32 v1, s2
	v_mov_b32_e32 v2, s3
	s_add_nc_u64 s[8:9], s[0:1], 0x90
	s_get_pc_i64 s[0:1]
	s_add_nc_u64 s[0:1], s[0:1], __assert_fail@rel64+4
	s_mov_b32 s32, 0
	s_swap_pc_i64 s[30:31], s[0:1]
	.section	.rodata,"a",@progbits
	.p2align	6, 0x0
	.amdhsa_kernel _Z39paged_attention_ll4mi_QKV_mfma16_kernelI14__hip_bfloat16S0_LN4vllm18Fp8KVCacheDataTypeE0ES0_Li16ELi128ELi256ELb0ELi1EEvPKT_PKT0_S8_ifPKiSA_SA_iPKfiiiPfSD_PS3_PT2_iSC_SC_
		.amdhsa_group_segment_fixed_size 0
		.amdhsa_private_segment_fixed_size 64
		.amdhsa_kernarg_size 400
		.amdhsa_user_sgpr_count 2
		.amdhsa_user_sgpr_dispatch_ptr 0
		.amdhsa_user_sgpr_queue_ptr 0
		.amdhsa_user_sgpr_kernarg_segment_ptr 1
		.amdhsa_user_sgpr_dispatch_id 0
		.amdhsa_user_sgpr_kernarg_preload_length 0
		.amdhsa_user_sgpr_kernarg_preload_offset 0
		.amdhsa_user_sgpr_private_segment_size 0
		.amdhsa_wavefront_size32 1
		.amdhsa_uses_dynamic_stack 0
		.amdhsa_enable_private_segment 1
		.amdhsa_system_sgpr_workgroup_id_x 1
		.amdhsa_system_sgpr_workgroup_id_y 0
		.amdhsa_system_sgpr_workgroup_id_z 0
		.amdhsa_system_sgpr_workgroup_info 0
		.amdhsa_system_vgpr_workitem_id 0
		.amdhsa_next_free_vgpr 51
		.amdhsa_next_free_sgpr 34
		.amdhsa_named_barrier_count 0
		.amdhsa_reserve_vcc 1
		.amdhsa_float_round_mode_32 0
		.amdhsa_float_round_mode_16_64 0
		.amdhsa_float_denorm_mode_32 3
		.amdhsa_float_denorm_mode_16_64 3
		.amdhsa_fp16_overflow 0
		.amdhsa_memory_ordered 1
		.amdhsa_forward_progress 1
		.amdhsa_inst_pref_size 1
		.amdhsa_round_robin_scheduling 0
		.amdhsa_exception_fp_ieee_invalid_op 0
		.amdhsa_exception_fp_denorm_src 0
		.amdhsa_exception_fp_ieee_div_zero 0
		.amdhsa_exception_fp_ieee_overflow 0
		.amdhsa_exception_fp_ieee_underflow 0
		.amdhsa_exception_fp_ieee_inexact 0
		.amdhsa_exception_int_div_zero 0
	.end_amdhsa_kernel
	.section	.text._Z39paged_attention_ll4mi_QKV_mfma16_kernelI14__hip_bfloat16S0_LN4vllm18Fp8KVCacheDataTypeE0ES0_Li16ELi128ELi256ELb0ELi1EEvPKT_PKT0_S8_ifPKiSA_SA_iPKfiiiPfSD_PS3_PT2_iSC_SC_,"axG",@progbits,_Z39paged_attention_ll4mi_QKV_mfma16_kernelI14__hip_bfloat16S0_LN4vllm18Fp8KVCacheDataTypeE0ES0_Li16ELi128ELi256ELb0ELi1EEvPKT_PKT0_S8_ifPKiSA_SA_iPKfiiiPfSD_PS3_PT2_iSC_SC_,comdat
.Lfunc_end686:
	.size	_Z39paged_attention_ll4mi_QKV_mfma16_kernelI14__hip_bfloat16S0_LN4vllm18Fp8KVCacheDataTypeE0ES0_Li16ELi128ELi256ELb0ELi1EEvPKT_PKT0_S8_ifPKiSA_SA_iPKfiiiPfSD_PS3_PT2_iSC_SC_, .Lfunc_end686-_Z39paged_attention_ll4mi_QKV_mfma16_kernelI14__hip_bfloat16S0_LN4vllm18Fp8KVCacheDataTypeE0ES0_Li16ELi128ELi256ELb0ELi1EEvPKT_PKT0_S8_ifPKiSA_SA_iPKfiiiPfSD_PS3_PT2_iSC_SC_
                                        ; -- End function
	.set _Z39paged_attention_ll4mi_QKV_mfma16_kernelI14__hip_bfloat16S0_LN4vllm18Fp8KVCacheDataTypeE0ES0_Li16ELi128ELi256ELb0ELi1EEvPKT_PKT0_S8_ifPKiSA_SA_iPKfiiiPfSD_PS3_PT2_iSC_SC_.num_vgpr, max(3, .L__assert_fail.num_vgpr)
	.set _Z39paged_attention_ll4mi_QKV_mfma16_kernelI14__hip_bfloat16S0_LN4vllm18Fp8KVCacheDataTypeE0ES0_Li16ELi128ELi256ELb0ELi1EEvPKT_PKT0_S8_ifPKiSA_SA_iPKfiiiPfSD_PS3_PT2_iSC_SC_.num_agpr, max(0, .L__assert_fail.num_agpr)
	.set _Z39paged_attention_ll4mi_QKV_mfma16_kernelI14__hip_bfloat16S0_LN4vllm18Fp8KVCacheDataTypeE0ES0_Li16ELi128ELi256ELb0ELi1EEvPKT_PKT0_S8_ifPKiSA_SA_iPKfiiiPfSD_PS3_PT2_iSC_SC_.numbered_sgpr, max(33, .L__assert_fail.numbered_sgpr)
	.set _Z39paged_attention_ll4mi_QKV_mfma16_kernelI14__hip_bfloat16S0_LN4vllm18Fp8KVCacheDataTypeE0ES0_Li16ELi128ELi256ELb0ELi1EEvPKT_PKT0_S8_ifPKiSA_SA_iPKfiiiPfSD_PS3_PT2_iSC_SC_.num_named_barrier, max(0, .L__assert_fail.num_named_barrier)
	.set _Z39paged_attention_ll4mi_QKV_mfma16_kernelI14__hip_bfloat16S0_LN4vllm18Fp8KVCacheDataTypeE0ES0_Li16ELi128ELi256ELb0ELi1EEvPKT_PKT0_S8_ifPKiSA_SA_iPKfiiiPfSD_PS3_PT2_iSC_SC_.private_seg_size, 0+max(.L__assert_fail.private_seg_size)
	.set _Z39paged_attention_ll4mi_QKV_mfma16_kernelI14__hip_bfloat16S0_LN4vllm18Fp8KVCacheDataTypeE0ES0_Li16ELi128ELi256ELb0ELi1EEvPKT_PKT0_S8_ifPKiSA_SA_iPKfiiiPfSD_PS3_PT2_iSC_SC_.uses_vcc, or(1, .L__assert_fail.uses_vcc)
	.set _Z39paged_attention_ll4mi_QKV_mfma16_kernelI14__hip_bfloat16S0_LN4vllm18Fp8KVCacheDataTypeE0ES0_Li16ELi128ELi256ELb0ELi1EEvPKT_PKT0_S8_ifPKiSA_SA_iPKfiiiPfSD_PS3_PT2_iSC_SC_.uses_flat_scratch, or(0, .L__assert_fail.uses_flat_scratch)
	.set _Z39paged_attention_ll4mi_QKV_mfma16_kernelI14__hip_bfloat16S0_LN4vllm18Fp8KVCacheDataTypeE0ES0_Li16ELi128ELi256ELb0ELi1EEvPKT_PKT0_S8_ifPKiSA_SA_iPKfiiiPfSD_PS3_PT2_iSC_SC_.has_dyn_sized_stack, or(0, .L__assert_fail.has_dyn_sized_stack)
	.set _Z39paged_attention_ll4mi_QKV_mfma16_kernelI14__hip_bfloat16S0_LN4vllm18Fp8KVCacheDataTypeE0ES0_Li16ELi128ELi256ELb0ELi1EEvPKT_PKT0_S8_ifPKiSA_SA_iPKfiiiPfSD_PS3_PT2_iSC_SC_.has_recursion, or(0, .L__assert_fail.has_recursion)
	.set _Z39paged_attention_ll4mi_QKV_mfma16_kernelI14__hip_bfloat16S0_LN4vllm18Fp8KVCacheDataTypeE0ES0_Li16ELi128ELi256ELb0ELi1EEvPKT_PKT0_S8_ifPKiSA_SA_iPKfiiiPfSD_PS3_PT2_iSC_SC_.has_indirect_call, or(0, .L__assert_fail.has_indirect_call)
	.section	.AMDGPU.csdata,"",@progbits
; Kernel info:
; codeLenInByte = 68
; TotalNumSgprs: 36
; NumVgprs: 51
; ScratchSize: 64
; MemoryBound: 0
; FloatMode: 240
; IeeeMode: 1
; LDSByteSize: 0 bytes/workgroup (compile time only)
; SGPRBlocks: 0
; VGPRBlocks: 3
; NumSGPRsForWavesPerEU: 36
; NumVGPRsForWavesPerEU: 51
; NamedBarCnt: 0
; Occupancy: 16
; WaveLimiterHint : 1
; COMPUTE_PGM_RSRC2:SCRATCH_EN: 1
; COMPUTE_PGM_RSRC2:USER_SGPR: 2
; COMPUTE_PGM_RSRC2:TRAP_HANDLER: 0
; COMPUTE_PGM_RSRC2:TGID_X_EN: 1
; COMPUTE_PGM_RSRC2:TGID_Y_EN: 0
; COMPUTE_PGM_RSRC2:TGID_Z_EN: 0
; COMPUTE_PGM_RSRC2:TIDIG_COMP_CNT: 0
	.section	.text._Z39paged_attention_ll4mi_QKV_mfma16_kernelI14__hip_bfloat16S0_LN4vllm18Fp8KVCacheDataTypeE0ES0_Li16ELi128ELi256ELb0ELi2EEvPKT_PKT0_S8_ifPKiSA_SA_iPKfiiiPfSD_PS3_PT2_iSC_SC_,"axG",@progbits,_Z39paged_attention_ll4mi_QKV_mfma16_kernelI14__hip_bfloat16S0_LN4vllm18Fp8KVCacheDataTypeE0ES0_Li16ELi128ELi256ELb0ELi2EEvPKT_PKT0_S8_ifPKiSA_SA_iPKfiiiPfSD_PS3_PT2_iSC_SC_,comdat
	.protected	_Z39paged_attention_ll4mi_QKV_mfma16_kernelI14__hip_bfloat16S0_LN4vllm18Fp8KVCacheDataTypeE0ES0_Li16ELi128ELi256ELb0ELi2EEvPKT_PKT0_S8_ifPKiSA_SA_iPKfiiiPfSD_PS3_PT2_iSC_SC_ ; -- Begin function _Z39paged_attention_ll4mi_QKV_mfma16_kernelI14__hip_bfloat16S0_LN4vllm18Fp8KVCacheDataTypeE0ES0_Li16ELi128ELi256ELb0ELi2EEvPKT_PKT0_S8_ifPKiSA_SA_iPKfiiiPfSD_PS3_PT2_iSC_SC_
	.globl	_Z39paged_attention_ll4mi_QKV_mfma16_kernelI14__hip_bfloat16S0_LN4vllm18Fp8KVCacheDataTypeE0ES0_Li16ELi128ELi256ELb0ELi2EEvPKT_PKT0_S8_ifPKiSA_SA_iPKfiiiPfSD_PS3_PT2_iSC_SC_
	.p2align	8
	.type	_Z39paged_attention_ll4mi_QKV_mfma16_kernelI14__hip_bfloat16S0_LN4vllm18Fp8KVCacheDataTypeE0ES0_Li16ELi128ELi256ELb0ELi2EEvPKT_PKT0_S8_ifPKiSA_SA_iPKfiiiPfSD_PS3_PT2_iSC_SC_,@function
_Z39paged_attention_ll4mi_QKV_mfma16_kernelI14__hip_bfloat16S0_LN4vllm18Fp8KVCacheDataTypeE0ES0_Li16ELi128ELi256ELb0ELi2EEvPKT_PKT0_S8_ifPKiSA_SA_iPKfiiiPfSD_PS3_PT2_iSC_SC_: ; @_Z39paged_attention_ll4mi_QKV_mfma16_kernelI14__hip_bfloat16S0_LN4vllm18Fp8KVCacheDataTypeE0ES0_Li16ELi128ELi256ELb0ELi2EEvPKT_PKT0_S8_ifPKiSA_SA_iPKfiiiPfSD_PS3_PT2_iSC_SC_
; %bb.0:
	s_get_pc_i64 s[2:3]
	s_add_nc_u64 s[2:3], s[2:3], __PRETTY_FUNCTION__._Z39paged_attention_ll4mi_QKV_mfma16_kernelI14__hip_bfloat16S0_LN4vllm18Fp8KVCacheDataTypeE0ES0_Li16ELi128ELi256ELb0ELi2EEvPKT_PKT0_S8_ifPKiSA_SA_iPKfiiiPfSD_PS3_PT2_iSC_SC_@rel64+4
	s_delay_alu instid0(SALU_CYCLE_1)
	v_dual_mov_b32 v0, 0xbb3 :: v_dual_mov_b32 v1, s2
	v_mov_b32_e32 v2, s3
	s_add_nc_u64 s[8:9], s[0:1], 0x90
	s_get_pc_i64 s[0:1]
	s_add_nc_u64 s[0:1], s[0:1], __assert_fail@rel64+4
	s_mov_b32 s32, 0
	s_swap_pc_i64 s[30:31], s[0:1]
	.section	.rodata,"a",@progbits
	.p2align	6, 0x0
	.amdhsa_kernel _Z39paged_attention_ll4mi_QKV_mfma16_kernelI14__hip_bfloat16S0_LN4vllm18Fp8KVCacheDataTypeE0ES0_Li16ELi128ELi256ELb0ELi2EEvPKT_PKT0_S8_ifPKiSA_SA_iPKfiiiPfSD_PS3_PT2_iSC_SC_
		.amdhsa_group_segment_fixed_size 0
		.amdhsa_private_segment_fixed_size 64
		.amdhsa_kernarg_size 400
		.amdhsa_user_sgpr_count 2
		.amdhsa_user_sgpr_dispatch_ptr 0
		.amdhsa_user_sgpr_queue_ptr 0
		.amdhsa_user_sgpr_kernarg_segment_ptr 1
		.amdhsa_user_sgpr_dispatch_id 0
		.amdhsa_user_sgpr_kernarg_preload_length 0
		.amdhsa_user_sgpr_kernarg_preload_offset 0
		.amdhsa_user_sgpr_private_segment_size 0
		.amdhsa_wavefront_size32 1
		.amdhsa_uses_dynamic_stack 0
		.amdhsa_enable_private_segment 1
		.amdhsa_system_sgpr_workgroup_id_x 1
		.amdhsa_system_sgpr_workgroup_id_y 0
		.amdhsa_system_sgpr_workgroup_id_z 0
		.amdhsa_system_sgpr_workgroup_info 0
		.amdhsa_system_vgpr_workitem_id 0
		.amdhsa_next_free_vgpr 51
		.amdhsa_next_free_sgpr 34
		.amdhsa_named_barrier_count 0
		.amdhsa_reserve_vcc 1
		.amdhsa_float_round_mode_32 0
		.amdhsa_float_round_mode_16_64 0
		.amdhsa_float_denorm_mode_32 3
		.amdhsa_float_denorm_mode_16_64 3
		.amdhsa_fp16_overflow 0
		.amdhsa_memory_ordered 1
		.amdhsa_forward_progress 1
		.amdhsa_inst_pref_size 1
		.amdhsa_round_robin_scheduling 0
		.amdhsa_exception_fp_ieee_invalid_op 0
		.amdhsa_exception_fp_denorm_src 0
		.amdhsa_exception_fp_ieee_div_zero 0
		.amdhsa_exception_fp_ieee_overflow 0
		.amdhsa_exception_fp_ieee_underflow 0
		.amdhsa_exception_fp_ieee_inexact 0
		.amdhsa_exception_int_div_zero 0
	.end_amdhsa_kernel
	.section	.text._Z39paged_attention_ll4mi_QKV_mfma16_kernelI14__hip_bfloat16S0_LN4vllm18Fp8KVCacheDataTypeE0ES0_Li16ELi128ELi256ELb0ELi2EEvPKT_PKT0_S8_ifPKiSA_SA_iPKfiiiPfSD_PS3_PT2_iSC_SC_,"axG",@progbits,_Z39paged_attention_ll4mi_QKV_mfma16_kernelI14__hip_bfloat16S0_LN4vllm18Fp8KVCacheDataTypeE0ES0_Li16ELi128ELi256ELb0ELi2EEvPKT_PKT0_S8_ifPKiSA_SA_iPKfiiiPfSD_PS3_PT2_iSC_SC_,comdat
.Lfunc_end687:
	.size	_Z39paged_attention_ll4mi_QKV_mfma16_kernelI14__hip_bfloat16S0_LN4vllm18Fp8KVCacheDataTypeE0ES0_Li16ELi128ELi256ELb0ELi2EEvPKT_PKT0_S8_ifPKiSA_SA_iPKfiiiPfSD_PS3_PT2_iSC_SC_, .Lfunc_end687-_Z39paged_attention_ll4mi_QKV_mfma16_kernelI14__hip_bfloat16S0_LN4vllm18Fp8KVCacheDataTypeE0ES0_Li16ELi128ELi256ELb0ELi2EEvPKT_PKT0_S8_ifPKiSA_SA_iPKfiiiPfSD_PS3_PT2_iSC_SC_
                                        ; -- End function
	.set _Z39paged_attention_ll4mi_QKV_mfma16_kernelI14__hip_bfloat16S0_LN4vllm18Fp8KVCacheDataTypeE0ES0_Li16ELi128ELi256ELb0ELi2EEvPKT_PKT0_S8_ifPKiSA_SA_iPKfiiiPfSD_PS3_PT2_iSC_SC_.num_vgpr, max(3, .L__assert_fail.num_vgpr)
	.set _Z39paged_attention_ll4mi_QKV_mfma16_kernelI14__hip_bfloat16S0_LN4vllm18Fp8KVCacheDataTypeE0ES0_Li16ELi128ELi256ELb0ELi2EEvPKT_PKT0_S8_ifPKiSA_SA_iPKfiiiPfSD_PS3_PT2_iSC_SC_.num_agpr, max(0, .L__assert_fail.num_agpr)
	.set _Z39paged_attention_ll4mi_QKV_mfma16_kernelI14__hip_bfloat16S0_LN4vllm18Fp8KVCacheDataTypeE0ES0_Li16ELi128ELi256ELb0ELi2EEvPKT_PKT0_S8_ifPKiSA_SA_iPKfiiiPfSD_PS3_PT2_iSC_SC_.numbered_sgpr, max(33, .L__assert_fail.numbered_sgpr)
	.set _Z39paged_attention_ll4mi_QKV_mfma16_kernelI14__hip_bfloat16S0_LN4vllm18Fp8KVCacheDataTypeE0ES0_Li16ELi128ELi256ELb0ELi2EEvPKT_PKT0_S8_ifPKiSA_SA_iPKfiiiPfSD_PS3_PT2_iSC_SC_.num_named_barrier, max(0, .L__assert_fail.num_named_barrier)
	.set _Z39paged_attention_ll4mi_QKV_mfma16_kernelI14__hip_bfloat16S0_LN4vllm18Fp8KVCacheDataTypeE0ES0_Li16ELi128ELi256ELb0ELi2EEvPKT_PKT0_S8_ifPKiSA_SA_iPKfiiiPfSD_PS3_PT2_iSC_SC_.private_seg_size, 0+max(.L__assert_fail.private_seg_size)
	.set _Z39paged_attention_ll4mi_QKV_mfma16_kernelI14__hip_bfloat16S0_LN4vllm18Fp8KVCacheDataTypeE0ES0_Li16ELi128ELi256ELb0ELi2EEvPKT_PKT0_S8_ifPKiSA_SA_iPKfiiiPfSD_PS3_PT2_iSC_SC_.uses_vcc, or(1, .L__assert_fail.uses_vcc)
	.set _Z39paged_attention_ll4mi_QKV_mfma16_kernelI14__hip_bfloat16S0_LN4vllm18Fp8KVCacheDataTypeE0ES0_Li16ELi128ELi256ELb0ELi2EEvPKT_PKT0_S8_ifPKiSA_SA_iPKfiiiPfSD_PS3_PT2_iSC_SC_.uses_flat_scratch, or(0, .L__assert_fail.uses_flat_scratch)
	.set _Z39paged_attention_ll4mi_QKV_mfma16_kernelI14__hip_bfloat16S0_LN4vllm18Fp8KVCacheDataTypeE0ES0_Li16ELi128ELi256ELb0ELi2EEvPKT_PKT0_S8_ifPKiSA_SA_iPKfiiiPfSD_PS3_PT2_iSC_SC_.has_dyn_sized_stack, or(0, .L__assert_fail.has_dyn_sized_stack)
	.set _Z39paged_attention_ll4mi_QKV_mfma16_kernelI14__hip_bfloat16S0_LN4vllm18Fp8KVCacheDataTypeE0ES0_Li16ELi128ELi256ELb0ELi2EEvPKT_PKT0_S8_ifPKiSA_SA_iPKfiiiPfSD_PS3_PT2_iSC_SC_.has_recursion, or(0, .L__assert_fail.has_recursion)
	.set _Z39paged_attention_ll4mi_QKV_mfma16_kernelI14__hip_bfloat16S0_LN4vllm18Fp8KVCacheDataTypeE0ES0_Li16ELi128ELi256ELb0ELi2EEvPKT_PKT0_S8_ifPKiSA_SA_iPKfiiiPfSD_PS3_PT2_iSC_SC_.has_indirect_call, or(0, .L__assert_fail.has_indirect_call)
	.section	.AMDGPU.csdata,"",@progbits
; Kernel info:
; codeLenInByte = 68
; TotalNumSgprs: 36
; NumVgprs: 51
; ScratchSize: 64
; MemoryBound: 0
; FloatMode: 240
; IeeeMode: 1
; LDSByteSize: 0 bytes/workgroup (compile time only)
; SGPRBlocks: 0
; VGPRBlocks: 3
; NumSGPRsForWavesPerEU: 36
; NumVGPRsForWavesPerEU: 51
; NamedBarCnt: 0
; Occupancy: 16
; WaveLimiterHint : 1
; COMPUTE_PGM_RSRC2:SCRATCH_EN: 1
; COMPUTE_PGM_RSRC2:USER_SGPR: 2
; COMPUTE_PGM_RSRC2:TRAP_HANDLER: 0
; COMPUTE_PGM_RSRC2:TGID_X_EN: 1
; COMPUTE_PGM_RSRC2:TGID_Y_EN: 0
; COMPUTE_PGM_RSRC2:TGID_Z_EN: 0
; COMPUTE_PGM_RSRC2:TIDIG_COMP_CNT: 0
	.section	.text._Z39paged_attention_ll4mi_QKV_mfma16_kernelI14__hip_bfloat16S0_LN4vllm18Fp8KVCacheDataTypeE0ES0_Li16ELi128ELi256ELb0ELi3EEvPKT_PKT0_S8_ifPKiSA_SA_iPKfiiiPfSD_PS3_PT2_iSC_SC_,"axG",@progbits,_Z39paged_attention_ll4mi_QKV_mfma16_kernelI14__hip_bfloat16S0_LN4vllm18Fp8KVCacheDataTypeE0ES0_Li16ELi128ELi256ELb0ELi3EEvPKT_PKT0_S8_ifPKiSA_SA_iPKfiiiPfSD_PS3_PT2_iSC_SC_,comdat
	.protected	_Z39paged_attention_ll4mi_QKV_mfma16_kernelI14__hip_bfloat16S0_LN4vllm18Fp8KVCacheDataTypeE0ES0_Li16ELi128ELi256ELb0ELi3EEvPKT_PKT0_S8_ifPKiSA_SA_iPKfiiiPfSD_PS3_PT2_iSC_SC_ ; -- Begin function _Z39paged_attention_ll4mi_QKV_mfma16_kernelI14__hip_bfloat16S0_LN4vllm18Fp8KVCacheDataTypeE0ES0_Li16ELi128ELi256ELb0ELi3EEvPKT_PKT0_S8_ifPKiSA_SA_iPKfiiiPfSD_PS3_PT2_iSC_SC_
	.globl	_Z39paged_attention_ll4mi_QKV_mfma16_kernelI14__hip_bfloat16S0_LN4vllm18Fp8KVCacheDataTypeE0ES0_Li16ELi128ELi256ELb0ELi3EEvPKT_PKT0_S8_ifPKiSA_SA_iPKfiiiPfSD_PS3_PT2_iSC_SC_
	.p2align	8
	.type	_Z39paged_attention_ll4mi_QKV_mfma16_kernelI14__hip_bfloat16S0_LN4vllm18Fp8KVCacheDataTypeE0ES0_Li16ELi128ELi256ELb0ELi3EEvPKT_PKT0_S8_ifPKiSA_SA_iPKfiiiPfSD_PS3_PT2_iSC_SC_,@function
_Z39paged_attention_ll4mi_QKV_mfma16_kernelI14__hip_bfloat16S0_LN4vllm18Fp8KVCacheDataTypeE0ES0_Li16ELi128ELi256ELb0ELi3EEvPKT_PKT0_S8_ifPKiSA_SA_iPKfiiiPfSD_PS3_PT2_iSC_SC_: ; @_Z39paged_attention_ll4mi_QKV_mfma16_kernelI14__hip_bfloat16S0_LN4vllm18Fp8KVCacheDataTypeE0ES0_Li16ELi128ELi256ELb0ELi3EEvPKT_PKT0_S8_ifPKiSA_SA_iPKfiiiPfSD_PS3_PT2_iSC_SC_
; %bb.0:
	s_get_pc_i64 s[2:3]
	s_add_nc_u64 s[2:3], s[2:3], __PRETTY_FUNCTION__._Z39paged_attention_ll4mi_QKV_mfma16_kernelI14__hip_bfloat16S0_LN4vllm18Fp8KVCacheDataTypeE0ES0_Li16ELi128ELi256ELb0ELi3EEvPKT_PKT0_S8_ifPKiSA_SA_iPKfiiiPfSD_PS3_PT2_iSC_SC_@rel64+4
	s_delay_alu instid0(SALU_CYCLE_1)
	v_dual_mov_b32 v0, 0xbb3 :: v_dual_mov_b32 v1, s2
	v_mov_b32_e32 v2, s3
	s_add_nc_u64 s[8:9], s[0:1], 0x90
	s_get_pc_i64 s[0:1]
	s_add_nc_u64 s[0:1], s[0:1], __assert_fail@rel64+4
	s_mov_b32 s32, 0
	s_swap_pc_i64 s[30:31], s[0:1]
	.section	.rodata,"a",@progbits
	.p2align	6, 0x0
	.amdhsa_kernel _Z39paged_attention_ll4mi_QKV_mfma16_kernelI14__hip_bfloat16S0_LN4vllm18Fp8KVCacheDataTypeE0ES0_Li16ELi128ELi256ELb0ELi3EEvPKT_PKT0_S8_ifPKiSA_SA_iPKfiiiPfSD_PS3_PT2_iSC_SC_
		.amdhsa_group_segment_fixed_size 0
		.amdhsa_private_segment_fixed_size 64
		.amdhsa_kernarg_size 400
		.amdhsa_user_sgpr_count 2
		.amdhsa_user_sgpr_dispatch_ptr 0
		.amdhsa_user_sgpr_queue_ptr 0
		.amdhsa_user_sgpr_kernarg_segment_ptr 1
		.amdhsa_user_sgpr_dispatch_id 0
		.amdhsa_user_sgpr_kernarg_preload_length 0
		.amdhsa_user_sgpr_kernarg_preload_offset 0
		.amdhsa_user_sgpr_private_segment_size 0
		.amdhsa_wavefront_size32 1
		.amdhsa_uses_dynamic_stack 0
		.amdhsa_enable_private_segment 1
		.amdhsa_system_sgpr_workgroup_id_x 1
		.amdhsa_system_sgpr_workgroup_id_y 0
		.amdhsa_system_sgpr_workgroup_id_z 0
		.amdhsa_system_sgpr_workgroup_info 0
		.amdhsa_system_vgpr_workitem_id 0
		.amdhsa_next_free_vgpr 51
		.amdhsa_next_free_sgpr 34
		.amdhsa_named_barrier_count 0
		.amdhsa_reserve_vcc 1
		.amdhsa_float_round_mode_32 0
		.amdhsa_float_round_mode_16_64 0
		.amdhsa_float_denorm_mode_32 3
		.amdhsa_float_denorm_mode_16_64 3
		.amdhsa_fp16_overflow 0
		.amdhsa_memory_ordered 1
		.amdhsa_forward_progress 1
		.amdhsa_inst_pref_size 1
		.amdhsa_round_robin_scheduling 0
		.amdhsa_exception_fp_ieee_invalid_op 0
		.amdhsa_exception_fp_denorm_src 0
		.amdhsa_exception_fp_ieee_div_zero 0
		.amdhsa_exception_fp_ieee_overflow 0
		.amdhsa_exception_fp_ieee_underflow 0
		.amdhsa_exception_fp_ieee_inexact 0
		.amdhsa_exception_int_div_zero 0
	.end_amdhsa_kernel
	.section	.text._Z39paged_attention_ll4mi_QKV_mfma16_kernelI14__hip_bfloat16S0_LN4vllm18Fp8KVCacheDataTypeE0ES0_Li16ELi128ELi256ELb0ELi3EEvPKT_PKT0_S8_ifPKiSA_SA_iPKfiiiPfSD_PS3_PT2_iSC_SC_,"axG",@progbits,_Z39paged_attention_ll4mi_QKV_mfma16_kernelI14__hip_bfloat16S0_LN4vllm18Fp8KVCacheDataTypeE0ES0_Li16ELi128ELi256ELb0ELi3EEvPKT_PKT0_S8_ifPKiSA_SA_iPKfiiiPfSD_PS3_PT2_iSC_SC_,comdat
.Lfunc_end688:
	.size	_Z39paged_attention_ll4mi_QKV_mfma16_kernelI14__hip_bfloat16S0_LN4vllm18Fp8KVCacheDataTypeE0ES0_Li16ELi128ELi256ELb0ELi3EEvPKT_PKT0_S8_ifPKiSA_SA_iPKfiiiPfSD_PS3_PT2_iSC_SC_, .Lfunc_end688-_Z39paged_attention_ll4mi_QKV_mfma16_kernelI14__hip_bfloat16S0_LN4vllm18Fp8KVCacheDataTypeE0ES0_Li16ELi128ELi256ELb0ELi3EEvPKT_PKT0_S8_ifPKiSA_SA_iPKfiiiPfSD_PS3_PT2_iSC_SC_
                                        ; -- End function
	.set _Z39paged_attention_ll4mi_QKV_mfma16_kernelI14__hip_bfloat16S0_LN4vllm18Fp8KVCacheDataTypeE0ES0_Li16ELi128ELi256ELb0ELi3EEvPKT_PKT0_S8_ifPKiSA_SA_iPKfiiiPfSD_PS3_PT2_iSC_SC_.num_vgpr, max(3, .L__assert_fail.num_vgpr)
	.set _Z39paged_attention_ll4mi_QKV_mfma16_kernelI14__hip_bfloat16S0_LN4vllm18Fp8KVCacheDataTypeE0ES0_Li16ELi128ELi256ELb0ELi3EEvPKT_PKT0_S8_ifPKiSA_SA_iPKfiiiPfSD_PS3_PT2_iSC_SC_.num_agpr, max(0, .L__assert_fail.num_agpr)
	.set _Z39paged_attention_ll4mi_QKV_mfma16_kernelI14__hip_bfloat16S0_LN4vllm18Fp8KVCacheDataTypeE0ES0_Li16ELi128ELi256ELb0ELi3EEvPKT_PKT0_S8_ifPKiSA_SA_iPKfiiiPfSD_PS3_PT2_iSC_SC_.numbered_sgpr, max(33, .L__assert_fail.numbered_sgpr)
	.set _Z39paged_attention_ll4mi_QKV_mfma16_kernelI14__hip_bfloat16S0_LN4vllm18Fp8KVCacheDataTypeE0ES0_Li16ELi128ELi256ELb0ELi3EEvPKT_PKT0_S8_ifPKiSA_SA_iPKfiiiPfSD_PS3_PT2_iSC_SC_.num_named_barrier, max(0, .L__assert_fail.num_named_barrier)
	.set _Z39paged_attention_ll4mi_QKV_mfma16_kernelI14__hip_bfloat16S0_LN4vllm18Fp8KVCacheDataTypeE0ES0_Li16ELi128ELi256ELb0ELi3EEvPKT_PKT0_S8_ifPKiSA_SA_iPKfiiiPfSD_PS3_PT2_iSC_SC_.private_seg_size, 0+max(.L__assert_fail.private_seg_size)
	.set _Z39paged_attention_ll4mi_QKV_mfma16_kernelI14__hip_bfloat16S0_LN4vllm18Fp8KVCacheDataTypeE0ES0_Li16ELi128ELi256ELb0ELi3EEvPKT_PKT0_S8_ifPKiSA_SA_iPKfiiiPfSD_PS3_PT2_iSC_SC_.uses_vcc, or(1, .L__assert_fail.uses_vcc)
	.set _Z39paged_attention_ll4mi_QKV_mfma16_kernelI14__hip_bfloat16S0_LN4vllm18Fp8KVCacheDataTypeE0ES0_Li16ELi128ELi256ELb0ELi3EEvPKT_PKT0_S8_ifPKiSA_SA_iPKfiiiPfSD_PS3_PT2_iSC_SC_.uses_flat_scratch, or(0, .L__assert_fail.uses_flat_scratch)
	.set _Z39paged_attention_ll4mi_QKV_mfma16_kernelI14__hip_bfloat16S0_LN4vllm18Fp8KVCacheDataTypeE0ES0_Li16ELi128ELi256ELb0ELi3EEvPKT_PKT0_S8_ifPKiSA_SA_iPKfiiiPfSD_PS3_PT2_iSC_SC_.has_dyn_sized_stack, or(0, .L__assert_fail.has_dyn_sized_stack)
	.set _Z39paged_attention_ll4mi_QKV_mfma16_kernelI14__hip_bfloat16S0_LN4vllm18Fp8KVCacheDataTypeE0ES0_Li16ELi128ELi256ELb0ELi3EEvPKT_PKT0_S8_ifPKiSA_SA_iPKfiiiPfSD_PS3_PT2_iSC_SC_.has_recursion, or(0, .L__assert_fail.has_recursion)
	.set _Z39paged_attention_ll4mi_QKV_mfma16_kernelI14__hip_bfloat16S0_LN4vllm18Fp8KVCacheDataTypeE0ES0_Li16ELi128ELi256ELb0ELi3EEvPKT_PKT0_S8_ifPKiSA_SA_iPKfiiiPfSD_PS3_PT2_iSC_SC_.has_indirect_call, or(0, .L__assert_fail.has_indirect_call)
	.section	.AMDGPU.csdata,"",@progbits
; Kernel info:
; codeLenInByte = 68
; TotalNumSgprs: 36
; NumVgprs: 51
; ScratchSize: 64
; MemoryBound: 0
; FloatMode: 240
; IeeeMode: 1
; LDSByteSize: 0 bytes/workgroup (compile time only)
; SGPRBlocks: 0
; VGPRBlocks: 3
; NumSGPRsForWavesPerEU: 36
; NumVGPRsForWavesPerEU: 51
; NamedBarCnt: 0
; Occupancy: 16
; WaveLimiterHint : 1
; COMPUTE_PGM_RSRC2:SCRATCH_EN: 1
; COMPUTE_PGM_RSRC2:USER_SGPR: 2
; COMPUTE_PGM_RSRC2:TRAP_HANDLER: 0
; COMPUTE_PGM_RSRC2:TGID_X_EN: 1
; COMPUTE_PGM_RSRC2:TGID_Y_EN: 0
; COMPUTE_PGM_RSRC2:TGID_Z_EN: 0
; COMPUTE_PGM_RSRC2:TIDIG_COMP_CNT: 0
	.section	.text._Z39paged_attention_ll4mi_QKV_mfma16_kernelI14__hip_bfloat16S0_LN4vllm18Fp8KVCacheDataTypeE0ES0_Li16ELi128ELi256ELb0ELi4EEvPKT_PKT0_S8_ifPKiSA_SA_iPKfiiiPfSD_PS3_PT2_iSC_SC_,"axG",@progbits,_Z39paged_attention_ll4mi_QKV_mfma16_kernelI14__hip_bfloat16S0_LN4vllm18Fp8KVCacheDataTypeE0ES0_Li16ELi128ELi256ELb0ELi4EEvPKT_PKT0_S8_ifPKiSA_SA_iPKfiiiPfSD_PS3_PT2_iSC_SC_,comdat
	.protected	_Z39paged_attention_ll4mi_QKV_mfma16_kernelI14__hip_bfloat16S0_LN4vllm18Fp8KVCacheDataTypeE0ES0_Li16ELi128ELi256ELb0ELi4EEvPKT_PKT0_S8_ifPKiSA_SA_iPKfiiiPfSD_PS3_PT2_iSC_SC_ ; -- Begin function _Z39paged_attention_ll4mi_QKV_mfma16_kernelI14__hip_bfloat16S0_LN4vllm18Fp8KVCacheDataTypeE0ES0_Li16ELi128ELi256ELb0ELi4EEvPKT_PKT0_S8_ifPKiSA_SA_iPKfiiiPfSD_PS3_PT2_iSC_SC_
	.globl	_Z39paged_attention_ll4mi_QKV_mfma16_kernelI14__hip_bfloat16S0_LN4vllm18Fp8KVCacheDataTypeE0ES0_Li16ELi128ELi256ELb0ELi4EEvPKT_PKT0_S8_ifPKiSA_SA_iPKfiiiPfSD_PS3_PT2_iSC_SC_
	.p2align	8
	.type	_Z39paged_attention_ll4mi_QKV_mfma16_kernelI14__hip_bfloat16S0_LN4vllm18Fp8KVCacheDataTypeE0ES0_Li16ELi128ELi256ELb0ELi4EEvPKT_PKT0_S8_ifPKiSA_SA_iPKfiiiPfSD_PS3_PT2_iSC_SC_,@function
_Z39paged_attention_ll4mi_QKV_mfma16_kernelI14__hip_bfloat16S0_LN4vllm18Fp8KVCacheDataTypeE0ES0_Li16ELi128ELi256ELb0ELi4EEvPKT_PKT0_S8_ifPKiSA_SA_iPKfiiiPfSD_PS3_PT2_iSC_SC_: ; @_Z39paged_attention_ll4mi_QKV_mfma16_kernelI14__hip_bfloat16S0_LN4vllm18Fp8KVCacheDataTypeE0ES0_Li16ELi128ELi256ELb0ELi4EEvPKT_PKT0_S8_ifPKiSA_SA_iPKfiiiPfSD_PS3_PT2_iSC_SC_
; %bb.0:
	s_get_pc_i64 s[2:3]
	s_add_nc_u64 s[2:3], s[2:3], __PRETTY_FUNCTION__._Z39paged_attention_ll4mi_QKV_mfma16_kernelI14__hip_bfloat16S0_LN4vllm18Fp8KVCacheDataTypeE0ES0_Li16ELi128ELi256ELb0ELi4EEvPKT_PKT0_S8_ifPKiSA_SA_iPKfiiiPfSD_PS3_PT2_iSC_SC_@rel64+4
	s_delay_alu instid0(SALU_CYCLE_1)
	v_dual_mov_b32 v0, 0xbb3 :: v_dual_mov_b32 v1, s2
	v_mov_b32_e32 v2, s3
	s_add_nc_u64 s[8:9], s[0:1], 0x90
	s_get_pc_i64 s[0:1]
	s_add_nc_u64 s[0:1], s[0:1], __assert_fail@rel64+4
	s_mov_b32 s32, 0
	s_swap_pc_i64 s[30:31], s[0:1]
	.section	.rodata,"a",@progbits
	.p2align	6, 0x0
	.amdhsa_kernel _Z39paged_attention_ll4mi_QKV_mfma16_kernelI14__hip_bfloat16S0_LN4vllm18Fp8KVCacheDataTypeE0ES0_Li16ELi128ELi256ELb0ELi4EEvPKT_PKT0_S8_ifPKiSA_SA_iPKfiiiPfSD_PS3_PT2_iSC_SC_
		.amdhsa_group_segment_fixed_size 0
		.amdhsa_private_segment_fixed_size 64
		.amdhsa_kernarg_size 400
		.amdhsa_user_sgpr_count 2
		.amdhsa_user_sgpr_dispatch_ptr 0
		.amdhsa_user_sgpr_queue_ptr 0
		.amdhsa_user_sgpr_kernarg_segment_ptr 1
		.amdhsa_user_sgpr_dispatch_id 0
		.amdhsa_user_sgpr_kernarg_preload_length 0
		.amdhsa_user_sgpr_kernarg_preload_offset 0
		.amdhsa_user_sgpr_private_segment_size 0
		.amdhsa_wavefront_size32 1
		.amdhsa_uses_dynamic_stack 0
		.amdhsa_enable_private_segment 1
		.amdhsa_system_sgpr_workgroup_id_x 1
		.amdhsa_system_sgpr_workgroup_id_y 0
		.amdhsa_system_sgpr_workgroup_id_z 0
		.amdhsa_system_sgpr_workgroup_info 0
		.amdhsa_system_vgpr_workitem_id 0
		.amdhsa_next_free_vgpr 51
		.amdhsa_next_free_sgpr 34
		.amdhsa_named_barrier_count 0
		.amdhsa_reserve_vcc 1
		.amdhsa_float_round_mode_32 0
		.amdhsa_float_round_mode_16_64 0
		.amdhsa_float_denorm_mode_32 3
		.amdhsa_float_denorm_mode_16_64 3
		.amdhsa_fp16_overflow 0
		.amdhsa_memory_ordered 1
		.amdhsa_forward_progress 1
		.amdhsa_inst_pref_size 1
		.amdhsa_round_robin_scheduling 0
		.amdhsa_exception_fp_ieee_invalid_op 0
		.amdhsa_exception_fp_denorm_src 0
		.amdhsa_exception_fp_ieee_div_zero 0
		.amdhsa_exception_fp_ieee_overflow 0
		.amdhsa_exception_fp_ieee_underflow 0
		.amdhsa_exception_fp_ieee_inexact 0
		.amdhsa_exception_int_div_zero 0
	.end_amdhsa_kernel
	.section	.text._Z39paged_attention_ll4mi_QKV_mfma16_kernelI14__hip_bfloat16S0_LN4vllm18Fp8KVCacheDataTypeE0ES0_Li16ELi128ELi256ELb0ELi4EEvPKT_PKT0_S8_ifPKiSA_SA_iPKfiiiPfSD_PS3_PT2_iSC_SC_,"axG",@progbits,_Z39paged_attention_ll4mi_QKV_mfma16_kernelI14__hip_bfloat16S0_LN4vllm18Fp8KVCacheDataTypeE0ES0_Li16ELi128ELi256ELb0ELi4EEvPKT_PKT0_S8_ifPKiSA_SA_iPKfiiiPfSD_PS3_PT2_iSC_SC_,comdat
.Lfunc_end689:
	.size	_Z39paged_attention_ll4mi_QKV_mfma16_kernelI14__hip_bfloat16S0_LN4vllm18Fp8KVCacheDataTypeE0ES0_Li16ELi128ELi256ELb0ELi4EEvPKT_PKT0_S8_ifPKiSA_SA_iPKfiiiPfSD_PS3_PT2_iSC_SC_, .Lfunc_end689-_Z39paged_attention_ll4mi_QKV_mfma16_kernelI14__hip_bfloat16S0_LN4vllm18Fp8KVCacheDataTypeE0ES0_Li16ELi128ELi256ELb0ELi4EEvPKT_PKT0_S8_ifPKiSA_SA_iPKfiiiPfSD_PS3_PT2_iSC_SC_
                                        ; -- End function
	.set _Z39paged_attention_ll4mi_QKV_mfma16_kernelI14__hip_bfloat16S0_LN4vllm18Fp8KVCacheDataTypeE0ES0_Li16ELi128ELi256ELb0ELi4EEvPKT_PKT0_S8_ifPKiSA_SA_iPKfiiiPfSD_PS3_PT2_iSC_SC_.num_vgpr, max(3, .L__assert_fail.num_vgpr)
	.set _Z39paged_attention_ll4mi_QKV_mfma16_kernelI14__hip_bfloat16S0_LN4vllm18Fp8KVCacheDataTypeE0ES0_Li16ELi128ELi256ELb0ELi4EEvPKT_PKT0_S8_ifPKiSA_SA_iPKfiiiPfSD_PS3_PT2_iSC_SC_.num_agpr, max(0, .L__assert_fail.num_agpr)
	.set _Z39paged_attention_ll4mi_QKV_mfma16_kernelI14__hip_bfloat16S0_LN4vllm18Fp8KVCacheDataTypeE0ES0_Li16ELi128ELi256ELb0ELi4EEvPKT_PKT0_S8_ifPKiSA_SA_iPKfiiiPfSD_PS3_PT2_iSC_SC_.numbered_sgpr, max(33, .L__assert_fail.numbered_sgpr)
	.set _Z39paged_attention_ll4mi_QKV_mfma16_kernelI14__hip_bfloat16S0_LN4vllm18Fp8KVCacheDataTypeE0ES0_Li16ELi128ELi256ELb0ELi4EEvPKT_PKT0_S8_ifPKiSA_SA_iPKfiiiPfSD_PS3_PT2_iSC_SC_.num_named_barrier, max(0, .L__assert_fail.num_named_barrier)
	.set _Z39paged_attention_ll4mi_QKV_mfma16_kernelI14__hip_bfloat16S0_LN4vllm18Fp8KVCacheDataTypeE0ES0_Li16ELi128ELi256ELb0ELi4EEvPKT_PKT0_S8_ifPKiSA_SA_iPKfiiiPfSD_PS3_PT2_iSC_SC_.private_seg_size, 0+max(.L__assert_fail.private_seg_size)
	.set _Z39paged_attention_ll4mi_QKV_mfma16_kernelI14__hip_bfloat16S0_LN4vllm18Fp8KVCacheDataTypeE0ES0_Li16ELi128ELi256ELb0ELi4EEvPKT_PKT0_S8_ifPKiSA_SA_iPKfiiiPfSD_PS3_PT2_iSC_SC_.uses_vcc, or(1, .L__assert_fail.uses_vcc)
	.set _Z39paged_attention_ll4mi_QKV_mfma16_kernelI14__hip_bfloat16S0_LN4vllm18Fp8KVCacheDataTypeE0ES0_Li16ELi128ELi256ELb0ELi4EEvPKT_PKT0_S8_ifPKiSA_SA_iPKfiiiPfSD_PS3_PT2_iSC_SC_.uses_flat_scratch, or(0, .L__assert_fail.uses_flat_scratch)
	.set _Z39paged_attention_ll4mi_QKV_mfma16_kernelI14__hip_bfloat16S0_LN4vllm18Fp8KVCacheDataTypeE0ES0_Li16ELi128ELi256ELb0ELi4EEvPKT_PKT0_S8_ifPKiSA_SA_iPKfiiiPfSD_PS3_PT2_iSC_SC_.has_dyn_sized_stack, or(0, .L__assert_fail.has_dyn_sized_stack)
	.set _Z39paged_attention_ll4mi_QKV_mfma16_kernelI14__hip_bfloat16S0_LN4vllm18Fp8KVCacheDataTypeE0ES0_Li16ELi128ELi256ELb0ELi4EEvPKT_PKT0_S8_ifPKiSA_SA_iPKfiiiPfSD_PS3_PT2_iSC_SC_.has_recursion, or(0, .L__assert_fail.has_recursion)
	.set _Z39paged_attention_ll4mi_QKV_mfma16_kernelI14__hip_bfloat16S0_LN4vllm18Fp8KVCacheDataTypeE0ES0_Li16ELi128ELi256ELb0ELi4EEvPKT_PKT0_S8_ifPKiSA_SA_iPKfiiiPfSD_PS3_PT2_iSC_SC_.has_indirect_call, or(0, .L__assert_fail.has_indirect_call)
	.section	.AMDGPU.csdata,"",@progbits
; Kernel info:
; codeLenInByte = 68
; TotalNumSgprs: 36
; NumVgprs: 51
; ScratchSize: 64
; MemoryBound: 0
; FloatMode: 240
; IeeeMode: 1
; LDSByteSize: 0 bytes/workgroup (compile time only)
; SGPRBlocks: 0
; VGPRBlocks: 3
; NumSGPRsForWavesPerEU: 36
; NumVGPRsForWavesPerEU: 51
; NamedBarCnt: 0
; Occupancy: 16
; WaveLimiterHint : 1
; COMPUTE_PGM_RSRC2:SCRATCH_EN: 1
; COMPUTE_PGM_RSRC2:USER_SGPR: 2
; COMPUTE_PGM_RSRC2:TRAP_HANDLER: 0
; COMPUTE_PGM_RSRC2:TGID_X_EN: 1
; COMPUTE_PGM_RSRC2:TGID_Y_EN: 0
; COMPUTE_PGM_RSRC2:TGID_Z_EN: 0
; COMPUTE_PGM_RSRC2:TIDIG_COMP_CNT: 0
	.section	.text._Z38paged_attention_ll4mi_QKV_mfma4_kernelI14__hip_bfloat16S0_LN4vllm18Fp8KVCacheDataTypeE0EhLi32ELi128ELi256ELb1ELi1EEvPKT_PKT0_S8_ifPKiSA_SA_iPKfiiiPfSD_PS3_PT2_iSC_SC_,"axG",@progbits,_Z38paged_attention_ll4mi_QKV_mfma4_kernelI14__hip_bfloat16S0_LN4vllm18Fp8KVCacheDataTypeE0EhLi32ELi128ELi256ELb1ELi1EEvPKT_PKT0_S8_ifPKiSA_SA_iPKfiiiPfSD_PS3_PT2_iSC_SC_,comdat
	.protected	_Z38paged_attention_ll4mi_QKV_mfma4_kernelI14__hip_bfloat16S0_LN4vllm18Fp8KVCacheDataTypeE0EhLi32ELi128ELi256ELb1ELi1EEvPKT_PKT0_S8_ifPKiSA_SA_iPKfiiiPfSD_PS3_PT2_iSC_SC_ ; -- Begin function _Z38paged_attention_ll4mi_QKV_mfma4_kernelI14__hip_bfloat16S0_LN4vllm18Fp8KVCacheDataTypeE0EhLi32ELi128ELi256ELb1ELi1EEvPKT_PKT0_S8_ifPKiSA_SA_iPKfiiiPfSD_PS3_PT2_iSC_SC_
	.globl	_Z38paged_attention_ll4mi_QKV_mfma4_kernelI14__hip_bfloat16S0_LN4vllm18Fp8KVCacheDataTypeE0EhLi32ELi128ELi256ELb1ELi1EEvPKT_PKT0_S8_ifPKiSA_SA_iPKfiiiPfSD_PS3_PT2_iSC_SC_
	.p2align	8
	.type	_Z38paged_attention_ll4mi_QKV_mfma4_kernelI14__hip_bfloat16S0_LN4vllm18Fp8KVCacheDataTypeE0EhLi32ELi128ELi256ELb1ELi1EEvPKT_PKT0_S8_ifPKiSA_SA_iPKfiiiPfSD_PS3_PT2_iSC_SC_,@function
_Z38paged_attention_ll4mi_QKV_mfma4_kernelI14__hip_bfloat16S0_LN4vllm18Fp8KVCacheDataTypeE0EhLi32ELi128ELi256ELb1ELi1EEvPKT_PKT0_S8_ifPKiSA_SA_iPKfiiiPfSD_PS3_PT2_iSC_SC_: ; @_Z38paged_attention_ll4mi_QKV_mfma4_kernelI14__hip_bfloat16S0_LN4vllm18Fp8KVCacheDataTypeE0EhLi32ELi128ELi256ELb1ELi1EEvPKT_PKT0_S8_ifPKiSA_SA_iPKfiiiPfSD_PS3_PT2_iSC_SC_
; %bb.0:
	s_get_pc_i64 s[2:3]
	s_add_nc_u64 s[2:3], s[2:3], __PRETTY_FUNCTION__._Z38paged_attention_ll4mi_QKV_mfma4_kernelI14__hip_bfloat16S0_LN4vllm18Fp8KVCacheDataTypeE0EhLi32ELi128ELi256ELb1ELi1EEvPKT_PKT0_S8_ifPKiSA_SA_iPKfiiiPfSD_PS3_PT2_iSC_SC_@rel64+4
	s_delay_alu instid0(SALU_CYCLE_1)
	v_dual_mov_b32 v0, 0xbce :: v_dual_mov_b32 v1, s2
	v_mov_b32_e32 v2, s3
	s_add_nc_u64 s[8:9], s[0:1], 0x90
	s_get_pc_i64 s[0:1]
	s_add_nc_u64 s[0:1], s[0:1], __assert_fail@rel64+4
	s_mov_b32 s32, 0
	s_swap_pc_i64 s[30:31], s[0:1]
	.section	.rodata,"a",@progbits
	.p2align	6, 0x0
	.amdhsa_kernel _Z38paged_attention_ll4mi_QKV_mfma4_kernelI14__hip_bfloat16S0_LN4vllm18Fp8KVCacheDataTypeE0EhLi32ELi128ELi256ELb1ELi1EEvPKT_PKT0_S8_ifPKiSA_SA_iPKfiiiPfSD_PS3_PT2_iSC_SC_
		.amdhsa_group_segment_fixed_size 0
		.amdhsa_private_segment_fixed_size 64
		.amdhsa_kernarg_size 400
		.amdhsa_user_sgpr_count 2
		.amdhsa_user_sgpr_dispatch_ptr 0
		.amdhsa_user_sgpr_queue_ptr 0
		.amdhsa_user_sgpr_kernarg_segment_ptr 1
		.amdhsa_user_sgpr_dispatch_id 0
		.amdhsa_user_sgpr_kernarg_preload_length 0
		.amdhsa_user_sgpr_kernarg_preload_offset 0
		.amdhsa_user_sgpr_private_segment_size 0
		.amdhsa_wavefront_size32 1
		.amdhsa_uses_dynamic_stack 0
		.amdhsa_enable_private_segment 1
		.amdhsa_system_sgpr_workgroup_id_x 1
		.amdhsa_system_sgpr_workgroup_id_y 0
		.amdhsa_system_sgpr_workgroup_id_z 0
		.amdhsa_system_sgpr_workgroup_info 0
		.amdhsa_system_vgpr_workitem_id 0
		.amdhsa_next_free_vgpr 51
		.amdhsa_next_free_sgpr 34
		.amdhsa_named_barrier_count 0
		.amdhsa_reserve_vcc 1
		.amdhsa_float_round_mode_32 0
		.amdhsa_float_round_mode_16_64 0
		.amdhsa_float_denorm_mode_32 3
		.amdhsa_float_denorm_mode_16_64 3
		.amdhsa_fp16_overflow 0
		.amdhsa_memory_ordered 1
		.amdhsa_forward_progress 1
		.amdhsa_inst_pref_size 1
		.amdhsa_round_robin_scheduling 0
		.amdhsa_exception_fp_ieee_invalid_op 0
		.amdhsa_exception_fp_denorm_src 0
		.amdhsa_exception_fp_ieee_div_zero 0
		.amdhsa_exception_fp_ieee_overflow 0
		.amdhsa_exception_fp_ieee_underflow 0
		.amdhsa_exception_fp_ieee_inexact 0
		.amdhsa_exception_int_div_zero 0
	.end_amdhsa_kernel
	.section	.text._Z38paged_attention_ll4mi_QKV_mfma4_kernelI14__hip_bfloat16S0_LN4vllm18Fp8KVCacheDataTypeE0EhLi32ELi128ELi256ELb1ELi1EEvPKT_PKT0_S8_ifPKiSA_SA_iPKfiiiPfSD_PS3_PT2_iSC_SC_,"axG",@progbits,_Z38paged_attention_ll4mi_QKV_mfma4_kernelI14__hip_bfloat16S0_LN4vllm18Fp8KVCacheDataTypeE0EhLi32ELi128ELi256ELb1ELi1EEvPKT_PKT0_S8_ifPKiSA_SA_iPKfiiiPfSD_PS3_PT2_iSC_SC_,comdat
.Lfunc_end690:
	.size	_Z38paged_attention_ll4mi_QKV_mfma4_kernelI14__hip_bfloat16S0_LN4vllm18Fp8KVCacheDataTypeE0EhLi32ELi128ELi256ELb1ELi1EEvPKT_PKT0_S8_ifPKiSA_SA_iPKfiiiPfSD_PS3_PT2_iSC_SC_, .Lfunc_end690-_Z38paged_attention_ll4mi_QKV_mfma4_kernelI14__hip_bfloat16S0_LN4vllm18Fp8KVCacheDataTypeE0EhLi32ELi128ELi256ELb1ELi1EEvPKT_PKT0_S8_ifPKiSA_SA_iPKfiiiPfSD_PS3_PT2_iSC_SC_
                                        ; -- End function
	.set _Z38paged_attention_ll4mi_QKV_mfma4_kernelI14__hip_bfloat16S0_LN4vllm18Fp8KVCacheDataTypeE0EhLi32ELi128ELi256ELb1ELi1EEvPKT_PKT0_S8_ifPKiSA_SA_iPKfiiiPfSD_PS3_PT2_iSC_SC_.num_vgpr, max(3, .L__assert_fail.num_vgpr)
	.set _Z38paged_attention_ll4mi_QKV_mfma4_kernelI14__hip_bfloat16S0_LN4vllm18Fp8KVCacheDataTypeE0EhLi32ELi128ELi256ELb1ELi1EEvPKT_PKT0_S8_ifPKiSA_SA_iPKfiiiPfSD_PS3_PT2_iSC_SC_.num_agpr, max(0, .L__assert_fail.num_agpr)
	.set _Z38paged_attention_ll4mi_QKV_mfma4_kernelI14__hip_bfloat16S0_LN4vllm18Fp8KVCacheDataTypeE0EhLi32ELi128ELi256ELb1ELi1EEvPKT_PKT0_S8_ifPKiSA_SA_iPKfiiiPfSD_PS3_PT2_iSC_SC_.numbered_sgpr, max(33, .L__assert_fail.numbered_sgpr)
	.set _Z38paged_attention_ll4mi_QKV_mfma4_kernelI14__hip_bfloat16S0_LN4vllm18Fp8KVCacheDataTypeE0EhLi32ELi128ELi256ELb1ELi1EEvPKT_PKT0_S8_ifPKiSA_SA_iPKfiiiPfSD_PS3_PT2_iSC_SC_.num_named_barrier, max(0, .L__assert_fail.num_named_barrier)
	.set _Z38paged_attention_ll4mi_QKV_mfma4_kernelI14__hip_bfloat16S0_LN4vllm18Fp8KVCacheDataTypeE0EhLi32ELi128ELi256ELb1ELi1EEvPKT_PKT0_S8_ifPKiSA_SA_iPKfiiiPfSD_PS3_PT2_iSC_SC_.private_seg_size, 0+max(.L__assert_fail.private_seg_size)
	.set _Z38paged_attention_ll4mi_QKV_mfma4_kernelI14__hip_bfloat16S0_LN4vllm18Fp8KVCacheDataTypeE0EhLi32ELi128ELi256ELb1ELi1EEvPKT_PKT0_S8_ifPKiSA_SA_iPKfiiiPfSD_PS3_PT2_iSC_SC_.uses_vcc, or(1, .L__assert_fail.uses_vcc)
	.set _Z38paged_attention_ll4mi_QKV_mfma4_kernelI14__hip_bfloat16S0_LN4vllm18Fp8KVCacheDataTypeE0EhLi32ELi128ELi256ELb1ELi1EEvPKT_PKT0_S8_ifPKiSA_SA_iPKfiiiPfSD_PS3_PT2_iSC_SC_.uses_flat_scratch, or(0, .L__assert_fail.uses_flat_scratch)
	.set _Z38paged_attention_ll4mi_QKV_mfma4_kernelI14__hip_bfloat16S0_LN4vllm18Fp8KVCacheDataTypeE0EhLi32ELi128ELi256ELb1ELi1EEvPKT_PKT0_S8_ifPKiSA_SA_iPKfiiiPfSD_PS3_PT2_iSC_SC_.has_dyn_sized_stack, or(0, .L__assert_fail.has_dyn_sized_stack)
	.set _Z38paged_attention_ll4mi_QKV_mfma4_kernelI14__hip_bfloat16S0_LN4vllm18Fp8KVCacheDataTypeE0EhLi32ELi128ELi256ELb1ELi1EEvPKT_PKT0_S8_ifPKiSA_SA_iPKfiiiPfSD_PS3_PT2_iSC_SC_.has_recursion, or(0, .L__assert_fail.has_recursion)
	.set _Z38paged_attention_ll4mi_QKV_mfma4_kernelI14__hip_bfloat16S0_LN4vllm18Fp8KVCacheDataTypeE0EhLi32ELi128ELi256ELb1ELi1EEvPKT_PKT0_S8_ifPKiSA_SA_iPKfiiiPfSD_PS3_PT2_iSC_SC_.has_indirect_call, or(0, .L__assert_fail.has_indirect_call)
	.section	.AMDGPU.csdata,"",@progbits
; Kernel info:
; codeLenInByte = 68
; TotalNumSgprs: 36
; NumVgprs: 51
; ScratchSize: 64
; MemoryBound: 0
; FloatMode: 240
; IeeeMode: 1
; LDSByteSize: 0 bytes/workgroup (compile time only)
; SGPRBlocks: 0
; VGPRBlocks: 3
; NumSGPRsForWavesPerEU: 36
; NumVGPRsForWavesPerEU: 51
; NamedBarCnt: 0
; Occupancy: 16
; WaveLimiterHint : 1
; COMPUTE_PGM_RSRC2:SCRATCH_EN: 1
; COMPUTE_PGM_RSRC2:USER_SGPR: 2
; COMPUTE_PGM_RSRC2:TRAP_HANDLER: 0
; COMPUTE_PGM_RSRC2:TGID_X_EN: 1
; COMPUTE_PGM_RSRC2:TGID_Y_EN: 0
; COMPUTE_PGM_RSRC2:TGID_Z_EN: 0
; COMPUTE_PGM_RSRC2:TIDIG_COMP_CNT: 0
	.section	.text._Z38paged_attention_ll4mi_QKV_mfma4_kernelI14__hip_bfloat16S0_LN4vllm18Fp8KVCacheDataTypeE0EhLi32ELi128ELi256ELb1ELi2EEvPKT_PKT0_S8_ifPKiSA_SA_iPKfiiiPfSD_PS3_PT2_iSC_SC_,"axG",@progbits,_Z38paged_attention_ll4mi_QKV_mfma4_kernelI14__hip_bfloat16S0_LN4vllm18Fp8KVCacheDataTypeE0EhLi32ELi128ELi256ELb1ELi2EEvPKT_PKT0_S8_ifPKiSA_SA_iPKfiiiPfSD_PS3_PT2_iSC_SC_,comdat
	.protected	_Z38paged_attention_ll4mi_QKV_mfma4_kernelI14__hip_bfloat16S0_LN4vllm18Fp8KVCacheDataTypeE0EhLi32ELi128ELi256ELb1ELi2EEvPKT_PKT0_S8_ifPKiSA_SA_iPKfiiiPfSD_PS3_PT2_iSC_SC_ ; -- Begin function _Z38paged_attention_ll4mi_QKV_mfma4_kernelI14__hip_bfloat16S0_LN4vllm18Fp8KVCacheDataTypeE0EhLi32ELi128ELi256ELb1ELi2EEvPKT_PKT0_S8_ifPKiSA_SA_iPKfiiiPfSD_PS3_PT2_iSC_SC_
	.globl	_Z38paged_attention_ll4mi_QKV_mfma4_kernelI14__hip_bfloat16S0_LN4vllm18Fp8KVCacheDataTypeE0EhLi32ELi128ELi256ELb1ELi2EEvPKT_PKT0_S8_ifPKiSA_SA_iPKfiiiPfSD_PS3_PT2_iSC_SC_
	.p2align	8
	.type	_Z38paged_attention_ll4mi_QKV_mfma4_kernelI14__hip_bfloat16S0_LN4vllm18Fp8KVCacheDataTypeE0EhLi32ELi128ELi256ELb1ELi2EEvPKT_PKT0_S8_ifPKiSA_SA_iPKfiiiPfSD_PS3_PT2_iSC_SC_,@function
_Z38paged_attention_ll4mi_QKV_mfma4_kernelI14__hip_bfloat16S0_LN4vllm18Fp8KVCacheDataTypeE0EhLi32ELi128ELi256ELb1ELi2EEvPKT_PKT0_S8_ifPKiSA_SA_iPKfiiiPfSD_PS3_PT2_iSC_SC_: ; @_Z38paged_attention_ll4mi_QKV_mfma4_kernelI14__hip_bfloat16S0_LN4vllm18Fp8KVCacheDataTypeE0EhLi32ELi128ELi256ELb1ELi2EEvPKT_PKT0_S8_ifPKiSA_SA_iPKfiiiPfSD_PS3_PT2_iSC_SC_
; %bb.0:
	s_get_pc_i64 s[2:3]
	s_add_nc_u64 s[2:3], s[2:3], __PRETTY_FUNCTION__._Z38paged_attention_ll4mi_QKV_mfma4_kernelI14__hip_bfloat16S0_LN4vllm18Fp8KVCacheDataTypeE0EhLi32ELi128ELi256ELb1ELi2EEvPKT_PKT0_S8_ifPKiSA_SA_iPKfiiiPfSD_PS3_PT2_iSC_SC_@rel64+4
	s_delay_alu instid0(SALU_CYCLE_1)
	v_dual_mov_b32 v0, 0xbce :: v_dual_mov_b32 v1, s2
	v_mov_b32_e32 v2, s3
	s_add_nc_u64 s[8:9], s[0:1], 0x90
	s_get_pc_i64 s[0:1]
	s_add_nc_u64 s[0:1], s[0:1], __assert_fail@rel64+4
	s_mov_b32 s32, 0
	s_swap_pc_i64 s[30:31], s[0:1]
	.section	.rodata,"a",@progbits
	.p2align	6, 0x0
	.amdhsa_kernel _Z38paged_attention_ll4mi_QKV_mfma4_kernelI14__hip_bfloat16S0_LN4vllm18Fp8KVCacheDataTypeE0EhLi32ELi128ELi256ELb1ELi2EEvPKT_PKT0_S8_ifPKiSA_SA_iPKfiiiPfSD_PS3_PT2_iSC_SC_
		.amdhsa_group_segment_fixed_size 0
		.amdhsa_private_segment_fixed_size 64
		.amdhsa_kernarg_size 400
		.amdhsa_user_sgpr_count 2
		.amdhsa_user_sgpr_dispatch_ptr 0
		.amdhsa_user_sgpr_queue_ptr 0
		.amdhsa_user_sgpr_kernarg_segment_ptr 1
		.amdhsa_user_sgpr_dispatch_id 0
		.amdhsa_user_sgpr_kernarg_preload_length 0
		.amdhsa_user_sgpr_kernarg_preload_offset 0
		.amdhsa_user_sgpr_private_segment_size 0
		.amdhsa_wavefront_size32 1
		.amdhsa_uses_dynamic_stack 0
		.amdhsa_enable_private_segment 1
		.amdhsa_system_sgpr_workgroup_id_x 1
		.amdhsa_system_sgpr_workgroup_id_y 0
		.amdhsa_system_sgpr_workgroup_id_z 0
		.amdhsa_system_sgpr_workgroup_info 0
		.amdhsa_system_vgpr_workitem_id 0
		.amdhsa_next_free_vgpr 51
		.amdhsa_next_free_sgpr 34
		.amdhsa_named_barrier_count 0
		.amdhsa_reserve_vcc 1
		.amdhsa_float_round_mode_32 0
		.amdhsa_float_round_mode_16_64 0
		.amdhsa_float_denorm_mode_32 3
		.amdhsa_float_denorm_mode_16_64 3
		.amdhsa_fp16_overflow 0
		.amdhsa_memory_ordered 1
		.amdhsa_forward_progress 1
		.amdhsa_inst_pref_size 1
		.amdhsa_round_robin_scheduling 0
		.amdhsa_exception_fp_ieee_invalid_op 0
		.amdhsa_exception_fp_denorm_src 0
		.amdhsa_exception_fp_ieee_div_zero 0
		.amdhsa_exception_fp_ieee_overflow 0
		.amdhsa_exception_fp_ieee_underflow 0
		.amdhsa_exception_fp_ieee_inexact 0
		.amdhsa_exception_int_div_zero 0
	.end_amdhsa_kernel
	.section	.text._Z38paged_attention_ll4mi_QKV_mfma4_kernelI14__hip_bfloat16S0_LN4vllm18Fp8KVCacheDataTypeE0EhLi32ELi128ELi256ELb1ELi2EEvPKT_PKT0_S8_ifPKiSA_SA_iPKfiiiPfSD_PS3_PT2_iSC_SC_,"axG",@progbits,_Z38paged_attention_ll4mi_QKV_mfma4_kernelI14__hip_bfloat16S0_LN4vllm18Fp8KVCacheDataTypeE0EhLi32ELi128ELi256ELb1ELi2EEvPKT_PKT0_S8_ifPKiSA_SA_iPKfiiiPfSD_PS3_PT2_iSC_SC_,comdat
.Lfunc_end691:
	.size	_Z38paged_attention_ll4mi_QKV_mfma4_kernelI14__hip_bfloat16S0_LN4vllm18Fp8KVCacheDataTypeE0EhLi32ELi128ELi256ELb1ELi2EEvPKT_PKT0_S8_ifPKiSA_SA_iPKfiiiPfSD_PS3_PT2_iSC_SC_, .Lfunc_end691-_Z38paged_attention_ll4mi_QKV_mfma4_kernelI14__hip_bfloat16S0_LN4vllm18Fp8KVCacheDataTypeE0EhLi32ELi128ELi256ELb1ELi2EEvPKT_PKT0_S8_ifPKiSA_SA_iPKfiiiPfSD_PS3_PT2_iSC_SC_
                                        ; -- End function
	.set _Z38paged_attention_ll4mi_QKV_mfma4_kernelI14__hip_bfloat16S0_LN4vllm18Fp8KVCacheDataTypeE0EhLi32ELi128ELi256ELb1ELi2EEvPKT_PKT0_S8_ifPKiSA_SA_iPKfiiiPfSD_PS3_PT2_iSC_SC_.num_vgpr, max(3, .L__assert_fail.num_vgpr)
	.set _Z38paged_attention_ll4mi_QKV_mfma4_kernelI14__hip_bfloat16S0_LN4vllm18Fp8KVCacheDataTypeE0EhLi32ELi128ELi256ELb1ELi2EEvPKT_PKT0_S8_ifPKiSA_SA_iPKfiiiPfSD_PS3_PT2_iSC_SC_.num_agpr, max(0, .L__assert_fail.num_agpr)
	.set _Z38paged_attention_ll4mi_QKV_mfma4_kernelI14__hip_bfloat16S0_LN4vllm18Fp8KVCacheDataTypeE0EhLi32ELi128ELi256ELb1ELi2EEvPKT_PKT0_S8_ifPKiSA_SA_iPKfiiiPfSD_PS3_PT2_iSC_SC_.numbered_sgpr, max(33, .L__assert_fail.numbered_sgpr)
	.set _Z38paged_attention_ll4mi_QKV_mfma4_kernelI14__hip_bfloat16S0_LN4vllm18Fp8KVCacheDataTypeE0EhLi32ELi128ELi256ELb1ELi2EEvPKT_PKT0_S8_ifPKiSA_SA_iPKfiiiPfSD_PS3_PT2_iSC_SC_.num_named_barrier, max(0, .L__assert_fail.num_named_barrier)
	.set _Z38paged_attention_ll4mi_QKV_mfma4_kernelI14__hip_bfloat16S0_LN4vllm18Fp8KVCacheDataTypeE0EhLi32ELi128ELi256ELb1ELi2EEvPKT_PKT0_S8_ifPKiSA_SA_iPKfiiiPfSD_PS3_PT2_iSC_SC_.private_seg_size, 0+max(.L__assert_fail.private_seg_size)
	.set _Z38paged_attention_ll4mi_QKV_mfma4_kernelI14__hip_bfloat16S0_LN4vllm18Fp8KVCacheDataTypeE0EhLi32ELi128ELi256ELb1ELi2EEvPKT_PKT0_S8_ifPKiSA_SA_iPKfiiiPfSD_PS3_PT2_iSC_SC_.uses_vcc, or(1, .L__assert_fail.uses_vcc)
	.set _Z38paged_attention_ll4mi_QKV_mfma4_kernelI14__hip_bfloat16S0_LN4vllm18Fp8KVCacheDataTypeE0EhLi32ELi128ELi256ELb1ELi2EEvPKT_PKT0_S8_ifPKiSA_SA_iPKfiiiPfSD_PS3_PT2_iSC_SC_.uses_flat_scratch, or(0, .L__assert_fail.uses_flat_scratch)
	.set _Z38paged_attention_ll4mi_QKV_mfma4_kernelI14__hip_bfloat16S0_LN4vllm18Fp8KVCacheDataTypeE0EhLi32ELi128ELi256ELb1ELi2EEvPKT_PKT0_S8_ifPKiSA_SA_iPKfiiiPfSD_PS3_PT2_iSC_SC_.has_dyn_sized_stack, or(0, .L__assert_fail.has_dyn_sized_stack)
	.set _Z38paged_attention_ll4mi_QKV_mfma4_kernelI14__hip_bfloat16S0_LN4vllm18Fp8KVCacheDataTypeE0EhLi32ELi128ELi256ELb1ELi2EEvPKT_PKT0_S8_ifPKiSA_SA_iPKfiiiPfSD_PS3_PT2_iSC_SC_.has_recursion, or(0, .L__assert_fail.has_recursion)
	.set _Z38paged_attention_ll4mi_QKV_mfma4_kernelI14__hip_bfloat16S0_LN4vllm18Fp8KVCacheDataTypeE0EhLi32ELi128ELi256ELb1ELi2EEvPKT_PKT0_S8_ifPKiSA_SA_iPKfiiiPfSD_PS3_PT2_iSC_SC_.has_indirect_call, or(0, .L__assert_fail.has_indirect_call)
	.section	.AMDGPU.csdata,"",@progbits
; Kernel info:
; codeLenInByte = 68
; TotalNumSgprs: 36
; NumVgprs: 51
; ScratchSize: 64
; MemoryBound: 0
; FloatMode: 240
; IeeeMode: 1
; LDSByteSize: 0 bytes/workgroup (compile time only)
; SGPRBlocks: 0
; VGPRBlocks: 3
; NumSGPRsForWavesPerEU: 36
; NumVGPRsForWavesPerEU: 51
; NamedBarCnt: 0
; Occupancy: 16
; WaveLimiterHint : 1
; COMPUTE_PGM_RSRC2:SCRATCH_EN: 1
; COMPUTE_PGM_RSRC2:USER_SGPR: 2
; COMPUTE_PGM_RSRC2:TRAP_HANDLER: 0
; COMPUTE_PGM_RSRC2:TGID_X_EN: 1
; COMPUTE_PGM_RSRC2:TGID_Y_EN: 0
; COMPUTE_PGM_RSRC2:TGID_Z_EN: 0
; COMPUTE_PGM_RSRC2:TIDIG_COMP_CNT: 0
	.section	.text._Z38paged_attention_ll4mi_QKV_mfma4_kernelI14__hip_bfloat16S0_LN4vllm18Fp8KVCacheDataTypeE0EhLi32ELi128ELi256ELb1ELi3EEvPKT_PKT0_S8_ifPKiSA_SA_iPKfiiiPfSD_PS3_PT2_iSC_SC_,"axG",@progbits,_Z38paged_attention_ll4mi_QKV_mfma4_kernelI14__hip_bfloat16S0_LN4vllm18Fp8KVCacheDataTypeE0EhLi32ELi128ELi256ELb1ELi3EEvPKT_PKT0_S8_ifPKiSA_SA_iPKfiiiPfSD_PS3_PT2_iSC_SC_,comdat
	.protected	_Z38paged_attention_ll4mi_QKV_mfma4_kernelI14__hip_bfloat16S0_LN4vllm18Fp8KVCacheDataTypeE0EhLi32ELi128ELi256ELb1ELi3EEvPKT_PKT0_S8_ifPKiSA_SA_iPKfiiiPfSD_PS3_PT2_iSC_SC_ ; -- Begin function _Z38paged_attention_ll4mi_QKV_mfma4_kernelI14__hip_bfloat16S0_LN4vllm18Fp8KVCacheDataTypeE0EhLi32ELi128ELi256ELb1ELi3EEvPKT_PKT0_S8_ifPKiSA_SA_iPKfiiiPfSD_PS3_PT2_iSC_SC_
	.globl	_Z38paged_attention_ll4mi_QKV_mfma4_kernelI14__hip_bfloat16S0_LN4vllm18Fp8KVCacheDataTypeE0EhLi32ELi128ELi256ELb1ELi3EEvPKT_PKT0_S8_ifPKiSA_SA_iPKfiiiPfSD_PS3_PT2_iSC_SC_
	.p2align	8
	.type	_Z38paged_attention_ll4mi_QKV_mfma4_kernelI14__hip_bfloat16S0_LN4vllm18Fp8KVCacheDataTypeE0EhLi32ELi128ELi256ELb1ELi3EEvPKT_PKT0_S8_ifPKiSA_SA_iPKfiiiPfSD_PS3_PT2_iSC_SC_,@function
_Z38paged_attention_ll4mi_QKV_mfma4_kernelI14__hip_bfloat16S0_LN4vllm18Fp8KVCacheDataTypeE0EhLi32ELi128ELi256ELb1ELi3EEvPKT_PKT0_S8_ifPKiSA_SA_iPKfiiiPfSD_PS3_PT2_iSC_SC_: ; @_Z38paged_attention_ll4mi_QKV_mfma4_kernelI14__hip_bfloat16S0_LN4vllm18Fp8KVCacheDataTypeE0EhLi32ELi128ELi256ELb1ELi3EEvPKT_PKT0_S8_ifPKiSA_SA_iPKfiiiPfSD_PS3_PT2_iSC_SC_
; %bb.0:
	s_get_pc_i64 s[2:3]
	s_add_nc_u64 s[2:3], s[2:3], __PRETTY_FUNCTION__._Z38paged_attention_ll4mi_QKV_mfma4_kernelI14__hip_bfloat16S0_LN4vllm18Fp8KVCacheDataTypeE0EhLi32ELi128ELi256ELb1ELi3EEvPKT_PKT0_S8_ifPKiSA_SA_iPKfiiiPfSD_PS3_PT2_iSC_SC_@rel64+4
	s_delay_alu instid0(SALU_CYCLE_1)
	v_dual_mov_b32 v0, 0xbce :: v_dual_mov_b32 v1, s2
	v_mov_b32_e32 v2, s3
	s_add_nc_u64 s[8:9], s[0:1], 0x90
	s_get_pc_i64 s[0:1]
	s_add_nc_u64 s[0:1], s[0:1], __assert_fail@rel64+4
	s_mov_b32 s32, 0
	s_swap_pc_i64 s[30:31], s[0:1]
	.section	.rodata,"a",@progbits
	.p2align	6, 0x0
	.amdhsa_kernel _Z38paged_attention_ll4mi_QKV_mfma4_kernelI14__hip_bfloat16S0_LN4vllm18Fp8KVCacheDataTypeE0EhLi32ELi128ELi256ELb1ELi3EEvPKT_PKT0_S8_ifPKiSA_SA_iPKfiiiPfSD_PS3_PT2_iSC_SC_
		.amdhsa_group_segment_fixed_size 0
		.amdhsa_private_segment_fixed_size 64
		.amdhsa_kernarg_size 400
		.amdhsa_user_sgpr_count 2
		.amdhsa_user_sgpr_dispatch_ptr 0
		.amdhsa_user_sgpr_queue_ptr 0
		.amdhsa_user_sgpr_kernarg_segment_ptr 1
		.amdhsa_user_sgpr_dispatch_id 0
		.amdhsa_user_sgpr_kernarg_preload_length 0
		.amdhsa_user_sgpr_kernarg_preload_offset 0
		.amdhsa_user_sgpr_private_segment_size 0
		.amdhsa_wavefront_size32 1
		.amdhsa_uses_dynamic_stack 0
		.amdhsa_enable_private_segment 1
		.amdhsa_system_sgpr_workgroup_id_x 1
		.amdhsa_system_sgpr_workgroup_id_y 0
		.amdhsa_system_sgpr_workgroup_id_z 0
		.amdhsa_system_sgpr_workgroup_info 0
		.amdhsa_system_vgpr_workitem_id 0
		.amdhsa_next_free_vgpr 51
		.amdhsa_next_free_sgpr 34
		.amdhsa_named_barrier_count 0
		.amdhsa_reserve_vcc 1
		.amdhsa_float_round_mode_32 0
		.amdhsa_float_round_mode_16_64 0
		.amdhsa_float_denorm_mode_32 3
		.amdhsa_float_denorm_mode_16_64 3
		.amdhsa_fp16_overflow 0
		.amdhsa_memory_ordered 1
		.amdhsa_forward_progress 1
		.amdhsa_inst_pref_size 1
		.amdhsa_round_robin_scheduling 0
		.amdhsa_exception_fp_ieee_invalid_op 0
		.amdhsa_exception_fp_denorm_src 0
		.amdhsa_exception_fp_ieee_div_zero 0
		.amdhsa_exception_fp_ieee_overflow 0
		.amdhsa_exception_fp_ieee_underflow 0
		.amdhsa_exception_fp_ieee_inexact 0
		.amdhsa_exception_int_div_zero 0
	.end_amdhsa_kernel
	.section	.text._Z38paged_attention_ll4mi_QKV_mfma4_kernelI14__hip_bfloat16S0_LN4vllm18Fp8KVCacheDataTypeE0EhLi32ELi128ELi256ELb1ELi3EEvPKT_PKT0_S8_ifPKiSA_SA_iPKfiiiPfSD_PS3_PT2_iSC_SC_,"axG",@progbits,_Z38paged_attention_ll4mi_QKV_mfma4_kernelI14__hip_bfloat16S0_LN4vllm18Fp8KVCacheDataTypeE0EhLi32ELi128ELi256ELb1ELi3EEvPKT_PKT0_S8_ifPKiSA_SA_iPKfiiiPfSD_PS3_PT2_iSC_SC_,comdat
.Lfunc_end692:
	.size	_Z38paged_attention_ll4mi_QKV_mfma4_kernelI14__hip_bfloat16S0_LN4vllm18Fp8KVCacheDataTypeE0EhLi32ELi128ELi256ELb1ELi3EEvPKT_PKT0_S8_ifPKiSA_SA_iPKfiiiPfSD_PS3_PT2_iSC_SC_, .Lfunc_end692-_Z38paged_attention_ll4mi_QKV_mfma4_kernelI14__hip_bfloat16S0_LN4vllm18Fp8KVCacheDataTypeE0EhLi32ELi128ELi256ELb1ELi3EEvPKT_PKT0_S8_ifPKiSA_SA_iPKfiiiPfSD_PS3_PT2_iSC_SC_
                                        ; -- End function
	.set _Z38paged_attention_ll4mi_QKV_mfma4_kernelI14__hip_bfloat16S0_LN4vllm18Fp8KVCacheDataTypeE0EhLi32ELi128ELi256ELb1ELi3EEvPKT_PKT0_S8_ifPKiSA_SA_iPKfiiiPfSD_PS3_PT2_iSC_SC_.num_vgpr, max(3, .L__assert_fail.num_vgpr)
	.set _Z38paged_attention_ll4mi_QKV_mfma4_kernelI14__hip_bfloat16S0_LN4vllm18Fp8KVCacheDataTypeE0EhLi32ELi128ELi256ELb1ELi3EEvPKT_PKT0_S8_ifPKiSA_SA_iPKfiiiPfSD_PS3_PT2_iSC_SC_.num_agpr, max(0, .L__assert_fail.num_agpr)
	.set _Z38paged_attention_ll4mi_QKV_mfma4_kernelI14__hip_bfloat16S0_LN4vllm18Fp8KVCacheDataTypeE0EhLi32ELi128ELi256ELb1ELi3EEvPKT_PKT0_S8_ifPKiSA_SA_iPKfiiiPfSD_PS3_PT2_iSC_SC_.numbered_sgpr, max(33, .L__assert_fail.numbered_sgpr)
	.set _Z38paged_attention_ll4mi_QKV_mfma4_kernelI14__hip_bfloat16S0_LN4vllm18Fp8KVCacheDataTypeE0EhLi32ELi128ELi256ELb1ELi3EEvPKT_PKT0_S8_ifPKiSA_SA_iPKfiiiPfSD_PS3_PT2_iSC_SC_.num_named_barrier, max(0, .L__assert_fail.num_named_barrier)
	.set _Z38paged_attention_ll4mi_QKV_mfma4_kernelI14__hip_bfloat16S0_LN4vllm18Fp8KVCacheDataTypeE0EhLi32ELi128ELi256ELb1ELi3EEvPKT_PKT0_S8_ifPKiSA_SA_iPKfiiiPfSD_PS3_PT2_iSC_SC_.private_seg_size, 0+max(.L__assert_fail.private_seg_size)
	.set _Z38paged_attention_ll4mi_QKV_mfma4_kernelI14__hip_bfloat16S0_LN4vllm18Fp8KVCacheDataTypeE0EhLi32ELi128ELi256ELb1ELi3EEvPKT_PKT0_S8_ifPKiSA_SA_iPKfiiiPfSD_PS3_PT2_iSC_SC_.uses_vcc, or(1, .L__assert_fail.uses_vcc)
	.set _Z38paged_attention_ll4mi_QKV_mfma4_kernelI14__hip_bfloat16S0_LN4vllm18Fp8KVCacheDataTypeE0EhLi32ELi128ELi256ELb1ELi3EEvPKT_PKT0_S8_ifPKiSA_SA_iPKfiiiPfSD_PS3_PT2_iSC_SC_.uses_flat_scratch, or(0, .L__assert_fail.uses_flat_scratch)
	.set _Z38paged_attention_ll4mi_QKV_mfma4_kernelI14__hip_bfloat16S0_LN4vllm18Fp8KVCacheDataTypeE0EhLi32ELi128ELi256ELb1ELi3EEvPKT_PKT0_S8_ifPKiSA_SA_iPKfiiiPfSD_PS3_PT2_iSC_SC_.has_dyn_sized_stack, or(0, .L__assert_fail.has_dyn_sized_stack)
	.set _Z38paged_attention_ll4mi_QKV_mfma4_kernelI14__hip_bfloat16S0_LN4vllm18Fp8KVCacheDataTypeE0EhLi32ELi128ELi256ELb1ELi3EEvPKT_PKT0_S8_ifPKiSA_SA_iPKfiiiPfSD_PS3_PT2_iSC_SC_.has_recursion, or(0, .L__assert_fail.has_recursion)
	.set _Z38paged_attention_ll4mi_QKV_mfma4_kernelI14__hip_bfloat16S0_LN4vllm18Fp8KVCacheDataTypeE0EhLi32ELi128ELi256ELb1ELi3EEvPKT_PKT0_S8_ifPKiSA_SA_iPKfiiiPfSD_PS3_PT2_iSC_SC_.has_indirect_call, or(0, .L__assert_fail.has_indirect_call)
	.section	.AMDGPU.csdata,"",@progbits
; Kernel info:
; codeLenInByte = 68
; TotalNumSgprs: 36
; NumVgprs: 51
; ScratchSize: 64
; MemoryBound: 0
; FloatMode: 240
; IeeeMode: 1
; LDSByteSize: 0 bytes/workgroup (compile time only)
; SGPRBlocks: 0
; VGPRBlocks: 3
; NumSGPRsForWavesPerEU: 36
; NumVGPRsForWavesPerEU: 51
; NamedBarCnt: 0
; Occupancy: 16
; WaveLimiterHint : 1
; COMPUTE_PGM_RSRC2:SCRATCH_EN: 1
; COMPUTE_PGM_RSRC2:USER_SGPR: 2
; COMPUTE_PGM_RSRC2:TRAP_HANDLER: 0
; COMPUTE_PGM_RSRC2:TGID_X_EN: 1
; COMPUTE_PGM_RSRC2:TGID_Y_EN: 0
; COMPUTE_PGM_RSRC2:TGID_Z_EN: 0
; COMPUTE_PGM_RSRC2:TIDIG_COMP_CNT: 0
	.section	.text._Z38paged_attention_ll4mi_QKV_mfma4_kernelI14__hip_bfloat16S0_LN4vllm18Fp8KVCacheDataTypeE0EhLi32ELi128ELi256ELb1ELi4EEvPKT_PKT0_S8_ifPKiSA_SA_iPKfiiiPfSD_PS3_PT2_iSC_SC_,"axG",@progbits,_Z38paged_attention_ll4mi_QKV_mfma4_kernelI14__hip_bfloat16S0_LN4vllm18Fp8KVCacheDataTypeE0EhLi32ELi128ELi256ELb1ELi4EEvPKT_PKT0_S8_ifPKiSA_SA_iPKfiiiPfSD_PS3_PT2_iSC_SC_,comdat
	.protected	_Z38paged_attention_ll4mi_QKV_mfma4_kernelI14__hip_bfloat16S0_LN4vllm18Fp8KVCacheDataTypeE0EhLi32ELi128ELi256ELb1ELi4EEvPKT_PKT0_S8_ifPKiSA_SA_iPKfiiiPfSD_PS3_PT2_iSC_SC_ ; -- Begin function _Z38paged_attention_ll4mi_QKV_mfma4_kernelI14__hip_bfloat16S0_LN4vllm18Fp8KVCacheDataTypeE0EhLi32ELi128ELi256ELb1ELi4EEvPKT_PKT0_S8_ifPKiSA_SA_iPKfiiiPfSD_PS3_PT2_iSC_SC_
	.globl	_Z38paged_attention_ll4mi_QKV_mfma4_kernelI14__hip_bfloat16S0_LN4vllm18Fp8KVCacheDataTypeE0EhLi32ELi128ELi256ELb1ELi4EEvPKT_PKT0_S8_ifPKiSA_SA_iPKfiiiPfSD_PS3_PT2_iSC_SC_
	.p2align	8
	.type	_Z38paged_attention_ll4mi_QKV_mfma4_kernelI14__hip_bfloat16S0_LN4vllm18Fp8KVCacheDataTypeE0EhLi32ELi128ELi256ELb1ELi4EEvPKT_PKT0_S8_ifPKiSA_SA_iPKfiiiPfSD_PS3_PT2_iSC_SC_,@function
_Z38paged_attention_ll4mi_QKV_mfma4_kernelI14__hip_bfloat16S0_LN4vllm18Fp8KVCacheDataTypeE0EhLi32ELi128ELi256ELb1ELi4EEvPKT_PKT0_S8_ifPKiSA_SA_iPKfiiiPfSD_PS3_PT2_iSC_SC_: ; @_Z38paged_attention_ll4mi_QKV_mfma4_kernelI14__hip_bfloat16S0_LN4vllm18Fp8KVCacheDataTypeE0EhLi32ELi128ELi256ELb1ELi4EEvPKT_PKT0_S8_ifPKiSA_SA_iPKfiiiPfSD_PS3_PT2_iSC_SC_
; %bb.0:
	s_get_pc_i64 s[2:3]
	s_add_nc_u64 s[2:3], s[2:3], __PRETTY_FUNCTION__._Z38paged_attention_ll4mi_QKV_mfma4_kernelI14__hip_bfloat16S0_LN4vllm18Fp8KVCacheDataTypeE0EhLi32ELi128ELi256ELb1ELi4EEvPKT_PKT0_S8_ifPKiSA_SA_iPKfiiiPfSD_PS3_PT2_iSC_SC_@rel64+4
	s_delay_alu instid0(SALU_CYCLE_1)
	v_dual_mov_b32 v0, 0xbce :: v_dual_mov_b32 v1, s2
	v_mov_b32_e32 v2, s3
	s_add_nc_u64 s[8:9], s[0:1], 0x90
	s_get_pc_i64 s[0:1]
	s_add_nc_u64 s[0:1], s[0:1], __assert_fail@rel64+4
	s_mov_b32 s32, 0
	s_swap_pc_i64 s[30:31], s[0:1]
	.section	.rodata,"a",@progbits
	.p2align	6, 0x0
	.amdhsa_kernel _Z38paged_attention_ll4mi_QKV_mfma4_kernelI14__hip_bfloat16S0_LN4vllm18Fp8KVCacheDataTypeE0EhLi32ELi128ELi256ELb1ELi4EEvPKT_PKT0_S8_ifPKiSA_SA_iPKfiiiPfSD_PS3_PT2_iSC_SC_
		.amdhsa_group_segment_fixed_size 0
		.amdhsa_private_segment_fixed_size 64
		.amdhsa_kernarg_size 400
		.amdhsa_user_sgpr_count 2
		.amdhsa_user_sgpr_dispatch_ptr 0
		.amdhsa_user_sgpr_queue_ptr 0
		.amdhsa_user_sgpr_kernarg_segment_ptr 1
		.amdhsa_user_sgpr_dispatch_id 0
		.amdhsa_user_sgpr_kernarg_preload_length 0
		.amdhsa_user_sgpr_kernarg_preload_offset 0
		.amdhsa_user_sgpr_private_segment_size 0
		.amdhsa_wavefront_size32 1
		.amdhsa_uses_dynamic_stack 0
		.amdhsa_enable_private_segment 1
		.amdhsa_system_sgpr_workgroup_id_x 1
		.amdhsa_system_sgpr_workgroup_id_y 0
		.amdhsa_system_sgpr_workgroup_id_z 0
		.amdhsa_system_sgpr_workgroup_info 0
		.amdhsa_system_vgpr_workitem_id 0
		.amdhsa_next_free_vgpr 51
		.amdhsa_next_free_sgpr 34
		.amdhsa_named_barrier_count 0
		.amdhsa_reserve_vcc 1
		.amdhsa_float_round_mode_32 0
		.amdhsa_float_round_mode_16_64 0
		.amdhsa_float_denorm_mode_32 3
		.amdhsa_float_denorm_mode_16_64 3
		.amdhsa_fp16_overflow 0
		.amdhsa_memory_ordered 1
		.amdhsa_forward_progress 1
		.amdhsa_inst_pref_size 1
		.amdhsa_round_robin_scheduling 0
		.amdhsa_exception_fp_ieee_invalid_op 0
		.amdhsa_exception_fp_denorm_src 0
		.amdhsa_exception_fp_ieee_div_zero 0
		.amdhsa_exception_fp_ieee_overflow 0
		.amdhsa_exception_fp_ieee_underflow 0
		.amdhsa_exception_fp_ieee_inexact 0
		.amdhsa_exception_int_div_zero 0
	.end_amdhsa_kernel
	.section	.text._Z38paged_attention_ll4mi_QKV_mfma4_kernelI14__hip_bfloat16S0_LN4vllm18Fp8KVCacheDataTypeE0EhLi32ELi128ELi256ELb1ELi4EEvPKT_PKT0_S8_ifPKiSA_SA_iPKfiiiPfSD_PS3_PT2_iSC_SC_,"axG",@progbits,_Z38paged_attention_ll4mi_QKV_mfma4_kernelI14__hip_bfloat16S0_LN4vllm18Fp8KVCacheDataTypeE0EhLi32ELi128ELi256ELb1ELi4EEvPKT_PKT0_S8_ifPKiSA_SA_iPKfiiiPfSD_PS3_PT2_iSC_SC_,comdat
.Lfunc_end693:
	.size	_Z38paged_attention_ll4mi_QKV_mfma4_kernelI14__hip_bfloat16S0_LN4vllm18Fp8KVCacheDataTypeE0EhLi32ELi128ELi256ELb1ELi4EEvPKT_PKT0_S8_ifPKiSA_SA_iPKfiiiPfSD_PS3_PT2_iSC_SC_, .Lfunc_end693-_Z38paged_attention_ll4mi_QKV_mfma4_kernelI14__hip_bfloat16S0_LN4vllm18Fp8KVCacheDataTypeE0EhLi32ELi128ELi256ELb1ELi4EEvPKT_PKT0_S8_ifPKiSA_SA_iPKfiiiPfSD_PS3_PT2_iSC_SC_
                                        ; -- End function
	.set _Z38paged_attention_ll4mi_QKV_mfma4_kernelI14__hip_bfloat16S0_LN4vllm18Fp8KVCacheDataTypeE0EhLi32ELi128ELi256ELb1ELi4EEvPKT_PKT0_S8_ifPKiSA_SA_iPKfiiiPfSD_PS3_PT2_iSC_SC_.num_vgpr, max(3, .L__assert_fail.num_vgpr)
	.set _Z38paged_attention_ll4mi_QKV_mfma4_kernelI14__hip_bfloat16S0_LN4vllm18Fp8KVCacheDataTypeE0EhLi32ELi128ELi256ELb1ELi4EEvPKT_PKT0_S8_ifPKiSA_SA_iPKfiiiPfSD_PS3_PT2_iSC_SC_.num_agpr, max(0, .L__assert_fail.num_agpr)
	.set _Z38paged_attention_ll4mi_QKV_mfma4_kernelI14__hip_bfloat16S0_LN4vllm18Fp8KVCacheDataTypeE0EhLi32ELi128ELi256ELb1ELi4EEvPKT_PKT0_S8_ifPKiSA_SA_iPKfiiiPfSD_PS3_PT2_iSC_SC_.numbered_sgpr, max(33, .L__assert_fail.numbered_sgpr)
	.set _Z38paged_attention_ll4mi_QKV_mfma4_kernelI14__hip_bfloat16S0_LN4vllm18Fp8KVCacheDataTypeE0EhLi32ELi128ELi256ELb1ELi4EEvPKT_PKT0_S8_ifPKiSA_SA_iPKfiiiPfSD_PS3_PT2_iSC_SC_.num_named_barrier, max(0, .L__assert_fail.num_named_barrier)
	.set _Z38paged_attention_ll4mi_QKV_mfma4_kernelI14__hip_bfloat16S0_LN4vllm18Fp8KVCacheDataTypeE0EhLi32ELi128ELi256ELb1ELi4EEvPKT_PKT0_S8_ifPKiSA_SA_iPKfiiiPfSD_PS3_PT2_iSC_SC_.private_seg_size, 0+max(.L__assert_fail.private_seg_size)
	.set _Z38paged_attention_ll4mi_QKV_mfma4_kernelI14__hip_bfloat16S0_LN4vllm18Fp8KVCacheDataTypeE0EhLi32ELi128ELi256ELb1ELi4EEvPKT_PKT0_S8_ifPKiSA_SA_iPKfiiiPfSD_PS3_PT2_iSC_SC_.uses_vcc, or(1, .L__assert_fail.uses_vcc)
	.set _Z38paged_attention_ll4mi_QKV_mfma4_kernelI14__hip_bfloat16S0_LN4vllm18Fp8KVCacheDataTypeE0EhLi32ELi128ELi256ELb1ELi4EEvPKT_PKT0_S8_ifPKiSA_SA_iPKfiiiPfSD_PS3_PT2_iSC_SC_.uses_flat_scratch, or(0, .L__assert_fail.uses_flat_scratch)
	.set _Z38paged_attention_ll4mi_QKV_mfma4_kernelI14__hip_bfloat16S0_LN4vllm18Fp8KVCacheDataTypeE0EhLi32ELi128ELi256ELb1ELi4EEvPKT_PKT0_S8_ifPKiSA_SA_iPKfiiiPfSD_PS3_PT2_iSC_SC_.has_dyn_sized_stack, or(0, .L__assert_fail.has_dyn_sized_stack)
	.set _Z38paged_attention_ll4mi_QKV_mfma4_kernelI14__hip_bfloat16S0_LN4vllm18Fp8KVCacheDataTypeE0EhLi32ELi128ELi256ELb1ELi4EEvPKT_PKT0_S8_ifPKiSA_SA_iPKfiiiPfSD_PS3_PT2_iSC_SC_.has_recursion, or(0, .L__assert_fail.has_recursion)
	.set _Z38paged_attention_ll4mi_QKV_mfma4_kernelI14__hip_bfloat16S0_LN4vllm18Fp8KVCacheDataTypeE0EhLi32ELi128ELi256ELb1ELi4EEvPKT_PKT0_S8_ifPKiSA_SA_iPKfiiiPfSD_PS3_PT2_iSC_SC_.has_indirect_call, or(0, .L__assert_fail.has_indirect_call)
	.section	.AMDGPU.csdata,"",@progbits
; Kernel info:
; codeLenInByte = 68
; TotalNumSgprs: 36
; NumVgprs: 51
; ScratchSize: 64
; MemoryBound: 0
; FloatMode: 240
; IeeeMode: 1
; LDSByteSize: 0 bytes/workgroup (compile time only)
; SGPRBlocks: 0
; VGPRBlocks: 3
; NumSGPRsForWavesPerEU: 36
; NumVGPRsForWavesPerEU: 51
; NamedBarCnt: 0
; Occupancy: 16
; WaveLimiterHint : 1
; COMPUTE_PGM_RSRC2:SCRATCH_EN: 1
; COMPUTE_PGM_RSRC2:USER_SGPR: 2
; COMPUTE_PGM_RSRC2:TRAP_HANDLER: 0
; COMPUTE_PGM_RSRC2:TGID_X_EN: 1
; COMPUTE_PGM_RSRC2:TGID_Y_EN: 0
; COMPUTE_PGM_RSRC2:TGID_Z_EN: 0
; COMPUTE_PGM_RSRC2:TIDIG_COMP_CNT: 0
	.section	.text._Z39paged_attention_ll4mi_QKV_mfma16_kernelI14__hip_bfloat16S0_LN4vllm18Fp8KVCacheDataTypeE0EhLi32ELi128ELi256ELb1ELi5EEvPKT_PKT0_S8_ifPKiSA_SA_iPKfiiiPfSD_PS3_PT2_iSC_SC_,"axG",@progbits,_Z39paged_attention_ll4mi_QKV_mfma16_kernelI14__hip_bfloat16S0_LN4vllm18Fp8KVCacheDataTypeE0EhLi32ELi128ELi256ELb1ELi5EEvPKT_PKT0_S8_ifPKiSA_SA_iPKfiiiPfSD_PS3_PT2_iSC_SC_,comdat
	.protected	_Z39paged_attention_ll4mi_QKV_mfma16_kernelI14__hip_bfloat16S0_LN4vllm18Fp8KVCacheDataTypeE0EhLi32ELi128ELi256ELb1ELi5EEvPKT_PKT0_S8_ifPKiSA_SA_iPKfiiiPfSD_PS3_PT2_iSC_SC_ ; -- Begin function _Z39paged_attention_ll4mi_QKV_mfma16_kernelI14__hip_bfloat16S0_LN4vllm18Fp8KVCacheDataTypeE0EhLi32ELi128ELi256ELb1ELi5EEvPKT_PKT0_S8_ifPKiSA_SA_iPKfiiiPfSD_PS3_PT2_iSC_SC_
	.globl	_Z39paged_attention_ll4mi_QKV_mfma16_kernelI14__hip_bfloat16S0_LN4vllm18Fp8KVCacheDataTypeE0EhLi32ELi128ELi256ELb1ELi5EEvPKT_PKT0_S8_ifPKiSA_SA_iPKfiiiPfSD_PS3_PT2_iSC_SC_
	.p2align	8
	.type	_Z39paged_attention_ll4mi_QKV_mfma16_kernelI14__hip_bfloat16S0_LN4vllm18Fp8KVCacheDataTypeE0EhLi32ELi128ELi256ELb1ELi5EEvPKT_PKT0_S8_ifPKiSA_SA_iPKfiiiPfSD_PS3_PT2_iSC_SC_,@function
_Z39paged_attention_ll4mi_QKV_mfma16_kernelI14__hip_bfloat16S0_LN4vllm18Fp8KVCacheDataTypeE0EhLi32ELi128ELi256ELb1ELi5EEvPKT_PKT0_S8_ifPKiSA_SA_iPKfiiiPfSD_PS3_PT2_iSC_SC_: ; @_Z39paged_attention_ll4mi_QKV_mfma16_kernelI14__hip_bfloat16S0_LN4vllm18Fp8KVCacheDataTypeE0EhLi32ELi128ELi256ELb1ELi5EEvPKT_PKT0_S8_ifPKiSA_SA_iPKfiiiPfSD_PS3_PT2_iSC_SC_
; %bb.0:
	s_get_pc_i64 s[2:3]
	s_add_nc_u64 s[2:3], s[2:3], __PRETTY_FUNCTION__._Z39paged_attention_ll4mi_QKV_mfma16_kernelI14__hip_bfloat16S0_LN4vllm18Fp8KVCacheDataTypeE0EhLi32ELi128ELi256ELb1ELi5EEvPKT_PKT0_S8_ifPKiSA_SA_iPKfiiiPfSD_PS3_PT2_iSC_SC_@rel64+4
	s_delay_alu instid0(SALU_CYCLE_1)
	v_dual_mov_b32 v0, 0xbb3 :: v_dual_mov_b32 v1, s2
	v_mov_b32_e32 v2, s3
	s_add_nc_u64 s[8:9], s[0:1], 0x90
	s_get_pc_i64 s[0:1]
	s_add_nc_u64 s[0:1], s[0:1], __assert_fail@rel64+4
	s_mov_b32 s32, 0
	s_swap_pc_i64 s[30:31], s[0:1]
	.section	.rodata,"a",@progbits
	.p2align	6, 0x0
	.amdhsa_kernel _Z39paged_attention_ll4mi_QKV_mfma16_kernelI14__hip_bfloat16S0_LN4vllm18Fp8KVCacheDataTypeE0EhLi32ELi128ELi256ELb1ELi5EEvPKT_PKT0_S8_ifPKiSA_SA_iPKfiiiPfSD_PS3_PT2_iSC_SC_
		.amdhsa_group_segment_fixed_size 0
		.amdhsa_private_segment_fixed_size 64
		.amdhsa_kernarg_size 400
		.amdhsa_user_sgpr_count 2
		.amdhsa_user_sgpr_dispatch_ptr 0
		.amdhsa_user_sgpr_queue_ptr 0
		.amdhsa_user_sgpr_kernarg_segment_ptr 1
		.amdhsa_user_sgpr_dispatch_id 0
		.amdhsa_user_sgpr_kernarg_preload_length 0
		.amdhsa_user_sgpr_kernarg_preload_offset 0
		.amdhsa_user_sgpr_private_segment_size 0
		.amdhsa_wavefront_size32 1
		.amdhsa_uses_dynamic_stack 0
		.amdhsa_enable_private_segment 1
		.amdhsa_system_sgpr_workgroup_id_x 1
		.amdhsa_system_sgpr_workgroup_id_y 0
		.amdhsa_system_sgpr_workgroup_id_z 0
		.amdhsa_system_sgpr_workgroup_info 0
		.amdhsa_system_vgpr_workitem_id 0
		.amdhsa_next_free_vgpr 51
		.amdhsa_next_free_sgpr 34
		.amdhsa_named_barrier_count 0
		.amdhsa_reserve_vcc 1
		.amdhsa_float_round_mode_32 0
		.amdhsa_float_round_mode_16_64 0
		.amdhsa_float_denorm_mode_32 3
		.amdhsa_float_denorm_mode_16_64 3
		.amdhsa_fp16_overflow 0
		.amdhsa_memory_ordered 1
		.amdhsa_forward_progress 1
		.amdhsa_inst_pref_size 1
		.amdhsa_round_robin_scheduling 0
		.amdhsa_exception_fp_ieee_invalid_op 0
		.amdhsa_exception_fp_denorm_src 0
		.amdhsa_exception_fp_ieee_div_zero 0
		.amdhsa_exception_fp_ieee_overflow 0
		.amdhsa_exception_fp_ieee_underflow 0
		.amdhsa_exception_fp_ieee_inexact 0
		.amdhsa_exception_int_div_zero 0
	.end_amdhsa_kernel
	.section	.text._Z39paged_attention_ll4mi_QKV_mfma16_kernelI14__hip_bfloat16S0_LN4vllm18Fp8KVCacheDataTypeE0EhLi32ELi128ELi256ELb1ELi5EEvPKT_PKT0_S8_ifPKiSA_SA_iPKfiiiPfSD_PS3_PT2_iSC_SC_,"axG",@progbits,_Z39paged_attention_ll4mi_QKV_mfma16_kernelI14__hip_bfloat16S0_LN4vllm18Fp8KVCacheDataTypeE0EhLi32ELi128ELi256ELb1ELi5EEvPKT_PKT0_S8_ifPKiSA_SA_iPKfiiiPfSD_PS3_PT2_iSC_SC_,comdat
.Lfunc_end694:
	.size	_Z39paged_attention_ll4mi_QKV_mfma16_kernelI14__hip_bfloat16S0_LN4vllm18Fp8KVCacheDataTypeE0EhLi32ELi128ELi256ELb1ELi5EEvPKT_PKT0_S8_ifPKiSA_SA_iPKfiiiPfSD_PS3_PT2_iSC_SC_, .Lfunc_end694-_Z39paged_attention_ll4mi_QKV_mfma16_kernelI14__hip_bfloat16S0_LN4vllm18Fp8KVCacheDataTypeE0EhLi32ELi128ELi256ELb1ELi5EEvPKT_PKT0_S8_ifPKiSA_SA_iPKfiiiPfSD_PS3_PT2_iSC_SC_
                                        ; -- End function
	.set _Z39paged_attention_ll4mi_QKV_mfma16_kernelI14__hip_bfloat16S0_LN4vllm18Fp8KVCacheDataTypeE0EhLi32ELi128ELi256ELb1ELi5EEvPKT_PKT0_S8_ifPKiSA_SA_iPKfiiiPfSD_PS3_PT2_iSC_SC_.num_vgpr, max(3, .L__assert_fail.num_vgpr)
	.set _Z39paged_attention_ll4mi_QKV_mfma16_kernelI14__hip_bfloat16S0_LN4vllm18Fp8KVCacheDataTypeE0EhLi32ELi128ELi256ELb1ELi5EEvPKT_PKT0_S8_ifPKiSA_SA_iPKfiiiPfSD_PS3_PT2_iSC_SC_.num_agpr, max(0, .L__assert_fail.num_agpr)
	.set _Z39paged_attention_ll4mi_QKV_mfma16_kernelI14__hip_bfloat16S0_LN4vllm18Fp8KVCacheDataTypeE0EhLi32ELi128ELi256ELb1ELi5EEvPKT_PKT0_S8_ifPKiSA_SA_iPKfiiiPfSD_PS3_PT2_iSC_SC_.numbered_sgpr, max(33, .L__assert_fail.numbered_sgpr)
	.set _Z39paged_attention_ll4mi_QKV_mfma16_kernelI14__hip_bfloat16S0_LN4vllm18Fp8KVCacheDataTypeE0EhLi32ELi128ELi256ELb1ELi5EEvPKT_PKT0_S8_ifPKiSA_SA_iPKfiiiPfSD_PS3_PT2_iSC_SC_.num_named_barrier, max(0, .L__assert_fail.num_named_barrier)
	.set _Z39paged_attention_ll4mi_QKV_mfma16_kernelI14__hip_bfloat16S0_LN4vllm18Fp8KVCacheDataTypeE0EhLi32ELi128ELi256ELb1ELi5EEvPKT_PKT0_S8_ifPKiSA_SA_iPKfiiiPfSD_PS3_PT2_iSC_SC_.private_seg_size, 0+max(.L__assert_fail.private_seg_size)
	.set _Z39paged_attention_ll4mi_QKV_mfma16_kernelI14__hip_bfloat16S0_LN4vllm18Fp8KVCacheDataTypeE0EhLi32ELi128ELi256ELb1ELi5EEvPKT_PKT0_S8_ifPKiSA_SA_iPKfiiiPfSD_PS3_PT2_iSC_SC_.uses_vcc, or(1, .L__assert_fail.uses_vcc)
	.set _Z39paged_attention_ll4mi_QKV_mfma16_kernelI14__hip_bfloat16S0_LN4vllm18Fp8KVCacheDataTypeE0EhLi32ELi128ELi256ELb1ELi5EEvPKT_PKT0_S8_ifPKiSA_SA_iPKfiiiPfSD_PS3_PT2_iSC_SC_.uses_flat_scratch, or(0, .L__assert_fail.uses_flat_scratch)
	.set _Z39paged_attention_ll4mi_QKV_mfma16_kernelI14__hip_bfloat16S0_LN4vllm18Fp8KVCacheDataTypeE0EhLi32ELi128ELi256ELb1ELi5EEvPKT_PKT0_S8_ifPKiSA_SA_iPKfiiiPfSD_PS3_PT2_iSC_SC_.has_dyn_sized_stack, or(0, .L__assert_fail.has_dyn_sized_stack)
	.set _Z39paged_attention_ll4mi_QKV_mfma16_kernelI14__hip_bfloat16S0_LN4vllm18Fp8KVCacheDataTypeE0EhLi32ELi128ELi256ELb1ELi5EEvPKT_PKT0_S8_ifPKiSA_SA_iPKfiiiPfSD_PS3_PT2_iSC_SC_.has_recursion, or(0, .L__assert_fail.has_recursion)
	.set _Z39paged_attention_ll4mi_QKV_mfma16_kernelI14__hip_bfloat16S0_LN4vllm18Fp8KVCacheDataTypeE0EhLi32ELi128ELi256ELb1ELi5EEvPKT_PKT0_S8_ifPKiSA_SA_iPKfiiiPfSD_PS3_PT2_iSC_SC_.has_indirect_call, or(0, .L__assert_fail.has_indirect_call)
	.section	.AMDGPU.csdata,"",@progbits
; Kernel info:
; codeLenInByte = 68
; TotalNumSgprs: 36
; NumVgprs: 51
; ScratchSize: 64
; MemoryBound: 0
; FloatMode: 240
; IeeeMode: 1
; LDSByteSize: 0 bytes/workgroup (compile time only)
; SGPRBlocks: 0
; VGPRBlocks: 3
; NumSGPRsForWavesPerEU: 36
; NumVGPRsForWavesPerEU: 51
; NamedBarCnt: 0
; Occupancy: 16
; WaveLimiterHint : 1
; COMPUTE_PGM_RSRC2:SCRATCH_EN: 1
; COMPUTE_PGM_RSRC2:USER_SGPR: 2
; COMPUTE_PGM_RSRC2:TRAP_HANDLER: 0
; COMPUTE_PGM_RSRC2:TGID_X_EN: 1
; COMPUTE_PGM_RSRC2:TGID_Y_EN: 0
; COMPUTE_PGM_RSRC2:TGID_Z_EN: 0
; COMPUTE_PGM_RSRC2:TIDIG_COMP_CNT: 0
	.section	.text._Z39paged_attention_ll4mi_QKV_mfma16_kernelI14__hip_bfloat16S0_LN4vllm18Fp8KVCacheDataTypeE0EhLi32ELi128ELi256ELb1ELi6EEvPKT_PKT0_S8_ifPKiSA_SA_iPKfiiiPfSD_PS3_PT2_iSC_SC_,"axG",@progbits,_Z39paged_attention_ll4mi_QKV_mfma16_kernelI14__hip_bfloat16S0_LN4vllm18Fp8KVCacheDataTypeE0EhLi32ELi128ELi256ELb1ELi6EEvPKT_PKT0_S8_ifPKiSA_SA_iPKfiiiPfSD_PS3_PT2_iSC_SC_,comdat
	.protected	_Z39paged_attention_ll4mi_QKV_mfma16_kernelI14__hip_bfloat16S0_LN4vllm18Fp8KVCacheDataTypeE0EhLi32ELi128ELi256ELb1ELi6EEvPKT_PKT0_S8_ifPKiSA_SA_iPKfiiiPfSD_PS3_PT2_iSC_SC_ ; -- Begin function _Z39paged_attention_ll4mi_QKV_mfma16_kernelI14__hip_bfloat16S0_LN4vllm18Fp8KVCacheDataTypeE0EhLi32ELi128ELi256ELb1ELi6EEvPKT_PKT0_S8_ifPKiSA_SA_iPKfiiiPfSD_PS3_PT2_iSC_SC_
	.globl	_Z39paged_attention_ll4mi_QKV_mfma16_kernelI14__hip_bfloat16S0_LN4vllm18Fp8KVCacheDataTypeE0EhLi32ELi128ELi256ELb1ELi6EEvPKT_PKT0_S8_ifPKiSA_SA_iPKfiiiPfSD_PS3_PT2_iSC_SC_
	.p2align	8
	.type	_Z39paged_attention_ll4mi_QKV_mfma16_kernelI14__hip_bfloat16S0_LN4vllm18Fp8KVCacheDataTypeE0EhLi32ELi128ELi256ELb1ELi6EEvPKT_PKT0_S8_ifPKiSA_SA_iPKfiiiPfSD_PS3_PT2_iSC_SC_,@function
_Z39paged_attention_ll4mi_QKV_mfma16_kernelI14__hip_bfloat16S0_LN4vllm18Fp8KVCacheDataTypeE0EhLi32ELi128ELi256ELb1ELi6EEvPKT_PKT0_S8_ifPKiSA_SA_iPKfiiiPfSD_PS3_PT2_iSC_SC_: ; @_Z39paged_attention_ll4mi_QKV_mfma16_kernelI14__hip_bfloat16S0_LN4vllm18Fp8KVCacheDataTypeE0EhLi32ELi128ELi256ELb1ELi6EEvPKT_PKT0_S8_ifPKiSA_SA_iPKfiiiPfSD_PS3_PT2_iSC_SC_
; %bb.0:
	s_get_pc_i64 s[2:3]
	s_add_nc_u64 s[2:3], s[2:3], __PRETTY_FUNCTION__._Z39paged_attention_ll4mi_QKV_mfma16_kernelI14__hip_bfloat16S0_LN4vllm18Fp8KVCacheDataTypeE0EhLi32ELi128ELi256ELb1ELi6EEvPKT_PKT0_S8_ifPKiSA_SA_iPKfiiiPfSD_PS3_PT2_iSC_SC_@rel64+4
	s_delay_alu instid0(SALU_CYCLE_1)
	v_dual_mov_b32 v0, 0xbb3 :: v_dual_mov_b32 v1, s2
	v_mov_b32_e32 v2, s3
	s_add_nc_u64 s[8:9], s[0:1], 0x90
	s_get_pc_i64 s[0:1]
	s_add_nc_u64 s[0:1], s[0:1], __assert_fail@rel64+4
	s_mov_b32 s32, 0
	s_swap_pc_i64 s[30:31], s[0:1]
	.section	.rodata,"a",@progbits
	.p2align	6, 0x0
	.amdhsa_kernel _Z39paged_attention_ll4mi_QKV_mfma16_kernelI14__hip_bfloat16S0_LN4vllm18Fp8KVCacheDataTypeE0EhLi32ELi128ELi256ELb1ELi6EEvPKT_PKT0_S8_ifPKiSA_SA_iPKfiiiPfSD_PS3_PT2_iSC_SC_
		.amdhsa_group_segment_fixed_size 0
		.amdhsa_private_segment_fixed_size 64
		.amdhsa_kernarg_size 400
		.amdhsa_user_sgpr_count 2
		.amdhsa_user_sgpr_dispatch_ptr 0
		.amdhsa_user_sgpr_queue_ptr 0
		.amdhsa_user_sgpr_kernarg_segment_ptr 1
		.amdhsa_user_sgpr_dispatch_id 0
		.amdhsa_user_sgpr_kernarg_preload_length 0
		.amdhsa_user_sgpr_kernarg_preload_offset 0
		.amdhsa_user_sgpr_private_segment_size 0
		.amdhsa_wavefront_size32 1
		.amdhsa_uses_dynamic_stack 0
		.amdhsa_enable_private_segment 1
		.amdhsa_system_sgpr_workgroup_id_x 1
		.amdhsa_system_sgpr_workgroup_id_y 0
		.amdhsa_system_sgpr_workgroup_id_z 0
		.amdhsa_system_sgpr_workgroup_info 0
		.amdhsa_system_vgpr_workitem_id 0
		.amdhsa_next_free_vgpr 51
		.amdhsa_next_free_sgpr 34
		.amdhsa_named_barrier_count 0
		.amdhsa_reserve_vcc 1
		.amdhsa_float_round_mode_32 0
		.amdhsa_float_round_mode_16_64 0
		.amdhsa_float_denorm_mode_32 3
		.amdhsa_float_denorm_mode_16_64 3
		.amdhsa_fp16_overflow 0
		.amdhsa_memory_ordered 1
		.amdhsa_forward_progress 1
		.amdhsa_inst_pref_size 1
		.amdhsa_round_robin_scheduling 0
		.amdhsa_exception_fp_ieee_invalid_op 0
		.amdhsa_exception_fp_denorm_src 0
		.amdhsa_exception_fp_ieee_div_zero 0
		.amdhsa_exception_fp_ieee_overflow 0
		.amdhsa_exception_fp_ieee_underflow 0
		.amdhsa_exception_fp_ieee_inexact 0
		.amdhsa_exception_int_div_zero 0
	.end_amdhsa_kernel
	.section	.text._Z39paged_attention_ll4mi_QKV_mfma16_kernelI14__hip_bfloat16S0_LN4vllm18Fp8KVCacheDataTypeE0EhLi32ELi128ELi256ELb1ELi6EEvPKT_PKT0_S8_ifPKiSA_SA_iPKfiiiPfSD_PS3_PT2_iSC_SC_,"axG",@progbits,_Z39paged_attention_ll4mi_QKV_mfma16_kernelI14__hip_bfloat16S0_LN4vllm18Fp8KVCacheDataTypeE0EhLi32ELi128ELi256ELb1ELi6EEvPKT_PKT0_S8_ifPKiSA_SA_iPKfiiiPfSD_PS3_PT2_iSC_SC_,comdat
.Lfunc_end695:
	.size	_Z39paged_attention_ll4mi_QKV_mfma16_kernelI14__hip_bfloat16S0_LN4vllm18Fp8KVCacheDataTypeE0EhLi32ELi128ELi256ELb1ELi6EEvPKT_PKT0_S8_ifPKiSA_SA_iPKfiiiPfSD_PS3_PT2_iSC_SC_, .Lfunc_end695-_Z39paged_attention_ll4mi_QKV_mfma16_kernelI14__hip_bfloat16S0_LN4vllm18Fp8KVCacheDataTypeE0EhLi32ELi128ELi256ELb1ELi6EEvPKT_PKT0_S8_ifPKiSA_SA_iPKfiiiPfSD_PS3_PT2_iSC_SC_
                                        ; -- End function
	.set _Z39paged_attention_ll4mi_QKV_mfma16_kernelI14__hip_bfloat16S0_LN4vllm18Fp8KVCacheDataTypeE0EhLi32ELi128ELi256ELb1ELi6EEvPKT_PKT0_S8_ifPKiSA_SA_iPKfiiiPfSD_PS3_PT2_iSC_SC_.num_vgpr, max(3, .L__assert_fail.num_vgpr)
	.set _Z39paged_attention_ll4mi_QKV_mfma16_kernelI14__hip_bfloat16S0_LN4vllm18Fp8KVCacheDataTypeE0EhLi32ELi128ELi256ELb1ELi6EEvPKT_PKT0_S8_ifPKiSA_SA_iPKfiiiPfSD_PS3_PT2_iSC_SC_.num_agpr, max(0, .L__assert_fail.num_agpr)
	.set _Z39paged_attention_ll4mi_QKV_mfma16_kernelI14__hip_bfloat16S0_LN4vllm18Fp8KVCacheDataTypeE0EhLi32ELi128ELi256ELb1ELi6EEvPKT_PKT0_S8_ifPKiSA_SA_iPKfiiiPfSD_PS3_PT2_iSC_SC_.numbered_sgpr, max(33, .L__assert_fail.numbered_sgpr)
	.set _Z39paged_attention_ll4mi_QKV_mfma16_kernelI14__hip_bfloat16S0_LN4vllm18Fp8KVCacheDataTypeE0EhLi32ELi128ELi256ELb1ELi6EEvPKT_PKT0_S8_ifPKiSA_SA_iPKfiiiPfSD_PS3_PT2_iSC_SC_.num_named_barrier, max(0, .L__assert_fail.num_named_barrier)
	.set _Z39paged_attention_ll4mi_QKV_mfma16_kernelI14__hip_bfloat16S0_LN4vllm18Fp8KVCacheDataTypeE0EhLi32ELi128ELi256ELb1ELi6EEvPKT_PKT0_S8_ifPKiSA_SA_iPKfiiiPfSD_PS3_PT2_iSC_SC_.private_seg_size, 0+max(.L__assert_fail.private_seg_size)
	.set _Z39paged_attention_ll4mi_QKV_mfma16_kernelI14__hip_bfloat16S0_LN4vllm18Fp8KVCacheDataTypeE0EhLi32ELi128ELi256ELb1ELi6EEvPKT_PKT0_S8_ifPKiSA_SA_iPKfiiiPfSD_PS3_PT2_iSC_SC_.uses_vcc, or(1, .L__assert_fail.uses_vcc)
	.set _Z39paged_attention_ll4mi_QKV_mfma16_kernelI14__hip_bfloat16S0_LN4vllm18Fp8KVCacheDataTypeE0EhLi32ELi128ELi256ELb1ELi6EEvPKT_PKT0_S8_ifPKiSA_SA_iPKfiiiPfSD_PS3_PT2_iSC_SC_.uses_flat_scratch, or(0, .L__assert_fail.uses_flat_scratch)
	.set _Z39paged_attention_ll4mi_QKV_mfma16_kernelI14__hip_bfloat16S0_LN4vllm18Fp8KVCacheDataTypeE0EhLi32ELi128ELi256ELb1ELi6EEvPKT_PKT0_S8_ifPKiSA_SA_iPKfiiiPfSD_PS3_PT2_iSC_SC_.has_dyn_sized_stack, or(0, .L__assert_fail.has_dyn_sized_stack)
	.set _Z39paged_attention_ll4mi_QKV_mfma16_kernelI14__hip_bfloat16S0_LN4vllm18Fp8KVCacheDataTypeE0EhLi32ELi128ELi256ELb1ELi6EEvPKT_PKT0_S8_ifPKiSA_SA_iPKfiiiPfSD_PS3_PT2_iSC_SC_.has_recursion, or(0, .L__assert_fail.has_recursion)
	.set _Z39paged_attention_ll4mi_QKV_mfma16_kernelI14__hip_bfloat16S0_LN4vllm18Fp8KVCacheDataTypeE0EhLi32ELi128ELi256ELb1ELi6EEvPKT_PKT0_S8_ifPKiSA_SA_iPKfiiiPfSD_PS3_PT2_iSC_SC_.has_indirect_call, or(0, .L__assert_fail.has_indirect_call)
	.section	.AMDGPU.csdata,"",@progbits
; Kernel info:
; codeLenInByte = 68
; TotalNumSgprs: 36
; NumVgprs: 51
; ScratchSize: 64
; MemoryBound: 0
; FloatMode: 240
; IeeeMode: 1
; LDSByteSize: 0 bytes/workgroup (compile time only)
; SGPRBlocks: 0
; VGPRBlocks: 3
; NumSGPRsForWavesPerEU: 36
; NumVGPRsForWavesPerEU: 51
; NamedBarCnt: 0
; Occupancy: 16
; WaveLimiterHint : 1
; COMPUTE_PGM_RSRC2:SCRATCH_EN: 1
; COMPUTE_PGM_RSRC2:USER_SGPR: 2
; COMPUTE_PGM_RSRC2:TRAP_HANDLER: 0
; COMPUTE_PGM_RSRC2:TGID_X_EN: 1
; COMPUTE_PGM_RSRC2:TGID_Y_EN: 0
; COMPUTE_PGM_RSRC2:TGID_Z_EN: 0
; COMPUTE_PGM_RSRC2:TIDIG_COMP_CNT: 0
	.section	.text._Z39paged_attention_ll4mi_QKV_mfma16_kernelI14__hip_bfloat16S0_LN4vllm18Fp8KVCacheDataTypeE0EhLi32ELi128ELi256ELb1ELi7EEvPKT_PKT0_S8_ifPKiSA_SA_iPKfiiiPfSD_PS3_PT2_iSC_SC_,"axG",@progbits,_Z39paged_attention_ll4mi_QKV_mfma16_kernelI14__hip_bfloat16S0_LN4vllm18Fp8KVCacheDataTypeE0EhLi32ELi128ELi256ELb1ELi7EEvPKT_PKT0_S8_ifPKiSA_SA_iPKfiiiPfSD_PS3_PT2_iSC_SC_,comdat
	.protected	_Z39paged_attention_ll4mi_QKV_mfma16_kernelI14__hip_bfloat16S0_LN4vllm18Fp8KVCacheDataTypeE0EhLi32ELi128ELi256ELb1ELi7EEvPKT_PKT0_S8_ifPKiSA_SA_iPKfiiiPfSD_PS3_PT2_iSC_SC_ ; -- Begin function _Z39paged_attention_ll4mi_QKV_mfma16_kernelI14__hip_bfloat16S0_LN4vllm18Fp8KVCacheDataTypeE0EhLi32ELi128ELi256ELb1ELi7EEvPKT_PKT0_S8_ifPKiSA_SA_iPKfiiiPfSD_PS3_PT2_iSC_SC_
	.globl	_Z39paged_attention_ll4mi_QKV_mfma16_kernelI14__hip_bfloat16S0_LN4vllm18Fp8KVCacheDataTypeE0EhLi32ELi128ELi256ELb1ELi7EEvPKT_PKT0_S8_ifPKiSA_SA_iPKfiiiPfSD_PS3_PT2_iSC_SC_
	.p2align	8
	.type	_Z39paged_attention_ll4mi_QKV_mfma16_kernelI14__hip_bfloat16S0_LN4vllm18Fp8KVCacheDataTypeE0EhLi32ELi128ELi256ELb1ELi7EEvPKT_PKT0_S8_ifPKiSA_SA_iPKfiiiPfSD_PS3_PT2_iSC_SC_,@function
_Z39paged_attention_ll4mi_QKV_mfma16_kernelI14__hip_bfloat16S0_LN4vllm18Fp8KVCacheDataTypeE0EhLi32ELi128ELi256ELb1ELi7EEvPKT_PKT0_S8_ifPKiSA_SA_iPKfiiiPfSD_PS3_PT2_iSC_SC_: ; @_Z39paged_attention_ll4mi_QKV_mfma16_kernelI14__hip_bfloat16S0_LN4vllm18Fp8KVCacheDataTypeE0EhLi32ELi128ELi256ELb1ELi7EEvPKT_PKT0_S8_ifPKiSA_SA_iPKfiiiPfSD_PS3_PT2_iSC_SC_
; %bb.0:
	s_get_pc_i64 s[2:3]
	s_add_nc_u64 s[2:3], s[2:3], __PRETTY_FUNCTION__._Z39paged_attention_ll4mi_QKV_mfma16_kernelI14__hip_bfloat16S0_LN4vllm18Fp8KVCacheDataTypeE0EhLi32ELi128ELi256ELb1ELi7EEvPKT_PKT0_S8_ifPKiSA_SA_iPKfiiiPfSD_PS3_PT2_iSC_SC_@rel64+4
	s_delay_alu instid0(SALU_CYCLE_1)
	v_dual_mov_b32 v0, 0xbb3 :: v_dual_mov_b32 v1, s2
	v_mov_b32_e32 v2, s3
	s_add_nc_u64 s[8:9], s[0:1], 0x90
	s_get_pc_i64 s[0:1]
	s_add_nc_u64 s[0:1], s[0:1], __assert_fail@rel64+4
	s_mov_b32 s32, 0
	s_swap_pc_i64 s[30:31], s[0:1]
	.section	.rodata,"a",@progbits
	.p2align	6, 0x0
	.amdhsa_kernel _Z39paged_attention_ll4mi_QKV_mfma16_kernelI14__hip_bfloat16S0_LN4vllm18Fp8KVCacheDataTypeE0EhLi32ELi128ELi256ELb1ELi7EEvPKT_PKT0_S8_ifPKiSA_SA_iPKfiiiPfSD_PS3_PT2_iSC_SC_
		.amdhsa_group_segment_fixed_size 0
		.amdhsa_private_segment_fixed_size 64
		.amdhsa_kernarg_size 400
		.amdhsa_user_sgpr_count 2
		.amdhsa_user_sgpr_dispatch_ptr 0
		.amdhsa_user_sgpr_queue_ptr 0
		.amdhsa_user_sgpr_kernarg_segment_ptr 1
		.amdhsa_user_sgpr_dispatch_id 0
		.amdhsa_user_sgpr_kernarg_preload_length 0
		.amdhsa_user_sgpr_kernarg_preload_offset 0
		.amdhsa_user_sgpr_private_segment_size 0
		.amdhsa_wavefront_size32 1
		.amdhsa_uses_dynamic_stack 0
		.amdhsa_enable_private_segment 1
		.amdhsa_system_sgpr_workgroup_id_x 1
		.amdhsa_system_sgpr_workgroup_id_y 0
		.amdhsa_system_sgpr_workgroup_id_z 0
		.amdhsa_system_sgpr_workgroup_info 0
		.amdhsa_system_vgpr_workitem_id 0
		.amdhsa_next_free_vgpr 51
		.amdhsa_next_free_sgpr 34
		.amdhsa_named_barrier_count 0
		.amdhsa_reserve_vcc 1
		.amdhsa_float_round_mode_32 0
		.amdhsa_float_round_mode_16_64 0
		.amdhsa_float_denorm_mode_32 3
		.amdhsa_float_denorm_mode_16_64 3
		.amdhsa_fp16_overflow 0
		.amdhsa_memory_ordered 1
		.amdhsa_forward_progress 1
		.amdhsa_inst_pref_size 1
		.amdhsa_round_robin_scheduling 0
		.amdhsa_exception_fp_ieee_invalid_op 0
		.amdhsa_exception_fp_denorm_src 0
		.amdhsa_exception_fp_ieee_div_zero 0
		.amdhsa_exception_fp_ieee_overflow 0
		.amdhsa_exception_fp_ieee_underflow 0
		.amdhsa_exception_fp_ieee_inexact 0
		.amdhsa_exception_int_div_zero 0
	.end_amdhsa_kernel
	.section	.text._Z39paged_attention_ll4mi_QKV_mfma16_kernelI14__hip_bfloat16S0_LN4vllm18Fp8KVCacheDataTypeE0EhLi32ELi128ELi256ELb1ELi7EEvPKT_PKT0_S8_ifPKiSA_SA_iPKfiiiPfSD_PS3_PT2_iSC_SC_,"axG",@progbits,_Z39paged_attention_ll4mi_QKV_mfma16_kernelI14__hip_bfloat16S0_LN4vllm18Fp8KVCacheDataTypeE0EhLi32ELi128ELi256ELb1ELi7EEvPKT_PKT0_S8_ifPKiSA_SA_iPKfiiiPfSD_PS3_PT2_iSC_SC_,comdat
.Lfunc_end696:
	.size	_Z39paged_attention_ll4mi_QKV_mfma16_kernelI14__hip_bfloat16S0_LN4vllm18Fp8KVCacheDataTypeE0EhLi32ELi128ELi256ELb1ELi7EEvPKT_PKT0_S8_ifPKiSA_SA_iPKfiiiPfSD_PS3_PT2_iSC_SC_, .Lfunc_end696-_Z39paged_attention_ll4mi_QKV_mfma16_kernelI14__hip_bfloat16S0_LN4vllm18Fp8KVCacheDataTypeE0EhLi32ELi128ELi256ELb1ELi7EEvPKT_PKT0_S8_ifPKiSA_SA_iPKfiiiPfSD_PS3_PT2_iSC_SC_
                                        ; -- End function
	.set _Z39paged_attention_ll4mi_QKV_mfma16_kernelI14__hip_bfloat16S0_LN4vllm18Fp8KVCacheDataTypeE0EhLi32ELi128ELi256ELb1ELi7EEvPKT_PKT0_S8_ifPKiSA_SA_iPKfiiiPfSD_PS3_PT2_iSC_SC_.num_vgpr, max(3, .L__assert_fail.num_vgpr)
	.set _Z39paged_attention_ll4mi_QKV_mfma16_kernelI14__hip_bfloat16S0_LN4vllm18Fp8KVCacheDataTypeE0EhLi32ELi128ELi256ELb1ELi7EEvPKT_PKT0_S8_ifPKiSA_SA_iPKfiiiPfSD_PS3_PT2_iSC_SC_.num_agpr, max(0, .L__assert_fail.num_agpr)
	.set _Z39paged_attention_ll4mi_QKV_mfma16_kernelI14__hip_bfloat16S0_LN4vllm18Fp8KVCacheDataTypeE0EhLi32ELi128ELi256ELb1ELi7EEvPKT_PKT0_S8_ifPKiSA_SA_iPKfiiiPfSD_PS3_PT2_iSC_SC_.numbered_sgpr, max(33, .L__assert_fail.numbered_sgpr)
	.set _Z39paged_attention_ll4mi_QKV_mfma16_kernelI14__hip_bfloat16S0_LN4vllm18Fp8KVCacheDataTypeE0EhLi32ELi128ELi256ELb1ELi7EEvPKT_PKT0_S8_ifPKiSA_SA_iPKfiiiPfSD_PS3_PT2_iSC_SC_.num_named_barrier, max(0, .L__assert_fail.num_named_barrier)
	.set _Z39paged_attention_ll4mi_QKV_mfma16_kernelI14__hip_bfloat16S0_LN4vllm18Fp8KVCacheDataTypeE0EhLi32ELi128ELi256ELb1ELi7EEvPKT_PKT0_S8_ifPKiSA_SA_iPKfiiiPfSD_PS3_PT2_iSC_SC_.private_seg_size, 0+max(.L__assert_fail.private_seg_size)
	.set _Z39paged_attention_ll4mi_QKV_mfma16_kernelI14__hip_bfloat16S0_LN4vllm18Fp8KVCacheDataTypeE0EhLi32ELi128ELi256ELb1ELi7EEvPKT_PKT0_S8_ifPKiSA_SA_iPKfiiiPfSD_PS3_PT2_iSC_SC_.uses_vcc, or(1, .L__assert_fail.uses_vcc)
	.set _Z39paged_attention_ll4mi_QKV_mfma16_kernelI14__hip_bfloat16S0_LN4vllm18Fp8KVCacheDataTypeE0EhLi32ELi128ELi256ELb1ELi7EEvPKT_PKT0_S8_ifPKiSA_SA_iPKfiiiPfSD_PS3_PT2_iSC_SC_.uses_flat_scratch, or(0, .L__assert_fail.uses_flat_scratch)
	.set _Z39paged_attention_ll4mi_QKV_mfma16_kernelI14__hip_bfloat16S0_LN4vllm18Fp8KVCacheDataTypeE0EhLi32ELi128ELi256ELb1ELi7EEvPKT_PKT0_S8_ifPKiSA_SA_iPKfiiiPfSD_PS3_PT2_iSC_SC_.has_dyn_sized_stack, or(0, .L__assert_fail.has_dyn_sized_stack)
	.set _Z39paged_attention_ll4mi_QKV_mfma16_kernelI14__hip_bfloat16S0_LN4vllm18Fp8KVCacheDataTypeE0EhLi32ELi128ELi256ELb1ELi7EEvPKT_PKT0_S8_ifPKiSA_SA_iPKfiiiPfSD_PS3_PT2_iSC_SC_.has_recursion, or(0, .L__assert_fail.has_recursion)
	.set _Z39paged_attention_ll4mi_QKV_mfma16_kernelI14__hip_bfloat16S0_LN4vllm18Fp8KVCacheDataTypeE0EhLi32ELi128ELi256ELb1ELi7EEvPKT_PKT0_S8_ifPKiSA_SA_iPKfiiiPfSD_PS3_PT2_iSC_SC_.has_indirect_call, or(0, .L__assert_fail.has_indirect_call)
	.section	.AMDGPU.csdata,"",@progbits
; Kernel info:
; codeLenInByte = 68
; TotalNumSgprs: 36
; NumVgprs: 51
; ScratchSize: 64
; MemoryBound: 0
; FloatMode: 240
; IeeeMode: 1
; LDSByteSize: 0 bytes/workgroup (compile time only)
; SGPRBlocks: 0
; VGPRBlocks: 3
; NumSGPRsForWavesPerEU: 36
; NumVGPRsForWavesPerEU: 51
; NamedBarCnt: 0
; Occupancy: 16
; WaveLimiterHint : 1
; COMPUTE_PGM_RSRC2:SCRATCH_EN: 1
; COMPUTE_PGM_RSRC2:USER_SGPR: 2
; COMPUTE_PGM_RSRC2:TRAP_HANDLER: 0
; COMPUTE_PGM_RSRC2:TGID_X_EN: 1
; COMPUTE_PGM_RSRC2:TGID_Y_EN: 0
; COMPUTE_PGM_RSRC2:TGID_Z_EN: 0
; COMPUTE_PGM_RSRC2:TIDIG_COMP_CNT: 0
	.section	.text._Z39paged_attention_ll4mi_QKV_mfma16_kernelI14__hip_bfloat16S0_LN4vllm18Fp8KVCacheDataTypeE0EhLi32ELi128ELi256ELb1ELi8EEvPKT_PKT0_S8_ifPKiSA_SA_iPKfiiiPfSD_PS3_PT2_iSC_SC_,"axG",@progbits,_Z39paged_attention_ll4mi_QKV_mfma16_kernelI14__hip_bfloat16S0_LN4vllm18Fp8KVCacheDataTypeE0EhLi32ELi128ELi256ELb1ELi8EEvPKT_PKT0_S8_ifPKiSA_SA_iPKfiiiPfSD_PS3_PT2_iSC_SC_,comdat
	.protected	_Z39paged_attention_ll4mi_QKV_mfma16_kernelI14__hip_bfloat16S0_LN4vllm18Fp8KVCacheDataTypeE0EhLi32ELi128ELi256ELb1ELi8EEvPKT_PKT0_S8_ifPKiSA_SA_iPKfiiiPfSD_PS3_PT2_iSC_SC_ ; -- Begin function _Z39paged_attention_ll4mi_QKV_mfma16_kernelI14__hip_bfloat16S0_LN4vllm18Fp8KVCacheDataTypeE0EhLi32ELi128ELi256ELb1ELi8EEvPKT_PKT0_S8_ifPKiSA_SA_iPKfiiiPfSD_PS3_PT2_iSC_SC_
	.globl	_Z39paged_attention_ll4mi_QKV_mfma16_kernelI14__hip_bfloat16S0_LN4vllm18Fp8KVCacheDataTypeE0EhLi32ELi128ELi256ELb1ELi8EEvPKT_PKT0_S8_ifPKiSA_SA_iPKfiiiPfSD_PS3_PT2_iSC_SC_
	.p2align	8
	.type	_Z39paged_attention_ll4mi_QKV_mfma16_kernelI14__hip_bfloat16S0_LN4vllm18Fp8KVCacheDataTypeE0EhLi32ELi128ELi256ELb1ELi8EEvPKT_PKT0_S8_ifPKiSA_SA_iPKfiiiPfSD_PS3_PT2_iSC_SC_,@function
_Z39paged_attention_ll4mi_QKV_mfma16_kernelI14__hip_bfloat16S0_LN4vllm18Fp8KVCacheDataTypeE0EhLi32ELi128ELi256ELb1ELi8EEvPKT_PKT0_S8_ifPKiSA_SA_iPKfiiiPfSD_PS3_PT2_iSC_SC_: ; @_Z39paged_attention_ll4mi_QKV_mfma16_kernelI14__hip_bfloat16S0_LN4vllm18Fp8KVCacheDataTypeE0EhLi32ELi128ELi256ELb1ELi8EEvPKT_PKT0_S8_ifPKiSA_SA_iPKfiiiPfSD_PS3_PT2_iSC_SC_
; %bb.0:
	s_get_pc_i64 s[2:3]
	s_add_nc_u64 s[2:3], s[2:3], __PRETTY_FUNCTION__._Z39paged_attention_ll4mi_QKV_mfma16_kernelI14__hip_bfloat16S0_LN4vllm18Fp8KVCacheDataTypeE0EhLi32ELi128ELi256ELb1ELi8EEvPKT_PKT0_S8_ifPKiSA_SA_iPKfiiiPfSD_PS3_PT2_iSC_SC_@rel64+4
	s_delay_alu instid0(SALU_CYCLE_1)
	v_dual_mov_b32 v0, 0xbb3 :: v_dual_mov_b32 v1, s2
	v_mov_b32_e32 v2, s3
	s_add_nc_u64 s[8:9], s[0:1], 0x90
	s_get_pc_i64 s[0:1]
	s_add_nc_u64 s[0:1], s[0:1], __assert_fail@rel64+4
	s_mov_b32 s32, 0
	s_swap_pc_i64 s[30:31], s[0:1]
	.section	.rodata,"a",@progbits
	.p2align	6, 0x0
	.amdhsa_kernel _Z39paged_attention_ll4mi_QKV_mfma16_kernelI14__hip_bfloat16S0_LN4vllm18Fp8KVCacheDataTypeE0EhLi32ELi128ELi256ELb1ELi8EEvPKT_PKT0_S8_ifPKiSA_SA_iPKfiiiPfSD_PS3_PT2_iSC_SC_
		.amdhsa_group_segment_fixed_size 0
		.amdhsa_private_segment_fixed_size 64
		.amdhsa_kernarg_size 400
		.amdhsa_user_sgpr_count 2
		.amdhsa_user_sgpr_dispatch_ptr 0
		.amdhsa_user_sgpr_queue_ptr 0
		.amdhsa_user_sgpr_kernarg_segment_ptr 1
		.amdhsa_user_sgpr_dispatch_id 0
		.amdhsa_user_sgpr_kernarg_preload_length 0
		.amdhsa_user_sgpr_kernarg_preload_offset 0
		.amdhsa_user_sgpr_private_segment_size 0
		.amdhsa_wavefront_size32 1
		.amdhsa_uses_dynamic_stack 0
		.amdhsa_enable_private_segment 1
		.amdhsa_system_sgpr_workgroup_id_x 1
		.amdhsa_system_sgpr_workgroup_id_y 0
		.amdhsa_system_sgpr_workgroup_id_z 0
		.amdhsa_system_sgpr_workgroup_info 0
		.amdhsa_system_vgpr_workitem_id 0
		.amdhsa_next_free_vgpr 51
		.amdhsa_next_free_sgpr 34
		.amdhsa_named_barrier_count 0
		.amdhsa_reserve_vcc 1
		.amdhsa_float_round_mode_32 0
		.amdhsa_float_round_mode_16_64 0
		.amdhsa_float_denorm_mode_32 3
		.amdhsa_float_denorm_mode_16_64 3
		.amdhsa_fp16_overflow 0
		.amdhsa_memory_ordered 1
		.amdhsa_forward_progress 1
		.amdhsa_inst_pref_size 1
		.amdhsa_round_robin_scheduling 0
		.amdhsa_exception_fp_ieee_invalid_op 0
		.amdhsa_exception_fp_denorm_src 0
		.amdhsa_exception_fp_ieee_div_zero 0
		.amdhsa_exception_fp_ieee_overflow 0
		.amdhsa_exception_fp_ieee_underflow 0
		.amdhsa_exception_fp_ieee_inexact 0
		.amdhsa_exception_int_div_zero 0
	.end_amdhsa_kernel
	.section	.text._Z39paged_attention_ll4mi_QKV_mfma16_kernelI14__hip_bfloat16S0_LN4vllm18Fp8KVCacheDataTypeE0EhLi32ELi128ELi256ELb1ELi8EEvPKT_PKT0_S8_ifPKiSA_SA_iPKfiiiPfSD_PS3_PT2_iSC_SC_,"axG",@progbits,_Z39paged_attention_ll4mi_QKV_mfma16_kernelI14__hip_bfloat16S0_LN4vllm18Fp8KVCacheDataTypeE0EhLi32ELi128ELi256ELb1ELi8EEvPKT_PKT0_S8_ifPKiSA_SA_iPKfiiiPfSD_PS3_PT2_iSC_SC_,comdat
.Lfunc_end697:
	.size	_Z39paged_attention_ll4mi_QKV_mfma16_kernelI14__hip_bfloat16S0_LN4vllm18Fp8KVCacheDataTypeE0EhLi32ELi128ELi256ELb1ELi8EEvPKT_PKT0_S8_ifPKiSA_SA_iPKfiiiPfSD_PS3_PT2_iSC_SC_, .Lfunc_end697-_Z39paged_attention_ll4mi_QKV_mfma16_kernelI14__hip_bfloat16S0_LN4vllm18Fp8KVCacheDataTypeE0EhLi32ELi128ELi256ELb1ELi8EEvPKT_PKT0_S8_ifPKiSA_SA_iPKfiiiPfSD_PS3_PT2_iSC_SC_
                                        ; -- End function
	.set _Z39paged_attention_ll4mi_QKV_mfma16_kernelI14__hip_bfloat16S0_LN4vllm18Fp8KVCacheDataTypeE0EhLi32ELi128ELi256ELb1ELi8EEvPKT_PKT0_S8_ifPKiSA_SA_iPKfiiiPfSD_PS3_PT2_iSC_SC_.num_vgpr, max(3, .L__assert_fail.num_vgpr)
	.set _Z39paged_attention_ll4mi_QKV_mfma16_kernelI14__hip_bfloat16S0_LN4vllm18Fp8KVCacheDataTypeE0EhLi32ELi128ELi256ELb1ELi8EEvPKT_PKT0_S8_ifPKiSA_SA_iPKfiiiPfSD_PS3_PT2_iSC_SC_.num_agpr, max(0, .L__assert_fail.num_agpr)
	.set _Z39paged_attention_ll4mi_QKV_mfma16_kernelI14__hip_bfloat16S0_LN4vllm18Fp8KVCacheDataTypeE0EhLi32ELi128ELi256ELb1ELi8EEvPKT_PKT0_S8_ifPKiSA_SA_iPKfiiiPfSD_PS3_PT2_iSC_SC_.numbered_sgpr, max(33, .L__assert_fail.numbered_sgpr)
	.set _Z39paged_attention_ll4mi_QKV_mfma16_kernelI14__hip_bfloat16S0_LN4vllm18Fp8KVCacheDataTypeE0EhLi32ELi128ELi256ELb1ELi8EEvPKT_PKT0_S8_ifPKiSA_SA_iPKfiiiPfSD_PS3_PT2_iSC_SC_.num_named_barrier, max(0, .L__assert_fail.num_named_barrier)
	.set _Z39paged_attention_ll4mi_QKV_mfma16_kernelI14__hip_bfloat16S0_LN4vllm18Fp8KVCacheDataTypeE0EhLi32ELi128ELi256ELb1ELi8EEvPKT_PKT0_S8_ifPKiSA_SA_iPKfiiiPfSD_PS3_PT2_iSC_SC_.private_seg_size, 0+max(.L__assert_fail.private_seg_size)
	.set _Z39paged_attention_ll4mi_QKV_mfma16_kernelI14__hip_bfloat16S0_LN4vllm18Fp8KVCacheDataTypeE0EhLi32ELi128ELi256ELb1ELi8EEvPKT_PKT0_S8_ifPKiSA_SA_iPKfiiiPfSD_PS3_PT2_iSC_SC_.uses_vcc, or(1, .L__assert_fail.uses_vcc)
	.set _Z39paged_attention_ll4mi_QKV_mfma16_kernelI14__hip_bfloat16S0_LN4vllm18Fp8KVCacheDataTypeE0EhLi32ELi128ELi256ELb1ELi8EEvPKT_PKT0_S8_ifPKiSA_SA_iPKfiiiPfSD_PS3_PT2_iSC_SC_.uses_flat_scratch, or(0, .L__assert_fail.uses_flat_scratch)
	.set _Z39paged_attention_ll4mi_QKV_mfma16_kernelI14__hip_bfloat16S0_LN4vllm18Fp8KVCacheDataTypeE0EhLi32ELi128ELi256ELb1ELi8EEvPKT_PKT0_S8_ifPKiSA_SA_iPKfiiiPfSD_PS3_PT2_iSC_SC_.has_dyn_sized_stack, or(0, .L__assert_fail.has_dyn_sized_stack)
	.set _Z39paged_attention_ll4mi_QKV_mfma16_kernelI14__hip_bfloat16S0_LN4vllm18Fp8KVCacheDataTypeE0EhLi32ELi128ELi256ELb1ELi8EEvPKT_PKT0_S8_ifPKiSA_SA_iPKfiiiPfSD_PS3_PT2_iSC_SC_.has_recursion, or(0, .L__assert_fail.has_recursion)
	.set _Z39paged_attention_ll4mi_QKV_mfma16_kernelI14__hip_bfloat16S0_LN4vllm18Fp8KVCacheDataTypeE0EhLi32ELi128ELi256ELb1ELi8EEvPKT_PKT0_S8_ifPKiSA_SA_iPKfiiiPfSD_PS3_PT2_iSC_SC_.has_indirect_call, or(0, .L__assert_fail.has_indirect_call)
	.section	.AMDGPU.csdata,"",@progbits
; Kernel info:
; codeLenInByte = 68
; TotalNumSgprs: 36
; NumVgprs: 51
; ScratchSize: 64
; MemoryBound: 0
; FloatMode: 240
; IeeeMode: 1
; LDSByteSize: 0 bytes/workgroup (compile time only)
; SGPRBlocks: 0
; VGPRBlocks: 3
; NumSGPRsForWavesPerEU: 36
; NumVGPRsForWavesPerEU: 51
; NamedBarCnt: 0
; Occupancy: 16
; WaveLimiterHint : 1
; COMPUTE_PGM_RSRC2:SCRATCH_EN: 1
; COMPUTE_PGM_RSRC2:USER_SGPR: 2
; COMPUTE_PGM_RSRC2:TRAP_HANDLER: 0
; COMPUTE_PGM_RSRC2:TGID_X_EN: 1
; COMPUTE_PGM_RSRC2:TGID_Y_EN: 0
; COMPUTE_PGM_RSRC2:TGID_Z_EN: 0
; COMPUTE_PGM_RSRC2:TIDIG_COMP_CNT: 0
	.section	.text._Z39paged_attention_ll4mi_QKV_mfma16_kernelI14__hip_bfloat16S0_LN4vllm18Fp8KVCacheDataTypeE0EhLi32ELi128ELi256ELb1ELi9EEvPKT_PKT0_S8_ifPKiSA_SA_iPKfiiiPfSD_PS3_PT2_iSC_SC_,"axG",@progbits,_Z39paged_attention_ll4mi_QKV_mfma16_kernelI14__hip_bfloat16S0_LN4vllm18Fp8KVCacheDataTypeE0EhLi32ELi128ELi256ELb1ELi9EEvPKT_PKT0_S8_ifPKiSA_SA_iPKfiiiPfSD_PS3_PT2_iSC_SC_,comdat
	.protected	_Z39paged_attention_ll4mi_QKV_mfma16_kernelI14__hip_bfloat16S0_LN4vllm18Fp8KVCacheDataTypeE0EhLi32ELi128ELi256ELb1ELi9EEvPKT_PKT0_S8_ifPKiSA_SA_iPKfiiiPfSD_PS3_PT2_iSC_SC_ ; -- Begin function _Z39paged_attention_ll4mi_QKV_mfma16_kernelI14__hip_bfloat16S0_LN4vllm18Fp8KVCacheDataTypeE0EhLi32ELi128ELi256ELb1ELi9EEvPKT_PKT0_S8_ifPKiSA_SA_iPKfiiiPfSD_PS3_PT2_iSC_SC_
	.globl	_Z39paged_attention_ll4mi_QKV_mfma16_kernelI14__hip_bfloat16S0_LN4vllm18Fp8KVCacheDataTypeE0EhLi32ELi128ELi256ELb1ELi9EEvPKT_PKT0_S8_ifPKiSA_SA_iPKfiiiPfSD_PS3_PT2_iSC_SC_
	.p2align	8
	.type	_Z39paged_attention_ll4mi_QKV_mfma16_kernelI14__hip_bfloat16S0_LN4vllm18Fp8KVCacheDataTypeE0EhLi32ELi128ELi256ELb1ELi9EEvPKT_PKT0_S8_ifPKiSA_SA_iPKfiiiPfSD_PS3_PT2_iSC_SC_,@function
_Z39paged_attention_ll4mi_QKV_mfma16_kernelI14__hip_bfloat16S0_LN4vllm18Fp8KVCacheDataTypeE0EhLi32ELi128ELi256ELb1ELi9EEvPKT_PKT0_S8_ifPKiSA_SA_iPKfiiiPfSD_PS3_PT2_iSC_SC_: ; @_Z39paged_attention_ll4mi_QKV_mfma16_kernelI14__hip_bfloat16S0_LN4vllm18Fp8KVCacheDataTypeE0EhLi32ELi128ELi256ELb1ELi9EEvPKT_PKT0_S8_ifPKiSA_SA_iPKfiiiPfSD_PS3_PT2_iSC_SC_
; %bb.0:
	s_get_pc_i64 s[2:3]
	s_add_nc_u64 s[2:3], s[2:3], __PRETTY_FUNCTION__._Z39paged_attention_ll4mi_QKV_mfma16_kernelI14__hip_bfloat16S0_LN4vllm18Fp8KVCacheDataTypeE0EhLi32ELi128ELi256ELb1ELi9EEvPKT_PKT0_S8_ifPKiSA_SA_iPKfiiiPfSD_PS3_PT2_iSC_SC_@rel64+4
	s_delay_alu instid0(SALU_CYCLE_1)
	v_dual_mov_b32 v0, 0xbb3 :: v_dual_mov_b32 v1, s2
	v_mov_b32_e32 v2, s3
	s_add_nc_u64 s[8:9], s[0:1], 0x90
	s_get_pc_i64 s[0:1]
	s_add_nc_u64 s[0:1], s[0:1], __assert_fail@rel64+4
	s_mov_b32 s32, 0
	s_swap_pc_i64 s[30:31], s[0:1]
	.section	.rodata,"a",@progbits
	.p2align	6, 0x0
	.amdhsa_kernel _Z39paged_attention_ll4mi_QKV_mfma16_kernelI14__hip_bfloat16S0_LN4vllm18Fp8KVCacheDataTypeE0EhLi32ELi128ELi256ELb1ELi9EEvPKT_PKT0_S8_ifPKiSA_SA_iPKfiiiPfSD_PS3_PT2_iSC_SC_
		.amdhsa_group_segment_fixed_size 0
		.amdhsa_private_segment_fixed_size 64
		.amdhsa_kernarg_size 400
		.amdhsa_user_sgpr_count 2
		.amdhsa_user_sgpr_dispatch_ptr 0
		.amdhsa_user_sgpr_queue_ptr 0
		.amdhsa_user_sgpr_kernarg_segment_ptr 1
		.amdhsa_user_sgpr_dispatch_id 0
		.amdhsa_user_sgpr_kernarg_preload_length 0
		.amdhsa_user_sgpr_kernarg_preload_offset 0
		.amdhsa_user_sgpr_private_segment_size 0
		.amdhsa_wavefront_size32 1
		.amdhsa_uses_dynamic_stack 0
		.amdhsa_enable_private_segment 1
		.amdhsa_system_sgpr_workgroup_id_x 1
		.amdhsa_system_sgpr_workgroup_id_y 0
		.amdhsa_system_sgpr_workgroup_id_z 0
		.amdhsa_system_sgpr_workgroup_info 0
		.amdhsa_system_vgpr_workitem_id 0
		.amdhsa_next_free_vgpr 51
		.amdhsa_next_free_sgpr 34
		.amdhsa_named_barrier_count 0
		.amdhsa_reserve_vcc 1
		.amdhsa_float_round_mode_32 0
		.amdhsa_float_round_mode_16_64 0
		.amdhsa_float_denorm_mode_32 3
		.amdhsa_float_denorm_mode_16_64 3
		.amdhsa_fp16_overflow 0
		.amdhsa_memory_ordered 1
		.amdhsa_forward_progress 1
		.amdhsa_inst_pref_size 1
		.amdhsa_round_robin_scheduling 0
		.amdhsa_exception_fp_ieee_invalid_op 0
		.amdhsa_exception_fp_denorm_src 0
		.amdhsa_exception_fp_ieee_div_zero 0
		.amdhsa_exception_fp_ieee_overflow 0
		.amdhsa_exception_fp_ieee_underflow 0
		.amdhsa_exception_fp_ieee_inexact 0
		.amdhsa_exception_int_div_zero 0
	.end_amdhsa_kernel
	.section	.text._Z39paged_attention_ll4mi_QKV_mfma16_kernelI14__hip_bfloat16S0_LN4vllm18Fp8KVCacheDataTypeE0EhLi32ELi128ELi256ELb1ELi9EEvPKT_PKT0_S8_ifPKiSA_SA_iPKfiiiPfSD_PS3_PT2_iSC_SC_,"axG",@progbits,_Z39paged_attention_ll4mi_QKV_mfma16_kernelI14__hip_bfloat16S0_LN4vllm18Fp8KVCacheDataTypeE0EhLi32ELi128ELi256ELb1ELi9EEvPKT_PKT0_S8_ifPKiSA_SA_iPKfiiiPfSD_PS3_PT2_iSC_SC_,comdat
.Lfunc_end698:
	.size	_Z39paged_attention_ll4mi_QKV_mfma16_kernelI14__hip_bfloat16S0_LN4vllm18Fp8KVCacheDataTypeE0EhLi32ELi128ELi256ELb1ELi9EEvPKT_PKT0_S8_ifPKiSA_SA_iPKfiiiPfSD_PS3_PT2_iSC_SC_, .Lfunc_end698-_Z39paged_attention_ll4mi_QKV_mfma16_kernelI14__hip_bfloat16S0_LN4vllm18Fp8KVCacheDataTypeE0EhLi32ELi128ELi256ELb1ELi9EEvPKT_PKT0_S8_ifPKiSA_SA_iPKfiiiPfSD_PS3_PT2_iSC_SC_
                                        ; -- End function
	.set _Z39paged_attention_ll4mi_QKV_mfma16_kernelI14__hip_bfloat16S0_LN4vllm18Fp8KVCacheDataTypeE0EhLi32ELi128ELi256ELb1ELi9EEvPKT_PKT0_S8_ifPKiSA_SA_iPKfiiiPfSD_PS3_PT2_iSC_SC_.num_vgpr, max(3, .L__assert_fail.num_vgpr)
	.set _Z39paged_attention_ll4mi_QKV_mfma16_kernelI14__hip_bfloat16S0_LN4vllm18Fp8KVCacheDataTypeE0EhLi32ELi128ELi256ELb1ELi9EEvPKT_PKT0_S8_ifPKiSA_SA_iPKfiiiPfSD_PS3_PT2_iSC_SC_.num_agpr, max(0, .L__assert_fail.num_agpr)
	.set _Z39paged_attention_ll4mi_QKV_mfma16_kernelI14__hip_bfloat16S0_LN4vllm18Fp8KVCacheDataTypeE0EhLi32ELi128ELi256ELb1ELi9EEvPKT_PKT0_S8_ifPKiSA_SA_iPKfiiiPfSD_PS3_PT2_iSC_SC_.numbered_sgpr, max(33, .L__assert_fail.numbered_sgpr)
	.set _Z39paged_attention_ll4mi_QKV_mfma16_kernelI14__hip_bfloat16S0_LN4vllm18Fp8KVCacheDataTypeE0EhLi32ELi128ELi256ELb1ELi9EEvPKT_PKT0_S8_ifPKiSA_SA_iPKfiiiPfSD_PS3_PT2_iSC_SC_.num_named_barrier, max(0, .L__assert_fail.num_named_barrier)
	.set _Z39paged_attention_ll4mi_QKV_mfma16_kernelI14__hip_bfloat16S0_LN4vllm18Fp8KVCacheDataTypeE0EhLi32ELi128ELi256ELb1ELi9EEvPKT_PKT0_S8_ifPKiSA_SA_iPKfiiiPfSD_PS3_PT2_iSC_SC_.private_seg_size, 0+max(.L__assert_fail.private_seg_size)
	.set _Z39paged_attention_ll4mi_QKV_mfma16_kernelI14__hip_bfloat16S0_LN4vllm18Fp8KVCacheDataTypeE0EhLi32ELi128ELi256ELb1ELi9EEvPKT_PKT0_S8_ifPKiSA_SA_iPKfiiiPfSD_PS3_PT2_iSC_SC_.uses_vcc, or(1, .L__assert_fail.uses_vcc)
	.set _Z39paged_attention_ll4mi_QKV_mfma16_kernelI14__hip_bfloat16S0_LN4vllm18Fp8KVCacheDataTypeE0EhLi32ELi128ELi256ELb1ELi9EEvPKT_PKT0_S8_ifPKiSA_SA_iPKfiiiPfSD_PS3_PT2_iSC_SC_.uses_flat_scratch, or(0, .L__assert_fail.uses_flat_scratch)
	.set _Z39paged_attention_ll4mi_QKV_mfma16_kernelI14__hip_bfloat16S0_LN4vllm18Fp8KVCacheDataTypeE0EhLi32ELi128ELi256ELb1ELi9EEvPKT_PKT0_S8_ifPKiSA_SA_iPKfiiiPfSD_PS3_PT2_iSC_SC_.has_dyn_sized_stack, or(0, .L__assert_fail.has_dyn_sized_stack)
	.set _Z39paged_attention_ll4mi_QKV_mfma16_kernelI14__hip_bfloat16S0_LN4vllm18Fp8KVCacheDataTypeE0EhLi32ELi128ELi256ELb1ELi9EEvPKT_PKT0_S8_ifPKiSA_SA_iPKfiiiPfSD_PS3_PT2_iSC_SC_.has_recursion, or(0, .L__assert_fail.has_recursion)
	.set _Z39paged_attention_ll4mi_QKV_mfma16_kernelI14__hip_bfloat16S0_LN4vllm18Fp8KVCacheDataTypeE0EhLi32ELi128ELi256ELb1ELi9EEvPKT_PKT0_S8_ifPKiSA_SA_iPKfiiiPfSD_PS3_PT2_iSC_SC_.has_indirect_call, or(0, .L__assert_fail.has_indirect_call)
	.section	.AMDGPU.csdata,"",@progbits
; Kernel info:
; codeLenInByte = 68
; TotalNumSgprs: 36
; NumVgprs: 51
; ScratchSize: 64
; MemoryBound: 0
; FloatMode: 240
; IeeeMode: 1
; LDSByteSize: 0 bytes/workgroup (compile time only)
; SGPRBlocks: 0
; VGPRBlocks: 3
; NumSGPRsForWavesPerEU: 36
; NumVGPRsForWavesPerEU: 51
; NamedBarCnt: 0
; Occupancy: 16
; WaveLimiterHint : 1
; COMPUTE_PGM_RSRC2:SCRATCH_EN: 1
; COMPUTE_PGM_RSRC2:USER_SGPR: 2
; COMPUTE_PGM_RSRC2:TRAP_HANDLER: 0
; COMPUTE_PGM_RSRC2:TGID_X_EN: 1
; COMPUTE_PGM_RSRC2:TGID_Y_EN: 0
; COMPUTE_PGM_RSRC2:TGID_Z_EN: 0
; COMPUTE_PGM_RSRC2:TIDIG_COMP_CNT: 0
	.section	.text._Z39paged_attention_ll4mi_QKV_mfma16_kernelI14__hip_bfloat16S0_LN4vllm18Fp8KVCacheDataTypeE0EhLi32ELi128ELi256ELb1ELi10EEvPKT_PKT0_S8_ifPKiSA_SA_iPKfiiiPfSD_PS3_PT2_iSC_SC_,"axG",@progbits,_Z39paged_attention_ll4mi_QKV_mfma16_kernelI14__hip_bfloat16S0_LN4vllm18Fp8KVCacheDataTypeE0EhLi32ELi128ELi256ELb1ELi10EEvPKT_PKT0_S8_ifPKiSA_SA_iPKfiiiPfSD_PS3_PT2_iSC_SC_,comdat
	.protected	_Z39paged_attention_ll4mi_QKV_mfma16_kernelI14__hip_bfloat16S0_LN4vllm18Fp8KVCacheDataTypeE0EhLi32ELi128ELi256ELb1ELi10EEvPKT_PKT0_S8_ifPKiSA_SA_iPKfiiiPfSD_PS3_PT2_iSC_SC_ ; -- Begin function _Z39paged_attention_ll4mi_QKV_mfma16_kernelI14__hip_bfloat16S0_LN4vllm18Fp8KVCacheDataTypeE0EhLi32ELi128ELi256ELb1ELi10EEvPKT_PKT0_S8_ifPKiSA_SA_iPKfiiiPfSD_PS3_PT2_iSC_SC_
	.globl	_Z39paged_attention_ll4mi_QKV_mfma16_kernelI14__hip_bfloat16S0_LN4vllm18Fp8KVCacheDataTypeE0EhLi32ELi128ELi256ELb1ELi10EEvPKT_PKT0_S8_ifPKiSA_SA_iPKfiiiPfSD_PS3_PT2_iSC_SC_
	.p2align	8
	.type	_Z39paged_attention_ll4mi_QKV_mfma16_kernelI14__hip_bfloat16S0_LN4vllm18Fp8KVCacheDataTypeE0EhLi32ELi128ELi256ELb1ELi10EEvPKT_PKT0_S8_ifPKiSA_SA_iPKfiiiPfSD_PS3_PT2_iSC_SC_,@function
_Z39paged_attention_ll4mi_QKV_mfma16_kernelI14__hip_bfloat16S0_LN4vllm18Fp8KVCacheDataTypeE0EhLi32ELi128ELi256ELb1ELi10EEvPKT_PKT0_S8_ifPKiSA_SA_iPKfiiiPfSD_PS3_PT2_iSC_SC_: ; @_Z39paged_attention_ll4mi_QKV_mfma16_kernelI14__hip_bfloat16S0_LN4vllm18Fp8KVCacheDataTypeE0EhLi32ELi128ELi256ELb1ELi10EEvPKT_PKT0_S8_ifPKiSA_SA_iPKfiiiPfSD_PS3_PT2_iSC_SC_
; %bb.0:
	s_get_pc_i64 s[2:3]
	s_add_nc_u64 s[2:3], s[2:3], __PRETTY_FUNCTION__._Z39paged_attention_ll4mi_QKV_mfma16_kernelI14__hip_bfloat16S0_LN4vllm18Fp8KVCacheDataTypeE0EhLi32ELi128ELi256ELb1ELi10EEvPKT_PKT0_S8_ifPKiSA_SA_iPKfiiiPfSD_PS3_PT2_iSC_SC_@rel64+4
	s_delay_alu instid0(SALU_CYCLE_1)
	v_dual_mov_b32 v0, 0xbb3 :: v_dual_mov_b32 v1, s2
	v_mov_b32_e32 v2, s3
	s_add_nc_u64 s[8:9], s[0:1], 0x90
	s_get_pc_i64 s[0:1]
	s_add_nc_u64 s[0:1], s[0:1], __assert_fail@rel64+4
	s_mov_b32 s32, 0
	s_swap_pc_i64 s[30:31], s[0:1]
	.section	.rodata,"a",@progbits
	.p2align	6, 0x0
	.amdhsa_kernel _Z39paged_attention_ll4mi_QKV_mfma16_kernelI14__hip_bfloat16S0_LN4vllm18Fp8KVCacheDataTypeE0EhLi32ELi128ELi256ELb1ELi10EEvPKT_PKT0_S8_ifPKiSA_SA_iPKfiiiPfSD_PS3_PT2_iSC_SC_
		.amdhsa_group_segment_fixed_size 0
		.amdhsa_private_segment_fixed_size 64
		.amdhsa_kernarg_size 400
		.amdhsa_user_sgpr_count 2
		.amdhsa_user_sgpr_dispatch_ptr 0
		.amdhsa_user_sgpr_queue_ptr 0
		.amdhsa_user_sgpr_kernarg_segment_ptr 1
		.amdhsa_user_sgpr_dispatch_id 0
		.amdhsa_user_sgpr_kernarg_preload_length 0
		.amdhsa_user_sgpr_kernarg_preload_offset 0
		.amdhsa_user_sgpr_private_segment_size 0
		.amdhsa_wavefront_size32 1
		.amdhsa_uses_dynamic_stack 0
		.amdhsa_enable_private_segment 1
		.amdhsa_system_sgpr_workgroup_id_x 1
		.amdhsa_system_sgpr_workgroup_id_y 0
		.amdhsa_system_sgpr_workgroup_id_z 0
		.amdhsa_system_sgpr_workgroup_info 0
		.amdhsa_system_vgpr_workitem_id 0
		.amdhsa_next_free_vgpr 51
		.amdhsa_next_free_sgpr 34
		.amdhsa_named_barrier_count 0
		.amdhsa_reserve_vcc 1
		.amdhsa_float_round_mode_32 0
		.amdhsa_float_round_mode_16_64 0
		.amdhsa_float_denorm_mode_32 3
		.amdhsa_float_denorm_mode_16_64 3
		.amdhsa_fp16_overflow 0
		.amdhsa_memory_ordered 1
		.amdhsa_forward_progress 1
		.amdhsa_inst_pref_size 1
		.amdhsa_round_robin_scheduling 0
		.amdhsa_exception_fp_ieee_invalid_op 0
		.amdhsa_exception_fp_denorm_src 0
		.amdhsa_exception_fp_ieee_div_zero 0
		.amdhsa_exception_fp_ieee_overflow 0
		.amdhsa_exception_fp_ieee_underflow 0
		.amdhsa_exception_fp_ieee_inexact 0
		.amdhsa_exception_int_div_zero 0
	.end_amdhsa_kernel
	.section	.text._Z39paged_attention_ll4mi_QKV_mfma16_kernelI14__hip_bfloat16S0_LN4vllm18Fp8KVCacheDataTypeE0EhLi32ELi128ELi256ELb1ELi10EEvPKT_PKT0_S8_ifPKiSA_SA_iPKfiiiPfSD_PS3_PT2_iSC_SC_,"axG",@progbits,_Z39paged_attention_ll4mi_QKV_mfma16_kernelI14__hip_bfloat16S0_LN4vllm18Fp8KVCacheDataTypeE0EhLi32ELi128ELi256ELb1ELi10EEvPKT_PKT0_S8_ifPKiSA_SA_iPKfiiiPfSD_PS3_PT2_iSC_SC_,comdat
.Lfunc_end699:
	.size	_Z39paged_attention_ll4mi_QKV_mfma16_kernelI14__hip_bfloat16S0_LN4vllm18Fp8KVCacheDataTypeE0EhLi32ELi128ELi256ELb1ELi10EEvPKT_PKT0_S8_ifPKiSA_SA_iPKfiiiPfSD_PS3_PT2_iSC_SC_, .Lfunc_end699-_Z39paged_attention_ll4mi_QKV_mfma16_kernelI14__hip_bfloat16S0_LN4vllm18Fp8KVCacheDataTypeE0EhLi32ELi128ELi256ELb1ELi10EEvPKT_PKT0_S8_ifPKiSA_SA_iPKfiiiPfSD_PS3_PT2_iSC_SC_
                                        ; -- End function
	.set _Z39paged_attention_ll4mi_QKV_mfma16_kernelI14__hip_bfloat16S0_LN4vllm18Fp8KVCacheDataTypeE0EhLi32ELi128ELi256ELb1ELi10EEvPKT_PKT0_S8_ifPKiSA_SA_iPKfiiiPfSD_PS3_PT2_iSC_SC_.num_vgpr, max(3, .L__assert_fail.num_vgpr)
	.set _Z39paged_attention_ll4mi_QKV_mfma16_kernelI14__hip_bfloat16S0_LN4vllm18Fp8KVCacheDataTypeE0EhLi32ELi128ELi256ELb1ELi10EEvPKT_PKT0_S8_ifPKiSA_SA_iPKfiiiPfSD_PS3_PT2_iSC_SC_.num_agpr, max(0, .L__assert_fail.num_agpr)
	.set _Z39paged_attention_ll4mi_QKV_mfma16_kernelI14__hip_bfloat16S0_LN4vllm18Fp8KVCacheDataTypeE0EhLi32ELi128ELi256ELb1ELi10EEvPKT_PKT0_S8_ifPKiSA_SA_iPKfiiiPfSD_PS3_PT2_iSC_SC_.numbered_sgpr, max(33, .L__assert_fail.numbered_sgpr)
	.set _Z39paged_attention_ll4mi_QKV_mfma16_kernelI14__hip_bfloat16S0_LN4vllm18Fp8KVCacheDataTypeE0EhLi32ELi128ELi256ELb1ELi10EEvPKT_PKT0_S8_ifPKiSA_SA_iPKfiiiPfSD_PS3_PT2_iSC_SC_.num_named_barrier, max(0, .L__assert_fail.num_named_barrier)
	.set _Z39paged_attention_ll4mi_QKV_mfma16_kernelI14__hip_bfloat16S0_LN4vllm18Fp8KVCacheDataTypeE0EhLi32ELi128ELi256ELb1ELi10EEvPKT_PKT0_S8_ifPKiSA_SA_iPKfiiiPfSD_PS3_PT2_iSC_SC_.private_seg_size, 0+max(.L__assert_fail.private_seg_size)
	.set _Z39paged_attention_ll4mi_QKV_mfma16_kernelI14__hip_bfloat16S0_LN4vllm18Fp8KVCacheDataTypeE0EhLi32ELi128ELi256ELb1ELi10EEvPKT_PKT0_S8_ifPKiSA_SA_iPKfiiiPfSD_PS3_PT2_iSC_SC_.uses_vcc, or(1, .L__assert_fail.uses_vcc)
	.set _Z39paged_attention_ll4mi_QKV_mfma16_kernelI14__hip_bfloat16S0_LN4vllm18Fp8KVCacheDataTypeE0EhLi32ELi128ELi256ELb1ELi10EEvPKT_PKT0_S8_ifPKiSA_SA_iPKfiiiPfSD_PS3_PT2_iSC_SC_.uses_flat_scratch, or(0, .L__assert_fail.uses_flat_scratch)
	.set _Z39paged_attention_ll4mi_QKV_mfma16_kernelI14__hip_bfloat16S0_LN4vllm18Fp8KVCacheDataTypeE0EhLi32ELi128ELi256ELb1ELi10EEvPKT_PKT0_S8_ifPKiSA_SA_iPKfiiiPfSD_PS3_PT2_iSC_SC_.has_dyn_sized_stack, or(0, .L__assert_fail.has_dyn_sized_stack)
	.set _Z39paged_attention_ll4mi_QKV_mfma16_kernelI14__hip_bfloat16S0_LN4vllm18Fp8KVCacheDataTypeE0EhLi32ELi128ELi256ELb1ELi10EEvPKT_PKT0_S8_ifPKiSA_SA_iPKfiiiPfSD_PS3_PT2_iSC_SC_.has_recursion, or(0, .L__assert_fail.has_recursion)
	.set _Z39paged_attention_ll4mi_QKV_mfma16_kernelI14__hip_bfloat16S0_LN4vllm18Fp8KVCacheDataTypeE0EhLi32ELi128ELi256ELb1ELi10EEvPKT_PKT0_S8_ifPKiSA_SA_iPKfiiiPfSD_PS3_PT2_iSC_SC_.has_indirect_call, or(0, .L__assert_fail.has_indirect_call)
	.section	.AMDGPU.csdata,"",@progbits
; Kernel info:
; codeLenInByte = 68
; TotalNumSgprs: 36
; NumVgprs: 51
; ScratchSize: 64
; MemoryBound: 0
; FloatMode: 240
; IeeeMode: 1
; LDSByteSize: 0 bytes/workgroup (compile time only)
; SGPRBlocks: 0
; VGPRBlocks: 3
; NumSGPRsForWavesPerEU: 36
; NumVGPRsForWavesPerEU: 51
; NamedBarCnt: 0
; Occupancy: 16
; WaveLimiterHint : 1
; COMPUTE_PGM_RSRC2:SCRATCH_EN: 1
; COMPUTE_PGM_RSRC2:USER_SGPR: 2
; COMPUTE_PGM_RSRC2:TRAP_HANDLER: 0
; COMPUTE_PGM_RSRC2:TGID_X_EN: 1
; COMPUTE_PGM_RSRC2:TGID_Y_EN: 0
; COMPUTE_PGM_RSRC2:TGID_Z_EN: 0
; COMPUTE_PGM_RSRC2:TIDIG_COMP_CNT: 0
	.section	.text._Z39paged_attention_ll4mi_QKV_mfma16_kernelI14__hip_bfloat16S0_LN4vllm18Fp8KVCacheDataTypeE0EhLi32ELi128ELi256ELb1ELi11EEvPKT_PKT0_S8_ifPKiSA_SA_iPKfiiiPfSD_PS3_PT2_iSC_SC_,"axG",@progbits,_Z39paged_attention_ll4mi_QKV_mfma16_kernelI14__hip_bfloat16S0_LN4vllm18Fp8KVCacheDataTypeE0EhLi32ELi128ELi256ELb1ELi11EEvPKT_PKT0_S8_ifPKiSA_SA_iPKfiiiPfSD_PS3_PT2_iSC_SC_,comdat
	.protected	_Z39paged_attention_ll4mi_QKV_mfma16_kernelI14__hip_bfloat16S0_LN4vllm18Fp8KVCacheDataTypeE0EhLi32ELi128ELi256ELb1ELi11EEvPKT_PKT0_S8_ifPKiSA_SA_iPKfiiiPfSD_PS3_PT2_iSC_SC_ ; -- Begin function _Z39paged_attention_ll4mi_QKV_mfma16_kernelI14__hip_bfloat16S0_LN4vllm18Fp8KVCacheDataTypeE0EhLi32ELi128ELi256ELb1ELi11EEvPKT_PKT0_S8_ifPKiSA_SA_iPKfiiiPfSD_PS3_PT2_iSC_SC_
	.globl	_Z39paged_attention_ll4mi_QKV_mfma16_kernelI14__hip_bfloat16S0_LN4vllm18Fp8KVCacheDataTypeE0EhLi32ELi128ELi256ELb1ELi11EEvPKT_PKT0_S8_ifPKiSA_SA_iPKfiiiPfSD_PS3_PT2_iSC_SC_
	.p2align	8
	.type	_Z39paged_attention_ll4mi_QKV_mfma16_kernelI14__hip_bfloat16S0_LN4vllm18Fp8KVCacheDataTypeE0EhLi32ELi128ELi256ELb1ELi11EEvPKT_PKT0_S8_ifPKiSA_SA_iPKfiiiPfSD_PS3_PT2_iSC_SC_,@function
_Z39paged_attention_ll4mi_QKV_mfma16_kernelI14__hip_bfloat16S0_LN4vllm18Fp8KVCacheDataTypeE0EhLi32ELi128ELi256ELb1ELi11EEvPKT_PKT0_S8_ifPKiSA_SA_iPKfiiiPfSD_PS3_PT2_iSC_SC_: ; @_Z39paged_attention_ll4mi_QKV_mfma16_kernelI14__hip_bfloat16S0_LN4vllm18Fp8KVCacheDataTypeE0EhLi32ELi128ELi256ELb1ELi11EEvPKT_PKT0_S8_ifPKiSA_SA_iPKfiiiPfSD_PS3_PT2_iSC_SC_
; %bb.0:
	s_get_pc_i64 s[2:3]
	s_add_nc_u64 s[2:3], s[2:3], __PRETTY_FUNCTION__._Z39paged_attention_ll4mi_QKV_mfma16_kernelI14__hip_bfloat16S0_LN4vllm18Fp8KVCacheDataTypeE0EhLi32ELi128ELi256ELb1ELi11EEvPKT_PKT0_S8_ifPKiSA_SA_iPKfiiiPfSD_PS3_PT2_iSC_SC_@rel64+4
	s_delay_alu instid0(SALU_CYCLE_1)
	v_dual_mov_b32 v0, 0xbb3 :: v_dual_mov_b32 v1, s2
	v_mov_b32_e32 v2, s3
	s_add_nc_u64 s[8:9], s[0:1], 0x90
	s_get_pc_i64 s[0:1]
	s_add_nc_u64 s[0:1], s[0:1], __assert_fail@rel64+4
	s_mov_b32 s32, 0
	s_swap_pc_i64 s[30:31], s[0:1]
	.section	.rodata,"a",@progbits
	.p2align	6, 0x0
	.amdhsa_kernel _Z39paged_attention_ll4mi_QKV_mfma16_kernelI14__hip_bfloat16S0_LN4vllm18Fp8KVCacheDataTypeE0EhLi32ELi128ELi256ELb1ELi11EEvPKT_PKT0_S8_ifPKiSA_SA_iPKfiiiPfSD_PS3_PT2_iSC_SC_
		.amdhsa_group_segment_fixed_size 0
		.amdhsa_private_segment_fixed_size 64
		.amdhsa_kernarg_size 400
		.amdhsa_user_sgpr_count 2
		.amdhsa_user_sgpr_dispatch_ptr 0
		.amdhsa_user_sgpr_queue_ptr 0
		.amdhsa_user_sgpr_kernarg_segment_ptr 1
		.amdhsa_user_sgpr_dispatch_id 0
		.amdhsa_user_sgpr_kernarg_preload_length 0
		.amdhsa_user_sgpr_kernarg_preload_offset 0
		.amdhsa_user_sgpr_private_segment_size 0
		.amdhsa_wavefront_size32 1
		.amdhsa_uses_dynamic_stack 0
		.amdhsa_enable_private_segment 1
		.amdhsa_system_sgpr_workgroup_id_x 1
		.amdhsa_system_sgpr_workgroup_id_y 0
		.amdhsa_system_sgpr_workgroup_id_z 0
		.amdhsa_system_sgpr_workgroup_info 0
		.amdhsa_system_vgpr_workitem_id 0
		.amdhsa_next_free_vgpr 51
		.amdhsa_next_free_sgpr 34
		.amdhsa_named_barrier_count 0
		.amdhsa_reserve_vcc 1
		.amdhsa_float_round_mode_32 0
		.amdhsa_float_round_mode_16_64 0
		.amdhsa_float_denorm_mode_32 3
		.amdhsa_float_denorm_mode_16_64 3
		.amdhsa_fp16_overflow 0
		.amdhsa_memory_ordered 1
		.amdhsa_forward_progress 1
		.amdhsa_inst_pref_size 1
		.amdhsa_round_robin_scheduling 0
		.amdhsa_exception_fp_ieee_invalid_op 0
		.amdhsa_exception_fp_denorm_src 0
		.amdhsa_exception_fp_ieee_div_zero 0
		.amdhsa_exception_fp_ieee_overflow 0
		.amdhsa_exception_fp_ieee_underflow 0
		.amdhsa_exception_fp_ieee_inexact 0
		.amdhsa_exception_int_div_zero 0
	.end_amdhsa_kernel
	.section	.text._Z39paged_attention_ll4mi_QKV_mfma16_kernelI14__hip_bfloat16S0_LN4vllm18Fp8KVCacheDataTypeE0EhLi32ELi128ELi256ELb1ELi11EEvPKT_PKT0_S8_ifPKiSA_SA_iPKfiiiPfSD_PS3_PT2_iSC_SC_,"axG",@progbits,_Z39paged_attention_ll4mi_QKV_mfma16_kernelI14__hip_bfloat16S0_LN4vllm18Fp8KVCacheDataTypeE0EhLi32ELi128ELi256ELb1ELi11EEvPKT_PKT0_S8_ifPKiSA_SA_iPKfiiiPfSD_PS3_PT2_iSC_SC_,comdat
.Lfunc_end700:
	.size	_Z39paged_attention_ll4mi_QKV_mfma16_kernelI14__hip_bfloat16S0_LN4vllm18Fp8KVCacheDataTypeE0EhLi32ELi128ELi256ELb1ELi11EEvPKT_PKT0_S8_ifPKiSA_SA_iPKfiiiPfSD_PS3_PT2_iSC_SC_, .Lfunc_end700-_Z39paged_attention_ll4mi_QKV_mfma16_kernelI14__hip_bfloat16S0_LN4vllm18Fp8KVCacheDataTypeE0EhLi32ELi128ELi256ELb1ELi11EEvPKT_PKT0_S8_ifPKiSA_SA_iPKfiiiPfSD_PS3_PT2_iSC_SC_
                                        ; -- End function
	.set _Z39paged_attention_ll4mi_QKV_mfma16_kernelI14__hip_bfloat16S0_LN4vllm18Fp8KVCacheDataTypeE0EhLi32ELi128ELi256ELb1ELi11EEvPKT_PKT0_S8_ifPKiSA_SA_iPKfiiiPfSD_PS3_PT2_iSC_SC_.num_vgpr, max(3, .L__assert_fail.num_vgpr)
	.set _Z39paged_attention_ll4mi_QKV_mfma16_kernelI14__hip_bfloat16S0_LN4vllm18Fp8KVCacheDataTypeE0EhLi32ELi128ELi256ELb1ELi11EEvPKT_PKT0_S8_ifPKiSA_SA_iPKfiiiPfSD_PS3_PT2_iSC_SC_.num_agpr, max(0, .L__assert_fail.num_agpr)
	.set _Z39paged_attention_ll4mi_QKV_mfma16_kernelI14__hip_bfloat16S0_LN4vllm18Fp8KVCacheDataTypeE0EhLi32ELi128ELi256ELb1ELi11EEvPKT_PKT0_S8_ifPKiSA_SA_iPKfiiiPfSD_PS3_PT2_iSC_SC_.numbered_sgpr, max(33, .L__assert_fail.numbered_sgpr)
	.set _Z39paged_attention_ll4mi_QKV_mfma16_kernelI14__hip_bfloat16S0_LN4vllm18Fp8KVCacheDataTypeE0EhLi32ELi128ELi256ELb1ELi11EEvPKT_PKT0_S8_ifPKiSA_SA_iPKfiiiPfSD_PS3_PT2_iSC_SC_.num_named_barrier, max(0, .L__assert_fail.num_named_barrier)
	.set _Z39paged_attention_ll4mi_QKV_mfma16_kernelI14__hip_bfloat16S0_LN4vllm18Fp8KVCacheDataTypeE0EhLi32ELi128ELi256ELb1ELi11EEvPKT_PKT0_S8_ifPKiSA_SA_iPKfiiiPfSD_PS3_PT2_iSC_SC_.private_seg_size, 0+max(.L__assert_fail.private_seg_size)
	.set _Z39paged_attention_ll4mi_QKV_mfma16_kernelI14__hip_bfloat16S0_LN4vllm18Fp8KVCacheDataTypeE0EhLi32ELi128ELi256ELb1ELi11EEvPKT_PKT0_S8_ifPKiSA_SA_iPKfiiiPfSD_PS3_PT2_iSC_SC_.uses_vcc, or(1, .L__assert_fail.uses_vcc)
	.set _Z39paged_attention_ll4mi_QKV_mfma16_kernelI14__hip_bfloat16S0_LN4vllm18Fp8KVCacheDataTypeE0EhLi32ELi128ELi256ELb1ELi11EEvPKT_PKT0_S8_ifPKiSA_SA_iPKfiiiPfSD_PS3_PT2_iSC_SC_.uses_flat_scratch, or(0, .L__assert_fail.uses_flat_scratch)
	.set _Z39paged_attention_ll4mi_QKV_mfma16_kernelI14__hip_bfloat16S0_LN4vllm18Fp8KVCacheDataTypeE0EhLi32ELi128ELi256ELb1ELi11EEvPKT_PKT0_S8_ifPKiSA_SA_iPKfiiiPfSD_PS3_PT2_iSC_SC_.has_dyn_sized_stack, or(0, .L__assert_fail.has_dyn_sized_stack)
	.set _Z39paged_attention_ll4mi_QKV_mfma16_kernelI14__hip_bfloat16S0_LN4vllm18Fp8KVCacheDataTypeE0EhLi32ELi128ELi256ELb1ELi11EEvPKT_PKT0_S8_ifPKiSA_SA_iPKfiiiPfSD_PS3_PT2_iSC_SC_.has_recursion, or(0, .L__assert_fail.has_recursion)
	.set _Z39paged_attention_ll4mi_QKV_mfma16_kernelI14__hip_bfloat16S0_LN4vllm18Fp8KVCacheDataTypeE0EhLi32ELi128ELi256ELb1ELi11EEvPKT_PKT0_S8_ifPKiSA_SA_iPKfiiiPfSD_PS3_PT2_iSC_SC_.has_indirect_call, or(0, .L__assert_fail.has_indirect_call)
	.section	.AMDGPU.csdata,"",@progbits
; Kernel info:
; codeLenInByte = 68
; TotalNumSgprs: 36
; NumVgprs: 51
; ScratchSize: 64
; MemoryBound: 0
; FloatMode: 240
; IeeeMode: 1
; LDSByteSize: 0 bytes/workgroup (compile time only)
; SGPRBlocks: 0
; VGPRBlocks: 3
; NumSGPRsForWavesPerEU: 36
; NumVGPRsForWavesPerEU: 51
; NamedBarCnt: 0
; Occupancy: 16
; WaveLimiterHint : 1
; COMPUTE_PGM_RSRC2:SCRATCH_EN: 1
; COMPUTE_PGM_RSRC2:USER_SGPR: 2
; COMPUTE_PGM_RSRC2:TRAP_HANDLER: 0
; COMPUTE_PGM_RSRC2:TGID_X_EN: 1
; COMPUTE_PGM_RSRC2:TGID_Y_EN: 0
; COMPUTE_PGM_RSRC2:TGID_Z_EN: 0
; COMPUTE_PGM_RSRC2:TIDIG_COMP_CNT: 0
	.section	.text._Z39paged_attention_ll4mi_QKV_mfma16_kernelI14__hip_bfloat16S0_LN4vllm18Fp8KVCacheDataTypeE0EhLi32ELi128ELi256ELb1ELi12EEvPKT_PKT0_S8_ifPKiSA_SA_iPKfiiiPfSD_PS3_PT2_iSC_SC_,"axG",@progbits,_Z39paged_attention_ll4mi_QKV_mfma16_kernelI14__hip_bfloat16S0_LN4vllm18Fp8KVCacheDataTypeE0EhLi32ELi128ELi256ELb1ELi12EEvPKT_PKT0_S8_ifPKiSA_SA_iPKfiiiPfSD_PS3_PT2_iSC_SC_,comdat
	.protected	_Z39paged_attention_ll4mi_QKV_mfma16_kernelI14__hip_bfloat16S0_LN4vllm18Fp8KVCacheDataTypeE0EhLi32ELi128ELi256ELb1ELi12EEvPKT_PKT0_S8_ifPKiSA_SA_iPKfiiiPfSD_PS3_PT2_iSC_SC_ ; -- Begin function _Z39paged_attention_ll4mi_QKV_mfma16_kernelI14__hip_bfloat16S0_LN4vllm18Fp8KVCacheDataTypeE0EhLi32ELi128ELi256ELb1ELi12EEvPKT_PKT0_S8_ifPKiSA_SA_iPKfiiiPfSD_PS3_PT2_iSC_SC_
	.globl	_Z39paged_attention_ll4mi_QKV_mfma16_kernelI14__hip_bfloat16S0_LN4vllm18Fp8KVCacheDataTypeE0EhLi32ELi128ELi256ELb1ELi12EEvPKT_PKT0_S8_ifPKiSA_SA_iPKfiiiPfSD_PS3_PT2_iSC_SC_
	.p2align	8
	.type	_Z39paged_attention_ll4mi_QKV_mfma16_kernelI14__hip_bfloat16S0_LN4vllm18Fp8KVCacheDataTypeE0EhLi32ELi128ELi256ELb1ELi12EEvPKT_PKT0_S8_ifPKiSA_SA_iPKfiiiPfSD_PS3_PT2_iSC_SC_,@function
_Z39paged_attention_ll4mi_QKV_mfma16_kernelI14__hip_bfloat16S0_LN4vllm18Fp8KVCacheDataTypeE0EhLi32ELi128ELi256ELb1ELi12EEvPKT_PKT0_S8_ifPKiSA_SA_iPKfiiiPfSD_PS3_PT2_iSC_SC_: ; @_Z39paged_attention_ll4mi_QKV_mfma16_kernelI14__hip_bfloat16S0_LN4vllm18Fp8KVCacheDataTypeE0EhLi32ELi128ELi256ELb1ELi12EEvPKT_PKT0_S8_ifPKiSA_SA_iPKfiiiPfSD_PS3_PT2_iSC_SC_
; %bb.0:
	s_get_pc_i64 s[2:3]
	s_add_nc_u64 s[2:3], s[2:3], __PRETTY_FUNCTION__._Z39paged_attention_ll4mi_QKV_mfma16_kernelI14__hip_bfloat16S0_LN4vllm18Fp8KVCacheDataTypeE0EhLi32ELi128ELi256ELb1ELi12EEvPKT_PKT0_S8_ifPKiSA_SA_iPKfiiiPfSD_PS3_PT2_iSC_SC_@rel64+4
	s_delay_alu instid0(SALU_CYCLE_1)
	v_dual_mov_b32 v0, 0xbb3 :: v_dual_mov_b32 v1, s2
	v_mov_b32_e32 v2, s3
	s_add_nc_u64 s[8:9], s[0:1], 0x90
	s_get_pc_i64 s[0:1]
	s_add_nc_u64 s[0:1], s[0:1], __assert_fail@rel64+4
	s_mov_b32 s32, 0
	s_swap_pc_i64 s[30:31], s[0:1]
	.section	.rodata,"a",@progbits
	.p2align	6, 0x0
	.amdhsa_kernel _Z39paged_attention_ll4mi_QKV_mfma16_kernelI14__hip_bfloat16S0_LN4vllm18Fp8KVCacheDataTypeE0EhLi32ELi128ELi256ELb1ELi12EEvPKT_PKT0_S8_ifPKiSA_SA_iPKfiiiPfSD_PS3_PT2_iSC_SC_
		.amdhsa_group_segment_fixed_size 0
		.amdhsa_private_segment_fixed_size 64
		.amdhsa_kernarg_size 400
		.amdhsa_user_sgpr_count 2
		.amdhsa_user_sgpr_dispatch_ptr 0
		.amdhsa_user_sgpr_queue_ptr 0
		.amdhsa_user_sgpr_kernarg_segment_ptr 1
		.amdhsa_user_sgpr_dispatch_id 0
		.amdhsa_user_sgpr_kernarg_preload_length 0
		.amdhsa_user_sgpr_kernarg_preload_offset 0
		.amdhsa_user_sgpr_private_segment_size 0
		.amdhsa_wavefront_size32 1
		.amdhsa_uses_dynamic_stack 0
		.amdhsa_enable_private_segment 1
		.amdhsa_system_sgpr_workgroup_id_x 1
		.amdhsa_system_sgpr_workgroup_id_y 0
		.amdhsa_system_sgpr_workgroup_id_z 0
		.amdhsa_system_sgpr_workgroup_info 0
		.amdhsa_system_vgpr_workitem_id 0
		.amdhsa_next_free_vgpr 51
		.amdhsa_next_free_sgpr 34
		.amdhsa_named_barrier_count 0
		.amdhsa_reserve_vcc 1
		.amdhsa_float_round_mode_32 0
		.amdhsa_float_round_mode_16_64 0
		.amdhsa_float_denorm_mode_32 3
		.amdhsa_float_denorm_mode_16_64 3
		.amdhsa_fp16_overflow 0
		.amdhsa_memory_ordered 1
		.amdhsa_forward_progress 1
		.amdhsa_inst_pref_size 1
		.amdhsa_round_robin_scheduling 0
		.amdhsa_exception_fp_ieee_invalid_op 0
		.amdhsa_exception_fp_denorm_src 0
		.amdhsa_exception_fp_ieee_div_zero 0
		.amdhsa_exception_fp_ieee_overflow 0
		.amdhsa_exception_fp_ieee_underflow 0
		.amdhsa_exception_fp_ieee_inexact 0
		.amdhsa_exception_int_div_zero 0
	.end_amdhsa_kernel
	.section	.text._Z39paged_attention_ll4mi_QKV_mfma16_kernelI14__hip_bfloat16S0_LN4vllm18Fp8KVCacheDataTypeE0EhLi32ELi128ELi256ELb1ELi12EEvPKT_PKT0_S8_ifPKiSA_SA_iPKfiiiPfSD_PS3_PT2_iSC_SC_,"axG",@progbits,_Z39paged_attention_ll4mi_QKV_mfma16_kernelI14__hip_bfloat16S0_LN4vllm18Fp8KVCacheDataTypeE0EhLi32ELi128ELi256ELb1ELi12EEvPKT_PKT0_S8_ifPKiSA_SA_iPKfiiiPfSD_PS3_PT2_iSC_SC_,comdat
.Lfunc_end701:
	.size	_Z39paged_attention_ll4mi_QKV_mfma16_kernelI14__hip_bfloat16S0_LN4vllm18Fp8KVCacheDataTypeE0EhLi32ELi128ELi256ELb1ELi12EEvPKT_PKT0_S8_ifPKiSA_SA_iPKfiiiPfSD_PS3_PT2_iSC_SC_, .Lfunc_end701-_Z39paged_attention_ll4mi_QKV_mfma16_kernelI14__hip_bfloat16S0_LN4vllm18Fp8KVCacheDataTypeE0EhLi32ELi128ELi256ELb1ELi12EEvPKT_PKT0_S8_ifPKiSA_SA_iPKfiiiPfSD_PS3_PT2_iSC_SC_
                                        ; -- End function
	.set _Z39paged_attention_ll4mi_QKV_mfma16_kernelI14__hip_bfloat16S0_LN4vllm18Fp8KVCacheDataTypeE0EhLi32ELi128ELi256ELb1ELi12EEvPKT_PKT0_S8_ifPKiSA_SA_iPKfiiiPfSD_PS3_PT2_iSC_SC_.num_vgpr, max(3, .L__assert_fail.num_vgpr)
	.set _Z39paged_attention_ll4mi_QKV_mfma16_kernelI14__hip_bfloat16S0_LN4vllm18Fp8KVCacheDataTypeE0EhLi32ELi128ELi256ELb1ELi12EEvPKT_PKT0_S8_ifPKiSA_SA_iPKfiiiPfSD_PS3_PT2_iSC_SC_.num_agpr, max(0, .L__assert_fail.num_agpr)
	.set _Z39paged_attention_ll4mi_QKV_mfma16_kernelI14__hip_bfloat16S0_LN4vllm18Fp8KVCacheDataTypeE0EhLi32ELi128ELi256ELb1ELi12EEvPKT_PKT0_S8_ifPKiSA_SA_iPKfiiiPfSD_PS3_PT2_iSC_SC_.numbered_sgpr, max(33, .L__assert_fail.numbered_sgpr)
	.set _Z39paged_attention_ll4mi_QKV_mfma16_kernelI14__hip_bfloat16S0_LN4vllm18Fp8KVCacheDataTypeE0EhLi32ELi128ELi256ELb1ELi12EEvPKT_PKT0_S8_ifPKiSA_SA_iPKfiiiPfSD_PS3_PT2_iSC_SC_.num_named_barrier, max(0, .L__assert_fail.num_named_barrier)
	.set _Z39paged_attention_ll4mi_QKV_mfma16_kernelI14__hip_bfloat16S0_LN4vllm18Fp8KVCacheDataTypeE0EhLi32ELi128ELi256ELb1ELi12EEvPKT_PKT0_S8_ifPKiSA_SA_iPKfiiiPfSD_PS3_PT2_iSC_SC_.private_seg_size, 0+max(.L__assert_fail.private_seg_size)
	.set _Z39paged_attention_ll4mi_QKV_mfma16_kernelI14__hip_bfloat16S0_LN4vllm18Fp8KVCacheDataTypeE0EhLi32ELi128ELi256ELb1ELi12EEvPKT_PKT0_S8_ifPKiSA_SA_iPKfiiiPfSD_PS3_PT2_iSC_SC_.uses_vcc, or(1, .L__assert_fail.uses_vcc)
	.set _Z39paged_attention_ll4mi_QKV_mfma16_kernelI14__hip_bfloat16S0_LN4vllm18Fp8KVCacheDataTypeE0EhLi32ELi128ELi256ELb1ELi12EEvPKT_PKT0_S8_ifPKiSA_SA_iPKfiiiPfSD_PS3_PT2_iSC_SC_.uses_flat_scratch, or(0, .L__assert_fail.uses_flat_scratch)
	.set _Z39paged_attention_ll4mi_QKV_mfma16_kernelI14__hip_bfloat16S0_LN4vllm18Fp8KVCacheDataTypeE0EhLi32ELi128ELi256ELb1ELi12EEvPKT_PKT0_S8_ifPKiSA_SA_iPKfiiiPfSD_PS3_PT2_iSC_SC_.has_dyn_sized_stack, or(0, .L__assert_fail.has_dyn_sized_stack)
	.set _Z39paged_attention_ll4mi_QKV_mfma16_kernelI14__hip_bfloat16S0_LN4vllm18Fp8KVCacheDataTypeE0EhLi32ELi128ELi256ELb1ELi12EEvPKT_PKT0_S8_ifPKiSA_SA_iPKfiiiPfSD_PS3_PT2_iSC_SC_.has_recursion, or(0, .L__assert_fail.has_recursion)
	.set _Z39paged_attention_ll4mi_QKV_mfma16_kernelI14__hip_bfloat16S0_LN4vllm18Fp8KVCacheDataTypeE0EhLi32ELi128ELi256ELb1ELi12EEvPKT_PKT0_S8_ifPKiSA_SA_iPKfiiiPfSD_PS3_PT2_iSC_SC_.has_indirect_call, or(0, .L__assert_fail.has_indirect_call)
	.section	.AMDGPU.csdata,"",@progbits
; Kernel info:
; codeLenInByte = 68
; TotalNumSgprs: 36
; NumVgprs: 51
; ScratchSize: 64
; MemoryBound: 0
; FloatMode: 240
; IeeeMode: 1
; LDSByteSize: 0 bytes/workgroup (compile time only)
; SGPRBlocks: 0
; VGPRBlocks: 3
; NumSGPRsForWavesPerEU: 36
; NumVGPRsForWavesPerEU: 51
; NamedBarCnt: 0
; Occupancy: 16
; WaveLimiterHint : 1
; COMPUTE_PGM_RSRC2:SCRATCH_EN: 1
; COMPUTE_PGM_RSRC2:USER_SGPR: 2
; COMPUTE_PGM_RSRC2:TRAP_HANDLER: 0
; COMPUTE_PGM_RSRC2:TGID_X_EN: 1
; COMPUTE_PGM_RSRC2:TGID_Y_EN: 0
; COMPUTE_PGM_RSRC2:TGID_Z_EN: 0
; COMPUTE_PGM_RSRC2:TIDIG_COMP_CNT: 0
	.section	.text._Z39paged_attention_ll4mi_QKV_mfma16_kernelI14__hip_bfloat16S0_LN4vllm18Fp8KVCacheDataTypeE0EhLi32ELi128ELi256ELb1ELi13EEvPKT_PKT0_S8_ifPKiSA_SA_iPKfiiiPfSD_PS3_PT2_iSC_SC_,"axG",@progbits,_Z39paged_attention_ll4mi_QKV_mfma16_kernelI14__hip_bfloat16S0_LN4vllm18Fp8KVCacheDataTypeE0EhLi32ELi128ELi256ELb1ELi13EEvPKT_PKT0_S8_ifPKiSA_SA_iPKfiiiPfSD_PS3_PT2_iSC_SC_,comdat
	.protected	_Z39paged_attention_ll4mi_QKV_mfma16_kernelI14__hip_bfloat16S0_LN4vllm18Fp8KVCacheDataTypeE0EhLi32ELi128ELi256ELb1ELi13EEvPKT_PKT0_S8_ifPKiSA_SA_iPKfiiiPfSD_PS3_PT2_iSC_SC_ ; -- Begin function _Z39paged_attention_ll4mi_QKV_mfma16_kernelI14__hip_bfloat16S0_LN4vllm18Fp8KVCacheDataTypeE0EhLi32ELi128ELi256ELb1ELi13EEvPKT_PKT0_S8_ifPKiSA_SA_iPKfiiiPfSD_PS3_PT2_iSC_SC_
	.globl	_Z39paged_attention_ll4mi_QKV_mfma16_kernelI14__hip_bfloat16S0_LN4vllm18Fp8KVCacheDataTypeE0EhLi32ELi128ELi256ELb1ELi13EEvPKT_PKT0_S8_ifPKiSA_SA_iPKfiiiPfSD_PS3_PT2_iSC_SC_
	.p2align	8
	.type	_Z39paged_attention_ll4mi_QKV_mfma16_kernelI14__hip_bfloat16S0_LN4vllm18Fp8KVCacheDataTypeE0EhLi32ELi128ELi256ELb1ELi13EEvPKT_PKT0_S8_ifPKiSA_SA_iPKfiiiPfSD_PS3_PT2_iSC_SC_,@function
_Z39paged_attention_ll4mi_QKV_mfma16_kernelI14__hip_bfloat16S0_LN4vllm18Fp8KVCacheDataTypeE0EhLi32ELi128ELi256ELb1ELi13EEvPKT_PKT0_S8_ifPKiSA_SA_iPKfiiiPfSD_PS3_PT2_iSC_SC_: ; @_Z39paged_attention_ll4mi_QKV_mfma16_kernelI14__hip_bfloat16S0_LN4vllm18Fp8KVCacheDataTypeE0EhLi32ELi128ELi256ELb1ELi13EEvPKT_PKT0_S8_ifPKiSA_SA_iPKfiiiPfSD_PS3_PT2_iSC_SC_
; %bb.0:
	s_get_pc_i64 s[2:3]
	s_add_nc_u64 s[2:3], s[2:3], __PRETTY_FUNCTION__._Z39paged_attention_ll4mi_QKV_mfma16_kernelI14__hip_bfloat16S0_LN4vllm18Fp8KVCacheDataTypeE0EhLi32ELi128ELi256ELb1ELi13EEvPKT_PKT0_S8_ifPKiSA_SA_iPKfiiiPfSD_PS3_PT2_iSC_SC_@rel64+4
	s_delay_alu instid0(SALU_CYCLE_1)
	v_dual_mov_b32 v0, 0xbb3 :: v_dual_mov_b32 v1, s2
	v_mov_b32_e32 v2, s3
	s_add_nc_u64 s[8:9], s[0:1], 0x90
	s_get_pc_i64 s[0:1]
	s_add_nc_u64 s[0:1], s[0:1], __assert_fail@rel64+4
	s_mov_b32 s32, 0
	s_swap_pc_i64 s[30:31], s[0:1]
	.section	.rodata,"a",@progbits
	.p2align	6, 0x0
	.amdhsa_kernel _Z39paged_attention_ll4mi_QKV_mfma16_kernelI14__hip_bfloat16S0_LN4vllm18Fp8KVCacheDataTypeE0EhLi32ELi128ELi256ELb1ELi13EEvPKT_PKT0_S8_ifPKiSA_SA_iPKfiiiPfSD_PS3_PT2_iSC_SC_
		.amdhsa_group_segment_fixed_size 0
		.amdhsa_private_segment_fixed_size 64
		.amdhsa_kernarg_size 400
		.amdhsa_user_sgpr_count 2
		.amdhsa_user_sgpr_dispatch_ptr 0
		.amdhsa_user_sgpr_queue_ptr 0
		.amdhsa_user_sgpr_kernarg_segment_ptr 1
		.amdhsa_user_sgpr_dispatch_id 0
		.amdhsa_user_sgpr_kernarg_preload_length 0
		.amdhsa_user_sgpr_kernarg_preload_offset 0
		.amdhsa_user_sgpr_private_segment_size 0
		.amdhsa_wavefront_size32 1
		.amdhsa_uses_dynamic_stack 0
		.amdhsa_enable_private_segment 1
		.amdhsa_system_sgpr_workgroup_id_x 1
		.amdhsa_system_sgpr_workgroup_id_y 0
		.amdhsa_system_sgpr_workgroup_id_z 0
		.amdhsa_system_sgpr_workgroup_info 0
		.amdhsa_system_vgpr_workitem_id 0
		.amdhsa_next_free_vgpr 51
		.amdhsa_next_free_sgpr 34
		.amdhsa_named_barrier_count 0
		.amdhsa_reserve_vcc 1
		.amdhsa_float_round_mode_32 0
		.amdhsa_float_round_mode_16_64 0
		.amdhsa_float_denorm_mode_32 3
		.amdhsa_float_denorm_mode_16_64 3
		.amdhsa_fp16_overflow 0
		.amdhsa_memory_ordered 1
		.amdhsa_forward_progress 1
		.amdhsa_inst_pref_size 1
		.amdhsa_round_robin_scheduling 0
		.amdhsa_exception_fp_ieee_invalid_op 0
		.amdhsa_exception_fp_denorm_src 0
		.amdhsa_exception_fp_ieee_div_zero 0
		.amdhsa_exception_fp_ieee_overflow 0
		.amdhsa_exception_fp_ieee_underflow 0
		.amdhsa_exception_fp_ieee_inexact 0
		.amdhsa_exception_int_div_zero 0
	.end_amdhsa_kernel
	.section	.text._Z39paged_attention_ll4mi_QKV_mfma16_kernelI14__hip_bfloat16S0_LN4vllm18Fp8KVCacheDataTypeE0EhLi32ELi128ELi256ELb1ELi13EEvPKT_PKT0_S8_ifPKiSA_SA_iPKfiiiPfSD_PS3_PT2_iSC_SC_,"axG",@progbits,_Z39paged_attention_ll4mi_QKV_mfma16_kernelI14__hip_bfloat16S0_LN4vllm18Fp8KVCacheDataTypeE0EhLi32ELi128ELi256ELb1ELi13EEvPKT_PKT0_S8_ifPKiSA_SA_iPKfiiiPfSD_PS3_PT2_iSC_SC_,comdat
.Lfunc_end702:
	.size	_Z39paged_attention_ll4mi_QKV_mfma16_kernelI14__hip_bfloat16S0_LN4vllm18Fp8KVCacheDataTypeE0EhLi32ELi128ELi256ELb1ELi13EEvPKT_PKT0_S8_ifPKiSA_SA_iPKfiiiPfSD_PS3_PT2_iSC_SC_, .Lfunc_end702-_Z39paged_attention_ll4mi_QKV_mfma16_kernelI14__hip_bfloat16S0_LN4vllm18Fp8KVCacheDataTypeE0EhLi32ELi128ELi256ELb1ELi13EEvPKT_PKT0_S8_ifPKiSA_SA_iPKfiiiPfSD_PS3_PT2_iSC_SC_
                                        ; -- End function
	.set _Z39paged_attention_ll4mi_QKV_mfma16_kernelI14__hip_bfloat16S0_LN4vllm18Fp8KVCacheDataTypeE0EhLi32ELi128ELi256ELb1ELi13EEvPKT_PKT0_S8_ifPKiSA_SA_iPKfiiiPfSD_PS3_PT2_iSC_SC_.num_vgpr, max(3, .L__assert_fail.num_vgpr)
	.set _Z39paged_attention_ll4mi_QKV_mfma16_kernelI14__hip_bfloat16S0_LN4vllm18Fp8KVCacheDataTypeE0EhLi32ELi128ELi256ELb1ELi13EEvPKT_PKT0_S8_ifPKiSA_SA_iPKfiiiPfSD_PS3_PT2_iSC_SC_.num_agpr, max(0, .L__assert_fail.num_agpr)
	.set _Z39paged_attention_ll4mi_QKV_mfma16_kernelI14__hip_bfloat16S0_LN4vllm18Fp8KVCacheDataTypeE0EhLi32ELi128ELi256ELb1ELi13EEvPKT_PKT0_S8_ifPKiSA_SA_iPKfiiiPfSD_PS3_PT2_iSC_SC_.numbered_sgpr, max(33, .L__assert_fail.numbered_sgpr)
	.set _Z39paged_attention_ll4mi_QKV_mfma16_kernelI14__hip_bfloat16S0_LN4vllm18Fp8KVCacheDataTypeE0EhLi32ELi128ELi256ELb1ELi13EEvPKT_PKT0_S8_ifPKiSA_SA_iPKfiiiPfSD_PS3_PT2_iSC_SC_.num_named_barrier, max(0, .L__assert_fail.num_named_barrier)
	.set _Z39paged_attention_ll4mi_QKV_mfma16_kernelI14__hip_bfloat16S0_LN4vllm18Fp8KVCacheDataTypeE0EhLi32ELi128ELi256ELb1ELi13EEvPKT_PKT0_S8_ifPKiSA_SA_iPKfiiiPfSD_PS3_PT2_iSC_SC_.private_seg_size, 0+max(.L__assert_fail.private_seg_size)
	.set _Z39paged_attention_ll4mi_QKV_mfma16_kernelI14__hip_bfloat16S0_LN4vllm18Fp8KVCacheDataTypeE0EhLi32ELi128ELi256ELb1ELi13EEvPKT_PKT0_S8_ifPKiSA_SA_iPKfiiiPfSD_PS3_PT2_iSC_SC_.uses_vcc, or(1, .L__assert_fail.uses_vcc)
	.set _Z39paged_attention_ll4mi_QKV_mfma16_kernelI14__hip_bfloat16S0_LN4vllm18Fp8KVCacheDataTypeE0EhLi32ELi128ELi256ELb1ELi13EEvPKT_PKT0_S8_ifPKiSA_SA_iPKfiiiPfSD_PS3_PT2_iSC_SC_.uses_flat_scratch, or(0, .L__assert_fail.uses_flat_scratch)
	.set _Z39paged_attention_ll4mi_QKV_mfma16_kernelI14__hip_bfloat16S0_LN4vllm18Fp8KVCacheDataTypeE0EhLi32ELi128ELi256ELb1ELi13EEvPKT_PKT0_S8_ifPKiSA_SA_iPKfiiiPfSD_PS3_PT2_iSC_SC_.has_dyn_sized_stack, or(0, .L__assert_fail.has_dyn_sized_stack)
	.set _Z39paged_attention_ll4mi_QKV_mfma16_kernelI14__hip_bfloat16S0_LN4vllm18Fp8KVCacheDataTypeE0EhLi32ELi128ELi256ELb1ELi13EEvPKT_PKT0_S8_ifPKiSA_SA_iPKfiiiPfSD_PS3_PT2_iSC_SC_.has_recursion, or(0, .L__assert_fail.has_recursion)
	.set _Z39paged_attention_ll4mi_QKV_mfma16_kernelI14__hip_bfloat16S0_LN4vllm18Fp8KVCacheDataTypeE0EhLi32ELi128ELi256ELb1ELi13EEvPKT_PKT0_S8_ifPKiSA_SA_iPKfiiiPfSD_PS3_PT2_iSC_SC_.has_indirect_call, or(0, .L__assert_fail.has_indirect_call)
	.section	.AMDGPU.csdata,"",@progbits
; Kernel info:
; codeLenInByte = 68
; TotalNumSgprs: 36
; NumVgprs: 51
; ScratchSize: 64
; MemoryBound: 0
; FloatMode: 240
; IeeeMode: 1
; LDSByteSize: 0 bytes/workgroup (compile time only)
; SGPRBlocks: 0
; VGPRBlocks: 3
; NumSGPRsForWavesPerEU: 36
; NumVGPRsForWavesPerEU: 51
; NamedBarCnt: 0
; Occupancy: 16
; WaveLimiterHint : 1
; COMPUTE_PGM_RSRC2:SCRATCH_EN: 1
; COMPUTE_PGM_RSRC2:USER_SGPR: 2
; COMPUTE_PGM_RSRC2:TRAP_HANDLER: 0
; COMPUTE_PGM_RSRC2:TGID_X_EN: 1
; COMPUTE_PGM_RSRC2:TGID_Y_EN: 0
; COMPUTE_PGM_RSRC2:TGID_Z_EN: 0
; COMPUTE_PGM_RSRC2:TIDIG_COMP_CNT: 0
	.section	.text._Z39paged_attention_ll4mi_QKV_mfma16_kernelI14__hip_bfloat16S0_LN4vllm18Fp8KVCacheDataTypeE0EhLi32ELi128ELi256ELb1ELi14EEvPKT_PKT0_S8_ifPKiSA_SA_iPKfiiiPfSD_PS3_PT2_iSC_SC_,"axG",@progbits,_Z39paged_attention_ll4mi_QKV_mfma16_kernelI14__hip_bfloat16S0_LN4vllm18Fp8KVCacheDataTypeE0EhLi32ELi128ELi256ELb1ELi14EEvPKT_PKT0_S8_ifPKiSA_SA_iPKfiiiPfSD_PS3_PT2_iSC_SC_,comdat
	.protected	_Z39paged_attention_ll4mi_QKV_mfma16_kernelI14__hip_bfloat16S0_LN4vllm18Fp8KVCacheDataTypeE0EhLi32ELi128ELi256ELb1ELi14EEvPKT_PKT0_S8_ifPKiSA_SA_iPKfiiiPfSD_PS3_PT2_iSC_SC_ ; -- Begin function _Z39paged_attention_ll4mi_QKV_mfma16_kernelI14__hip_bfloat16S0_LN4vllm18Fp8KVCacheDataTypeE0EhLi32ELi128ELi256ELb1ELi14EEvPKT_PKT0_S8_ifPKiSA_SA_iPKfiiiPfSD_PS3_PT2_iSC_SC_
	.globl	_Z39paged_attention_ll4mi_QKV_mfma16_kernelI14__hip_bfloat16S0_LN4vllm18Fp8KVCacheDataTypeE0EhLi32ELi128ELi256ELb1ELi14EEvPKT_PKT0_S8_ifPKiSA_SA_iPKfiiiPfSD_PS3_PT2_iSC_SC_
	.p2align	8
	.type	_Z39paged_attention_ll4mi_QKV_mfma16_kernelI14__hip_bfloat16S0_LN4vllm18Fp8KVCacheDataTypeE0EhLi32ELi128ELi256ELb1ELi14EEvPKT_PKT0_S8_ifPKiSA_SA_iPKfiiiPfSD_PS3_PT2_iSC_SC_,@function
_Z39paged_attention_ll4mi_QKV_mfma16_kernelI14__hip_bfloat16S0_LN4vllm18Fp8KVCacheDataTypeE0EhLi32ELi128ELi256ELb1ELi14EEvPKT_PKT0_S8_ifPKiSA_SA_iPKfiiiPfSD_PS3_PT2_iSC_SC_: ; @_Z39paged_attention_ll4mi_QKV_mfma16_kernelI14__hip_bfloat16S0_LN4vllm18Fp8KVCacheDataTypeE0EhLi32ELi128ELi256ELb1ELi14EEvPKT_PKT0_S8_ifPKiSA_SA_iPKfiiiPfSD_PS3_PT2_iSC_SC_
; %bb.0:
	s_get_pc_i64 s[2:3]
	s_add_nc_u64 s[2:3], s[2:3], __PRETTY_FUNCTION__._Z39paged_attention_ll4mi_QKV_mfma16_kernelI14__hip_bfloat16S0_LN4vllm18Fp8KVCacheDataTypeE0EhLi32ELi128ELi256ELb1ELi14EEvPKT_PKT0_S8_ifPKiSA_SA_iPKfiiiPfSD_PS3_PT2_iSC_SC_@rel64+4
	s_delay_alu instid0(SALU_CYCLE_1)
	v_dual_mov_b32 v0, 0xbb3 :: v_dual_mov_b32 v1, s2
	v_mov_b32_e32 v2, s3
	s_add_nc_u64 s[8:9], s[0:1], 0x90
	s_get_pc_i64 s[0:1]
	s_add_nc_u64 s[0:1], s[0:1], __assert_fail@rel64+4
	s_mov_b32 s32, 0
	s_swap_pc_i64 s[30:31], s[0:1]
	.section	.rodata,"a",@progbits
	.p2align	6, 0x0
	.amdhsa_kernel _Z39paged_attention_ll4mi_QKV_mfma16_kernelI14__hip_bfloat16S0_LN4vllm18Fp8KVCacheDataTypeE0EhLi32ELi128ELi256ELb1ELi14EEvPKT_PKT0_S8_ifPKiSA_SA_iPKfiiiPfSD_PS3_PT2_iSC_SC_
		.amdhsa_group_segment_fixed_size 0
		.amdhsa_private_segment_fixed_size 64
		.amdhsa_kernarg_size 400
		.amdhsa_user_sgpr_count 2
		.amdhsa_user_sgpr_dispatch_ptr 0
		.amdhsa_user_sgpr_queue_ptr 0
		.amdhsa_user_sgpr_kernarg_segment_ptr 1
		.amdhsa_user_sgpr_dispatch_id 0
		.amdhsa_user_sgpr_kernarg_preload_length 0
		.amdhsa_user_sgpr_kernarg_preload_offset 0
		.amdhsa_user_sgpr_private_segment_size 0
		.amdhsa_wavefront_size32 1
		.amdhsa_uses_dynamic_stack 0
		.amdhsa_enable_private_segment 1
		.amdhsa_system_sgpr_workgroup_id_x 1
		.amdhsa_system_sgpr_workgroup_id_y 0
		.amdhsa_system_sgpr_workgroup_id_z 0
		.amdhsa_system_sgpr_workgroup_info 0
		.amdhsa_system_vgpr_workitem_id 0
		.amdhsa_next_free_vgpr 51
		.amdhsa_next_free_sgpr 34
		.amdhsa_named_barrier_count 0
		.amdhsa_reserve_vcc 1
		.amdhsa_float_round_mode_32 0
		.amdhsa_float_round_mode_16_64 0
		.amdhsa_float_denorm_mode_32 3
		.amdhsa_float_denorm_mode_16_64 3
		.amdhsa_fp16_overflow 0
		.amdhsa_memory_ordered 1
		.amdhsa_forward_progress 1
		.amdhsa_inst_pref_size 1
		.amdhsa_round_robin_scheduling 0
		.amdhsa_exception_fp_ieee_invalid_op 0
		.amdhsa_exception_fp_denorm_src 0
		.amdhsa_exception_fp_ieee_div_zero 0
		.amdhsa_exception_fp_ieee_overflow 0
		.amdhsa_exception_fp_ieee_underflow 0
		.amdhsa_exception_fp_ieee_inexact 0
		.amdhsa_exception_int_div_zero 0
	.end_amdhsa_kernel
	.section	.text._Z39paged_attention_ll4mi_QKV_mfma16_kernelI14__hip_bfloat16S0_LN4vllm18Fp8KVCacheDataTypeE0EhLi32ELi128ELi256ELb1ELi14EEvPKT_PKT0_S8_ifPKiSA_SA_iPKfiiiPfSD_PS3_PT2_iSC_SC_,"axG",@progbits,_Z39paged_attention_ll4mi_QKV_mfma16_kernelI14__hip_bfloat16S0_LN4vllm18Fp8KVCacheDataTypeE0EhLi32ELi128ELi256ELb1ELi14EEvPKT_PKT0_S8_ifPKiSA_SA_iPKfiiiPfSD_PS3_PT2_iSC_SC_,comdat
.Lfunc_end703:
	.size	_Z39paged_attention_ll4mi_QKV_mfma16_kernelI14__hip_bfloat16S0_LN4vllm18Fp8KVCacheDataTypeE0EhLi32ELi128ELi256ELb1ELi14EEvPKT_PKT0_S8_ifPKiSA_SA_iPKfiiiPfSD_PS3_PT2_iSC_SC_, .Lfunc_end703-_Z39paged_attention_ll4mi_QKV_mfma16_kernelI14__hip_bfloat16S0_LN4vllm18Fp8KVCacheDataTypeE0EhLi32ELi128ELi256ELb1ELi14EEvPKT_PKT0_S8_ifPKiSA_SA_iPKfiiiPfSD_PS3_PT2_iSC_SC_
                                        ; -- End function
	.set _Z39paged_attention_ll4mi_QKV_mfma16_kernelI14__hip_bfloat16S0_LN4vllm18Fp8KVCacheDataTypeE0EhLi32ELi128ELi256ELb1ELi14EEvPKT_PKT0_S8_ifPKiSA_SA_iPKfiiiPfSD_PS3_PT2_iSC_SC_.num_vgpr, max(3, .L__assert_fail.num_vgpr)
	.set _Z39paged_attention_ll4mi_QKV_mfma16_kernelI14__hip_bfloat16S0_LN4vllm18Fp8KVCacheDataTypeE0EhLi32ELi128ELi256ELb1ELi14EEvPKT_PKT0_S8_ifPKiSA_SA_iPKfiiiPfSD_PS3_PT2_iSC_SC_.num_agpr, max(0, .L__assert_fail.num_agpr)
	.set _Z39paged_attention_ll4mi_QKV_mfma16_kernelI14__hip_bfloat16S0_LN4vllm18Fp8KVCacheDataTypeE0EhLi32ELi128ELi256ELb1ELi14EEvPKT_PKT0_S8_ifPKiSA_SA_iPKfiiiPfSD_PS3_PT2_iSC_SC_.numbered_sgpr, max(33, .L__assert_fail.numbered_sgpr)
	.set _Z39paged_attention_ll4mi_QKV_mfma16_kernelI14__hip_bfloat16S0_LN4vllm18Fp8KVCacheDataTypeE0EhLi32ELi128ELi256ELb1ELi14EEvPKT_PKT0_S8_ifPKiSA_SA_iPKfiiiPfSD_PS3_PT2_iSC_SC_.num_named_barrier, max(0, .L__assert_fail.num_named_barrier)
	.set _Z39paged_attention_ll4mi_QKV_mfma16_kernelI14__hip_bfloat16S0_LN4vllm18Fp8KVCacheDataTypeE0EhLi32ELi128ELi256ELb1ELi14EEvPKT_PKT0_S8_ifPKiSA_SA_iPKfiiiPfSD_PS3_PT2_iSC_SC_.private_seg_size, 0+max(.L__assert_fail.private_seg_size)
	.set _Z39paged_attention_ll4mi_QKV_mfma16_kernelI14__hip_bfloat16S0_LN4vllm18Fp8KVCacheDataTypeE0EhLi32ELi128ELi256ELb1ELi14EEvPKT_PKT0_S8_ifPKiSA_SA_iPKfiiiPfSD_PS3_PT2_iSC_SC_.uses_vcc, or(1, .L__assert_fail.uses_vcc)
	.set _Z39paged_attention_ll4mi_QKV_mfma16_kernelI14__hip_bfloat16S0_LN4vllm18Fp8KVCacheDataTypeE0EhLi32ELi128ELi256ELb1ELi14EEvPKT_PKT0_S8_ifPKiSA_SA_iPKfiiiPfSD_PS3_PT2_iSC_SC_.uses_flat_scratch, or(0, .L__assert_fail.uses_flat_scratch)
	.set _Z39paged_attention_ll4mi_QKV_mfma16_kernelI14__hip_bfloat16S0_LN4vllm18Fp8KVCacheDataTypeE0EhLi32ELi128ELi256ELb1ELi14EEvPKT_PKT0_S8_ifPKiSA_SA_iPKfiiiPfSD_PS3_PT2_iSC_SC_.has_dyn_sized_stack, or(0, .L__assert_fail.has_dyn_sized_stack)
	.set _Z39paged_attention_ll4mi_QKV_mfma16_kernelI14__hip_bfloat16S0_LN4vllm18Fp8KVCacheDataTypeE0EhLi32ELi128ELi256ELb1ELi14EEvPKT_PKT0_S8_ifPKiSA_SA_iPKfiiiPfSD_PS3_PT2_iSC_SC_.has_recursion, or(0, .L__assert_fail.has_recursion)
	.set _Z39paged_attention_ll4mi_QKV_mfma16_kernelI14__hip_bfloat16S0_LN4vllm18Fp8KVCacheDataTypeE0EhLi32ELi128ELi256ELb1ELi14EEvPKT_PKT0_S8_ifPKiSA_SA_iPKfiiiPfSD_PS3_PT2_iSC_SC_.has_indirect_call, or(0, .L__assert_fail.has_indirect_call)
	.section	.AMDGPU.csdata,"",@progbits
; Kernel info:
; codeLenInByte = 68
; TotalNumSgprs: 36
; NumVgprs: 51
; ScratchSize: 64
; MemoryBound: 0
; FloatMode: 240
; IeeeMode: 1
; LDSByteSize: 0 bytes/workgroup (compile time only)
; SGPRBlocks: 0
; VGPRBlocks: 3
; NumSGPRsForWavesPerEU: 36
; NumVGPRsForWavesPerEU: 51
; NamedBarCnt: 0
; Occupancy: 16
; WaveLimiterHint : 1
; COMPUTE_PGM_RSRC2:SCRATCH_EN: 1
; COMPUTE_PGM_RSRC2:USER_SGPR: 2
; COMPUTE_PGM_RSRC2:TRAP_HANDLER: 0
; COMPUTE_PGM_RSRC2:TGID_X_EN: 1
; COMPUTE_PGM_RSRC2:TGID_Y_EN: 0
; COMPUTE_PGM_RSRC2:TGID_Z_EN: 0
; COMPUTE_PGM_RSRC2:TIDIG_COMP_CNT: 0
	.section	.text._Z39paged_attention_ll4mi_QKV_mfma16_kernelI14__hip_bfloat16S0_LN4vllm18Fp8KVCacheDataTypeE0EhLi32ELi128ELi256ELb1ELi15EEvPKT_PKT0_S8_ifPKiSA_SA_iPKfiiiPfSD_PS3_PT2_iSC_SC_,"axG",@progbits,_Z39paged_attention_ll4mi_QKV_mfma16_kernelI14__hip_bfloat16S0_LN4vllm18Fp8KVCacheDataTypeE0EhLi32ELi128ELi256ELb1ELi15EEvPKT_PKT0_S8_ifPKiSA_SA_iPKfiiiPfSD_PS3_PT2_iSC_SC_,comdat
	.protected	_Z39paged_attention_ll4mi_QKV_mfma16_kernelI14__hip_bfloat16S0_LN4vllm18Fp8KVCacheDataTypeE0EhLi32ELi128ELi256ELb1ELi15EEvPKT_PKT0_S8_ifPKiSA_SA_iPKfiiiPfSD_PS3_PT2_iSC_SC_ ; -- Begin function _Z39paged_attention_ll4mi_QKV_mfma16_kernelI14__hip_bfloat16S0_LN4vllm18Fp8KVCacheDataTypeE0EhLi32ELi128ELi256ELb1ELi15EEvPKT_PKT0_S8_ifPKiSA_SA_iPKfiiiPfSD_PS3_PT2_iSC_SC_
	.globl	_Z39paged_attention_ll4mi_QKV_mfma16_kernelI14__hip_bfloat16S0_LN4vllm18Fp8KVCacheDataTypeE0EhLi32ELi128ELi256ELb1ELi15EEvPKT_PKT0_S8_ifPKiSA_SA_iPKfiiiPfSD_PS3_PT2_iSC_SC_
	.p2align	8
	.type	_Z39paged_attention_ll4mi_QKV_mfma16_kernelI14__hip_bfloat16S0_LN4vllm18Fp8KVCacheDataTypeE0EhLi32ELi128ELi256ELb1ELi15EEvPKT_PKT0_S8_ifPKiSA_SA_iPKfiiiPfSD_PS3_PT2_iSC_SC_,@function
_Z39paged_attention_ll4mi_QKV_mfma16_kernelI14__hip_bfloat16S0_LN4vllm18Fp8KVCacheDataTypeE0EhLi32ELi128ELi256ELb1ELi15EEvPKT_PKT0_S8_ifPKiSA_SA_iPKfiiiPfSD_PS3_PT2_iSC_SC_: ; @_Z39paged_attention_ll4mi_QKV_mfma16_kernelI14__hip_bfloat16S0_LN4vllm18Fp8KVCacheDataTypeE0EhLi32ELi128ELi256ELb1ELi15EEvPKT_PKT0_S8_ifPKiSA_SA_iPKfiiiPfSD_PS3_PT2_iSC_SC_
; %bb.0:
	s_get_pc_i64 s[2:3]
	s_add_nc_u64 s[2:3], s[2:3], __PRETTY_FUNCTION__._Z39paged_attention_ll4mi_QKV_mfma16_kernelI14__hip_bfloat16S0_LN4vllm18Fp8KVCacheDataTypeE0EhLi32ELi128ELi256ELb1ELi15EEvPKT_PKT0_S8_ifPKiSA_SA_iPKfiiiPfSD_PS3_PT2_iSC_SC_@rel64+4
	s_delay_alu instid0(SALU_CYCLE_1)
	v_dual_mov_b32 v0, 0xbb3 :: v_dual_mov_b32 v1, s2
	v_mov_b32_e32 v2, s3
	s_add_nc_u64 s[8:9], s[0:1], 0x90
	s_get_pc_i64 s[0:1]
	s_add_nc_u64 s[0:1], s[0:1], __assert_fail@rel64+4
	s_mov_b32 s32, 0
	s_swap_pc_i64 s[30:31], s[0:1]
	.section	.rodata,"a",@progbits
	.p2align	6, 0x0
	.amdhsa_kernel _Z39paged_attention_ll4mi_QKV_mfma16_kernelI14__hip_bfloat16S0_LN4vllm18Fp8KVCacheDataTypeE0EhLi32ELi128ELi256ELb1ELi15EEvPKT_PKT0_S8_ifPKiSA_SA_iPKfiiiPfSD_PS3_PT2_iSC_SC_
		.amdhsa_group_segment_fixed_size 0
		.amdhsa_private_segment_fixed_size 64
		.amdhsa_kernarg_size 400
		.amdhsa_user_sgpr_count 2
		.amdhsa_user_sgpr_dispatch_ptr 0
		.amdhsa_user_sgpr_queue_ptr 0
		.amdhsa_user_sgpr_kernarg_segment_ptr 1
		.amdhsa_user_sgpr_dispatch_id 0
		.amdhsa_user_sgpr_kernarg_preload_length 0
		.amdhsa_user_sgpr_kernarg_preload_offset 0
		.amdhsa_user_sgpr_private_segment_size 0
		.amdhsa_wavefront_size32 1
		.amdhsa_uses_dynamic_stack 0
		.amdhsa_enable_private_segment 1
		.amdhsa_system_sgpr_workgroup_id_x 1
		.amdhsa_system_sgpr_workgroup_id_y 0
		.amdhsa_system_sgpr_workgroup_id_z 0
		.amdhsa_system_sgpr_workgroup_info 0
		.amdhsa_system_vgpr_workitem_id 0
		.amdhsa_next_free_vgpr 51
		.amdhsa_next_free_sgpr 34
		.amdhsa_named_barrier_count 0
		.amdhsa_reserve_vcc 1
		.amdhsa_float_round_mode_32 0
		.amdhsa_float_round_mode_16_64 0
		.amdhsa_float_denorm_mode_32 3
		.amdhsa_float_denorm_mode_16_64 3
		.amdhsa_fp16_overflow 0
		.amdhsa_memory_ordered 1
		.amdhsa_forward_progress 1
		.amdhsa_inst_pref_size 1
		.amdhsa_round_robin_scheduling 0
		.amdhsa_exception_fp_ieee_invalid_op 0
		.amdhsa_exception_fp_denorm_src 0
		.amdhsa_exception_fp_ieee_div_zero 0
		.amdhsa_exception_fp_ieee_overflow 0
		.amdhsa_exception_fp_ieee_underflow 0
		.amdhsa_exception_fp_ieee_inexact 0
		.amdhsa_exception_int_div_zero 0
	.end_amdhsa_kernel
	.section	.text._Z39paged_attention_ll4mi_QKV_mfma16_kernelI14__hip_bfloat16S0_LN4vllm18Fp8KVCacheDataTypeE0EhLi32ELi128ELi256ELb1ELi15EEvPKT_PKT0_S8_ifPKiSA_SA_iPKfiiiPfSD_PS3_PT2_iSC_SC_,"axG",@progbits,_Z39paged_attention_ll4mi_QKV_mfma16_kernelI14__hip_bfloat16S0_LN4vllm18Fp8KVCacheDataTypeE0EhLi32ELi128ELi256ELb1ELi15EEvPKT_PKT0_S8_ifPKiSA_SA_iPKfiiiPfSD_PS3_PT2_iSC_SC_,comdat
.Lfunc_end704:
	.size	_Z39paged_attention_ll4mi_QKV_mfma16_kernelI14__hip_bfloat16S0_LN4vllm18Fp8KVCacheDataTypeE0EhLi32ELi128ELi256ELb1ELi15EEvPKT_PKT0_S8_ifPKiSA_SA_iPKfiiiPfSD_PS3_PT2_iSC_SC_, .Lfunc_end704-_Z39paged_attention_ll4mi_QKV_mfma16_kernelI14__hip_bfloat16S0_LN4vllm18Fp8KVCacheDataTypeE0EhLi32ELi128ELi256ELb1ELi15EEvPKT_PKT0_S8_ifPKiSA_SA_iPKfiiiPfSD_PS3_PT2_iSC_SC_
                                        ; -- End function
	.set _Z39paged_attention_ll4mi_QKV_mfma16_kernelI14__hip_bfloat16S0_LN4vllm18Fp8KVCacheDataTypeE0EhLi32ELi128ELi256ELb1ELi15EEvPKT_PKT0_S8_ifPKiSA_SA_iPKfiiiPfSD_PS3_PT2_iSC_SC_.num_vgpr, max(3, .L__assert_fail.num_vgpr)
	.set _Z39paged_attention_ll4mi_QKV_mfma16_kernelI14__hip_bfloat16S0_LN4vllm18Fp8KVCacheDataTypeE0EhLi32ELi128ELi256ELb1ELi15EEvPKT_PKT0_S8_ifPKiSA_SA_iPKfiiiPfSD_PS3_PT2_iSC_SC_.num_agpr, max(0, .L__assert_fail.num_agpr)
	.set _Z39paged_attention_ll4mi_QKV_mfma16_kernelI14__hip_bfloat16S0_LN4vllm18Fp8KVCacheDataTypeE0EhLi32ELi128ELi256ELb1ELi15EEvPKT_PKT0_S8_ifPKiSA_SA_iPKfiiiPfSD_PS3_PT2_iSC_SC_.numbered_sgpr, max(33, .L__assert_fail.numbered_sgpr)
	.set _Z39paged_attention_ll4mi_QKV_mfma16_kernelI14__hip_bfloat16S0_LN4vllm18Fp8KVCacheDataTypeE0EhLi32ELi128ELi256ELb1ELi15EEvPKT_PKT0_S8_ifPKiSA_SA_iPKfiiiPfSD_PS3_PT2_iSC_SC_.num_named_barrier, max(0, .L__assert_fail.num_named_barrier)
	.set _Z39paged_attention_ll4mi_QKV_mfma16_kernelI14__hip_bfloat16S0_LN4vllm18Fp8KVCacheDataTypeE0EhLi32ELi128ELi256ELb1ELi15EEvPKT_PKT0_S8_ifPKiSA_SA_iPKfiiiPfSD_PS3_PT2_iSC_SC_.private_seg_size, 0+max(.L__assert_fail.private_seg_size)
	.set _Z39paged_attention_ll4mi_QKV_mfma16_kernelI14__hip_bfloat16S0_LN4vllm18Fp8KVCacheDataTypeE0EhLi32ELi128ELi256ELb1ELi15EEvPKT_PKT0_S8_ifPKiSA_SA_iPKfiiiPfSD_PS3_PT2_iSC_SC_.uses_vcc, or(1, .L__assert_fail.uses_vcc)
	.set _Z39paged_attention_ll4mi_QKV_mfma16_kernelI14__hip_bfloat16S0_LN4vllm18Fp8KVCacheDataTypeE0EhLi32ELi128ELi256ELb1ELi15EEvPKT_PKT0_S8_ifPKiSA_SA_iPKfiiiPfSD_PS3_PT2_iSC_SC_.uses_flat_scratch, or(0, .L__assert_fail.uses_flat_scratch)
	.set _Z39paged_attention_ll4mi_QKV_mfma16_kernelI14__hip_bfloat16S0_LN4vllm18Fp8KVCacheDataTypeE0EhLi32ELi128ELi256ELb1ELi15EEvPKT_PKT0_S8_ifPKiSA_SA_iPKfiiiPfSD_PS3_PT2_iSC_SC_.has_dyn_sized_stack, or(0, .L__assert_fail.has_dyn_sized_stack)
	.set _Z39paged_attention_ll4mi_QKV_mfma16_kernelI14__hip_bfloat16S0_LN4vllm18Fp8KVCacheDataTypeE0EhLi32ELi128ELi256ELb1ELi15EEvPKT_PKT0_S8_ifPKiSA_SA_iPKfiiiPfSD_PS3_PT2_iSC_SC_.has_recursion, or(0, .L__assert_fail.has_recursion)
	.set _Z39paged_attention_ll4mi_QKV_mfma16_kernelI14__hip_bfloat16S0_LN4vllm18Fp8KVCacheDataTypeE0EhLi32ELi128ELi256ELb1ELi15EEvPKT_PKT0_S8_ifPKiSA_SA_iPKfiiiPfSD_PS3_PT2_iSC_SC_.has_indirect_call, or(0, .L__assert_fail.has_indirect_call)
	.section	.AMDGPU.csdata,"",@progbits
; Kernel info:
; codeLenInByte = 68
; TotalNumSgprs: 36
; NumVgprs: 51
; ScratchSize: 64
; MemoryBound: 0
; FloatMode: 240
; IeeeMode: 1
; LDSByteSize: 0 bytes/workgroup (compile time only)
; SGPRBlocks: 0
; VGPRBlocks: 3
; NumSGPRsForWavesPerEU: 36
; NumVGPRsForWavesPerEU: 51
; NamedBarCnt: 0
; Occupancy: 16
; WaveLimiterHint : 1
; COMPUTE_PGM_RSRC2:SCRATCH_EN: 1
; COMPUTE_PGM_RSRC2:USER_SGPR: 2
; COMPUTE_PGM_RSRC2:TRAP_HANDLER: 0
; COMPUTE_PGM_RSRC2:TGID_X_EN: 1
; COMPUTE_PGM_RSRC2:TGID_Y_EN: 0
; COMPUTE_PGM_RSRC2:TGID_Z_EN: 0
; COMPUTE_PGM_RSRC2:TIDIG_COMP_CNT: 0
	.section	.text._Z39paged_attention_ll4mi_QKV_mfma16_kernelI14__hip_bfloat16S0_LN4vllm18Fp8KVCacheDataTypeE0EhLi32ELi128ELi256ELb1ELi16EEvPKT_PKT0_S8_ifPKiSA_SA_iPKfiiiPfSD_PS3_PT2_iSC_SC_,"axG",@progbits,_Z39paged_attention_ll4mi_QKV_mfma16_kernelI14__hip_bfloat16S0_LN4vllm18Fp8KVCacheDataTypeE0EhLi32ELi128ELi256ELb1ELi16EEvPKT_PKT0_S8_ifPKiSA_SA_iPKfiiiPfSD_PS3_PT2_iSC_SC_,comdat
	.protected	_Z39paged_attention_ll4mi_QKV_mfma16_kernelI14__hip_bfloat16S0_LN4vllm18Fp8KVCacheDataTypeE0EhLi32ELi128ELi256ELb1ELi16EEvPKT_PKT0_S8_ifPKiSA_SA_iPKfiiiPfSD_PS3_PT2_iSC_SC_ ; -- Begin function _Z39paged_attention_ll4mi_QKV_mfma16_kernelI14__hip_bfloat16S0_LN4vllm18Fp8KVCacheDataTypeE0EhLi32ELi128ELi256ELb1ELi16EEvPKT_PKT0_S8_ifPKiSA_SA_iPKfiiiPfSD_PS3_PT2_iSC_SC_
	.globl	_Z39paged_attention_ll4mi_QKV_mfma16_kernelI14__hip_bfloat16S0_LN4vllm18Fp8KVCacheDataTypeE0EhLi32ELi128ELi256ELb1ELi16EEvPKT_PKT0_S8_ifPKiSA_SA_iPKfiiiPfSD_PS3_PT2_iSC_SC_
	.p2align	8
	.type	_Z39paged_attention_ll4mi_QKV_mfma16_kernelI14__hip_bfloat16S0_LN4vllm18Fp8KVCacheDataTypeE0EhLi32ELi128ELi256ELb1ELi16EEvPKT_PKT0_S8_ifPKiSA_SA_iPKfiiiPfSD_PS3_PT2_iSC_SC_,@function
_Z39paged_attention_ll4mi_QKV_mfma16_kernelI14__hip_bfloat16S0_LN4vllm18Fp8KVCacheDataTypeE0EhLi32ELi128ELi256ELb1ELi16EEvPKT_PKT0_S8_ifPKiSA_SA_iPKfiiiPfSD_PS3_PT2_iSC_SC_: ; @_Z39paged_attention_ll4mi_QKV_mfma16_kernelI14__hip_bfloat16S0_LN4vllm18Fp8KVCacheDataTypeE0EhLi32ELi128ELi256ELb1ELi16EEvPKT_PKT0_S8_ifPKiSA_SA_iPKfiiiPfSD_PS3_PT2_iSC_SC_
; %bb.0:
	s_get_pc_i64 s[2:3]
	s_add_nc_u64 s[2:3], s[2:3], __PRETTY_FUNCTION__._Z39paged_attention_ll4mi_QKV_mfma16_kernelI14__hip_bfloat16S0_LN4vllm18Fp8KVCacheDataTypeE0EhLi32ELi128ELi256ELb1ELi16EEvPKT_PKT0_S8_ifPKiSA_SA_iPKfiiiPfSD_PS3_PT2_iSC_SC_@rel64+4
	s_delay_alu instid0(SALU_CYCLE_1)
	v_dual_mov_b32 v0, 0xbb3 :: v_dual_mov_b32 v1, s2
	v_mov_b32_e32 v2, s3
	s_add_nc_u64 s[8:9], s[0:1], 0x90
	s_get_pc_i64 s[0:1]
	s_add_nc_u64 s[0:1], s[0:1], __assert_fail@rel64+4
	s_mov_b32 s32, 0
	s_swap_pc_i64 s[30:31], s[0:1]
	.section	.rodata,"a",@progbits
	.p2align	6, 0x0
	.amdhsa_kernel _Z39paged_attention_ll4mi_QKV_mfma16_kernelI14__hip_bfloat16S0_LN4vllm18Fp8KVCacheDataTypeE0EhLi32ELi128ELi256ELb1ELi16EEvPKT_PKT0_S8_ifPKiSA_SA_iPKfiiiPfSD_PS3_PT2_iSC_SC_
		.amdhsa_group_segment_fixed_size 0
		.amdhsa_private_segment_fixed_size 64
		.amdhsa_kernarg_size 400
		.amdhsa_user_sgpr_count 2
		.amdhsa_user_sgpr_dispatch_ptr 0
		.amdhsa_user_sgpr_queue_ptr 0
		.amdhsa_user_sgpr_kernarg_segment_ptr 1
		.amdhsa_user_sgpr_dispatch_id 0
		.amdhsa_user_sgpr_kernarg_preload_length 0
		.amdhsa_user_sgpr_kernarg_preload_offset 0
		.amdhsa_user_sgpr_private_segment_size 0
		.amdhsa_wavefront_size32 1
		.amdhsa_uses_dynamic_stack 0
		.amdhsa_enable_private_segment 1
		.amdhsa_system_sgpr_workgroup_id_x 1
		.amdhsa_system_sgpr_workgroup_id_y 0
		.amdhsa_system_sgpr_workgroup_id_z 0
		.amdhsa_system_sgpr_workgroup_info 0
		.amdhsa_system_vgpr_workitem_id 0
		.amdhsa_next_free_vgpr 51
		.amdhsa_next_free_sgpr 34
		.amdhsa_named_barrier_count 0
		.amdhsa_reserve_vcc 1
		.amdhsa_float_round_mode_32 0
		.amdhsa_float_round_mode_16_64 0
		.amdhsa_float_denorm_mode_32 3
		.amdhsa_float_denorm_mode_16_64 3
		.amdhsa_fp16_overflow 0
		.amdhsa_memory_ordered 1
		.amdhsa_forward_progress 1
		.amdhsa_inst_pref_size 1
		.amdhsa_round_robin_scheduling 0
		.amdhsa_exception_fp_ieee_invalid_op 0
		.amdhsa_exception_fp_denorm_src 0
		.amdhsa_exception_fp_ieee_div_zero 0
		.amdhsa_exception_fp_ieee_overflow 0
		.amdhsa_exception_fp_ieee_underflow 0
		.amdhsa_exception_fp_ieee_inexact 0
		.amdhsa_exception_int_div_zero 0
	.end_amdhsa_kernel
	.section	.text._Z39paged_attention_ll4mi_QKV_mfma16_kernelI14__hip_bfloat16S0_LN4vllm18Fp8KVCacheDataTypeE0EhLi32ELi128ELi256ELb1ELi16EEvPKT_PKT0_S8_ifPKiSA_SA_iPKfiiiPfSD_PS3_PT2_iSC_SC_,"axG",@progbits,_Z39paged_attention_ll4mi_QKV_mfma16_kernelI14__hip_bfloat16S0_LN4vllm18Fp8KVCacheDataTypeE0EhLi32ELi128ELi256ELb1ELi16EEvPKT_PKT0_S8_ifPKiSA_SA_iPKfiiiPfSD_PS3_PT2_iSC_SC_,comdat
.Lfunc_end705:
	.size	_Z39paged_attention_ll4mi_QKV_mfma16_kernelI14__hip_bfloat16S0_LN4vllm18Fp8KVCacheDataTypeE0EhLi32ELi128ELi256ELb1ELi16EEvPKT_PKT0_S8_ifPKiSA_SA_iPKfiiiPfSD_PS3_PT2_iSC_SC_, .Lfunc_end705-_Z39paged_attention_ll4mi_QKV_mfma16_kernelI14__hip_bfloat16S0_LN4vllm18Fp8KVCacheDataTypeE0EhLi32ELi128ELi256ELb1ELi16EEvPKT_PKT0_S8_ifPKiSA_SA_iPKfiiiPfSD_PS3_PT2_iSC_SC_
                                        ; -- End function
	.set _Z39paged_attention_ll4mi_QKV_mfma16_kernelI14__hip_bfloat16S0_LN4vllm18Fp8KVCacheDataTypeE0EhLi32ELi128ELi256ELb1ELi16EEvPKT_PKT0_S8_ifPKiSA_SA_iPKfiiiPfSD_PS3_PT2_iSC_SC_.num_vgpr, max(3, .L__assert_fail.num_vgpr)
	.set _Z39paged_attention_ll4mi_QKV_mfma16_kernelI14__hip_bfloat16S0_LN4vllm18Fp8KVCacheDataTypeE0EhLi32ELi128ELi256ELb1ELi16EEvPKT_PKT0_S8_ifPKiSA_SA_iPKfiiiPfSD_PS3_PT2_iSC_SC_.num_agpr, max(0, .L__assert_fail.num_agpr)
	.set _Z39paged_attention_ll4mi_QKV_mfma16_kernelI14__hip_bfloat16S0_LN4vllm18Fp8KVCacheDataTypeE0EhLi32ELi128ELi256ELb1ELi16EEvPKT_PKT0_S8_ifPKiSA_SA_iPKfiiiPfSD_PS3_PT2_iSC_SC_.numbered_sgpr, max(33, .L__assert_fail.numbered_sgpr)
	.set _Z39paged_attention_ll4mi_QKV_mfma16_kernelI14__hip_bfloat16S0_LN4vllm18Fp8KVCacheDataTypeE0EhLi32ELi128ELi256ELb1ELi16EEvPKT_PKT0_S8_ifPKiSA_SA_iPKfiiiPfSD_PS3_PT2_iSC_SC_.num_named_barrier, max(0, .L__assert_fail.num_named_barrier)
	.set _Z39paged_attention_ll4mi_QKV_mfma16_kernelI14__hip_bfloat16S0_LN4vllm18Fp8KVCacheDataTypeE0EhLi32ELi128ELi256ELb1ELi16EEvPKT_PKT0_S8_ifPKiSA_SA_iPKfiiiPfSD_PS3_PT2_iSC_SC_.private_seg_size, 0+max(.L__assert_fail.private_seg_size)
	.set _Z39paged_attention_ll4mi_QKV_mfma16_kernelI14__hip_bfloat16S0_LN4vllm18Fp8KVCacheDataTypeE0EhLi32ELi128ELi256ELb1ELi16EEvPKT_PKT0_S8_ifPKiSA_SA_iPKfiiiPfSD_PS3_PT2_iSC_SC_.uses_vcc, or(1, .L__assert_fail.uses_vcc)
	.set _Z39paged_attention_ll4mi_QKV_mfma16_kernelI14__hip_bfloat16S0_LN4vllm18Fp8KVCacheDataTypeE0EhLi32ELi128ELi256ELb1ELi16EEvPKT_PKT0_S8_ifPKiSA_SA_iPKfiiiPfSD_PS3_PT2_iSC_SC_.uses_flat_scratch, or(0, .L__assert_fail.uses_flat_scratch)
	.set _Z39paged_attention_ll4mi_QKV_mfma16_kernelI14__hip_bfloat16S0_LN4vllm18Fp8KVCacheDataTypeE0EhLi32ELi128ELi256ELb1ELi16EEvPKT_PKT0_S8_ifPKiSA_SA_iPKfiiiPfSD_PS3_PT2_iSC_SC_.has_dyn_sized_stack, or(0, .L__assert_fail.has_dyn_sized_stack)
	.set _Z39paged_attention_ll4mi_QKV_mfma16_kernelI14__hip_bfloat16S0_LN4vllm18Fp8KVCacheDataTypeE0EhLi32ELi128ELi256ELb1ELi16EEvPKT_PKT0_S8_ifPKiSA_SA_iPKfiiiPfSD_PS3_PT2_iSC_SC_.has_recursion, or(0, .L__assert_fail.has_recursion)
	.set _Z39paged_attention_ll4mi_QKV_mfma16_kernelI14__hip_bfloat16S0_LN4vllm18Fp8KVCacheDataTypeE0EhLi32ELi128ELi256ELb1ELi16EEvPKT_PKT0_S8_ifPKiSA_SA_iPKfiiiPfSD_PS3_PT2_iSC_SC_.has_indirect_call, or(0, .L__assert_fail.has_indirect_call)
	.section	.AMDGPU.csdata,"",@progbits
; Kernel info:
; codeLenInByte = 68
; TotalNumSgprs: 36
; NumVgprs: 51
; ScratchSize: 64
; MemoryBound: 0
; FloatMode: 240
; IeeeMode: 1
; LDSByteSize: 0 bytes/workgroup (compile time only)
; SGPRBlocks: 0
; VGPRBlocks: 3
; NumSGPRsForWavesPerEU: 36
; NumVGPRsForWavesPerEU: 51
; NamedBarCnt: 0
; Occupancy: 16
; WaveLimiterHint : 1
; COMPUTE_PGM_RSRC2:SCRATCH_EN: 1
; COMPUTE_PGM_RSRC2:USER_SGPR: 2
; COMPUTE_PGM_RSRC2:TRAP_HANDLER: 0
; COMPUTE_PGM_RSRC2:TGID_X_EN: 1
; COMPUTE_PGM_RSRC2:TGID_Y_EN: 0
; COMPUTE_PGM_RSRC2:TGID_Z_EN: 0
; COMPUTE_PGM_RSRC2:TIDIG_COMP_CNT: 0
	.section	.text._Z39paged_attention_ll4mi_QKV_mfma16_kernelI14__hip_bfloat16S0_LN4vllm18Fp8KVCacheDataTypeE0EhLi32ELi128ELi256ELb1ELi1EEvPKT_PKT0_S8_ifPKiSA_SA_iPKfiiiPfSD_PS3_PT2_iSC_SC_,"axG",@progbits,_Z39paged_attention_ll4mi_QKV_mfma16_kernelI14__hip_bfloat16S0_LN4vllm18Fp8KVCacheDataTypeE0EhLi32ELi128ELi256ELb1ELi1EEvPKT_PKT0_S8_ifPKiSA_SA_iPKfiiiPfSD_PS3_PT2_iSC_SC_,comdat
	.protected	_Z39paged_attention_ll4mi_QKV_mfma16_kernelI14__hip_bfloat16S0_LN4vllm18Fp8KVCacheDataTypeE0EhLi32ELi128ELi256ELb1ELi1EEvPKT_PKT0_S8_ifPKiSA_SA_iPKfiiiPfSD_PS3_PT2_iSC_SC_ ; -- Begin function _Z39paged_attention_ll4mi_QKV_mfma16_kernelI14__hip_bfloat16S0_LN4vllm18Fp8KVCacheDataTypeE0EhLi32ELi128ELi256ELb1ELi1EEvPKT_PKT0_S8_ifPKiSA_SA_iPKfiiiPfSD_PS3_PT2_iSC_SC_
	.globl	_Z39paged_attention_ll4mi_QKV_mfma16_kernelI14__hip_bfloat16S0_LN4vllm18Fp8KVCacheDataTypeE0EhLi32ELi128ELi256ELb1ELi1EEvPKT_PKT0_S8_ifPKiSA_SA_iPKfiiiPfSD_PS3_PT2_iSC_SC_
	.p2align	8
	.type	_Z39paged_attention_ll4mi_QKV_mfma16_kernelI14__hip_bfloat16S0_LN4vllm18Fp8KVCacheDataTypeE0EhLi32ELi128ELi256ELb1ELi1EEvPKT_PKT0_S8_ifPKiSA_SA_iPKfiiiPfSD_PS3_PT2_iSC_SC_,@function
_Z39paged_attention_ll4mi_QKV_mfma16_kernelI14__hip_bfloat16S0_LN4vllm18Fp8KVCacheDataTypeE0EhLi32ELi128ELi256ELb1ELi1EEvPKT_PKT0_S8_ifPKiSA_SA_iPKfiiiPfSD_PS3_PT2_iSC_SC_: ; @_Z39paged_attention_ll4mi_QKV_mfma16_kernelI14__hip_bfloat16S0_LN4vllm18Fp8KVCacheDataTypeE0EhLi32ELi128ELi256ELb1ELi1EEvPKT_PKT0_S8_ifPKiSA_SA_iPKfiiiPfSD_PS3_PT2_iSC_SC_
; %bb.0:
	s_get_pc_i64 s[2:3]
	s_add_nc_u64 s[2:3], s[2:3], __PRETTY_FUNCTION__._Z39paged_attention_ll4mi_QKV_mfma16_kernelI14__hip_bfloat16S0_LN4vllm18Fp8KVCacheDataTypeE0EhLi32ELi128ELi256ELb1ELi1EEvPKT_PKT0_S8_ifPKiSA_SA_iPKfiiiPfSD_PS3_PT2_iSC_SC_@rel64+4
	s_delay_alu instid0(SALU_CYCLE_1)
	v_dual_mov_b32 v0, 0xbb3 :: v_dual_mov_b32 v1, s2
	v_mov_b32_e32 v2, s3
	s_add_nc_u64 s[8:9], s[0:1], 0x90
	s_get_pc_i64 s[0:1]
	s_add_nc_u64 s[0:1], s[0:1], __assert_fail@rel64+4
	s_mov_b32 s32, 0
	s_swap_pc_i64 s[30:31], s[0:1]
	.section	.rodata,"a",@progbits
	.p2align	6, 0x0
	.amdhsa_kernel _Z39paged_attention_ll4mi_QKV_mfma16_kernelI14__hip_bfloat16S0_LN4vllm18Fp8KVCacheDataTypeE0EhLi32ELi128ELi256ELb1ELi1EEvPKT_PKT0_S8_ifPKiSA_SA_iPKfiiiPfSD_PS3_PT2_iSC_SC_
		.amdhsa_group_segment_fixed_size 0
		.amdhsa_private_segment_fixed_size 64
		.amdhsa_kernarg_size 400
		.amdhsa_user_sgpr_count 2
		.amdhsa_user_sgpr_dispatch_ptr 0
		.amdhsa_user_sgpr_queue_ptr 0
		.amdhsa_user_sgpr_kernarg_segment_ptr 1
		.amdhsa_user_sgpr_dispatch_id 0
		.amdhsa_user_sgpr_kernarg_preload_length 0
		.amdhsa_user_sgpr_kernarg_preload_offset 0
		.amdhsa_user_sgpr_private_segment_size 0
		.amdhsa_wavefront_size32 1
		.amdhsa_uses_dynamic_stack 0
		.amdhsa_enable_private_segment 1
		.amdhsa_system_sgpr_workgroup_id_x 1
		.amdhsa_system_sgpr_workgroup_id_y 0
		.amdhsa_system_sgpr_workgroup_id_z 0
		.amdhsa_system_sgpr_workgroup_info 0
		.amdhsa_system_vgpr_workitem_id 0
		.amdhsa_next_free_vgpr 51
		.amdhsa_next_free_sgpr 34
		.amdhsa_named_barrier_count 0
		.amdhsa_reserve_vcc 1
		.amdhsa_float_round_mode_32 0
		.amdhsa_float_round_mode_16_64 0
		.amdhsa_float_denorm_mode_32 3
		.amdhsa_float_denorm_mode_16_64 3
		.amdhsa_fp16_overflow 0
		.amdhsa_memory_ordered 1
		.amdhsa_forward_progress 1
		.amdhsa_inst_pref_size 1
		.amdhsa_round_robin_scheduling 0
		.amdhsa_exception_fp_ieee_invalid_op 0
		.amdhsa_exception_fp_denorm_src 0
		.amdhsa_exception_fp_ieee_div_zero 0
		.amdhsa_exception_fp_ieee_overflow 0
		.amdhsa_exception_fp_ieee_underflow 0
		.amdhsa_exception_fp_ieee_inexact 0
		.amdhsa_exception_int_div_zero 0
	.end_amdhsa_kernel
	.section	.text._Z39paged_attention_ll4mi_QKV_mfma16_kernelI14__hip_bfloat16S0_LN4vllm18Fp8KVCacheDataTypeE0EhLi32ELi128ELi256ELb1ELi1EEvPKT_PKT0_S8_ifPKiSA_SA_iPKfiiiPfSD_PS3_PT2_iSC_SC_,"axG",@progbits,_Z39paged_attention_ll4mi_QKV_mfma16_kernelI14__hip_bfloat16S0_LN4vllm18Fp8KVCacheDataTypeE0EhLi32ELi128ELi256ELb1ELi1EEvPKT_PKT0_S8_ifPKiSA_SA_iPKfiiiPfSD_PS3_PT2_iSC_SC_,comdat
.Lfunc_end706:
	.size	_Z39paged_attention_ll4mi_QKV_mfma16_kernelI14__hip_bfloat16S0_LN4vllm18Fp8KVCacheDataTypeE0EhLi32ELi128ELi256ELb1ELi1EEvPKT_PKT0_S8_ifPKiSA_SA_iPKfiiiPfSD_PS3_PT2_iSC_SC_, .Lfunc_end706-_Z39paged_attention_ll4mi_QKV_mfma16_kernelI14__hip_bfloat16S0_LN4vllm18Fp8KVCacheDataTypeE0EhLi32ELi128ELi256ELb1ELi1EEvPKT_PKT0_S8_ifPKiSA_SA_iPKfiiiPfSD_PS3_PT2_iSC_SC_
                                        ; -- End function
	.set _Z39paged_attention_ll4mi_QKV_mfma16_kernelI14__hip_bfloat16S0_LN4vllm18Fp8KVCacheDataTypeE0EhLi32ELi128ELi256ELb1ELi1EEvPKT_PKT0_S8_ifPKiSA_SA_iPKfiiiPfSD_PS3_PT2_iSC_SC_.num_vgpr, max(3, .L__assert_fail.num_vgpr)
	.set _Z39paged_attention_ll4mi_QKV_mfma16_kernelI14__hip_bfloat16S0_LN4vllm18Fp8KVCacheDataTypeE0EhLi32ELi128ELi256ELb1ELi1EEvPKT_PKT0_S8_ifPKiSA_SA_iPKfiiiPfSD_PS3_PT2_iSC_SC_.num_agpr, max(0, .L__assert_fail.num_agpr)
	.set _Z39paged_attention_ll4mi_QKV_mfma16_kernelI14__hip_bfloat16S0_LN4vllm18Fp8KVCacheDataTypeE0EhLi32ELi128ELi256ELb1ELi1EEvPKT_PKT0_S8_ifPKiSA_SA_iPKfiiiPfSD_PS3_PT2_iSC_SC_.numbered_sgpr, max(33, .L__assert_fail.numbered_sgpr)
	.set _Z39paged_attention_ll4mi_QKV_mfma16_kernelI14__hip_bfloat16S0_LN4vllm18Fp8KVCacheDataTypeE0EhLi32ELi128ELi256ELb1ELi1EEvPKT_PKT0_S8_ifPKiSA_SA_iPKfiiiPfSD_PS3_PT2_iSC_SC_.num_named_barrier, max(0, .L__assert_fail.num_named_barrier)
	.set _Z39paged_attention_ll4mi_QKV_mfma16_kernelI14__hip_bfloat16S0_LN4vllm18Fp8KVCacheDataTypeE0EhLi32ELi128ELi256ELb1ELi1EEvPKT_PKT0_S8_ifPKiSA_SA_iPKfiiiPfSD_PS3_PT2_iSC_SC_.private_seg_size, 0+max(.L__assert_fail.private_seg_size)
	.set _Z39paged_attention_ll4mi_QKV_mfma16_kernelI14__hip_bfloat16S0_LN4vllm18Fp8KVCacheDataTypeE0EhLi32ELi128ELi256ELb1ELi1EEvPKT_PKT0_S8_ifPKiSA_SA_iPKfiiiPfSD_PS3_PT2_iSC_SC_.uses_vcc, or(1, .L__assert_fail.uses_vcc)
	.set _Z39paged_attention_ll4mi_QKV_mfma16_kernelI14__hip_bfloat16S0_LN4vllm18Fp8KVCacheDataTypeE0EhLi32ELi128ELi256ELb1ELi1EEvPKT_PKT0_S8_ifPKiSA_SA_iPKfiiiPfSD_PS3_PT2_iSC_SC_.uses_flat_scratch, or(0, .L__assert_fail.uses_flat_scratch)
	.set _Z39paged_attention_ll4mi_QKV_mfma16_kernelI14__hip_bfloat16S0_LN4vllm18Fp8KVCacheDataTypeE0EhLi32ELi128ELi256ELb1ELi1EEvPKT_PKT0_S8_ifPKiSA_SA_iPKfiiiPfSD_PS3_PT2_iSC_SC_.has_dyn_sized_stack, or(0, .L__assert_fail.has_dyn_sized_stack)
	.set _Z39paged_attention_ll4mi_QKV_mfma16_kernelI14__hip_bfloat16S0_LN4vllm18Fp8KVCacheDataTypeE0EhLi32ELi128ELi256ELb1ELi1EEvPKT_PKT0_S8_ifPKiSA_SA_iPKfiiiPfSD_PS3_PT2_iSC_SC_.has_recursion, or(0, .L__assert_fail.has_recursion)
	.set _Z39paged_attention_ll4mi_QKV_mfma16_kernelI14__hip_bfloat16S0_LN4vllm18Fp8KVCacheDataTypeE0EhLi32ELi128ELi256ELb1ELi1EEvPKT_PKT0_S8_ifPKiSA_SA_iPKfiiiPfSD_PS3_PT2_iSC_SC_.has_indirect_call, or(0, .L__assert_fail.has_indirect_call)
	.section	.AMDGPU.csdata,"",@progbits
; Kernel info:
; codeLenInByte = 68
; TotalNumSgprs: 36
; NumVgprs: 51
; ScratchSize: 64
; MemoryBound: 0
; FloatMode: 240
; IeeeMode: 1
; LDSByteSize: 0 bytes/workgroup (compile time only)
; SGPRBlocks: 0
; VGPRBlocks: 3
; NumSGPRsForWavesPerEU: 36
; NumVGPRsForWavesPerEU: 51
; NamedBarCnt: 0
; Occupancy: 16
; WaveLimiterHint : 1
; COMPUTE_PGM_RSRC2:SCRATCH_EN: 1
; COMPUTE_PGM_RSRC2:USER_SGPR: 2
; COMPUTE_PGM_RSRC2:TRAP_HANDLER: 0
; COMPUTE_PGM_RSRC2:TGID_X_EN: 1
; COMPUTE_PGM_RSRC2:TGID_Y_EN: 0
; COMPUTE_PGM_RSRC2:TGID_Z_EN: 0
; COMPUTE_PGM_RSRC2:TIDIG_COMP_CNT: 0
	.section	.text._Z39paged_attention_ll4mi_QKV_mfma16_kernelI14__hip_bfloat16S0_LN4vllm18Fp8KVCacheDataTypeE0EhLi32ELi128ELi256ELb1ELi2EEvPKT_PKT0_S8_ifPKiSA_SA_iPKfiiiPfSD_PS3_PT2_iSC_SC_,"axG",@progbits,_Z39paged_attention_ll4mi_QKV_mfma16_kernelI14__hip_bfloat16S0_LN4vllm18Fp8KVCacheDataTypeE0EhLi32ELi128ELi256ELb1ELi2EEvPKT_PKT0_S8_ifPKiSA_SA_iPKfiiiPfSD_PS3_PT2_iSC_SC_,comdat
	.protected	_Z39paged_attention_ll4mi_QKV_mfma16_kernelI14__hip_bfloat16S0_LN4vllm18Fp8KVCacheDataTypeE0EhLi32ELi128ELi256ELb1ELi2EEvPKT_PKT0_S8_ifPKiSA_SA_iPKfiiiPfSD_PS3_PT2_iSC_SC_ ; -- Begin function _Z39paged_attention_ll4mi_QKV_mfma16_kernelI14__hip_bfloat16S0_LN4vllm18Fp8KVCacheDataTypeE0EhLi32ELi128ELi256ELb1ELi2EEvPKT_PKT0_S8_ifPKiSA_SA_iPKfiiiPfSD_PS3_PT2_iSC_SC_
	.globl	_Z39paged_attention_ll4mi_QKV_mfma16_kernelI14__hip_bfloat16S0_LN4vllm18Fp8KVCacheDataTypeE0EhLi32ELi128ELi256ELb1ELi2EEvPKT_PKT0_S8_ifPKiSA_SA_iPKfiiiPfSD_PS3_PT2_iSC_SC_
	.p2align	8
	.type	_Z39paged_attention_ll4mi_QKV_mfma16_kernelI14__hip_bfloat16S0_LN4vllm18Fp8KVCacheDataTypeE0EhLi32ELi128ELi256ELb1ELi2EEvPKT_PKT0_S8_ifPKiSA_SA_iPKfiiiPfSD_PS3_PT2_iSC_SC_,@function
_Z39paged_attention_ll4mi_QKV_mfma16_kernelI14__hip_bfloat16S0_LN4vllm18Fp8KVCacheDataTypeE0EhLi32ELi128ELi256ELb1ELi2EEvPKT_PKT0_S8_ifPKiSA_SA_iPKfiiiPfSD_PS3_PT2_iSC_SC_: ; @_Z39paged_attention_ll4mi_QKV_mfma16_kernelI14__hip_bfloat16S0_LN4vllm18Fp8KVCacheDataTypeE0EhLi32ELi128ELi256ELb1ELi2EEvPKT_PKT0_S8_ifPKiSA_SA_iPKfiiiPfSD_PS3_PT2_iSC_SC_
; %bb.0:
	s_get_pc_i64 s[2:3]
	s_add_nc_u64 s[2:3], s[2:3], __PRETTY_FUNCTION__._Z39paged_attention_ll4mi_QKV_mfma16_kernelI14__hip_bfloat16S0_LN4vllm18Fp8KVCacheDataTypeE0EhLi32ELi128ELi256ELb1ELi2EEvPKT_PKT0_S8_ifPKiSA_SA_iPKfiiiPfSD_PS3_PT2_iSC_SC_@rel64+4
	s_delay_alu instid0(SALU_CYCLE_1)
	v_dual_mov_b32 v0, 0xbb3 :: v_dual_mov_b32 v1, s2
	v_mov_b32_e32 v2, s3
	s_add_nc_u64 s[8:9], s[0:1], 0x90
	s_get_pc_i64 s[0:1]
	s_add_nc_u64 s[0:1], s[0:1], __assert_fail@rel64+4
	s_mov_b32 s32, 0
	s_swap_pc_i64 s[30:31], s[0:1]
	.section	.rodata,"a",@progbits
	.p2align	6, 0x0
	.amdhsa_kernel _Z39paged_attention_ll4mi_QKV_mfma16_kernelI14__hip_bfloat16S0_LN4vllm18Fp8KVCacheDataTypeE0EhLi32ELi128ELi256ELb1ELi2EEvPKT_PKT0_S8_ifPKiSA_SA_iPKfiiiPfSD_PS3_PT2_iSC_SC_
		.amdhsa_group_segment_fixed_size 0
		.amdhsa_private_segment_fixed_size 64
		.amdhsa_kernarg_size 400
		.amdhsa_user_sgpr_count 2
		.amdhsa_user_sgpr_dispatch_ptr 0
		.amdhsa_user_sgpr_queue_ptr 0
		.amdhsa_user_sgpr_kernarg_segment_ptr 1
		.amdhsa_user_sgpr_dispatch_id 0
		.amdhsa_user_sgpr_kernarg_preload_length 0
		.amdhsa_user_sgpr_kernarg_preload_offset 0
		.amdhsa_user_sgpr_private_segment_size 0
		.amdhsa_wavefront_size32 1
		.amdhsa_uses_dynamic_stack 0
		.amdhsa_enable_private_segment 1
		.amdhsa_system_sgpr_workgroup_id_x 1
		.amdhsa_system_sgpr_workgroup_id_y 0
		.amdhsa_system_sgpr_workgroup_id_z 0
		.amdhsa_system_sgpr_workgroup_info 0
		.amdhsa_system_vgpr_workitem_id 0
		.amdhsa_next_free_vgpr 51
		.amdhsa_next_free_sgpr 34
		.amdhsa_named_barrier_count 0
		.amdhsa_reserve_vcc 1
		.amdhsa_float_round_mode_32 0
		.amdhsa_float_round_mode_16_64 0
		.amdhsa_float_denorm_mode_32 3
		.amdhsa_float_denorm_mode_16_64 3
		.amdhsa_fp16_overflow 0
		.amdhsa_memory_ordered 1
		.amdhsa_forward_progress 1
		.amdhsa_inst_pref_size 1
		.amdhsa_round_robin_scheduling 0
		.amdhsa_exception_fp_ieee_invalid_op 0
		.amdhsa_exception_fp_denorm_src 0
		.amdhsa_exception_fp_ieee_div_zero 0
		.amdhsa_exception_fp_ieee_overflow 0
		.amdhsa_exception_fp_ieee_underflow 0
		.amdhsa_exception_fp_ieee_inexact 0
		.amdhsa_exception_int_div_zero 0
	.end_amdhsa_kernel
	.section	.text._Z39paged_attention_ll4mi_QKV_mfma16_kernelI14__hip_bfloat16S0_LN4vllm18Fp8KVCacheDataTypeE0EhLi32ELi128ELi256ELb1ELi2EEvPKT_PKT0_S8_ifPKiSA_SA_iPKfiiiPfSD_PS3_PT2_iSC_SC_,"axG",@progbits,_Z39paged_attention_ll4mi_QKV_mfma16_kernelI14__hip_bfloat16S0_LN4vllm18Fp8KVCacheDataTypeE0EhLi32ELi128ELi256ELb1ELi2EEvPKT_PKT0_S8_ifPKiSA_SA_iPKfiiiPfSD_PS3_PT2_iSC_SC_,comdat
.Lfunc_end707:
	.size	_Z39paged_attention_ll4mi_QKV_mfma16_kernelI14__hip_bfloat16S0_LN4vllm18Fp8KVCacheDataTypeE0EhLi32ELi128ELi256ELb1ELi2EEvPKT_PKT0_S8_ifPKiSA_SA_iPKfiiiPfSD_PS3_PT2_iSC_SC_, .Lfunc_end707-_Z39paged_attention_ll4mi_QKV_mfma16_kernelI14__hip_bfloat16S0_LN4vllm18Fp8KVCacheDataTypeE0EhLi32ELi128ELi256ELb1ELi2EEvPKT_PKT0_S8_ifPKiSA_SA_iPKfiiiPfSD_PS3_PT2_iSC_SC_
                                        ; -- End function
	.set _Z39paged_attention_ll4mi_QKV_mfma16_kernelI14__hip_bfloat16S0_LN4vllm18Fp8KVCacheDataTypeE0EhLi32ELi128ELi256ELb1ELi2EEvPKT_PKT0_S8_ifPKiSA_SA_iPKfiiiPfSD_PS3_PT2_iSC_SC_.num_vgpr, max(3, .L__assert_fail.num_vgpr)
	.set _Z39paged_attention_ll4mi_QKV_mfma16_kernelI14__hip_bfloat16S0_LN4vllm18Fp8KVCacheDataTypeE0EhLi32ELi128ELi256ELb1ELi2EEvPKT_PKT0_S8_ifPKiSA_SA_iPKfiiiPfSD_PS3_PT2_iSC_SC_.num_agpr, max(0, .L__assert_fail.num_agpr)
	.set _Z39paged_attention_ll4mi_QKV_mfma16_kernelI14__hip_bfloat16S0_LN4vllm18Fp8KVCacheDataTypeE0EhLi32ELi128ELi256ELb1ELi2EEvPKT_PKT0_S8_ifPKiSA_SA_iPKfiiiPfSD_PS3_PT2_iSC_SC_.numbered_sgpr, max(33, .L__assert_fail.numbered_sgpr)
	.set _Z39paged_attention_ll4mi_QKV_mfma16_kernelI14__hip_bfloat16S0_LN4vllm18Fp8KVCacheDataTypeE0EhLi32ELi128ELi256ELb1ELi2EEvPKT_PKT0_S8_ifPKiSA_SA_iPKfiiiPfSD_PS3_PT2_iSC_SC_.num_named_barrier, max(0, .L__assert_fail.num_named_barrier)
	.set _Z39paged_attention_ll4mi_QKV_mfma16_kernelI14__hip_bfloat16S0_LN4vllm18Fp8KVCacheDataTypeE0EhLi32ELi128ELi256ELb1ELi2EEvPKT_PKT0_S8_ifPKiSA_SA_iPKfiiiPfSD_PS3_PT2_iSC_SC_.private_seg_size, 0+max(.L__assert_fail.private_seg_size)
	.set _Z39paged_attention_ll4mi_QKV_mfma16_kernelI14__hip_bfloat16S0_LN4vllm18Fp8KVCacheDataTypeE0EhLi32ELi128ELi256ELb1ELi2EEvPKT_PKT0_S8_ifPKiSA_SA_iPKfiiiPfSD_PS3_PT2_iSC_SC_.uses_vcc, or(1, .L__assert_fail.uses_vcc)
	.set _Z39paged_attention_ll4mi_QKV_mfma16_kernelI14__hip_bfloat16S0_LN4vllm18Fp8KVCacheDataTypeE0EhLi32ELi128ELi256ELb1ELi2EEvPKT_PKT0_S8_ifPKiSA_SA_iPKfiiiPfSD_PS3_PT2_iSC_SC_.uses_flat_scratch, or(0, .L__assert_fail.uses_flat_scratch)
	.set _Z39paged_attention_ll4mi_QKV_mfma16_kernelI14__hip_bfloat16S0_LN4vllm18Fp8KVCacheDataTypeE0EhLi32ELi128ELi256ELb1ELi2EEvPKT_PKT0_S8_ifPKiSA_SA_iPKfiiiPfSD_PS3_PT2_iSC_SC_.has_dyn_sized_stack, or(0, .L__assert_fail.has_dyn_sized_stack)
	.set _Z39paged_attention_ll4mi_QKV_mfma16_kernelI14__hip_bfloat16S0_LN4vllm18Fp8KVCacheDataTypeE0EhLi32ELi128ELi256ELb1ELi2EEvPKT_PKT0_S8_ifPKiSA_SA_iPKfiiiPfSD_PS3_PT2_iSC_SC_.has_recursion, or(0, .L__assert_fail.has_recursion)
	.set _Z39paged_attention_ll4mi_QKV_mfma16_kernelI14__hip_bfloat16S0_LN4vllm18Fp8KVCacheDataTypeE0EhLi32ELi128ELi256ELb1ELi2EEvPKT_PKT0_S8_ifPKiSA_SA_iPKfiiiPfSD_PS3_PT2_iSC_SC_.has_indirect_call, or(0, .L__assert_fail.has_indirect_call)
	.section	.AMDGPU.csdata,"",@progbits
; Kernel info:
; codeLenInByte = 68
; TotalNumSgprs: 36
; NumVgprs: 51
; ScratchSize: 64
; MemoryBound: 0
; FloatMode: 240
; IeeeMode: 1
; LDSByteSize: 0 bytes/workgroup (compile time only)
; SGPRBlocks: 0
; VGPRBlocks: 3
; NumSGPRsForWavesPerEU: 36
; NumVGPRsForWavesPerEU: 51
; NamedBarCnt: 0
; Occupancy: 16
; WaveLimiterHint : 1
; COMPUTE_PGM_RSRC2:SCRATCH_EN: 1
; COMPUTE_PGM_RSRC2:USER_SGPR: 2
; COMPUTE_PGM_RSRC2:TRAP_HANDLER: 0
; COMPUTE_PGM_RSRC2:TGID_X_EN: 1
; COMPUTE_PGM_RSRC2:TGID_Y_EN: 0
; COMPUTE_PGM_RSRC2:TGID_Z_EN: 0
; COMPUTE_PGM_RSRC2:TIDIG_COMP_CNT: 0
	.section	.text._Z39paged_attention_ll4mi_QKV_mfma16_kernelI14__hip_bfloat16S0_LN4vllm18Fp8KVCacheDataTypeE0EhLi32ELi128ELi256ELb1ELi3EEvPKT_PKT0_S8_ifPKiSA_SA_iPKfiiiPfSD_PS3_PT2_iSC_SC_,"axG",@progbits,_Z39paged_attention_ll4mi_QKV_mfma16_kernelI14__hip_bfloat16S0_LN4vllm18Fp8KVCacheDataTypeE0EhLi32ELi128ELi256ELb1ELi3EEvPKT_PKT0_S8_ifPKiSA_SA_iPKfiiiPfSD_PS3_PT2_iSC_SC_,comdat
	.protected	_Z39paged_attention_ll4mi_QKV_mfma16_kernelI14__hip_bfloat16S0_LN4vllm18Fp8KVCacheDataTypeE0EhLi32ELi128ELi256ELb1ELi3EEvPKT_PKT0_S8_ifPKiSA_SA_iPKfiiiPfSD_PS3_PT2_iSC_SC_ ; -- Begin function _Z39paged_attention_ll4mi_QKV_mfma16_kernelI14__hip_bfloat16S0_LN4vllm18Fp8KVCacheDataTypeE0EhLi32ELi128ELi256ELb1ELi3EEvPKT_PKT0_S8_ifPKiSA_SA_iPKfiiiPfSD_PS3_PT2_iSC_SC_
	.globl	_Z39paged_attention_ll4mi_QKV_mfma16_kernelI14__hip_bfloat16S0_LN4vllm18Fp8KVCacheDataTypeE0EhLi32ELi128ELi256ELb1ELi3EEvPKT_PKT0_S8_ifPKiSA_SA_iPKfiiiPfSD_PS3_PT2_iSC_SC_
	.p2align	8
	.type	_Z39paged_attention_ll4mi_QKV_mfma16_kernelI14__hip_bfloat16S0_LN4vllm18Fp8KVCacheDataTypeE0EhLi32ELi128ELi256ELb1ELi3EEvPKT_PKT0_S8_ifPKiSA_SA_iPKfiiiPfSD_PS3_PT2_iSC_SC_,@function
_Z39paged_attention_ll4mi_QKV_mfma16_kernelI14__hip_bfloat16S0_LN4vllm18Fp8KVCacheDataTypeE0EhLi32ELi128ELi256ELb1ELi3EEvPKT_PKT0_S8_ifPKiSA_SA_iPKfiiiPfSD_PS3_PT2_iSC_SC_: ; @_Z39paged_attention_ll4mi_QKV_mfma16_kernelI14__hip_bfloat16S0_LN4vllm18Fp8KVCacheDataTypeE0EhLi32ELi128ELi256ELb1ELi3EEvPKT_PKT0_S8_ifPKiSA_SA_iPKfiiiPfSD_PS3_PT2_iSC_SC_
; %bb.0:
	s_get_pc_i64 s[2:3]
	s_add_nc_u64 s[2:3], s[2:3], __PRETTY_FUNCTION__._Z39paged_attention_ll4mi_QKV_mfma16_kernelI14__hip_bfloat16S0_LN4vllm18Fp8KVCacheDataTypeE0EhLi32ELi128ELi256ELb1ELi3EEvPKT_PKT0_S8_ifPKiSA_SA_iPKfiiiPfSD_PS3_PT2_iSC_SC_@rel64+4
	s_delay_alu instid0(SALU_CYCLE_1)
	v_dual_mov_b32 v0, 0xbb3 :: v_dual_mov_b32 v1, s2
	v_mov_b32_e32 v2, s3
	s_add_nc_u64 s[8:9], s[0:1], 0x90
	s_get_pc_i64 s[0:1]
	s_add_nc_u64 s[0:1], s[0:1], __assert_fail@rel64+4
	s_mov_b32 s32, 0
	s_swap_pc_i64 s[30:31], s[0:1]
	.section	.rodata,"a",@progbits
	.p2align	6, 0x0
	.amdhsa_kernel _Z39paged_attention_ll4mi_QKV_mfma16_kernelI14__hip_bfloat16S0_LN4vllm18Fp8KVCacheDataTypeE0EhLi32ELi128ELi256ELb1ELi3EEvPKT_PKT0_S8_ifPKiSA_SA_iPKfiiiPfSD_PS3_PT2_iSC_SC_
		.amdhsa_group_segment_fixed_size 0
		.amdhsa_private_segment_fixed_size 64
		.amdhsa_kernarg_size 400
		.amdhsa_user_sgpr_count 2
		.amdhsa_user_sgpr_dispatch_ptr 0
		.amdhsa_user_sgpr_queue_ptr 0
		.amdhsa_user_sgpr_kernarg_segment_ptr 1
		.amdhsa_user_sgpr_dispatch_id 0
		.amdhsa_user_sgpr_kernarg_preload_length 0
		.amdhsa_user_sgpr_kernarg_preload_offset 0
		.amdhsa_user_sgpr_private_segment_size 0
		.amdhsa_wavefront_size32 1
		.amdhsa_uses_dynamic_stack 0
		.amdhsa_enable_private_segment 1
		.amdhsa_system_sgpr_workgroup_id_x 1
		.amdhsa_system_sgpr_workgroup_id_y 0
		.amdhsa_system_sgpr_workgroup_id_z 0
		.amdhsa_system_sgpr_workgroup_info 0
		.amdhsa_system_vgpr_workitem_id 0
		.amdhsa_next_free_vgpr 51
		.amdhsa_next_free_sgpr 34
		.amdhsa_named_barrier_count 0
		.amdhsa_reserve_vcc 1
		.amdhsa_float_round_mode_32 0
		.amdhsa_float_round_mode_16_64 0
		.amdhsa_float_denorm_mode_32 3
		.amdhsa_float_denorm_mode_16_64 3
		.amdhsa_fp16_overflow 0
		.amdhsa_memory_ordered 1
		.amdhsa_forward_progress 1
		.amdhsa_inst_pref_size 1
		.amdhsa_round_robin_scheduling 0
		.amdhsa_exception_fp_ieee_invalid_op 0
		.amdhsa_exception_fp_denorm_src 0
		.amdhsa_exception_fp_ieee_div_zero 0
		.amdhsa_exception_fp_ieee_overflow 0
		.amdhsa_exception_fp_ieee_underflow 0
		.amdhsa_exception_fp_ieee_inexact 0
		.amdhsa_exception_int_div_zero 0
	.end_amdhsa_kernel
	.section	.text._Z39paged_attention_ll4mi_QKV_mfma16_kernelI14__hip_bfloat16S0_LN4vllm18Fp8KVCacheDataTypeE0EhLi32ELi128ELi256ELb1ELi3EEvPKT_PKT0_S8_ifPKiSA_SA_iPKfiiiPfSD_PS3_PT2_iSC_SC_,"axG",@progbits,_Z39paged_attention_ll4mi_QKV_mfma16_kernelI14__hip_bfloat16S0_LN4vllm18Fp8KVCacheDataTypeE0EhLi32ELi128ELi256ELb1ELi3EEvPKT_PKT0_S8_ifPKiSA_SA_iPKfiiiPfSD_PS3_PT2_iSC_SC_,comdat
.Lfunc_end708:
	.size	_Z39paged_attention_ll4mi_QKV_mfma16_kernelI14__hip_bfloat16S0_LN4vllm18Fp8KVCacheDataTypeE0EhLi32ELi128ELi256ELb1ELi3EEvPKT_PKT0_S8_ifPKiSA_SA_iPKfiiiPfSD_PS3_PT2_iSC_SC_, .Lfunc_end708-_Z39paged_attention_ll4mi_QKV_mfma16_kernelI14__hip_bfloat16S0_LN4vllm18Fp8KVCacheDataTypeE0EhLi32ELi128ELi256ELb1ELi3EEvPKT_PKT0_S8_ifPKiSA_SA_iPKfiiiPfSD_PS3_PT2_iSC_SC_
                                        ; -- End function
	.set _Z39paged_attention_ll4mi_QKV_mfma16_kernelI14__hip_bfloat16S0_LN4vllm18Fp8KVCacheDataTypeE0EhLi32ELi128ELi256ELb1ELi3EEvPKT_PKT0_S8_ifPKiSA_SA_iPKfiiiPfSD_PS3_PT2_iSC_SC_.num_vgpr, max(3, .L__assert_fail.num_vgpr)
	.set _Z39paged_attention_ll4mi_QKV_mfma16_kernelI14__hip_bfloat16S0_LN4vllm18Fp8KVCacheDataTypeE0EhLi32ELi128ELi256ELb1ELi3EEvPKT_PKT0_S8_ifPKiSA_SA_iPKfiiiPfSD_PS3_PT2_iSC_SC_.num_agpr, max(0, .L__assert_fail.num_agpr)
	.set _Z39paged_attention_ll4mi_QKV_mfma16_kernelI14__hip_bfloat16S0_LN4vllm18Fp8KVCacheDataTypeE0EhLi32ELi128ELi256ELb1ELi3EEvPKT_PKT0_S8_ifPKiSA_SA_iPKfiiiPfSD_PS3_PT2_iSC_SC_.numbered_sgpr, max(33, .L__assert_fail.numbered_sgpr)
	.set _Z39paged_attention_ll4mi_QKV_mfma16_kernelI14__hip_bfloat16S0_LN4vllm18Fp8KVCacheDataTypeE0EhLi32ELi128ELi256ELb1ELi3EEvPKT_PKT0_S8_ifPKiSA_SA_iPKfiiiPfSD_PS3_PT2_iSC_SC_.num_named_barrier, max(0, .L__assert_fail.num_named_barrier)
	.set _Z39paged_attention_ll4mi_QKV_mfma16_kernelI14__hip_bfloat16S0_LN4vllm18Fp8KVCacheDataTypeE0EhLi32ELi128ELi256ELb1ELi3EEvPKT_PKT0_S8_ifPKiSA_SA_iPKfiiiPfSD_PS3_PT2_iSC_SC_.private_seg_size, 0+max(.L__assert_fail.private_seg_size)
	.set _Z39paged_attention_ll4mi_QKV_mfma16_kernelI14__hip_bfloat16S0_LN4vllm18Fp8KVCacheDataTypeE0EhLi32ELi128ELi256ELb1ELi3EEvPKT_PKT0_S8_ifPKiSA_SA_iPKfiiiPfSD_PS3_PT2_iSC_SC_.uses_vcc, or(1, .L__assert_fail.uses_vcc)
	.set _Z39paged_attention_ll4mi_QKV_mfma16_kernelI14__hip_bfloat16S0_LN4vllm18Fp8KVCacheDataTypeE0EhLi32ELi128ELi256ELb1ELi3EEvPKT_PKT0_S8_ifPKiSA_SA_iPKfiiiPfSD_PS3_PT2_iSC_SC_.uses_flat_scratch, or(0, .L__assert_fail.uses_flat_scratch)
	.set _Z39paged_attention_ll4mi_QKV_mfma16_kernelI14__hip_bfloat16S0_LN4vllm18Fp8KVCacheDataTypeE0EhLi32ELi128ELi256ELb1ELi3EEvPKT_PKT0_S8_ifPKiSA_SA_iPKfiiiPfSD_PS3_PT2_iSC_SC_.has_dyn_sized_stack, or(0, .L__assert_fail.has_dyn_sized_stack)
	.set _Z39paged_attention_ll4mi_QKV_mfma16_kernelI14__hip_bfloat16S0_LN4vllm18Fp8KVCacheDataTypeE0EhLi32ELi128ELi256ELb1ELi3EEvPKT_PKT0_S8_ifPKiSA_SA_iPKfiiiPfSD_PS3_PT2_iSC_SC_.has_recursion, or(0, .L__assert_fail.has_recursion)
	.set _Z39paged_attention_ll4mi_QKV_mfma16_kernelI14__hip_bfloat16S0_LN4vllm18Fp8KVCacheDataTypeE0EhLi32ELi128ELi256ELb1ELi3EEvPKT_PKT0_S8_ifPKiSA_SA_iPKfiiiPfSD_PS3_PT2_iSC_SC_.has_indirect_call, or(0, .L__assert_fail.has_indirect_call)
	.section	.AMDGPU.csdata,"",@progbits
; Kernel info:
; codeLenInByte = 68
; TotalNumSgprs: 36
; NumVgprs: 51
; ScratchSize: 64
; MemoryBound: 0
; FloatMode: 240
; IeeeMode: 1
; LDSByteSize: 0 bytes/workgroup (compile time only)
; SGPRBlocks: 0
; VGPRBlocks: 3
; NumSGPRsForWavesPerEU: 36
; NumVGPRsForWavesPerEU: 51
; NamedBarCnt: 0
; Occupancy: 16
; WaveLimiterHint : 1
; COMPUTE_PGM_RSRC2:SCRATCH_EN: 1
; COMPUTE_PGM_RSRC2:USER_SGPR: 2
; COMPUTE_PGM_RSRC2:TRAP_HANDLER: 0
; COMPUTE_PGM_RSRC2:TGID_X_EN: 1
; COMPUTE_PGM_RSRC2:TGID_Y_EN: 0
; COMPUTE_PGM_RSRC2:TGID_Z_EN: 0
; COMPUTE_PGM_RSRC2:TIDIG_COMP_CNT: 0
	.section	.text._Z39paged_attention_ll4mi_QKV_mfma16_kernelI14__hip_bfloat16S0_LN4vllm18Fp8KVCacheDataTypeE0EhLi32ELi128ELi256ELb1ELi4EEvPKT_PKT0_S8_ifPKiSA_SA_iPKfiiiPfSD_PS3_PT2_iSC_SC_,"axG",@progbits,_Z39paged_attention_ll4mi_QKV_mfma16_kernelI14__hip_bfloat16S0_LN4vllm18Fp8KVCacheDataTypeE0EhLi32ELi128ELi256ELb1ELi4EEvPKT_PKT0_S8_ifPKiSA_SA_iPKfiiiPfSD_PS3_PT2_iSC_SC_,comdat
	.protected	_Z39paged_attention_ll4mi_QKV_mfma16_kernelI14__hip_bfloat16S0_LN4vllm18Fp8KVCacheDataTypeE0EhLi32ELi128ELi256ELb1ELi4EEvPKT_PKT0_S8_ifPKiSA_SA_iPKfiiiPfSD_PS3_PT2_iSC_SC_ ; -- Begin function _Z39paged_attention_ll4mi_QKV_mfma16_kernelI14__hip_bfloat16S0_LN4vllm18Fp8KVCacheDataTypeE0EhLi32ELi128ELi256ELb1ELi4EEvPKT_PKT0_S8_ifPKiSA_SA_iPKfiiiPfSD_PS3_PT2_iSC_SC_
	.globl	_Z39paged_attention_ll4mi_QKV_mfma16_kernelI14__hip_bfloat16S0_LN4vllm18Fp8KVCacheDataTypeE0EhLi32ELi128ELi256ELb1ELi4EEvPKT_PKT0_S8_ifPKiSA_SA_iPKfiiiPfSD_PS3_PT2_iSC_SC_
	.p2align	8
	.type	_Z39paged_attention_ll4mi_QKV_mfma16_kernelI14__hip_bfloat16S0_LN4vllm18Fp8KVCacheDataTypeE0EhLi32ELi128ELi256ELb1ELi4EEvPKT_PKT0_S8_ifPKiSA_SA_iPKfiiiPfSD_PS3_PT2_iSC_SC_,@function
_Z39paged_attention_ll4mi_QKV_mfma16_kernelI14__hip_bfloat16S0_LN4vllm18Fp8KVCacheDataTypeE0EhLi32ELi128ELi256ELb1ELi4EEvPKT_PKT0_S8_ifPKiSA_SA_iPKfiiiPfSD_PS3_PT2_iSC_SC_: ; @_Z39paged_attention_ll4mi_QKV_mfma16_kernelI14__hip_bfloat16S0_LN4vllm18Fp8KVCacheDataTypeE0EhLi32ELi128ELi256ELb1ELi4EEvPKT_PKT0_S8_ifPKiSA_SA_iPKfiiiPfSD_PS3_PT2_iSC_SC_
; %bb.0:
	s_get_pc_i64 s[2:3]
	s_add_nc_u64 s[2:3], s[2:3], __PRETTY_FUNCTION__._Z39paged_attention_ll4mi_QKV_mfma16_kernelI14__hip_bfloat16S0_LN4vllm18Fp8KVCacheDataTypeE0EhLi32ELi128ELi256ELb1ELi4EEvPKT_PKT0_S8_ifPKiSA_SA_iPKfiiiPfSD_PS3_PT2_iSC_SC_@rel64+4
	s_delay_alu instid0(SALU_CYCLE_1)
	v_dual_mov_b32 v0, 0xbb3 :: v_dual_mov_b32 v1, s2
	v_mov_b32_e32 v2, s3
	s_add_nc_u64 s[8:9], s[0:1], 0x90
	s_get_pc_i64 s[0:1]
	s_add_nc_u64 s[0:1], s[0:1], __assert_fail@rel64+4
	s_mov_b32 s32, 0
	s_swap_pc_i64 s[30:31], s[0:1]
	.section	.rodata,"a",@progbits
	.p2align	6, 0x0
	.amdhsa_kernel _Z39paged_attention_ll4mi_QKV_mfma16_kernelI14__hip_bfloat16S0_LN4vllm18Fp8KVCacheDataTypeE0EhLi32ELi128ELi256ELb1ELi4EEvPKT_PKT0_S8_ifPKiSA_SA_iPKfiiiPfSD_PS3_PT2_iSC_SC_
		.amdhsa_group_segment_fixed_size 0
		.amdhsa_private_segment_fixed_size 64
		.amdhsa_kernarg_size 400
		.amdhsa_user_sgpr_count 2
		.amdhsa_user_sgpr_dispatch_ptr 0
		.amdhsa_user_sgpr_queue_ptr 0
		.amdhsa_user_sgpr_kernarg_segment_ptr 1
		.amdhsa_user_sgpr_dispatch_id 0
		.amdhsa_user_sgpr_kernarg_preload_length 0
		.amdhsa_user_sgpr_kernarg_preload_offset 0
		.amdhsa_user_sgpr_private_segment_size 0
		.amdhsa_wavefront_size32 1
		.amdhsa_uses_dynamic_stack 0
		.amdhsa_enable_private_segment 1
		.amdhsa_system_sgpr_workgroup_id_x 1
		.amdhsa_system_sgpr_workgroup_id_y 0
		.amdhsa_system_sgpr_workgroup_id_z 0
		.amdhsa_system_sgpr_workgroup_info 0
		.amdhsa_system_vgpr_workitem_id 0
		.amdhsa_next_free_vgpr 51
		.amdhsa_next_free_sgpr 34
		.amdhsa_named_barrier_count 0
		.amdhsa_reserve_vcc 1
		.amdhsa_float_round_mode_32 0
		.amdhsa_float_round_mode_16_64 0
		.amdhsa_float_denorm_mode_32 3
		.amdhsa_float_denorm_mode_16_64 3
		.amdhsa_fp16_overflow 0
		.amdhsa_memory_ordered 1
		.amdhsa_forward_progress 1
		.amdhsa_inst_pref_size 1
		.amdhsa_round_robin_scheduling 0
		.amdhsa_exception_fp_ieee_invalid_op 0
		.amdhsa_exception_fp_denorm_src 0
		.amdhsa_exception_fp_ieee_div_zero 0
		.amdhsa_exception_fp_ieee_overflow 0
		.amdhsa_exception_fp_ieee_underflow 0
		.amdhsa_exception_fp_ieee_inexact 0
		.amdhsa_exception_int_div_zero 0
	.end_amdhsa_kernel
	.section	.text._Z39paged_attention_ll4mi_QKV_mfma16_kernelI14__hip_bfloat16S0_LN4vllm18Fp8KVCacheDataTypeE0EhLi32ELi128ELi256ELb1ELi4EEvPKT_PKT0_S8_ifPKiSA_SA_iPKfiiiPfSD_PS3_PT2_iSC_SC_,"axG",@progbits,_Z39paged_attention_ll4mi_QKV_mfma16_kernelI14__hip_bfloat16S0_LN4vllm18Fp8KVCacheDataTypeE0EhLi32ELi128ELi256ELb1ELi4EEvPKT_PKT0_S8_ifPKiSA_SA_iPKfiiiPfSD_PS3_PT2_iSC_SC_,comdat
.Lfunc_end709:
	.size	_Z39paged_attention_ll4mi_QKV_mfma16_kernelI14__hip_bfloat16S0_LN4vllm18Fp8KVCacheDataTypeE0EhLi32ELi128ELi256ELb1ELi4EEvPKT_PKT0_S8_ifPKiSA_SA_iPKfiiiPfSD_PS3_PT2_iSC_SC_, .Lfunc_end709-_Z39paged_attention_ll4mi_QKV_mfma16_kernelI14__hip_bfloat16S0_LN4vllm18Fp8KVCacheDataTypeE0EhLi32ELi128ELi256ELb1ELi4EEvPKT_PKT0_S8_ifPKiSA_SA_iPKfiiiPfSD_PS3_PT2_iSC_SC_
                                        ; -- End function
	.set _Z39paged_attention_ll4mi_QKV_mfma16_kernelI14__hip_bfloat16S0_LN4vllm18Fp8KVCacheDataTypeE0EhLi32ELi128ELi256ELb1ELi4EEvPKT_PKT0_S8_ifPKiSA_SA_iPKfiiiPfSD_PS3_PT2_iSC_SC_.num_vgpr, max(3, .L__assert_fail.num_vgpr)
	.set _Z39paged_attention_ll4mi_QKV_mfma16_kernelI14__hip_bfloat16S0_LN4vllm18Fp8KVCacheDataTypeE0EhLi32ELi128ELi256ELb1ELi4EEvPKT_PKT0_S8_ifPKiSA_SA_iPKfiiiPfSD_PS3_PT2_iSC_SC_.num_agpr, max(0, .L__assert_fail.num_agpr)
	.set _Z39paged_attention_ll4mi_QKV_mfma16_kernelI14__hip_bfloat16S0_LN4vllm18Fp8KVCacheDataTypeE0EhLi32ELi128ELi256ELb1ELi4EEvPKT_PKT0_S8_ifPKiSA_SA_iPKfiiiPfSD_PS3_PT2_iSC_SC_.numbered_sgpr, max(33, .L__assert_fail.numbered_sgpr)
	.set _Z39paged_attention_ll4mi_QKV_mfma16_kernelI14__hip_bfloat16S0_LN4vllm18Fp8KVCacheDataTypeE0EhLi32ELi128ELi256ELb1ELi4EEvPKT_PKT0_S8_ifPKiSA_SA_iPKfiiiPfSD_PS3_PT2_iSC_SC_.num_named_barrier, max(0, .L__assert_fail.num_named_barrier)
	.set _Z39paged_attention_ll4mi_QKV_mfma16_kernelI14__hip_bfloat16S0_LN4vllm18Fp8KVCacheDataTypeE0EhLi32ELi128ELi256ELb1ELi4EEvPKT_PKT0_S8_ifPKiSA_SA_iPKfiiiPfSD_PS3_PT2_iSC_SC_.private_seg_size, 0+max(.L__assert_fail.private_seg_size)
	.set _Z39paged_attention_ll4mi_QKV_mfma16_kernelI14__hip_bfloat16S0_LN4vllm18Fp8KVCacheDataTypeE0EhLi32ELi128ELi256ELb1ELi4EEvPKT_PKT0_S8_ifPKiSA_SA_iPKfiiiPfSD_PS3_PT2_iSC_SC_.uses_vcc, or(1, .L__assert_fail.uses_vcc)
	.set _Z39paged_attention_ll4mi_QKV_mfma16_kernelI14__hip_bfloat16S0_LN4vllm18Fp8KVCacheDataTypeE0EhLi32ELi128ELi256ELb1ELi4EEvPKT_PKT0_S8_ifPKiSA_SA_iPKfiiiPfSD_PS3_PT2_iSC_SC_.uses_flat_scratch, or(0, .L__assert_fail.uses_flat_scratch)
	.set _Z39paged_attention_ll4mi_QKV_mfma16_kernelI14__hip_bfloat16S0_LN4vllm18Fp8KVCacheDataTypeE0EhLi32ELi128ELi256ELb1ELi4EEvPKT_PKT0_S8_ifPKiSA_SA_iPKfiiiPfSD_PS3_PT2_iSC_SC_.has_dyn_sized_stack, or(0, .L__assert_fail.has_dyn_sized_stack)
	.set _Z39paged_attention_ll4mi_QKV_mfma16_kernelI14__hip_bfloat16S0_LN4vllm18Fp8KVCacheDataTypeE0EhLi32ELi128ELi256ELb1ELi4EEvPKT_PKT0_S8_ifPKiSA_SA_iPKfiiiPfSD_PS3_PT2_iSC_SC_.has_recursion, or(0, .L__assert_fail.has_recursion)
	.set _Z39paged_attention_ll4mi_QKV_mfma16_kernelI14__hip_bfloat16S0_LN4vllm18Fp8KVCacheDataTypeE0EhLi32ELi128ELi256ELb1ELi4EEvPKT_PKT0_S8_ifPKiSA_SA_iPKfiiiPfSD_PS3_PT2_iSC_SC_.has_indirect_call, or(0, .L__assert_fail.has_indirect_call)
	.section	.AMDGPU.csdata,"",@progbits
; Kernel info:
; codeLenInByte = 68
; TotalNumSgprs: 36
; NumVgprs: 51
; ScratchSize: 64
; MemoryBound: 0
; FloatMode: 240
; IeeeMode: 1
; LDSByteSize: 0 bytes/workgroup (compile time only)
; SGPRBlocks: 0
; VGPRBlocks: 3
; NumSGPRsForWavesPerEU: 36
; NumVGPRsForWavesPerEU: 51
; NamedBarCnt: 0
; Occupancy: 16
; WaveLimiterHint : 1
; COMPUTE_PGM_RSRC2:SCRATCH_EN: 1
; COMPUTE_PGM_RSRC2:USER_SGPR: 2
; COMPUTE_PGM_RSRC2:TRAP_HANDLER: 0
; COMPUTE_PGM_RSRC2:TGID_X_EN: 1
; COMPUTE_PGM_RSRC2:TGID_Y_EN: 0
; COMPUTE_PGM_RSRC2:TGID_Z_EN: 0
; COMPUTE_PGM_RSRC2:TIDIG_COMP_CNT: 0
	.section	.text._Z38paged_attention_ll4mi_QKV_mfma4_kernelI14__hip_bfloat16S0_LN4vllm18Fp8KVCacheDataTypeE0EhLi32ELi128ELi256ELb0ELi1EEvPKT_PKT0_S8_ifPKiSA_SA_iPKfiiiPfSD_PS3_PT2_iSC_SC_,"axG",@progbits,_Z38paged_attention_ll4mi_QKV_mfma4_kernelI14__hip_bfloat16S0_LN4vllm18Fp8KVCacheDataTypeE0EhLi32ELi128ELi256ELb0ELi1EEvPKT_PKT0_S8_ifPKiSA_SA_iPKfiiiPfSD_PS3_PT2_iSC_SC_,comdat
	.protected	_Z38paged_attention_ll4mi_QKV_mfma4_kernelI14__hip_bfloat16S0_LN4vllm18Fp8KVCacheDataTypeE0EhLi32ELi128ELi256ELb0ELi1EEvPKT_PKT0_S8_ifPKiSA_SA_iPKfiiiPfSD_PS3_PT2_iSC_SC_ ; -- Begin function _Z38paged_attention_ll4mi_QKV_mfma4_kernelI14__hip_bfloat16S0_LN4vllm18Fp8KVCacheDataTypeE0EhLi32ELi128ELi256ELb0ELi1EEvPKT_PKT0_S8_ifPKiSA_SA_iPKfiiiPfSD_PS3_PT2_iSC_SC_
	.globl	_Z38paged_attention_ll4mi_QKV_mfma4_kernelI14__hip_bfloat16S0_LN4vllm18Fp8KVCacheDataTypeE0EhLi32ELi128ELi256ELb0ELi1EEvPKT_PKT0_S8_ifPKiSA_SA_iPKfiiiPfSD_PS3_PT2_iSC_SC_
	.p2align	8
	.type	_Z38paged_attention_ll4mi_QKV_mfma4_kernelI14__hip_bfloat16S0_LN4vllm18Fp8KVCacheDataTypeE0EhLi32ELi128ELi256ELb0ELi1EEvPKT_PKT0_S8_ifPKiSA_SA_iPKfiiiPfSD_PS3_PT2_iSC_SC_,@function
_Z38paged_attention_ll4mi_QKV_mfma4_kernelI14__hip_bfloat16S0_LN4vllm18Fp8KVCacheDataTypeE0EhLi32ELi128ELi256ELb0ELi1EEvPKT_PKT0_S8_ifPKiSA_SA_iPKfiiiPfSD_PS3_PT2_iSC_SC_: ; @_Z38paged_attention_ll4mi_QKV_mfma4_kernelI14__hip_bfloat16S0_LN4vllm18Fp8KVCacheDataTypeE0EhLi32ELi128ELi256ELb0ELi1EEvPKT_PKT0_S8_ifPKiSA_SA_iPKfiiiPfSD_PS3_PT2_iSC_SC_
; %bb.0:
	s_get_pc_i64 s[2:3]
	s_add_nc_u64 s[2:3], s[2:3], __PRETTY_FUNCTION__._Z38paged_attention_ll4mi_QKV_mfma4_kernelI14__hip_bfloat16S0_LN4vllm18Fp8KVCacheDataTypeE0EhLi32ELi128ELi256ELb0ELi1EEvPKT_PKT0_S8_ifPKiSA_SA_iPKfiiiPfSD_PS3_PT2_iSC_SC_@rel64+4
	s_delay_alu instid0(SALU_CYCLE_1)
	v_dual_mov_b32 v0, 0xbce :: v_dual_mov_b32 v1, s2
	v_mov_b32_e32 v2, s3
	s_add_nc_u64 s[8:9], s[0:1], 0x90
	s_get_pc_i64 s[0:1]
	s_add_nc_u64 s[0:1], s[0:1], __assert_fail@rel64+4
	s_mov_b32 s32, 0
	s_swap_pc_i64 s[30:31], s[0:1]
	.section	.rodata,"a",@progbits
	.p2align	6, 0x0
	.amdhsa_kernel _Z38paged_attention_ll4mi_QKV_mfma4_kernelI14__hip_bfloat16S0_LN4vllm18Fp8KVCacheDataTypeE0EhLi32ELi128ELi256ELb0ELi1EEvPKT_PKT0_S8_ifPKiSA_SA_iPKfiiiPfSD_PS3_PT2_iSC_SC_
		.amdhsa_group_segment_fixed_size 0
		.amdhsa_private_segment_fixed_size 64
		.amdhsa_kernarg_size 400
		.amdhsa_user_sgpr_count 2
		.amdhsa_user_sgpr_dispatch_ptr 0
		.amdhsa_user_sgpr_queue_ptr 0
		.amdhsa_user_sgpr_kernarg_segment_ptr 1
		.amdhsa_user_sgpr_dispatch_id 0
		.amdhsa_user_sgpr_kernarg_preload_length 0
		.amdhsa_user_sgpr_kernarg_preload_offset 0
		.amdhsa_user_sgpr_private_segment_size 0
		.amdhsa_wavefront_size32 1
		.amdhsa_uses_dynamic_stack 0
		.amdhsa_enable_private_segment 1
		.amdhsa_system_sgpr_workgroup_id_x 1
		.amdhsa_system_sgpr_workgroup_id_y 0
		.amdhsa_system_sgpr_workgroup_id_z 0
		.amdhsa_system_sgpr_workgroup_info 0
		.amdhsa_system_vgpr_workitem_id 0
		.amdhsa_next_free_vgpr 51
		.amdhsa_next_free_sgpr 34
		.amdhsa_named_barrier_count 0
		.amdhsa_reserve_vcc 1
		.amdhsa_float_round_mode_32 0
		.amdhsa_float_round_mode_16_64 0
		.amdhsa_float_denorm_mode_32 3
		.amdhsa_float_denorm_mode_16_64 3
		.amdhsa_fp16_overflow 0
		.amdhsa_memory_ordered 1
		.amdhsa_forward_progress 1
		.amdhsa_inst_pref_size 1
		.amdhsa_round_robin_scheduling 0
		.amdhsa_exception_fp_ieee_invalid_op 0
		.amdhsa_exception_fp_denorm_src 0
		.amdhsa_exception_fp_ieee_div_zero 0
		.amdhsa_exception_fp_ieee_overflow 0
		.amdhsa_exception_fp_ieee_underflow 0
		.amdhsa_exception_fp_ieee_inexact 0
		.amdhsa_exception_int_div_zero 0
	.end_amdhsa_kernel
	.section	.text._Z38paged_attention_ll4mi_QKV_mfma4_kernelI14__hip_bfloat16S0_LN4vllm18Fp8KVCacheDataTypeE0EhLi32ELi128ELi256ELb0ELi1EEvPKT_PKT0_S8_ifPKiSA_SA_iPKfiiiPfSD_PS3_PT2_iSC_SC_,"axG",@progbits,_Z38paged_attention_ll4mi_QKV_mfma4_kernelI14__hip_bfloat16S0_LN4vllm18Fp8KVCacheDataTypeE0EhLi32ELi128ELi256ELb0ELi1EEvPKT_PKT0_S8_ifPKiSA_SA_iPKfiiiPfSD_PS3_PT2_iSC_SC_,comdat
.Lfunc_end710:
	.size	_Z38paged_attention_ll4mi_QKV_mfma4_kernelI14__hip_bfloat16S0_LN4vllm18Fp8KVCacheDataTypeE0EhLi32ELi128ELi256ELb0ELi1EEvPKT_PKT0_S8_ifPKiSA_SA_iPKfiiiPfSD_PS3_PT2_iSC_SC_, .Lfunc_end710-_Z38paged_attention_ll4mi_QKV_mfma4_kernelI14__hip_bfloat16S0_LN4vllm18Fp8KVCacheDataTypeE0EhLi32ELi128ELi256ELb0ELi1EEvPKT_PKT0_S8_ifPKiSA_SA_iPKfiiiPfSD_PS3_PT2_iSC_SC_
                                        ; -- End function
	.set _Z38paged_attention_ll4mi_QKV_mfma4_kernelI14__hip_bfloat16S0_LN4vllm18Fp8KVCacheDataTypeE0EhLi32ELi128ELi256ELb0ELi1EEvPKT_PKT0_S8_ifPKiSA_SA_iPKfiiiPfSD_PS3_PT2_iSC_SC_.num_vgpr, max(3, .L__assert_fail.num_vgpr)
	.set _Z38paged_attention_ll4mi_QKV_mfma4_kernelI14__hip_bfloat16S0_LN4vllm18Fp8KVCacheDataTypeE0EhLi32ELi128ELi256ELb0ELi1EEvPKT_PKT0_S8_ifPKiSA_SA_iPKfiiiPfSD_PS3_PT2_iSC_SC_.num_agpr, max(0, .L__assert_fail.num_agpr)
	.set _Z38paged_attention_ll4mi_QKV_mfma4_kernelI14__hip_bfloat16S0_LN4vllm18Fp8KVCacheDataTypeE0EhLi32ELi128ELi256ELb0ELi1EEvPKT_PKT0_S8_ifPKiSA_SA_iPKfiiiPfSD_PS3_PT2_iSC_SC_.numbered_sgpr, max(33, .L__assert_fail.numbered_sgpr)
	.set _Z38paged_attention_ll4mi_QKV_mfma4_kernelI14__hip_bfloat16S0_LN4vllm18Fp8KVCacheDataTypeE0EhLi32ELi128ELi256ELb0ELi1EEvPKT_PKT0_S8_ifPKiSA_SA_iPKfiiiPfSD_PS3_PT2_iSC_SC_.num_named_barrier, max(0, .L__assert_fail.num_named_barrier)
	.set _Z38paged_attention_ll4mi_QKV_mfma4_kernelI14__hip_bfloat16S0_LN4vllm18Fp8KVCacheDataTypeE0EhLi32ELi128ELi256ELb0ELi1EEvPKT_PKT0_S8_ifPKiSA_SA_iPKfiiiPfSD_PS3_PT2_iSC_SC_.private_seg_size, 0+max(.L__assert_fail.private_seg_size)
	.set _Z38paged_attention_ll4mi_QKV_mfma4_kernelI14__hip_bfloat16S0_LN4vllm18Fp8KVCacheDataTypeE0EhLi32ELi128ELi256ELb0ELi1EEvPKT_PKT0_S8_ifPKiSA_SA_iPKfiiiPfSD_PS3_PT2_iSC_SC_.uses_vcc, or(1, .L__assert_fail.uses_vcc)
	.set _Z38paged_attention_ll4mi_QKV_mfma4_kernelI14__hip_bfloat16S0_LN4vllm18Fp8KVCacheDataTypeE0EhLi32ELi128ELi256ELb0ELi1EEvPKT_PKT0_S8_ifPKiSA_SA_iPKfiiiPfSD_PS3_PT2_iSC_SC_.uses_flat_scratch, or(0, .L__assert_fail.uses_flat_scratch)
	.set _Z38paged_attention_ll4mi_QKV_mfma4_kernelI14__hip_bfloat16S0_LN4vllm18Fp8KVCacheDataTypeE0EhLi32ELi128ELi256ELb0ELi1EEvPKT_PKT0_S8_ifPKiSA_SA_iPKfiiiPfSD_PS3_PT2_iSC_SC_.has_dyn_sized_stack, or(0, .L__assert_fail.has_dyn_sized_stack)
	.set _Z38paged_attention_ll4mi_QKV_mfma4_kernelI14__hip_bfloat16S0_LN4vllm18Fp8KVCacheDataTypeE0EhLi32ELi128ELi256ELb0ELi1EEvPKT_PKT0_S8_ifPKiSA_SA_iPKfiiiPfSD_PS3_PT2_iSC_SC_.has_recursion, or(0, .L__assert_fail.has_recursion)
	.set _Z38paged_attention_ll4mi_QKV_mfma4_kernelI14__hip_bfloat16S0_LN4vllm18Fp8KVCacheDataTypeE0EhLi32ELi128ELi256ELb0ELi1EEvPKT_PKT0_S8_ifPKiSA_SA_iPKfiiiPfSD_PS3_PT2_iSC_SC_.has_indirect_call, or(0, .L__assert_fail.has_indirect_call)
	.section	.AMDGPU.csdata,"",@progbits
; Kernel info:
; codeLenInByte = 68
; TotalNumSgprs: 36
; NumVgprs: 51
; ScratchSize: 64
; MemoryBound: 0
; FloatMode: 240
; IeeeMode: 1
; LDSByteSize: 0 bytes/workgroup (compile time only)
; SGPRBlocks: 0
; VGPRBlocks: 3
; NumSGPRsForWavesPerEU: 36
; NumVGPRsForWavesPerEU: 51
; NamedBarCnt: 0
; Occupancy: 16
; WaveLimiterHint : 1
; COMPUTE_PGM_RSRC2:SCRATCH_EN: 1
; COMPUTE_PGM_RSRC2:USER_SGPR: 2
; COMPUTE_PGM_RSRC2:TRAP_HANDLER: 0
; COMPUTE_PGM_RSRC2:TGID_X_EN: 1
; COMPUTE_PGM_RSRC2:TGID_Y_EN: 0
; COMPUTE_PGM_RSRC2:TGID_Z_EN: 0
; COMPUTE_PGM_RSRC2:TIDIG_COMP_CNT: 0
	.section	.text._Z38paged_attention_ll4mi_QKV_mfma4_kernelI14__hip_bfloat16S0_LN4vllm18Fp8KVCacheDataTypeE0EhLi32ELi128ELi256ELb0ELi2EEvPKT_PKT0_S8_ifPKiSA_SA_iPKfiiiPfSD_PS3_PT2_iSC_SC_,"axG",@progbits,_Z38paged_attention_ll4mi_QKV_mfma4_kernelI14__hip_bfloat16S0_LN4vllm18Fp8KVCacheDataTypeE0EhLi32ELi128ELi256ELb0ELi2EEvPKT_PKT0_S8_ifPKiSA_SA_iPKfiiiPfSD_PS3_PT2_iSC_SC_,comdat
	.protected	_Z38paged_attention_ll4mi_QKV_mfma4_kernelI14__hip_bfloat16S0_LN4vllm18Fp8KVCacheDataTypeE0EhLi32ELi128ELi256ELb0ELi2EEvPKT_PKT0_S8_ifPKiSA_SA_iPKfiiiPfSD_PS3_PT2_iSC_SC_ ; -- Begin function _Z38paged_attention_ll4mi_QKV_mfma4_kernelI14__hip_bfloat16S0_LN4vllm18Fp8KVCacheDataTypeE0EhLi32ELi128ELi256ELb0ELi2EEvPKT_PKT0_S8_ifPKiSA_SA_iPKfiiiPfSD_PS3_PT2_iSC_SC_
	.globl	_Z38paged_attention_ll4mi_QKV_mfma4_kernelI14__hip_bfloat16S0_LN4vllm18Fp8KVCacheDataTypeE0EhLi32ELi128ELi256ELb0ELi2EEvPKT_PKT0_S8_ifPKiSA_SA_iPKfiiiPfSD_PS3_PT2_iSC_SC_
	.p2align	8
	.type	_Z38paged_attention_ll4mi_QKV_mfma4_kernelI14__hip_bfloat16S0_LN4vllm18Fp8KVCacheDataTypeE0EhLi32ELi128ELi256ELb0ELi2EEvPKT_PKT0_S8_ifPKiSA_SA_iPKfiiiPfSD_PS3_PT2_iSC_SC_,@function
_Z38paged_attention_ll4mi_QKV_mfma4_kernelI14__hip_bfloat16S0_LN4vllm18Fp8KVCacheDataTypeE0EhLi32ELi128ELi256ELb0ELi2EEvPKT_PKT0_S8_ifPKiSA_SA_iPKfiiiPfSD_PS3_PT2_iSC_SC_: ; @_Z38paged_attention_ll4mi_QKV_mfma4_kernelI14__hip_bfloat16S0_LN4vllm18Fp8KVCacheDataTypeE0EhLi32ELi128ELi256ELb0ELi2EEvPKT_PKT0_S8_ifPKiSA_SA_iPKfiiiPfSD_PS3_PT2_iSC_SC_
; %bb.0:
	s_get_pc_i64 s[2:3]
	s_add_nc_u64 s[2:3], s[2:3], __PRETTY_FUNCTION__._Z38paged_attention_ll4mi_QKV_mfma4_kernelI14__hip_bfloat16S0_LN4vllm18Fp8KVCacheDataTypeE0EhLi32ELi128ELi256ELb0ELi2EEvPKT_PKT0_S8_ifPKiSA_SA_iPKfiiiPfSD_PS3_PT2_iSC_SC_@rel64+4
	s_delay_alu instid0(SALU_CYCLE_1)
	v_dual_mov_b32 v0, 0xbce :: v_dual_mov_b32 v1, s2
	v_mov_b32_e32 v2, s3
	s_add_nc_u64 s[8:9], s[0:1], 0x90
	s_get_pc_i64 s[0:1]
	s_add_nc_u64 s[0:1], s[0:1], __assert_fail@rel64+4
	s_mov_b32 s32, 0
	s_swap_pc_i64 s[30:31], s[0:1]
	.section	.rodata,"a",@progbits
	.p2align	6, 0x0
	.amdhsa_kernel _Z38paged_attention_ll4mi_QKV_mfma4_kernelI14__hip_bfloat16S0_LN4vllm18Fp8KVCacheDataTypeE0EhLi32ELi128ELi256ELb0ELi2EEvPKT_PKT0_S8_ifPKiSA_SA_iPKfiiiPfSD_PS3_PT2_iSC_SC_
		.amdhsa_group_segment_fixed_size 0
		.amdhsa_private_segment_fixed_size 64
		.amdhsa_kernarg_size 400
		.amdhsa_user_sgpr_count 2
		.amdhsa_user_sgpr_dispatch_ptr 0
		.amdhsa_user_sgpr_queue_ptr 0
		.amdhsa_user_sgpr_kernarg_segment_ptr 1
		.amdhsa_user_sgpr_dispatch_id 0
		.amdhsa_user_sgpr_kernarg_preload_length 0
		.amdhsa_user_sgpr_kernarg_preload_offset 0
		.amdhsa_user_sgpr_private_segment_size 0
		.amdhsa_wavefront_size32 1
		.amdhsa_uses_dynamic_stack 0
		.amdhsa_enable_private_segment 1
		.amdhsa_system_sgpr_workgroup_id_x 1
		.amdhsa_system_sgpr_workgroup_id_y 0
		.amdhsa_system_sgpr_workgroup_id_z 0
		.amdhsa_system_sgpr_workgroup_info 0
		.amdhsa_system_vgpr_workitem_id 0
		.amdhsa_next_free_vgpr 51
		.amdhsa_next_free_sgpr 34
		.amdhsa_named_barrier_count 0
		.amdhsa_reserve_vcc 1
		.amdhsa_float_round_mode_32 0
		.amdhsa_float_round_mode_16_64 0
		.amdhsa_float_denorm_mode_32 3
		.amdhsa_float_denorm_mode_16_64 3
		.amdhsa_fp16_overflow 0
		.amdhsa_memory_ordered 1
		.amdhsa_forward_progress 1
		.amdhsa_inst_pref_size 1
		.amdhsa_round_robin_scheduling 0
		.amdhsa_exception_fp_ieee_invalid_op 0
		.amdhsa_exception_fp_denorm_src 0
		.amdhsa_exception_fp_ieee_div_zero 0
		.amdhsa_exception_fp_ieee_overflow 0
		.amdhsa_exception_fp_ieee_underflow 0
		.amdhsa_exception_fp_ieee_inexact 0
		.amdhsa_exception_int_div_zero 0
	.end_amdhsa_kernel
	.section	.text._Z38paged_attention_ll4mi_QKV_mfma4_kernelI14__hip_bfloat16S0_LN4vllm18Fp8KVCacheDataTypeE0EhLi32ELi128ELi256ELb0ELi2EEvPKT_PKT0_S8_ifPKiSA_SA_iPKfiiiPfSD_PS3_PT2_iSC_SC_,"axG",@progbits,_Z38paged_attention_ll4mi_QKV_mfma4_kernelI14__hip_bfloat16S0_LN4vllm18Fp8KVCacheDataTypeE0EhLi32ELi128ELi256ELb0ELi2EEvPKT_PKT0_S8_ifPKiSA_SA_iPKfiiiPfSD_PS3_PT2_iSC_SC_,comdat
.Lfunc_end711:
	.size	_Z38paged_attention_ll4mi_QKV_mfma4_kernelI14__hip_bfloat16S0_LN4vllm18Fp8KVCacheDataTypeE0EhLi32ELi128ELi256ELb0ELi2EEvPKT_PKT0_S8_ifPKiSA_SA_iPKfiiiPfSD_PS3_PT2_iSC_SC_, .Lfunc_end711-_Z38paged_attention_ll4mi_QKV_mfma4_kernelI14__hip_bfloat16S0_LN4vllm18Fp8KVCacheDataTypeE0EhLi32ELi128ELi256ELb0ELi2EEvPKT_PKT0_S8_ifPKiSA_SA_iPKfiiiPfSD_PS3_PT2_iSC_SC_
                                        ; -- End function
	.set _Z38paged_attention_ll4mi_QKV_mfma4_kernelI14__hip_bfloat16S0_LN4vllm18Fp8KVCacheDataTypeE0EhLi32ELi128ELi256ELb0ELi2EEvPKT_PKT0_S8_ifPKiSA_SA_iPKfiiiPfSD_PS3_PT2_iSC_SC_.num_vgpr, max(3, .L__assert_fail.num_vgpr)
	.set _Z38paged_attention_ll4mi_QKV_mfma4_kernelI14__hip_bfloat16S0_LN4vllm18Fp8KVCacheDataTypeE0EhLi32ELi128ELi256ELb0ELi2EEvPKT_PKT0_S8_ifPKiSA_SA_iPKfiiiPfSD_PS3_PT2_iSC_SC_.num_agpr, max(0, .L__assert_fail.num_agpr)
	.set _Z38paged_attention_ll4mi_QKV_mfma4_kernelI14__hip_bfloat16S0_LN4vllm18Fp8KVCacheDataTypeE0EhLi32ELi128ELi256ELb0ELi2EEvPKT_PKT0_S8_ifPKiSA_SA_iPKfiiiPfSD_PS3_PT2_iSC_SC_.numbered_sgpr, max(33, .L__assert_fail.numbered_sgpr)
	.set _Z38paged_attention_ll4mi_QKV_mfma4_kernelI14__hip_bfloat16S0_LN4vllm18Fp8KVCacheDataTypeE0EhLi32ELi128ELi256ELb0ELi2EEvPKT_PKT0_S8_ifPKiSA_SA_iPKfiiiPfSD_PS3_PT2_iSC_SC_.num_named_barrier, max(0, .L__assert_fail.num_named_barrier)
	.set _Z38paged_attention_ll4mi_QKV_mfma4_kernelI14__hip_bfloat16S0_LN4vllm18Fp8KVCacheDataTypeE0EhLi32ELi128ELi256ELb0ELi2EEvPKT_PKT0_S8_ifPKiSA_SA_iPKfiiiPfSD_PS3_PT2_iSC_SC_.private_seg_size, 0+max(.L__assert_fail.private_seg_size)
	.set _Z38paged_attention_ll4mi_QKV_mfma4_kernelI14__hip_bfloat16S0_LN4vllm18Fp8KVCacheDataTypeE0EhLi32ELi128ELi256ELb0ELi2EEvPKT_PKT0_S8_ifPKiSA_SA_iPKfiiiPfSD_PS3_PT2_iSC_SC_.uses_vcc, or(1, .L__assert_fail.uses_vcc)
	.set _Z38paged_attention_ll4mi_QKV_mfma4_kernelI14__hip_bfloat16S0_LN4vllm18Fp8KVCacheDataTypeE0EhLi32ELi128ELi256ELb0ELi2EEvPKT_PKT0_S8_ifPKiSA_SA_iPKfiiiPfSD_PS3_PT2_iSC_SC_.uses_flat_scratch, or(0, .L__assert_fail.uses_flat_scratch)
	.set _Z38paged_attention_ll4mi_QKV_mfma4_kernelI14__hip_bfloat16S0_LN4vllm18Fp8KVCacheDataTypeE0EhLi32ELi128ELi256ELb0ELi2EEvPKT_PKT0_S8_ifPKiSA_SA_iPKfiiiPfSD_PS3_PT2_iSC_SC_.has_dyn_sized_stack, or(0, .L__assert_fail.has_dyn_sized_stack)
	.set _Z38paged_attention_ll4mi_QKV_mfma4_kernelI14__hip_bfloat16S0_LN4vllm18Fp8KVCacheDataTypeE0EhLi32ELi128ELi256ELb0ELi2EEvPKT_PKT0_S8_ifPKiSA_SA_iPKfiiiPfSD_PS3_PT2_iSC_SC_.has_recursion, or(0, .L__assert_fail.has_recursion)
	.set _Z38paged_attention_ll4mi_QKV_mfma4_kernelI14__hip_bfloat16S0_LN4vllm18Fp8KVCacheDataTypeE0EhLi32ELi128ELi256ELb0ELi2EEvPKT_PKT0_S8_ifPKiSA_SA_iPKfiiiPfSD_PS3_PT2_iSC_SC_.has_indirect_call, or(0, .L__assert_fail.has_indirect_call)
	.section	.AMDGPU.csdata,"",@progbits
; Kernel info:
; codeLenInByte = 68
; TotalNumSgprs: 36
; NumVgprs: 51
; ScratchSize: 64
; MemoryBound: 0
; FloatMode: 240
; IeeeMode: 1
; LDSByteSize: 0 bytes/workgroup (compile time only)
; SGPRBlocks: 0
; VGPRBlocks: 3
; NumSGPRsForWavesPerEU: 36
; NumVGPRsForWavesPerEU: 51
; NamedBarCnt: 0
; Occupancy: 16
; WaveLimiterHint : 1
; COMPUTE_PGM_RSRC2:SCRATCH_EN: 1
; COMPUTE_PGM_RSRC2:USER_SGPR: 2
; COMPUTE_PGM_RSRC2:TRAP_HANDLER: 0
; COMPUTE_PGM_RSRC2:TGID_X_EN: 1
; COMPUTE_PGM_RSRC2:TGID_Y_EN: 0
; COMPUTE_PGM_RSRC2:TGID_Z_EN: 0
; COMPUTE_PGM_RSRC2:TIDIG_COMP_CNT: 0
	.section	.text._Z38paged_attention_ll4mi_QKV_mfma4_kernelI14__hip_bfloat16S0_LN4vllm18Fp8KVCacheDataTypeE0EhLi32ELi128ELi256ELb0ELi3EEvPKT_PKT0_S8_ifPKiSA_SA_iPKfiiiPfSD_PS3_PT2_iSC_SC_,"axG",@progbits,_Z38paged_attention_ll4mi_QKV_mfma4_kernelI14__hip_bfloat16S0_LN4vllm18Fp8KVCacheDataTypeE0EhLi32ELi128ELi256ELb0ELi3EEvPKT_PKT0_S8_ifPKiSA_SA_iPKfiiiPfSD_PS3_PT2_iSC_SC_,comdat
	.protected	_Z38paged_attention_ll4mi_QKV_mfma4_kernelI14__hip_bfloat16S0_LN4vllm18Fp8KVCacheDataTypeE0EhLi32ELi128ELi256ELb0ELi3EEvPKT_PKT0_S8_ifPKiSA_SA_iPKfiiiPfSD_PS3_PT2_iSC_SC_ ; -- Begin function _Z38paged_attention_ll4mi_QKV_mfma4_kernelI14__hip_bfloat16S0_LN4vllm18Fp8KVCacheDataTypeE0EhLi32ELi128ELi256ELb0ELi3EEvPKT_PKT0_S8_ifPKiSA_SA_iPKfiiiPfSD_PS3_PT2_iSC_SC_
	.globl	_Z38paged_attention_ll4mi_QKV_mfma4_kernelI14__hip_bfloat16S0_LN4vllm18Fp8KVCacheDataTypeE0EhLi32ELi128ELi256ELb0ELi3EEvPKT_PKT0_S8_ifPKiSA_SA_iPKfiiiPfSD_PS3_PT2_iSC_SC_
	.p2align	8
	.type	_Z38paged_attention_ll4mi_QKV_mfma4_kernelI14__hip_bfloat16S0_LN4vllm18Fp8KVCacheDataTypeE0EhLi32ELi128ELi256ELb0ELi3EEvPKT_PKT0_S8_ifPKiSA_SA_iPKfiiiPfSD_PS3_PT2_iSC_SC_,@function
_Z38paged_attention_ll4mi_QKV_mfma4_kernelI14__hip_bfloat16S0_LN4vllm18Fp8KVCacheDataTypeE0EhLi32ELi128ELi256ELb0ELi3EEvPKT_PKT0_S8_ifPKiSA_SA_iPKfiiiPfSD_PS3_PT2_iSC_SC_: ; @_Z38paged_attention_ll4mi_QKV_mfma4_kernelI14__hip_bfloat16S0_LN4vllm18Fp8KVCacheDataTypeE0EhLi32ELi128ELi256ELb0ELi3EEvPKT_PKT0_S8_ifPKiSA_SA_iPKfiiiPfSD_PS3_PT2_iSC_SC_
; %bb.0:
	s_get_pc_i64 s[2:3]
	s_add_nc_u64 s[2:3], s[2:3], __PRETTY_FUNCTION__._Z38paged_attention_ll4mi_QKV_mfma4_kernelI14__hip_bfloat16S0_LN4vllm18Fp8KVCacheDataTypeE0EhLi32ELi128ELi256ELb0ELi3EEvPKT_PKT0_S8_ifPKiSA_SA_iPKfiiiPfSD_PS3_PT2_iSC_SC_@rel64+4
	s_delay_alu instid0(SALU_CYCLE_1)
	v_dual_mov_b32 v0, 0xbce :: v_dual_mov_b32 v1, s2
	v_mov_b32_e32 v2, s3
	s_add_nc_u64 s[8:9], s[0:1], 0x90
	s_get_pc_i64 s[0:1]
	s_add_nc_u64 s[0:1], s[0:1], __assert_fail@rel64+4
	s_mov_b32 s32, 0
	s_swap_pc_i64 s[30:31], s[0:1]
	.section	.rodata,"a",@progbits
	.p2align	6, 0x0
	.amdhsa_kernel _Z38paged_attention_ll4mi_QKV_mfma4_kernelI14__hip_bfloat16S0_LN4vllm18Fp8KVCacheDataTypeE0EhLi32ELi128ELi256ELb0ELi3EEvPKT_PKT0_S8_ifPKiSA_SA_iPKfiiiPfSD_PS3_PT2_iSC_SC_
		.amdhsa_group_segment_fixed_size 0
		.amdhsa_private_segment_fixed_size 64
		.amdhsa_kernarg_size 400
		.amdhsa_user_sgpr_count 2
		.amdhsa_user_sgpr_dispatch_ptr 0
		.amdhsa_user_sgpr_queue_ptr 0
		.amdhsa_user_sgpr_kernarg_segment_ptr 1
		.amdhsa_user_sgpr_dispatch_id 0
		.amdhsa_user_sgpr_kernarg_preload_length 0
		.amdhsa_user_sgpr_kernarg_preload_offset 0
		.amdhsa_user_sgpr_private_segment_size 0
		.amdhsa_wavefront_size32 1
		.amdhsa_uses_dynamic_stack 0
		.amdhsa_enable_private_segment 1
		.amdhsa_system_sgpr_workgroup_id_x 1
		.amdhsa_system_sgpr_workgroup_id_y 0
		.amdhsa_system_sgpr_workgroup_id_z 0
		.amdhsa_system_sgpr_workgroup_info 0
		.amdhsa_system_vgpr_workitem_id 0
		.amdhsa_next_free_vgpr 51
		.amdhsa_next_free_sgpr 34
		.amdhsa_named_barrier_count 0
		.amdhsa_reserve_vcc 1
		.amdhsa_float_round_mode_32 0
		.amdhsa_float_round_mode_16_64 0
		.amdhsa_float_denorm_mode_32 3
		.amdhsa_float_denorm_mode_16_64 3
		.amdhsa_fp16_overflow 0
		.amdhsa_memory_ordered 1
		.amdhsa_forward_progress 1
		.amdhsa_inst_pref_size 1
		.amdhsa_round_robin_scheduling 0
		.amdhsa_exception_fp_ieee_invalid_op 0
		.amdhsa_exception_fp_denorm_src 0
		.amdhsa_exception_fp_ieee_div_zero 0
		.amdhsa_exception_fp_ieee_overflow 0
		.amdhsa_exception_fp_ieee_underflow 0
		.amdhsa_exception_fp_ieee_inexact 0
		.amdhsa_exception_int_div_zero 0
	.end_amdhsa_kernel
	.section	.text._Z38paged_attention_ll4mi_QKV_mfma4_kernelI14__hip_bfloat16S0_LN4vllm18Fp8KVCacheDataTypeE0EhLi32ELi128ELi256ELb0ELi3EEvPKT_PKT0_S8_ifPKiSA_SA_iPKfiiiPfSD_PS3_PT2_iSC_SC_,"axG",@progbits,_Z38paged_attention_ll4mi_QKV_mfma4_kernelI14__hip_bfloat16S0_LN4vllm18Fp8KVCacheDataTypeE0EhLi32ELi128ELi256ELb0ELi3EEvPKT_PKT0_S8_ifPKiSA_SA_iPKfiiiPfSD_PS3_PT2_iSC_SC_,comdat
.Lfunc_end712:
	.size	_Z38paged_attention_ll4mi_QKV_mfma4_kernelI14__hip_bfloat16S0_LN4vllm18Fp8KVCacheDataTypeE0EhLi32ELi128ELi256ELb0ELi3EEvPKT_PKT0_S8_ifPKiSA_SA_iPKfiiiPfSD_PS3_PT2_iSC_SC_, .Lfunc_end712-_Z38paged_attention_ll4mi_QKV_mfma4_kernelI14__hip_bfloat16S0_LN4vllm18Fp8KVCacheDataTypeE0EhLi32ELi128ELi256ELb0ELi3EEvPKT_PKT0_S8_ifPKiSA_SA_iPKfiiiPfSD_PS3_PT2_iSC_SC_
                                        ; -- End function
	.set _Z38paged_attention_ll4mi_QKV_mfma4_kernelI14__hip_bfloat16S0_LN4vllm18Fp8KVCacheDataTypeE0EhLi32ELi128ELi256ELb0ELi3EEvPKT_PKT0_S8_ifPKiSA_SA_iPKfiiiPfSD_PS3_PT2_iSC_SC_.num_vgpr, max(3, .L__assert_fail.num_vgpr)
	.set _Z38paged_attention_ll4mi_QKV_mfma4_kernelI14__hip_bfloat16S0_LN4vllm18Fp8KVCacheDataTypeE0EhLi32ELi128ELi256ELb0ELi3EEvPKT_PKT0_S8_ifPKiSA_SA_iPKfiiiPfSD_PS3_PT2_iSC_SC_.num_agpr, max(0, .L__assert_fail.num_agpr)
	.set _Z38paged_attention_ll4mi_QKV_mfma4_kernelI14__hip_bfloat16S0_LN4vllm18Fp8KVCacheDataTypeE0EhLi32ELi128ELi256ELb0ELi3EEvPKT_PKT0_S8_ifPKiSA_SA_iPKfiiiPfSD_PS3_PT2_iSC_SC_.numbered_sgpr, max(33, .L__assert_fail.numbered_sgpr)
	.set _Z38paged_attention_ll4mi_QKV_mfma4_kernelI14__hip_bfloat16S0_LN4vllm18Fp8KVCacheDataTypeE0EhLi32ELi128ELi256ELb0ELi3EEvPKT_PKT0_S8_ifPKiSA_SA_iPKfiiiPfSD_PS3_PT2_iSC_SC_.num_named_barrier, max(0, .L__assert_fail.num_named_barrier)
	.set _Z38paged_attention_ll4mi_QKV_mfma4_kernelI14__hip_bfloat16S0_LN4vllm18Fp8KVCacheDataTypeE0EhLi32ELi128ELi256ELb0ELi3EEvPKT_PKT0_S8_ifPKiSA_SA_iPKfiiiPfSD_PS3_PT2_iSC_SC_.private_seg_size, 0+max(.L__assert_fail.private_seg_size)
	.set _Z38paged_attention_ll4mi_QKV_mfma4_kernelI14__hip_bfloat16S0_LN4vllm18Fp8KVCacheDataTypeE0EhLi32ELi128ELi256ELb0ELi3EEvPKT_PKT0_S8_ifPKiSA_SA_iPKfiiiPfSD_PS3_PT2_iSC_SC_.uses_vcc, or(1, .L__assert_fail.uses_vcc)
	.set _Z38paged_attention_ll4mi_QKV_mfma4_kernelI14__hip_bfloat16S0_LN4vllm18Fp8KVCacheDataTypeE0EhLi32ELi128ELi256ELb0ELi3EEvPKT_PKT0_S8_ifPKiSA_SA_iPKfiiiPfSD_PS3_PT2_iSC_SC_.uses_flat_scratch, or(0, .L__assert_fail.uses_flat_scratch)
	.set _Z38paged_attention_ll4mi_QKV_mfma4_kernelI14__hip_bfloat16S0_LN4vllm18Fp8KVCacheDataTypeE0EhLi32ELi128ELi256ELb0ELi3EEvPKT_PKT0_S8_ifPKiSA_SA_iPKfiiiPfSD_PS3_PT2_iSC_SC_.has_dyn_sized_stack, or(0, .L__assert_fail.has_dyn_sized_stack)
	.set _Z38paged_attention_ll4mi_QKV_mfma4_kernelI14__hip_bfloat16S0_LN4vllm18Fp8KVCacheDataTypeE0EhLi32ELi128ELi256ELb0ELi3EEvPKT_PKT0_S8_ifPKiSA_SA_iPKfiiiPfSD_PS3_PT2_iSC_SC_.has_recursion, or(0, .L__assert_fail.has_recursion)
	.set _Z38paged_attention_ll4mi_QKV_mfma4_kernelI14__hip_bfloat16S0_LN4vllm18Fp8KVCacheDataTypeE0EhLi32ELi128ELi256ELb0ELi3EEvPKT_PKT0_S8_ifPKiSA_SA_iPKfiiiPfSD_PS3_PT2_iSC_SC_.has_indirect_call, or(0, .L__assert_fail.has_indirect_call)
	.section	.AMDGPU.csdata,"",@progbits
; Kernel info:
; codeLenInByte = 68
; TotalNumSgprs: 36
; NumVgprs: 51
; ScratchSize: 64
; MemoryBound: 0
; FloatMode: 240
; IeeeMode: 1
; LDSByteSize: 0 bytes/workgroup (compile time only)
; SGPRBlocks: 0
; VGPRBlocks: 3
; NumSGPRsForWavesPerEU: 36
; NumVGPRsForWavesPerEU: 51
; NamedBarCnt: 0
; Occupancy: 16
; WaveLimiterHint : 1
; COMPUTE_PGM_RSRC2:SCRATCH_EN: 1
; COMPUTE_PGM_RSRC2:USER_SGPR: 2
; COMPUTE_PGM_RSRC2:TRAP_HANDLER: 0
; COMPUTE_PGM_RSRC2:TGID_X_EN: 1
; COMPUTE_PGM_RSRC2:TGID_Y_EN: 0
; COMPUTE_PGM_RSRC2:TGID_Z_EN: 0
; COMPUTE_PGM_RSRC2:TIDIG_COMP_CNT: 0
	.section	.text._Z38paged_attention_ll4mi_QKV_mfma4_kernelI14__hip_bfloat16S0_LN4vllm18Fp8KVCacheDataTypeE0EhLi32ELi128ELi256ELb0ELi4EEvPKT_PKT0_S8_ifPKiSA_SA_iPKfiiiPfSD_PS3_PT2_iSC_SC_,"axG",@progbits,_Z38paged_attention_ll4mi_QKV_mfma4_kernelI14__hip_bfloat16S0_LN4vllm18Fp8KVCacheDataTypeE0EhLi32ELi128ELi256ELb0ELi4EEvPKT_PKT0_S8_ifPKiSA_SA_iPKfiiiPfSD_PS3_PT2_iSC_SC_,comdat
	.protected	_Z38paged_attention_ll4mi_QKV_mfma4_kernelI14__hip_bfloat16S0_LN4vllm18Fp8KVCacheDataTypeE0EhLi32ELi128ELi256ELb0ELi4EEvPKT_PKT0_S8_ifPKiSA_SA_iPKfiiiPfSD_PS3_PT2_iSC_SC_ ; -- Begin function _Z38paged_attention_ll4mi_QKV_mfma4_kernelI14__hip_bfloat16S0_LN4vllm18Fp8KVCacheDataTypeE0EhLi32ELi128ELi256ELb0ELi4EEvPKT_PKT0_S8_ifPKiSA_SA_iPKfiiiPfSD_PS3_PT2_iSC_SC_
	.globl	_Z38paged_attention_ll4mi_QKV_mfma4_kernelI14__hip_bfloat16S0_LN4vllm18Fp8KVCacheDataTypeE0EhLi32ELi128ELi256ELb0ELi4EEvPKT_PKT0_S8_ifPKiSA_SA_iPKfiiiPfSD_PS3_PT2_iSC_SC_
	.p2align	8
	.type	_Z38paged_attention_ll4mi_QKV_mfma4_kernelI14__hip_bfloat16S0_LN4vllm18Fp8KVCacheDataTypeE0EhLi32ELi128ELi256ELb0ELi4EEvPKT_PKT0_S8_ifPKiSA_SA_iPKfiiiPfSD_PS3_PT2_iSC_SC_,@function
_Z38paged_attention_ll4mi_QKV_mfma4_kernelI14__hip_bfloat16S0_LN4vllm18Fp8KVCacheDataTypeE0EhLi32ELi128ELi256ELb0ELi4EEvPKT_PKT0_S8_ifPKiSA_SA_iPKfiiiPfSD_PS3_PT2_iSC_SC_: ; @_Z38paged_attention_ll4mi_QKV_mfma4_kernelI14__hip_bfloat16S0_LN4vllm18Fp8KVCacheDataTypeE0EhLi32ELi128ELi256ELb0ELi4EEvPKT_PKT0_S8_ifPKiSA_SA_iPKfiiiPfSD_PS3_PT2_iSC_SC_
; %bb.0:
	s_get_pc_i64 s[2:3]
	s_add_nc_u64 s[2:3], s[2:3], __PRETTY_FUNCTION__._Z38paged_attention_ll4mi_QKV_mfma4_kernelI14__hip_bfloat16S0_LN4vllm18Fp8KVCacheDataTypeE0EhLi32ELi128ELi256ELb0ELi4EEvPKT_PKT0_S8_ifPKiSA_SA_iPKfiiiPfSD_PS3_PT2_iSC_SC_@rel64+4
	s_delay_alu instid0(SALU_CYCLE_1)
	v_dual_mov_b32 v0, 0xbce :: v_dual_mov_b32 v1, s2
	v_mov_b32_e32 v2, s3
	s_add_nc_u64 s[8:9], s[0:1], 0x90
	s_get_pc_i64 s[0:1]
	s_add_nc_u64 s[0:1], s[0:1], __assert_fail@rel64+4
	s_mov_b32 s32, 0
	s_swap_pc_i64 s[30:31], s[0:1]
	.section	.rodata,"a",@progbits
	.p2align	6, 0x0
	.amdhsa_kernel _Z38paged_attention_ll4mi_QKV_mfma4_kernelI14__hip_bfloat16S0_LN4vllm18Fp8KVCacheDataTypeE0EhLi32ELi128ELi256ELb0ELi4EEvPKT_PKT0_S8_ifPKiSA_SA_iPKfiiiPfSD_PS3_PT2_iSC_SC_
		.amdhsa_group_segment_fixed_size 0
		.amdhsa_private_segment_fixed_size 64
		.amdhsa_kernarg_size 400
		.amdhsa_user_sgpr_count 2
		.amdhsa_user_sgpr_dispatch_ptr 0
		.amdhsa_user_sgpr_queue_ptr 0
		.amdhsa_user_sgpr_kernarg_segment_ptr 1
		.amdhsa_user_sgpr_dispatch_id 0
		.amdhsa_user_sgpr_kernarg_preload_length 0
		.amdhsa_user_sgpr_kernarg_preload_offset 0
		.amdhsa_user_sgpr_private_segment_size 0
		.amdhsa_wavefront_size32 1
		.amdhsa_uses_dynamic_stack 0
		.amdhsa_enable_private_segment 1
		.amdhsa_system_sgpr_workgroup_id_x 1
		.amdhsa_system_sgpr_workgroup_id_y 0
		.amdhsa_system_sgpr_workgroup_id_z 0
		.amdhsa_system_sgpr_workgroup_info 0
		.amdhsa_system_vgpr_workitem_id 0
		.amdhsa_next_free_vgpr 51
		.amdhsa_next_free_sgpr 34
		.amdhsa_named_barrier_count 0
		.amdhsa_reserve_vcc 1
		.amdhsa_float_round_mode_32 0
		.amdhsa_float_round_mode_16_64 0
		.amdhsa_float_denorm_mode_32 3
		.amdhsa_float_denorm_mode_16_64 3
		.amdhsa_fp16_overflow 0
		.amdhsa_memory_ordered 1
		.amdhsa_forward_progress 1
		.amdhsa_inst_pref_size 1
		.amdhsa_round_robin_scheduling 0
		.amdhsa_exception_fp_ieee_invalid_op 0
		.amdhsa_exception_fp_denorm_src 0
		.amdhsa_exception_fp_ieee_div_zero 0
		.amdhsa_exception_fp_ieee_overflow 0
		.amdhsa_exception_fp_ieee_underflow 0
		.amdhsa_exception_fp_ieee_inexact 0
		.amdhsa_exception_int_div_zero 0
	.end_amdhsa_kernel
	.section	.text._Z38paged_attention_ll4mi_QKV_mfma4_kernelI14__hip_bfloat16S0_LN4vllm18Fp8KVCacheDataTypeE0EhLi32ELi128ELi256ELb0ELi4EEvPKT_PKT0_S8_ifPKiSA_SA_iPKfiiiPfSD_PS3_PT2_iSC_SC_,"axG",@progbits,_Z38paged_attention_ll4mi_QKV_mfma4_kernelI14__hip_bfloat16S0_LN4vllm18Fp8KVCacheDataTypeE0EhLi32ELi128ELi256ELb0ELi4EEvPKT_PKT0_S8_ifPKiSA_SA_iPKfiiiPfSD_PS3_PT2_iSC_SC_,comdat
.Lfunc_end713:
	.size	_Z38paged_attention_ll4mi_QKV_mfma4_kernelI14__hip_bfloat16S0_LN4vllm18Fp8KVCacheDataTypeE0EhLi32ELi128ELi256ELb0ELi4EEvPKT_PKT0_S8_ifPKiSA_SA_iPKfiiiPfSD_PS3_PT2_iSC_SC_, .Lfunc_end713-_Z38paged_attention_ll4mi_QKV_mfma4_kernelI14__hip_bfloat16S0_LN4vllm18Fp8KVCacheDataTypeE0EhLi32ELi128ELi256ELb0ELi4EEvPKT_PKT0_S8_ifPKiSA_SA_iPKfiiiPfSD_PS3_PT2_iSC_SC_
                                        ; -- End function
	.set _Z38paged_attention_ll4mi_QKV_mfma4_kernelI14__hip_bfloat16S0_LN4vllm18Fp8KVCacheDataTypeE0EhLi32ELi128ELi256ELb0ELi4EEvPKT_PKT0_S8_ifPKiSA_SA_iPKfiiiPfSD_PS3_PT2_iSC_SC_.num_vgpr, max(3, .L__assert_fail.num_vgpr)
	.set _Z38paged_attention_ll4mi_QKV_mfma4_kernelI14__hip_bfloat16S0_LN4vllm18Fp8KVCacheDataTypeE0EhLi32ELi128ELi256ELb0ELi4EEvPKT_PKT0_S8_ifPKiSA_SA_iPKfiiiPfSD_PS3_PT2_iSC_SC_.num_agpr, max(0, .L__assert_fail.num_agpr)
	.set _Z38paged_attention_ll4mi_QKV_mfma4_kernelI14__hip_bfloat16S0_LN4vllm18Fp8KVCacheDataTypeE0EhLi32ELi128ELi256ELb0ELi4EEvPKT_PKT0_S8_ifPKiSA_SA_iPKfiiiPfSD_PS3_PT2_iSC_SC_.numbered_sgpr, max(33, .L__assert_fail.numbered_sgpr)
	.set _Z38paged_attention_ll4mi_QKV_mfma4_kernelI14__hip_bfloat16S0_LN4vllm18Fp8KVCacheDataTypeE0EhLi32ELi128ELi256ELb0ELi4EEvPKT_PKT0_S8_ifPKiSA_SA_iPKfiiiPfSD_PS3_PT2_iSC_SC_.num_named_barrier, max(0, .L__assert_fail.num_named_barrier)
	.set _Z38paged_attention_ll4mi_QKV_mfma4_kernelI14__hip_bfloat16S0_LN4vllm18Fp8KVCacheDataTypeE0EhLi32ELi128ELi256ELb0ELi4EEvPKT_PKT0_S8_ifPKiSA_SA_iPKfiiiPfSD_PS3_PT2_iSC_SC_.private_seg_size, 0+max(.L__assert_fail.private_seg_size)
	.set _Z38paged_attention_ll4mi_QKV_mfma4_kernelI14__hip_bfloat16S0_LN4vllm18Fp8KVCacheDataTypeE0EhLi32ELi128ELi256ELb0ELi4EEvPKT_PKT0_S8_ifPKiSA_SA_iPKfiiiPfSD_PS3_PT2_iSC_SC_.uses_vcc, or(1, .L__assert_fail.uses_vcc)
	.set _Z38paged_attention_ll4mi_QKV_mfma4_kernelI14__hip_bfloat16S0_LN4vllm18Fp8KVCacheDataTypeE0EhLi32ELi128ELi256ELb0ELi4EEvPKT_PKT0_S8_ifPKiSA_SA_iPKfiiiPfSD_PS3_PT2_iSC_SC_.uses_flat_scratch, or(0, .L__assert_fail.uses_flat_scratch)
	.set _Z38paged_attention_ll4mi_QKV_mfma4_kernelI14__hip_bfloat16S0_LN4vllm18Fp8KVCacheDataTypeE0EhLi32ELi128ELi256ELb0ELi4EEvPKT_PKT0_S8_ifPKiSA_SA_iPKfiiiPfSD_PS3_PT2_iSC_SC_.has_dyn_sized_stack, or(0, .L__assert_fail.has_dyn_sized_stack)
	.set _Z38paged_attention_ll4mi_QKV_mfma4_kernelI14__hip_bfloat16S0_LN4vllm18Fp8KVCacheDataTypeE0EhLi32ELi128ELi256ELb0ELi4EEvPKT_PKT0_S8_ifPKiSA_SA_iPKfiiiPfSD_PS3_PT2_iSC_SC_.has_recursion, or(0, .L__assert_fail.has_recursion)
	.set _Z38paged_attention_ll4mi_QKV_mfma4_kernelI14__hip_bfloat16S0_LN4vllm18Fp8KVCacheDataTypeE0EhLi32ELi128ELi256ELb0ELi4EEvPKT_PKT0_S8_ifPKiSA_SA_iPKfiiiPfSD_PS3_PT2_iSC_SC_.has_indirect_call, or(0, .L__assert_fail.has_indirect_call)
	.section	.AMDGPU.csdata,"",@progbits
; Kernel info:
; codeLenInByte = 68
; TotalNumSgprs: 36
; NumVgprs: 51
; ScratchSize: 64
; MemoryBound: 0
; FloatMode: 240
; IeeeMode: 1
; LDSByteSize: 0 bytes/workgroup (compile time only)
; SGPRBlocks: 0
; VGPRBlocks: 3
; NumSGPRsForWavesPerEU: 36
; NumVGPRsForWavesPerEU: 51
; NamedBarCnt: 0
; Occupancy: 16
; WaveLimiterHint : 1
; COMPUTE_PGM_RSRC2:SCRATCH_EN: 1
; COMPUTE_PGM_RSRC2:USER_SGPR: 2
; COMPUTE_PGM_RSRC2:TRAP_HANDLER: 0
; COMPUTE_PGM_RSRC2:TGID_X_EN: 1
; COMPUTE_PGM_RSRC2:TGID_Y_EN: 0
; COMPUTE_PGM_RSRC2:TGID_Z_EN: 0
; COMPUTE_PGM_RSRC2:TIDIG_COMP_CNT: 0
	.section	.text._Z39paged_attention_ll4mi_QKV_mfma16_kernelI14__hip_bfloat16S0_LN4vllm18Fp8KVCacheDataTypeE0EhLi32ELi128ELi256ELb0ELi5EEvPKT_PKT0_S8_ifPKiSA_SA_iPKfiiiPfSD_PS3_PT2_iSC_SC_,"axG",@progbits,_Z39paged_attention_ll4mi_QKV_mfma16_kernelI14__hip_bfloat16S0_LN4vllm18Fp8KVCacheDataTypeE0EhLi32ELi128ELi256ELb0ELi5EEvPKT_PKT0_S8_ifPKiSA_SA_iPKfiiiPfSD_PS3_PT2_iSC_SC_,comdat
	.protected	_Z39paged_attention_ll4mi_QKV_mfma16_kernelI14__hip_bfloat16S0_LN4vllm18Fp8KVCacheDataTypeE0EhLi32ELi128ELi256ELb0ELi5EEvPKT_PKT0_S8_ifPKiSA_SA_iPKfiiiPfSD_PS3_PT2_iSC_SC_ ; -- Begin function _Z39paged_attention_ll4mi_QKV_mfma16_kernelI14__hip_bfloat16S0_LN4vllm18Fp8KVCacheDataTypeE0EhLi32ELi128ELi256ELb0ELi5EEvPKT_PKT0_S8_ifPKiSA_SA_iPKfiiiPfSD_PS3_PT2_iSC_SC_
	.globl	_Z39paged_attention_ll4mi_QKV_mfma16_kernelI14__hip_bfloat16S0_LN4vllm18Fp8KVCacheDataTypeE0EhLi32ELi128ELi256ELb0ELi5EEvPKT_PKT0_S8_ifPKiSA_SA_iPKfiiiPfSD_PS3_PT2_iSC_SC_
	.p2align	8
	.type	_Z39paged_attention_ll4mi_QKV_mfma16_kernelI14__hip_bfloat16S0_LN4vllm18Fp8KVCacheDataTypeE0EhLi32ELi128ELi256ELb0ELi5EEvPKT_PKT0_S8_ifPKiSA_SA_iPKfiiiPfSD_PS3_PT2_iSC_SC_,@function
_Z39paged_attention_ll4mi_QKV_mfma16_kernelI14__hip_bfloat16S0_LN4vllm18Fp8KVCacheDataTypeE0EhLi32ELi128ELi256ELb0ELi5EEvPKT_PKT0_S8_ifPKiSA_SA_iPKfiiiPfSD_PS3_PT2_iSC_SC_: ; @_Z39paged_attention_ll4mi_QKV_mfma16_kernelI14__hip_bfloat16S0_LN4vllm18Fp8KVCacheDataTypeE0EhLi32ELi128ELi256ELb0ELi5EEvPKT_PKT0_S8_ifPKiSA_SA_iPKfiiiPfSD_PS3_PT2_iSC_SC_
; %bb.0:
	s_get_pc_i64 s[2:3]
	s_add_nc_u64 s[2:3], s[2:3], __PRETTY_FUNCTION__._Z39paged_attention_ll4mi_QKV_mfma16_kernelI14__hip_bfloat16S0_LN4vllm18Fp8KVCacheDataTypeE0EhLi32ELi128ELi256ELb0ELi5EEvPKT_PKT0_S8_ifPKiSA_SA_iPKfiiiPfSD_PS3_PT2_iSC_SC_@rel64+4
	s_delay_alu instid0(SALU_CYCLE_1)
	v_dual_mov_b32 v0, 0xbb3 :: v_dual_mov_b32 v1, s2
	v_mov_b32_e32 v2, s3
	s_add_nc_u64 s[8:9], s[0:1], 0x90
	s_get_pc_i64 s[0:1]
	s_add_nc_u64 s[0:1], s[0:1], __assert_fail@rel64+4
	s_mov_b32 s32, 0
	s_swap_pc_i64 s[30:31], s[0:1]
	.section	.rodata,"a",@progbits
	.p2align	6, 0x0
	.amdhsa_kernel _Z39paged_attention_ll4mi_QKV_mfma16_kernelI14__hip_bfloat16S0_LN4vllm18Fp8KVCacheDataTypeE0EhLi32ELi128ELi256ELb0ELi5EEvPKT_PKT0_S8_ifPKiSA_SA_iPKfiiiPfSD_PS3_PT2_iSC_SC_
		.amdhsa_group_segment_fixed_size 0
		.amdhsa_private_segment_fixed_size 64
		.amdhsa_kernarg_size 400
		.amdhsa_user_sgpr_count 2
		.amdhsa_user_sgpr_dispatch_ptr 0
		.amdhsa_user_sgpr_queue_ptr 0
		.amdhsa_user_sgpr_kernarg_segment_ptr 1
		.amdhsa_user_sgpr_dispatch_id 0
		.amdhsa_user_sgpr_kernarg_preload_length 0
		.amdhsa_user_sgpr_kernarg_preload_offset 0
		.amdhsa_user_sgpr_private_segment_size 0
		.amdhsa_wavefront_size32 1
		.amdhsa_uses_dynamic_stack 0
		.amdhsa_enable_private_segment 1
		.amdhsa_system_sgpr_workgroup_id_x 1
		.amdhsa_system_sgpr_workgroup_id_y 0
		.amdhsa_system_sgpr_workgroup_id_z 0
		.amdhsa_system_sgpr_workgroup_info 0
		.amdhsa_system_vgpr_workitem_id 0
		.amdhsa_next_free_vgpr 51
		.amdhsa_next_free_sgpr 34
		.amdhsa_named_barrier_count 0
		.amdhsa_reserve_vcc 1
		.amdhsa_float_round_mode_32 0
		.amdhsa_float_round_mode_16_64 0
		.amdhsa_float_denorm_mode_32 3
		.amdhsa_float_denorm_mode_16_64 3
		.amdhsa_fp16_overflow 0
		.amdhsa_memory_ordered 1
		.amdhsa_forward_progress 1
		.amdhsa_inst_pref_size 1
		.amdhsa_round_robin_scheduling 0
		.amdhsa_exception_fp_ieee_invalid_op 0
		.amdhsa_exception_fp_denorm_src 0
		.amdhsa_exception_fp_ieee_div_zero 0
		.amdhsa_exception_fp_ieee_overflow 0
		.amdhsa_exception_fp_ieee_underflow 0
		.amdhsa_exception_fp_ieee_inexact 0
		.amdhsa_exception_int_div_zero 0
	.end_amdhsa_kernel
	.section	.text._Z39paged_attention_ll4mi_QKV_mfma16_kernelI14__hip_bfloat16S0_LN4vllm18Fp8KVCacheDataTypeE0EhLi32ELi128ELi256ELb0ELi5EEvPKT_PKT0_S8_ifPKiSA_SA_iPKfiiiPfSD_PS3_PT2_iSC_SC_,"axG",@progbits,_Z39paged_attention_ll4mi_QKV_mfma16_kernelI14__hip_bfloat16S0_LN4vllm18Fp8KVCacheDataTypeE0EhLi32ELi128ELi256ELb0ELi5EEvPKT_PKT0_S8_ifPKiSA_SA_iPKfiiiPfSD_PS3_PT2_iSC_SC_,comdat
.Lfunc_end714:
	.size	_Z39paged_attention_ll4mi_QKV_mfma16_kernelI14__hip_bfloat16S0_LN4vllm18Fp8KVCacheDataTypeE0EhLi32ELi128ELi256ELb0ELi5EEvPKT_PKT0_S8_ifPKiSA_SA_iPKfiiiPfSD_PS3_PT2_iSC_SC_, .Lfunc_end714-_Z39paged_attention_ll4mi_QKV_mfma16_kernelI14__hip_bfloat16S0_LN4vllm18Fp8KVCacheDataTypeE0EhLi32ELi128ELi256ELb0ELi5EEvPKT_PKT0_S8_ifPKiSA_SA_iPKfiiiPfSD_PS3_PT2_iSC_SC_
                                        ; -- End function
	.set _Z39paged_attention_ll4mi_QKV_mfma16_kernelI14__hip_bfloat16S0_LN4vllm18Fp8KVCacheDataTypeE0EhLi32ELi128ELi256ELb0ELi5EEvPKT_PKT0_S8_ifPKiSA_SA_iPKfiiiPfSD_PS3_PT2_iSC_SC_.num_vgpr, max(3, .L__assert_fail.num_vgpr)
	.set _Z39paged_attention_ll4mi_QKV_mfma16_kernelI14__hip_bfloat16S0_LN4vllm18Fp8KVCacheDataTypeE0EhLi32ELi128ELi256ELb0ELi5EEvPKT_PKT0_S8_ifPKiSA_SA_iPKfiiiPfSD_PS3_PT2_iSC_SC_.num_agpr, max(0, .L__assert_fail.num_agpr)
	.set _Z39paged_attention_ll4mi_QKV_mfma16_kernelI14__hip_bfloat16S0_LN4vllm18Fp8KVCacheDataTypeE0EhLi32ELi128ELi256ELb0ELi5EEvPKT_PKT0_S8_ifPKiSA_SA_iPKfiiiPfSD_PS3_PT2_iSC_SC_.numbered_sgpr, max(33, .L__assert_fail.numbered_sgpr)
	.set _Z39paged_attention_ll4mi_QKV_mfma16_kernelI14__hip_bfloat16S0_LN4vllm18Fp8KVCacheDataTypeE0EhLi32ELi128ELi256ELb0ELi5EEvPKT_PKT0_S8_ifPKiSA_SA_iPKfiiiPfSD_PS3_PT2_iSC_SC_.num_named_barrier, max(0, .L__assert_fail.num_named_barrier)
	.set _Z39paged_attention_ll4mi_QKV_mfma16_kernelI14__hip_bfloat16S0_LN4vllm18Fp8KVCacheDataTypeE0EhLi32ELi128ELi256ELb0ELi5EEvPKT_PKT0_S8_ifPKiSA_SA_iPKfiiiPfSD_PS3_PT2_iSC_SC_.private_seg_size, 0+max(.L__assert_fail.private_seg_size)
	.set _Z39paged_attention_ll4mi_QKV_mfma16_kernelI14__hip_bfloat16S0_LN4vllm18Fp8KVCacheDataTypeE0EhLi32ELi128ELi256ELb0ELi5EEvPKT_PKT0_S8_ifPKiSA_SA_iPKfiiiPfSD_PS3_PT2_iSC_SC_.uses_vcc, or(1, .L__assert_fail.uses_vcc)
	.set _Z39paged_attention_ll4mi_QKV_mfma16_kernelI14__hip_bfloat16S0_LN4vllm18Fp8KVCacheDataTypeE0EhLi32ELi128ELi256ELb0ELi5EEvPKT_PKT0_S8_ifPKiSA_SA_iPKfiiiPfSD_PS3_PT2_iSC_SC_.uses_flat_scratch, or(0, .L__assert_fail.uses_flat_scratch)
	.set _Z39paged_attention_ll4mi_QKV_mfma16_kernelI14__hip_bfloat16S0_LN4vllm18Fp8KVCacheDataTypeE0EhLi32ELi128ELi256ELb0ELi5EEvPKT_PKT0_S8_ifPKiSA_SA_iPKfiiiPfSD_PS3_PT2_iSC_SC_.has_dyn_sized_stack, or(0, .L__assert_fail.has_dyn_sized_stack)
	.set _Z39paged_attention_ll4mi_QKV_mfma16_kernelI14__hip_bfloat16S0_LN4vllm18Fp8KVCacheDataTypeE0EhLi32ELi128ELi256ELb0ELi5EEvPKT_PKT0_S8_ifPKiSA_SA_iPKfiiiPfSD_PS3_PT2_iSC_SC_.has_recursion, or(0, .L__assert_fail.has_recursion)
	.set _Z39paged_attention_ll4mi_QKV_mfma16_kernelI14__hip_bfloat16S0_LN4vllm18Fp8KVCacheDataTypeE0EhLi32ELi128ELi256ELb0ELi5EEvPKT_PKT0_S8_ifPKiSA_SA_iPKfiiiPfSD_PS3_PT2_iSC_SC_.has_indirect_call, or(0, .L__assert_fail.has_indirect_call)
	.section	.AMDGPU.csdata,"",@progbits
; Kernel info:
; codeLenInByte = 68
; TotalNumSgprs: 36
; NumVgprs: 51
; ScratchSize: 64
; MemoryBound: 0
; FloatMode: 240
; IeeeMode: 1
; LDSByteSize: 0 bytes/workgroup (compile time only)
; SGPRBlocks: 0
; VGPRBlocks: 3
; NumSGPRsForWavesPerEU: 36
; NumVGPRsForWavesPerEU: 51
; NamedBarCnt: 0
; Occupancy: 16
; WaveLimiterHint : 1
; COMPUTE_PGM_RSRC2:SCRATCH_EN: 1
; COMPUTE_PGM_RSRC2:USER_SGPR: 2
; COMPUTE_PGM_RSRC2:TRAP_HANDLER: 0
; COMPUTE_PGM_RSRC2:TGID_X_EN: 1
; COMPUTE_PGM_RSRC2:TGID_Y_EN: 0
; COMPUTE_PGM_RSRC2:TGID_Z_EN: 0
; COMPUTE_PGM_RSRC2:TIDIG_COMP_CNT: 0
	.section	.text._Z39paged_attention_ll4mi_QKV_mfma16_kernelI14__hip_bfloat16S0_LN4vllm18Fp8KVCacheDataTypeE0EhLi32ELi128ELi256ELb0ELi6EEvPKT_PKT0_S8_ifPKiSA_SA_iPKfiiiPfSD_PS3_PT2_iSC_SC_,"axG",@progbits,_Z39paged_attention_ll4mi_QKV_mfma16_kernelI14__hip_bfloat16S0_LN4vllm18Fp8KVCacheDataTypeE0EhLi32ELi128ELi256ELb0ELi6EEvPKT_PKT0_S8_ifPKiSA_SA_iPKfiiiPfSD_PS3_PT2_iSC_SC_,comdat
	.protected	_Z39paged_attention_ll4mi_QKV_mfma16_kernelI14__hip_bfloat16S0_LN4vllm18Fp8KVCacheDataTypeE0EhLi32ELi128ELi256ELb0ELi6EEvPKT_PKT0_S8_ifPKiSA_SA_iPKfiiiPfSD_PS3_PT2_iSC_SC_ ; -- Begin function _Z39paged_attention_ll4mi_QKV_mfma16_kernelI14__hip_bfloat16S0_LN4vllm18Fp8KVCacheDataTypeE0EhLi32ELi128ELi256ELb0ELi6EEvPKT_PKT0_S8_ifPKiSA_SA_iPKfiiiPfSD_PS3_PT2_iSC_SC_
	.globl	_Z39paged_attention_ll4mi_QKV_mfma16_kernelI14__hip_bfloat16S0_LN4vllm18Fp8KVCacheDataTypeE0EhLi32ELi128ELi256ELb0ELi6EEvPKT_PKT0_S8_ifPKiSA_SA_iPKfiiiPfSD_PS3_PT2_iSC_SC_
	.p2align	8
	.type	_Z39paged_attention_ll4mi_QKV_mfma16_kernelI14__hip_bfloat16S0_LN4vllm18Fp8KVCacheDataTypeE0EhLi32ELi128ELi256ELb0ELi6EEvPKT_PKT0_S8_ifPKiSA_SA_iPKfiiiPfSD_PS3_PT2_iSC_SC_,@function
_Z39paged_attention_ll4mi_QKV_mfma16_kernelI14__hip_bfloat16S0_LN4vllm18Fp8KVCacheDataTypeE0EhLi32ELi128ELi256ELb0ELi6EEvPKT_PKT0_S8_ifPKiSA_SA_iPKfiiiPfSD_PS3_PT2_iSC_SC_: ; @_Z39paged_attention_ll4mi_QKV_mfma16_kernelI14__hip_bfloat16S0_LN4vllm18Fp8KVCacheDataTypeE0EhLi32ELi128ELi256ELb0ELi6EEvPKT_PKT0_S8_ifPKiSA_SA_iPKfiiiPfSD_PS3_PT2_iSC_SC_
; %bb.0:
	s_get_pc_i64 s[2:3]
	s_add_nc_u64 s[2:3], s[2:3], __PRETTY_FUNCTION__._Z39paged_attention_ll4mi_QKV_mfma16_kernelI14__hip_bfloat16S0_LN4vllm18Fp8KVCacheDataTypeE0EhLi32ELi128ELi256ELb0ELi6EEvPKT_PKT0_S8_ifPKiSA_SA_iPKfiiiPfSD_PS3_PT2_iSC_SC_@rel64+4
	s_delay_alu instid0(SALU_CYCLE_1)
	v_dual_mov_b32 v0, 0xbb3 :: v_dual_mov_b32 v1, s2
	v_mov_b32_e32 v2, s3
	s_add_nc_u64 s[8:9], s[0:1], 0x90
	s_get_pc_i64 s[0:1]
	s_add_nc_u64 s[0:1], s[0:1], __assert_fail@rel64+4
	s_mov_b32 s32, 0
	s_swap_pc_i64 s[30:31], s[0:1]
	.section	.rodata,"a",@progbits
	.p2align	6, 0x0
	.amdhsa_kernel _Z39paged_attention_ll4mi_QKV_mfma16_kernelI14__hip_bfloat16S0_LN4vllm18Fp8KVCacheDataTypeE0EhLi32ELi128ELi256ELb0ELi6EEvPKT_PKT0_S8_ifPKiSA_SA_iPKfiiiPfSD_PS3_PT2_iSC_SC_
		.amdhsa_group_segment_fixed_size 0
		.amdhsa_private_segment_fixed_size 64
		.amdhsa_kernarg_size 400
		.amdhsa_user_sgpr_count 2
		.amdhsa_user_sgpr_dispatch_ptr 0
		.amdhsa_user_sgpr_queue_ptr 0
		.amdhsa_user_sgpr_kernarg_segment_ptr 1
		.amdhsa_user_sgpr_dispatch_id 0
		.amdhsa_user_sgpr_kernarg_preload_length 0
		.amdhsa_user_sgpr_kernarg_preload_offset 0
		.amdhsa_user_sgpr_private_segment_size 0
		.amdhsa_wavefront_size32 1
		.amdhsa_uses_dynamic_stack 0
		.amdhsa_enable_private_segment 1
		.amdhsa_system_sgpr_workgroup_id_x 1
		.amdhsa_system_sgpr_workgroup_id_y 0
		.amdhsa_system_sgpr_workgroup_id_z 0
		.amdhsa_system_sgpr_workgroup_info 0
		.amdhsa_system_vgpr_workitem_id 0
		.amdhsa_next_free_vgpr 51
		.amdhsa_next_free_sgpr 34
		.amdhsa_named_barrier_count 0
		.amdhsa_reserve_vcc 1
		.amdhsa_float_round_mode_32 0
		.amdhsa_float_round_mode_16_64 0
		.amdhsa_float_denorm_mode_32 3
		.amdhsa_float_denorm_mode_16_64 3
		.amdhsa_fp16_overflow 0
		.amdhsa_memory_ordered 1
		.amdhsa_forward_progress 1
		.amdhsa_inst_pref_size 1
		.amdhsa_round_robin_scheduling 0
		.amdhsa_exception_fp_ieee_invalid_op 0
		.amdhsa_exception_fp_denorm_src 0
		.amdhsa_exception_fp_ieee_div_zero 0
		.amdhsa_exception_fp_ieee_overflow 0
		.amdhsa_exception_fp_ieee_underflow 0
		.amdhsa_exception_fp_ieee_inexact 0
		.amdhsa_exception_int_div_zero 0
	.end_amdhsa_kernel
	.section	.text._Z39paged_attention_ll4mi_QKV_mfma16_kernelI14__hip_bfloat16S0_LN4vllm18Fp8KVCacheDataTypeE0EhLi32ELi128ELi256ELb0ELi6EEvPKT_PKT0_S8_ifPKiSA_SA_iPKfiiiPfSD_PS3_PT2_iSC_SC_,"axG",@progbits,_Z39paged_attention_ll4mi_QKV_mfma16_kernelI14__hip_bfloat16S0_LN4vllm18Fp8KVCacheDataTypeE0EhLi32ELi128ELi256ELb0ELi6EEvPKT_PKT0_S8_ifPKiSA_SA_iPKfiiiPfSD_PS3_PT2_iSC_SC_,comdat
.Lfunc_end715:
	.size	_Z39paged_attention_ll4mi_QKV_mfma16_kernelI14__hip_bfloat16S0_LN4vllm18Fp8KVCacheDataTypeE0EhLi32ELi128ELi256ELb0ELi6EEvPKT_PKT0_S8_ifPKiSA_SA_iPKfiiiPfSD_PS3_PT2_iSC_SC_, .Lfunc_end715-_Z39paged_attention_ll4mi_QKV_mfma16_kernelI14__hip_bfloat16S0_LN4vllm18Fp8KVCacheDataTypeE0EhLi32ELi128ELi256ELb0ELi6EEvPKT_PKT0_S8_ifPKiSA_SA_iPKfiiiPfSD_PS3_PT2_iSC_SC_
                                        ; -- End function
	.set _Z39paged_attention_ll4mi_QKV_mfma16_kernelI14__hip_bfloat16S0_LN4vllm18Fp8KVCacheDataTypeE0EhLi32ELi128ELi256ELb0ELi6EEvPKT_PKT0_S8_ifPKiSA_SA_iPKfiiiPfSD_PS3_PT2_iSC_SC_.num_vgpr, max(3, .L__assert_fail.num_vgpr)
	.set _Z39paged_attention_ll4mi_QKV_mfma16_kernelI14__hip_bfloat16S0_LN4vllm18Fp8KVCacheDataTypeE0EhLi32ELi128ELi256ELb0ELi6EEvPKT_PKT0_S8_ifPKiSA_SA_iPKfiiiPfSD_PS3_PT2_iSC_SC_.num_agpr, max(0, .L__assert_fail.num_agpr)
	.set _Z39paged_attention_ll4mi_QKV_mfma16_kernelI14__hip_bfloat16S0_LN4vllm18Fp8KVCacheDataTypeE0EhLi32ELi128ELi256ELb0ELi6EEvPKT_PKT0_S8_ifPKiSA_SA_iPKfiiiPfSD_PS3_PT2_iSC_SC_.numbered_sgpr, max(33, .L__assert_fail.numbered_sgpr)
	.set _Z39paged_attention_ll4mi_QKV_mfma16_kernelI14__hip_bfloat16S0_LN4vllm18Fp8KVCacheDataTypeE0EhLi32ELi128ELi256ELb0ELi6EEvPKT_PKT0_S8_ifPKiSA_SA_iPKfiiiPfSD_PS3_PT2_iSC_SC_.num_named_barrier, max(0, .L__assert_fail.num_named_barrier)
	.set _Z39paged_attention_ll4mi_QKV_mfma16_kernelI14__hip_bfloat16S0_LN4vllm18Fp8KVCacheDataTypeE0EhLi32ELi128ELi256ELb0ELi6EEvPKT_PKT0_S8_ifPKiSA_SA_iPKfiiiPfSD_PS3_PT2_iSC_SC_.private_seg_size, 0+max(.L__assert_fail.private_seg_size)
	.set _Z39paged_attention_ll4mi_QKV_mfma16_kernelI14__hip_bfloat16S0_LN4vllm18Fp8KVCacheDataTypeE0EhLi32ELi128ELi256ELb0ELi6EEvPKT_PKT0_S8_ifPKiSA_SA_iPKfiiiPfSD_PS3_PT2_iSC_SC_.uses_vcc, or(1, .L__assert_fail.uses_vcc)
	.set _Z39paged_attention_ll4mi_QKV_mfma16_kernelI14__hip_bfloat16S0_LN4vllm18Fp8KVCacheDataTypeE0EhLi32ELi128ELi256ELb0ELi6EEvPKT_PKT0_S8_ifPKiSA_SA_iPKfiiiPfSD_PS3_PT2_iSC_SC_.uses_flat_scratch, or(0, .L__assert_fail.uses_flat_scratch)
	.set _Z39paged_attention_ll4mi_QKV_mfma16_kernelI14__hip_bfloat16S0_LN4vllm18Fp8KVCacheDataTypeE0EhLi32ELi128ELi256ELb0ELi6EEvPKT_PKT0_S8_ifPKiSA_SA_iPKfiiiPfSD_PS3_PT2_iSC_SC_.has_dyn_sized_stack, or(0, .L__assert_fail.has_dyn_sized_stack)
	.set _Z39paged_attention_ll4mi_QKV_mfma16_kernelI14__hip_bfloat16S0_LN4vllm18Fp8KVCacheDataTypeE0EhLi32ELi128ELi256ELb0ELi6EEvPKT_PKT0_S8_ifPKiSA_SA_iPKfiiiPfSD_PS3_PT2_iSC_SC_.has_recursion, or(0, .L__assert_fail.has_recursion)
	.set _Z39paged_attention_ll4mi_QKV_mfma16_kernelI14__hip_bfloat16S0_LN4vllm18Fp8KVCacheDataTypeE0EhLi32ELi128ELi256ELb0ELi6EEvPKT_PKT0_S8_ifPKiSA_SA_iPKfiiiPfSD_PS3_PT2_iSC_SC_.has_indirect_call, or(0, .L__assert_fail.has_indirect_call)
	.section	.AMDGPU.csdata,"",@progbits
; Kernel info:
; codeLenInByte = 68
; TotalNumSgprs: 36
; NumVgprs: 51
; ScratchSize: 64
; MemoryBound: 0
; FloatMode: 240
; IeeeMode: 1
; LDSByteSize: 0 bytes/workgroup (compile time only)
; SGPRBlocks: 0
; VGPRBlocks: 3
; NumSGPRsForWavesPerEU: 36
; NumVGPRsForWavesPerEU: 51
; NamedBarCnt: 0
; Occupancy: 16
; WaveLimiterHint : 1
; COMPUTE_PGM_RSRC2:SCRATCH_EN: 1
; COMPUTE_PGM_RSRC2:USER_SGPR: 2
; COMPUTE_PGM_RSRC2:TRAP_HANDLER: 0
; COMPUTE_PGM_RSRC2:TGID_X_EN: 1
; COMPUTE_PGM_RSRC2:TGID_Y_EN: 0
; COMPUTE_PGM_RSRC2:TGID_Z_EN: 0
; COMPUTE_PGM_RSRC2:TIDIG_COMP_CNT: 0
	.section	.text._Z39paged_attention_ll4mi_QKV_mfma16_kernelI14__hip_bfloat16S0_LN4vllm18Fp8KVCacheDataTypeE0EhLi32ELi128ELi256ELb0ELi7EEvPKT_PKT0_S8_ifPKiSA_SA_iPKfiiiPfSD_PS3_PT2_iSC_SC_,"axG",@progbits,_Z39paged_attention_ll4mi_QKV_mfma16_kernelI14__hip_bfloat16S0_LN4vllm18Fp8KVCacheDataTypeE0EhLi32ELi128ELi256ELb0ELi7EEvPKT_PKT0_S8_ifPKiSA_SA_iPKfiiiPfSD_PS3_PT2_iSC_SC_,comdat
	.protected	_Z39paged_attention_ll4mi_QKV_mfma16_kernelI14__hip_bfloat16S0_LN4vllm18Fp8KVCacheDataTypeE0EhLi32ELi128ELi256ELb0ELi7EEvPKT_PKT0_S8_ifPKiSA_SA_iPKfiiiPfSD_PS3_PT2_iSC_SC_ ; -- Begin function _Z39paged_attention_ll4mi_QKV_mfma16_kernelI14__hip_bfloat16S0_LN4vllm18Fp8KVCacheDataTypeE0EhLi32ELi128ELi256ELb0ELi7EEvPKT_PKT0_S8_ifPKiSA_SA_iPKfiiiPfSD_PS3_PT2_iSC_SC_
	.globl	_Z39paged_attention_ll4mi_QKV_mfma16_kernelI14__hip_bfloat16S0_LN4vllm18Fp8KVCacheDataTypeE0EhLi32ELi128ELi256ELb0ELi7EEvPKT_PKT0_S8_ifPKiSA_SA_iPKfiiiPfSD_PS3_PT2_iSC_SC_
	.p2align	8
	.type	_Z39paged_attention_ll4mi_QKV_mfma16_kernelI14__hip_bfloat16S0_LN4vllm18Fp8KVCacheDataTypeE0EhLi32ELi128ELi256ELb0ELi7EEvPKT_PKT0_S8_ifPKiSA_SA_iPKfiiiPfSD_PS3_PT2_iSC_SC_,@function
_Z39paged_attention_ll4mi_QKV_mfma16_kernelI14__hip_bfloat16S0_LN4vllm18Fp8KVCacheDataTypeE0EhLi32ELi128ELi256ELb0ELi7EEvPKT_PKT0_S8_ifPKiSA_SA_iPKfiiiPfSD_PS3_PT2_iSC_SC_: ; @_Z39paged_attention_ll4mi_QKV_mfma16_kernelI14__hip_bfloat16S0_LN4vllm18Fp8KVCacheDataTypeE0EhLi32ELi128ELi256ELb0ELi7EEvPKT_PKT0_S8_ifPKiSA_SA_iPKfiiiPfSD_PS3_PT2_iSC_SC_
; %bb.0:
	s_get_pc_i64 s[2:3]
	s_add_nc_u64 s[2:3], s[2:3], __PRETTY_FUNCTION__._Z39paged_attention_ll4mi_QKV_mfma16_kernelI14__hip_bfloat16S0_LN4vllm18Fp8KVCacheDataTypeE0EhLi32ELi128ELi256ELb0ELi7EEvPKT_PKT0_S8_ifPKiSA_SA_iPKfiiiPfSD_PS3_PT2_iSC_SC_@rel64+4
	s_delay_alu instid0(SALU_CYCLE_1)
	v_dual_mov_b32 v0, 0xbb3 :: v_dual_mov_b32 v1, s2
	v_mov_b32_e32 v2, s3
	s_add_nc_u64 s[8:9], s[0:1], 0x90
	s_get_pc_i64 s[0:1]
	s_add_nc_u64 s[0:1], s[0:1], __assert_fail@rel64+4
	s_mov_b32 s32, 0
	s_swap_pc_i64 s[30:31], s[0:1]
	.section	.rodata,"a",@progbits
	.p2align	6, 0x0
	.amdhsa_kernel _Z39paged_attention_ll4mi_QKV_mfma16_kernelI14__hip_bfloat16S0_LN4vllm18Fp8KVCacheDataTypeE0EhLi32ELi128ELi256ELb0ELi7EEvPKT_PKT0_S8_ifPKiSA_SA_iPKfiiiPfSD_PS3_PT2_iSC_SC_
		.amdhsa_group_segment_fixed_size 0
		.amdhsa_private_segment_fixed_size 64
		.amdhsa_kernarg_size 400
		.amdhsa_user_sgpr_count 2
		.amdhsa_user_sgpr_dispatch_ptr 0
		.amdhsa_user_sgpr_queue_ptr 0
		.amdhsa_user_sgpr_kernarg_segment_ptr 1
		.amdhsa_user_sgpr_dispatch_id 0
		.amdhsa_user_sgpr_kernarg_preload_length 0
		.amdhsa_user_sgpr_kernarg_preload_offset 0
		.amdhsa_user_sgpr_private_segment_size 0
		.amdhsa_wavefront_size32 1
		.amdhsa_uses_dynamic_stack 0
		.amdhsa_enable_private_segment 1
		.amdhsa_system_sgpr_workgroup_id_x 1
		.amdhsa_system_sgpr_workgroup_id_y 0
		.amdhsa_system_sgpr_workgroup_id_z 0
		.amdhsa_system_sgpr_workgroup_info 0
		.amdhsa_system_vgpr_workitem_id 0
		.amdhsa_next_free_vgpr 51
		.amdhsa_next_free_sgpr 34
		.amdhsa_named_barrier_count 0
		.amdhsa_reserve_vcc 1
		.amdhsa_float_round_mode_32 0
		.amdhsa_float_round_mode_16_64 0
		.amdhsa_float_denorm_mode_32 3
		.amdhsa_float_denorm_mode_16_64 3
		.amdhsa_fp16_overflow 0
		.amdhsa_memory_ordered 1
		.amdhsa_forward_progress 1
		.amdhsa_inst_pref_size 1
		.amdhsa_round_robin_scheduling 0
		.amdhsa_exception_fp_ieee_invalid_op 0
		.amdhsa_exception_fp_denorm_src 0
		.amdhsa_exception_fp_ieee_div_zero 0
		.amdhsa_exception_fp_ieee_overflow 0
		.amdhsa_exception_fp_ieee_underflow 0
		.amdhsa_exception_fp_ieee_inexact 0
		.amdhsa_exception_int_div_zero 0
	.end_amdhsa_kernel
	.section	.text._Z39paged_attention_ll4mi_QKV_mfma16_kernelI14__hip_bfloat16S0_LN4vllm18Fp8KVCacheDataTypeE0EhLi32ELi128ELi256ELb0ELi7EEvPKT_PKT0_S8_ifPKiSA_SA_iPKfiiiPfSD_PS3_PT2_iSC_SC_,"axG",@progbits,_Z39paged_attention_ll4mi_QKV_mfma16_kernelI14__hip_bfloat16S0_LN4vllm18Fp8KVCacheDataTypeE0EhLi32ELi128ELi256ELb0ELi7EEvPKT_PKT0_S8_ifPKiSA_SA_iPKfiiiPfSD_PS3_PT2_iSC_SC_,comdat
.Lfunc_end716:
	.size	_Z39paged_attention_ll4mi_QKV_mfma16_kernelI14__hip_bfloat16S0_LN4vllm18Fp8KVCacheDataTypeE0EhLi32ELi128ELi256ELb0ELi7EEvPKT_PKT0_S8_ifPKiSA_SA_iPKfiiiPfSD_PS3_PT2_iSC_SC_, .Lfunc_end716-_Z39paged_attention_ll4mi_QKV_mfma16_kernelI14__hip_bfloat16S0_LN4vllm18Fp8KVCacheDataTypeE0EhLi32ELi128ELi256ELb0ELi7EEvPKT_PKT0_S8_ifPKiSA_SA_iPKfiiiPfSD_PS3_PT2_iSC_SC_
                                        ; -- End function
	.set _Z39paged_attention_ll4mi_QKV_mfma16_kernelI14__hip_bfloat16S0_LN4vllm18Fp8KVCacheDataTypeE0EhLi32ELi128ELi256ELb0ELi7EEvPKT_PKT0_S8_ifPKiSA_SA_iPKfiiiPfSD_PS3_PT2_iSC_SC_.num_vgpr, max(3, .L__assert_fail.num_vgpr)
	.set _Z39paged_attention_ll4mi_QKV_mfma16_kernelI14__hip_bfloat16S0_LN4vllm18Fp8KVCacheDataTypeE0EhLi32ELi128ELi256ELb0ELi7EEvPKT_PKT0_S8_ifPKiSA_SA_iPKfiiiPfSD_PS3_PT2_iSC_SC_.num_agpr, max(0, .L__assert_fail.num_agpr)
	.set _Z39paged_attention_ll4mi_QKV_mfma16_kernelI14__hip_bfloat16S0_LN4vllm18Fp8KVCacheDataTypeE0EhLi32ELi128ELi256ELb0ELi7EEvPKT_PKT0_S8_ifPKiSA_SA_iPKfiiiPfSD_PS3_PT2_iSC_SC_.numbered_sgpr, max(33, .L__assert_fail.numbered_sgpr)
	.set _Z39paged_attention_ll4mi_QKV_mfma16_kernelI14__hip_bfloat16S0_LN4vllm18Fp8KVCacheDataTypeE0EhLi32ELi128ELi256ELb0ELi7EEvPKT_PKT0_S8_ifPKiSA_SA_iPKfiiiPfSD_PS3_PT2_iSC_SC_.num_named_barrier, max(0, .L__assert_fail.num_named_barrier)
	.set _Z39paged_attention_ll4mi_QKV_mfma16_kernelI14__hip_bfloat16S0_LN4vllm18Fp8KVCacheDataTypeE0EhLi32ELi128ELi256ELb0ELi7EEvPKT_PKT0_S8_ifPKiSA_SA_iPKfiiiPfSD_PS3_PT2_iSC_SC_.private_seg_size, 0+max(.L__assert_fail.private_seg_size)
	.set _Z39paged_attention_ll4mi_QKV_mfma16_kernelI14__hip_bfloat16S0_LN4vllm18Fp8KVCacheDataTypeE0EhLi32ELi128ELi256ELb0ELi7EEvPKT_PKT0_S8_ifPKiSA_SA_iPKfiiiPfSD_PS3_PT2_iSC_SC_.uses_vcc, or(1, .L__assert_fail.uses_vcc)
	.set _Z39paged_attention_ll4mi_QKV_mfma16_kernelI14__hip_bfloat16S0_LN4vllm18Fp8KVCacheDataTypeE0EhLi32ELi128ELi256ELb0ELi7EEvPKT_PKT0_S8_ifPKiSA_SA_iPKfiiiPfSD_PS3_PT2_iSC_SC_.uses_flat_scratch, or(0, .L__assert_fail.uses_flat_scratch)
	.set _Z39paged_attention_ll4mi_QKV_mfma16_kernelI14__hip_bfloat16S0_LN4vllm18Fp8KVCacheDataTypeE0EhLi32ELi128ELi256ELb0ELi7EEvPKT_PKT0_S8_ifPKiSA_SA_iPKfiiiPfSD_PS3_PT2_iSC_SC_.has_dyn_sized_stack, or(0, .L__assert_fail.has_dyn_sized_stack)
	.set _Z39paged_attention_ll4mi_QKV_mfma16_kernelI14__hip_bfloat16S0_LN4vllm18Fp8KVCacheDataTypeE0EhLi32ELi128ELi256ELb0ELi7EEvPKT_PKT0_S8_ifPKiSA_SA_iPKfiiiPfSD_PS3_PT2_iSC_SC_.has_recursion, or(0, .L__assert_fail.has_recursion)
	.set _Z39paged_attention_ll4mi_QKV_mfma16_kernelI14__hip_bfloat16S0_LN4vllm18Fp8KVCacheDataTypeE0EhLi32ELi128ELi256ELb0ELi7EEvPKT_PKT0_S8_ifPKiSA_SA_iPKfiiiPfSD_PS3_PT2_iSC_SC_.has_indirect_call, or(0, .L__assert_fail.has_indirect_call)
	.section	.AMDGPU.csdata,"",@progbits
; Kernel info:
; codeLenInByte = 68
; TotalNumSgprs: 36
; NumVgprs: 51
; ScratchSize: 64
; MemoryBound: 0
; FloatMode: 240
; IeeeMode: 1
; LDSByteSize: 0 bytes/workgroup (compile time only)
; SGPRBlocks: 0
; VGPRBlocks: 3
; NumSGPRsForWavesPerEU: 36
; NumVGPRsForWavesPerEU: 51
; NamedBarCnt: 0
; Occupancy: 16
; WaveLimiterHint : 1
; COMPUTE_PGM_RSRC2:SCRATCH_EN: 1
; COMPUTE_PGM_RSRC2:USER_SGPR: 2
; COMPUTE_PGM_RSRC2:TRAP_HANDLER: 0
; COMPUTE_PGM_RSRC2:TGID_X_EN: 1
; COMPUTE_PGM_RSRC2:TGID_Y_EN: 0
; COMPUTE_PGM_RSRC2:TGID_Z_EN: 0
; COMPUTE_PGM_RSRC2:TIDIG_COMP_CNT: 0
	.section	.text._Z39paged_attention_ll4mi_QKV_mfma16_kernelI14__hip_bfloat16S0_LN4vllm18Fp8KVCacheDataTypeE0EhLi32ELi128ELi256ELb0ELi8EEvPKT_PKT0_S8_ifPKiSA_SA_iPKfiiiPfSD_PS3_PT2_iSC_SC_,"axG",@progbits,_Z39paged_attention_ll4mi_QKV_mfma16_kernelI14__hip_bfloat16S0_LN4vllm18Fp8KVCacheDataTypeE0EhLi32ELi128ELi256ELb0ELi8EEvPKT_PKT0_S8_ifPKiSA_SA_iPKfiiiPfSD_PS3_PT2_iSC_SC_,comdat
	.protected	_Z39paged_attention_ll4mi_QKV_mfma16_kernelI14__hip_bfloat16S0_LN4vllm18Fp8KVCacheDataTypeE0EhLi32ELi128ELi256ELb0ELi8EEvPKT_PKT0_S8_ifPKiSA_SA_iPKfiiiPfSD_PS3_PT2_iSC_SC_ ; -- Begin function _Z39paged_attention_ll4mi_QKV_mfma16_kernelI14__hip_bfloat16S0_LN4vllm18Fp8KVCacheDataTypeE0EhLi32ELi128ELi256ELb0ELi8EEvPKT_PKT0_S8_ifPKiSA_SA_iPKfiiiPfSD_PS3_PT2_iSC_SC_
	.globl	_Z39paged_attention_ll4mi_QKV_mfma16_kernelI14__hip_bfloat16S0_LN4vllm18Fp8KVCacheDataTypeE0EhLi32ELi128ELi256ELb0ELi8EEvPKT_PKT0_S8_ifPKiSA_SA_iPKfiiiPfSD_PS3_PT2_iSC_SC_
	.p2align	8
	.type	_Z39paged_attention_ll4mi_QKV_mfma16_kernelI14__hip_bfloat16S0_LN4vllm18Fp8KVCacheDataTypeE0EhLi32ELi128ELi256ELb0ELi8EEvPKT_PKT0_S8_ifPKiSA_SA_iPKfiiiPfSD_PS3_PT2_iSC_SC_,@function
_Z39paged_attention_ll4mi_QKV_mfma16_kernelI14__hip_bfloat16S0_LN4vllm18Fp8KVCacheDataTypeE0EhLi32ELi128ELi256ELb0ELi8EEvPKT_PKT0_S8_ifPKiSA_SA_iPKfiiiPfSD_PS3_PT2_iSC_SC_: ; @_Z39paged_attention_ll4mi_QKV_mfma16_kernelI14__hip_bfloat16S0_LN4vllm18Fp8KVCacheDataTypeE0EhLi32ELi128ELi256ELb0ELi8EEvPKT_PKT0_S8_ifPKiSA_SA_iPKfiiiPfSD_PS3_PT2_iSC_SC_
; %bb.0:
	s_get_pc_i64 s[2:3]
	s_add_nc_u64 s[2:3], s[2:3], __PRETTY_FUNCTION__._Z39paged_attention_ll4mi_QKV_mfma16_kernelI14__hip_bfloat16S0_LN4vllm18Fp8KVCacheDataTypeE0EhLi32ELi128ELi256ELb0ELi8EEvPKT_PKT0_S8_ifPKiSA_SA_iPKfiiiPfSD_PS3_PT2_iSC_SC_@rel64+4
	s_delay_alu instid0(SALU_CYCLE_1)
	v_dual_mov_b32 v0, 0xbb3 :: v_dual_mov_b32 v1, s2
	v_mov_b32_e32 v2, s3
	s_add_nc_u64 s[8:9], s[0:1], 0x90
	s_get_pc_i64 s[0:1]
	s_add_nc_u64 s[0:1], s[0:1], __assert_fail@rel64+4
	s_mov_b32 s32, 0
	s_swap_pc_i64 s[30:31], s[0:1]
	.section	.rodata,"a",@progbits
	.p2align	6, 0x0
	.amdhsa_kernel _Z39paged_attention_ll4mi_QKV_mfma16_kernelI14__hip_bfloat16S0_LN4vllm18Fp8KVCacheDataTypeE0EhLi32ELi128ELi256ELb0ELi8EEvPKT_PKT0_S8_ifPKiSA_SA_iPKfiiiPfSD_PS3_PT2_iSC_SC_
		.amdhsa_group_segment_fixed_size 0
		.amdhsa_private_segment_fixed_size 64
		.amdhsa_kernarg_size 400
		.amdhsa_user_sgpr_count 2
		.amdhsa_user_sgpr_dispatch_ptr 0
		.amdhsa_user_sgpr_queue_ptr 0
		.amdhsa_user_sgpr_kernarg_segment_ptr 1
		.amdhsa_user_sgpr_dispatch_id 0
		.amdhsa_user_sgpr_kernarg_preload_length 0
		.amdhsa_user_sgpr_kernarg_preload_offset 0
		.amdhsa_user_sgpr_private_segment_size 0
		.amdhsa_wavefront_size32 1
		.amdhsa_uses_dynamic_stack 0
		.amdhsa_enable_private_segment 1
		.amdhsa_system_sgpr_workgroup_id_x 1
		.amdhsa_system_sgpr_workgroup_id_y 0
		.amdhsa_system_sgpr_workgroup_id_z 0
		.amdhsa_system_sgpr_workgroup_info 0
		.amdhsa_system_vgpr_workitem_id 0
		.amdhsa_next_free_vgpr 51
		.amdhsa_next_free_sgpr 34
		.amdhsa_named_barrier_count 0
		.amdhsa_reserve_vcc 1
		.amdhsa_float_round_mode_32 0
		.amdhsa_float_round_mode_16_64 0
		.amdhsa_float_denorm_mode_32 3
		.amdhsa_float_denorm_mode_16_64 3
		.amdhsa_fp16_overflow 0
		.amdhsa_memory_ordered 1
		.amdhsa_forward_progress 1
		.amdhsa_inst_pref_size 1
		.amdhsa_round_robin_scheduling 0
		.amdhsa_exception_fp_ieee_invalid_op 0
		.amdhsa_exception_fp_denorm_src 0
		.amdhsa_exception_fp_ieee_div_zero 0
		.amdhsa_exception_fp_ieee_overflow 0
		.amdhsa_exception_fp_ieee_underflow 0
		.amdhsa_exception_fp_ieee_inexact 0
		.amdhsa_exception_int_div_zero 0
	.end_amdhsa_kernel
	.section	.text._Z39paged_attention_ll4mi_QKV_mfma16_kernelI14__hip_bfloat16S0_LN4vllm18Fp8KVCacheDataTypeE0EhLi32ELi128ELi256ELb0ELi8EEvPKT_PKT0_S8_ifPKiSA_SA_iPKfiiiPfSD_PS3_PT2_iSC_SC_,"axG",@progbits,_Z39paged_attention_ll4mi_QKV_mfma16_kernelI14__hip_bfloat16S0_LN4vllm18Fp8KVCacheDataTypeE0EhLi32ELi128ELi256ELb0ELi8EEvPKT_PKT0_S8_ifPKiSA_SA_iPKfiiiPfSD_PS3_PT2_iSC_SC_,comdat
.Lfunc_end717:
	.size	_Z39paged_attention_ll4mi_QKV_mfma16_kernelI14__hip_bfloat16S0_LN4vllm18Fp8KVCacheDataTypeE0EhLi32ELi128ELi256ELb0ELi8EEvPKT_PKT0_S8_ifPKiSA_SA_iPKfiiiPfSD_PS3_PT2_iSC_SC_, .Lfunc_end717-_Z39paged_attention_ll4mi_QKV_mfma16_kernelI14__hip_bfloat16S0_LN4vllm18Fp8KVCacheDataTypeE0EhLi32ELi128ELi256ELb0ELi8EEvPKT_PKT0_S8_ifPKiSA_SA_iPKfiiiPfSD_PS3_PT2_iSC_SC_
                                        ; -- End function
	.set _Z39paged_attention_ll4mi_QKV_mfma16_kernelI14__hip_bfloat16S0_LN4vllm18Fp8KVCacheDataTypeE0EhLi32ELi128ELi256ELb0ELi8EEvPKT_PKT0_S8_ifPKiSA_SA_iPKfiiiPfSD_PS3_PT2_iSC_SC_.num_vgpr, max(3, .L__assert_fail.num_vgpr)
	.set _Z39paged_attention_ll4mi_QKV_mfma16_kernelI14__hip_bfloat16S0_LN4vllm18Fp8KVCacheDataTypeE0EhLi32ELi128ELi256ELb0ELi8EEvPKT_PKT0_S8_ifPKiSA_SA_iPKfiiiPfSD_PS3_PT2_iSC_SC_.num_agpr, max(0, .L__assert_fail.num_agpr)
	.set _Z39paged_attention_ll4mi_QKV_mfma16_kernelI14__hip_bfloat16S0_LN4vllm18Fp8KVCacheDataTypeE0EhLi32ELi128ELi256ELb0ELi8EEvPKT_PKT0_S8_ifPKiSA_SA_iPKfiiiPfSD_PS3_PT2_iSC_SC_.numbered_sgpr, max(33, .L__assert_fail.numbered_sgpr)
	.set _Z39paged_attention_ll4mi_QKV_mfma16_kernelI14__hip_bfloat16S0_LN4vllm18Fp8KVCacheDataTypeE0EhLi32ELi128ELi256ELb0ELi8EEvPKT_PKT0_S8_ifPKiSA_SA_iPKfiiiPfSD_PS3_PT2_iSC_SC_.num_named_barrier, max(0, .L__assert_fail.num_named_barrier)
	.set _Z39paged_attention_ll4mi_QKV_mfma16_kernelI14__hip_bfloat16S0_LN4vllm18Fp8KVCacheDataTypeE0EhLi32ELi128ELi256ELb0ELi8EEvPKT_PKT0_S8_ifPKiSA_SA_iPKfiiiPfSD_PS3_PT2_iSC_SC_.private_seg_size, 0+max(.L__assert_fail.private_seg_size)
	.set _Z39paged_attention_ll4mi_QKV_mfma16_kernelI14__hip_bfloat16S0_LN4vllm18Fp8KVCacheDataTypeE0EhLi32ELi128ELi256ELb0ELi8EEvPKT_PKT0_S8_ifPKiSA_SA_iPKfiiiPfSD_PS3_PT2_iSC_SC_.uses_vcc, or(1, .L__assert_fail.uses_vcc)
	.set _Z39paged_attention_ll4mi_QKV_mfma16_kernelI14__hip_bfloat16S0_LN4vllm18Fp8KVCacheDataTypeE0EhLi32ELi128ELi256ELb0ELi8EEvPKT_PKT0_S8_ifPKiSA_SA_iPKfiiiPfSD_PS3_PT2_iSC_SC_.uses_flat_scratch, or(0, .L__assert_fail.uses_flat_scratch)
	.set _Z39paged_attention_ll4mi_QKV_mfma16_kernelI14__hip_bfloat16S0_LN4vllm18Fp8KVCacheDataTypeE0EhLi32ELi128ELi256ELb0ELi8EEvPKT_PKT0_S8_ifPKiSA_SA_iPKfiiiPfSD_PS3_PT2_iSC_SC_.has_dyn_sized_stack, or(0, .L__assert_fail.has_dyn_sized_stack)
	.set _Z39paged_attention_ll4mi_QKV_mfma16_kernelI14__hip_bfloat16S0_LN4vllm18Fp8KVCacheDataTypeE0EhLi32ELi128ELi256ELb0ELi8EEvPKT_PKT0_S8_ifPKiSA_SA_iPKfiiiPfSD_PS3_PT2_iSC_SC_.has_recursion, or(0, .L__assert_fail.has_recursion)
	.set _Z39paged_attention_ll4mi_QKV_mfma16_kernelI14__hip_bfloat16S0_LN4vllm18Fp8KVCacheDataTypeE0EhLi32ELi128ELi256ELb0ELi8EEvPKT_PKT0_S8_ifPKiSA_SA_iPKfiiiPfSD_PS3_PT2_iSC_SC_.has_indirect_call, or(0, .L__assert_fail.has_indirect_call)
	.section	.AMDGPU.csdata,"",@progbits
; Kernel info:
; codeLenInByte = 68
; TotalNumSgprs: 36
; NumVgprs: 51
; ScratchSize: 64
; MemoryBound: 0
; FloatMode: 240
; IeeeMode: 1
; LDSByteSize: 0 bytes/workgroup (compile time only)
; SGPRBlocks: 0
; VGPRBlocks: 3
; NumSGPRsForWavesPerEU: 36
; NumVGPRsForWavesPerEU: 51
; NamedBarCnt: 0
; Occupancy: 16
; WaveLimiterHint : 1
; COMPUTE_PGM_RSRC2:SCRATCH_EN: 1
; COMPUTE_PGM_RSRC2:USER_SGPR: 2
; COMPUTE_PGM_RSRC2:TRAP_HANDLER: 0
; COMPUTE_PGM_RSRC2:TGID_X_EN: 1
; COMPUTE_PGM_RSRC2:TGID_Y_EN: 0
; COMPUTE_PGM_RSRC2:TGID_Z_EN: 0
; COMPUTE_PGM_RSRC2:TIDIG_COMP_CNT: 0
	.section	.text._Z39paged_attention_ll4mi_QKV_mfma16_kernelI14__hip_bfloat16S0_LN4vllm18Fp8KVCacheDataTypeE0EhLi32ELi128ELi256ELb0ELi9EEvPKT_PKT0_S8_ifPKiSA_SA_iPKfiiiPfSD_PS3_PT2_iSC_SC_,"axG",@progbits,_Z39paged_attention_ll4mi_QKV_mfma16_kernelI14__hip_bfloat16S0_LN4vllm18Fp8KVCacheDataTypeE0EhLi32ELi128ELi256ELb0ELi9EEvPKT_PKT0_S8_ifPKiSA_SA_iPKfiiiPfSD_PS3_PT2_iSC_SC_,comdat
	.protected	_Z39paged_attention_ll4mi_QKV_mfma16_kernelI14__hip_bfloat16S0_LN4vllm18Fp8KVCacheDataTypeE0EhLi32ELi128ELi256ELb0ELi9EEvPKT_PKT0_S8_ifPKiSA_SA_iPKfiiiPfSD_PS3_PT2_iSC_SC_ ; -- Begin function _Z39paged_attention_ll4mi_QKV_mfma16_kernelI14__hip_bfloat16S0_LN4vllm18Fp8KVCacheDataTypeE0EhLi32ELi128ELi256ELb0ELi9EEvPKT_PKT0_S8_ifPKiSA_SA_iPKfiiiPfSD_PS3_PT2_iSC_SC_
	.globl	_Z39paged_attention_ll4mi_QKV_mfma16_kernelI14__hip_bfloat16S0_LN4vllm18Fp8KVCacheDataTypeE0EhLi32ELi128ELi256ELb0ELi9EEvPKT_PKT0_S8_ifPKiSA_SA_iPKfiiiPfSD_PS3_PT2_iSC_SC_
	.p2align	8
	.type	_Z39paged_attention_ll4mi_QKV_mfma16_kernelI14__hip_bfloat16S0_LN4vllm18Fp8KVCacheDataTypeE0EhLi32ELi128ELi256ELb0ELi9EEvPKT_PKT0_S8_ifPKiSA_SA_iPKfiiiPfSD_PS3_PT2_iSC_SC_,@function
_Z39paged_attention_ll4mi_QKV_mfma16_kernelI14__hip_bfloat16S0_LN4vllm18Fp8KVCacheDataTypeE0EhLi32ELi128ELi256ELb0ELi9EEvPKT_PKT0_S8_ifPKiSA_SA_iPKfiiiPfSD_PS3_PT2_iSC_SC_: ; @_Z39paged_attention_ll4mi_QKV_mfma16_kernelI14__hip_bfloat16S0_LN4vllm18Fp8KVCacheDataTypeE0EhLi32ELi128ELi256ELb0ELi9EEvPKT_PKT0_S8_ifPKiSA_SA_iPKfiiiPfSD_PS3_PT2_iSC_SC_
; %bb.0:
	s_get_pc_i64 s[2:3]
	s_add_nc_u64 s[2:3], s[2:3], __PRETTY_FUNCTION__._Z39paged_attention_ll4mi_QKV_mfma16_kernelI14__hip_bfloat16S0_LN4vllm18Fp8KVCacheDataTypeE0EhLi32ELi128ELi256ELb0ELi9EEvPKT_PKT0_S8_ifPKiSA_SA_iPKfiiiPfSD_PS3_PT2_iSC_SC_@rel64+4
	s_delay_alu instid0(SALU_CYCLE_1)
	v_dual_mov_b32 v0, 0xbb3 :: v_dual_mov_b32 v1, s2
	v_mov_b32_e32 v2, s3
	s_add_nc_u64 s[8:9], s[0:1], 0x90
	s_get_pc_i64 s[0:1]
	s_add_nc_u64 s[0:1], s[0:1], __assert_fail@rel64+4
	s_mov_b32 s32, 0
	s_swap_pc_i64 s[30:31], s[0:1]
	.section	.rodata,"a",@progbits
	.p2align	6, 0x0
	.amdhsa_kernel _Z39paged_attention_ll4mi_QKV_mfma16_kernelI14__hip_bfloat16S0_LN4vllm18Fp8KVCacheDataTypeE0EhLi32ELi128ELi256ELb0ELi9EEvPKT_PKT0_S8_ifPKiSA_SA_iPKfiiiPfSD_PS3_PT2_iSC_SC_
		.amdhsa_group_segment_fixed_size 0
		.amdhsa_private_segment_fixed_size 64
		.amdhsa_kernarg_size 400
		.amdhsa_user_sgpr_count 2
		.amdhsa_user_sgpr_dispatch_ptr 0
		.amdhsa_user_sgpr_queue_ptr 0
		.amdhsa_user_sgpr_kernarg_segment_ptr 1
		.amdhsa_user_sgpr_dispatch_id 0
		.amdhsa_user_sgpr_kernarg_preload_length 0
		.amdhsa_user_sgpr_kernarg_preload_offset 0
		.amdhsa_user_sgpr_private_segment_size 0
		.amdhsa_wavefront_size32 1
		.amdhsa_uses_dynamic_stack 0
		.amdhsa_enable_private_segment 1
		.amdhsa_system_sgpr_workgroup_id_x 1
		.amdhsa_system_sgpr_workgroup_id_y 0
		.amdhsa_system_sgpr_workgroup_id_z 0
		.amdhsa_system_sgpr_workgroup_info 0
		.amdhsa_system_vgpr_workitem_id 0
		.amdhsa_next_free_vgpr 51
		.amdhsa_next_free_sgpr 34
		.amdhsa_named_barrier_count 0
		.amdhsa_reserve_vcc 1
		.amdhsa_float_round_mode_32 0
		.amdhsa_float_round_mode_16_64 0
		.amdhsa_float_denorm_mode_32 3
		.amdhsa_float_denorm_mode_16_64 3
		.amdhsa_fp16_overflow 0
		.amdhsa_memory_ordered 1
		.amdhsa_forward_progress 1
		.amdhsa_inst_pref_size 1
		.amdhsa_round_robin_scheduling 0
		.amdhsa_exception_fp_ieee_invalid_op 0
		.amdhsa_exception_fp_denorm_src 0
		.amdhsa_exception_fp_ieee_div_zero 0
		.amdhsa_exception_fp_ieee_overflow 0
		.amdhsa_exception_fp_ieee_underflow 0
		.amdhsa_exception_fp_ieee_inexact 0
		.amdhsa_exception_int_div_zero 0
	.end_amdhsa_kernel
	.section	.text._Z39paged_attention_ll4mi_QKV_mfma16_kernelI14__hip_bfloat16S0_LN4vllm18Fp8KVCacheDataTypeE0EhLi32ELi128ELi256ELb0ELi9EEvPKT_PKT0_S8_ifPKiSA_SA_iPKfiiiPfSD_PS3_PT2_iSC_SC_,"axG",@progbits,_Z39paged_attention_ll4mi_QKV_mfma16_kernelI14__hip_bfloat16S0_LN4vllm18Fp8KVCacheDataTypeE0EhLi32ELi128ELi256ELb0ELi9EEvPKT_PKT0_S8_ifPKiSA_SA_iPKfiiiPfSD_PS3_PT2_iSC_SC_,comdat
.Lfunc_end718:
	.size	_Z39paged_attention_ll4mi_QKV_mfma16_kernelI14__hip_bfloat16S0_LN4vllm18Fp8KVCacheDataTypeE0EhLi32ELi128ELi256ELb0ELi9EEvPKT_PKT0_S8_ifPKiSA_SA_iPKfiiiPfSD_PS3_PT2_iSC_SC_, .Lfunc_end718-_Z39paged_attention_ll4mi_QKV_mfma16_kernelI14__hip_bfloat16S0_LN4vllm18Fp8KVCacheDataTypeE0EhLi32ELi128ELi256ELb0ELi9EEvPKT_PKT0_S8_ifPKiSA_SA_iPKfiiiPfSD_PS3_PT2_iSC_SC_
                                        ; -- End function
	.set _Z39paged_attention_ll4mi_QKV_mfma16_kernelI14__hip_bfloat16S0_LN4vllm18Fp8KVCacheDataTypeE0EhLi32ELi128ELi256ELb0ELi9EEvPKT_PKT0_S8_ifPKiSA_SA_iPKfiiiPfSD_PS3_PT2_iSC_SC_.num_vgpr, max(3, .L__assert_fail.num_vgpr)
	.set _Z39paged_attention_ll4mi_QKV_mfma16_kernelI14__hip_bfloat16S0_LN4vllm18Fp8KVCacheDataTypeE0EhLi32ELi128ELi256ELb0ELi9EEvPKT_PKT0_S8_ifPKiSA_SA_iPKfiiiPfSD_PS3_PT2_iSC_SC_.num_agpr, max(0, .L__assert_fail.num_agpr)
	.set _Z39paged_attention_ll4mi_QKV_mfma16_kernelI14__hip_bfloat16S0_LN4vllm18Fp8KVCacheDataTypeE0EhLi32ELi128ELi256ELb0ELi9EEvPKT_PKT0_S8_ifPKiSA_SA_iPKfiiiPfSD_PS3_PT2_iSC_SC_.numbered_sgpr, max(33, .L__assert_fail.numbered_sgpr)
	.set _Z39paged_attention_ll4mi_QKV_mfma16_kernelI14__hip_bfloat16S0_LN4vllm18Fp8KVCacheDataTypeE0EhLi32ELi128ELi256ELb0ELi9EEvPKT_PKT0_S8_ifPKiSA_SA_iPKfiiiPfSD_PS3_PT2_iSC_SC_.num_named_barrier, max(0, .L__assert_fail.num_named_barrier)
	.set _Z39paged_attention_ll4mi_QKV_mfma16_kernelI14__hip_bfloat16S0_LN4vllm18Fp8KVCacheDataTypeE0EhLi32ELi128ELi256ELb0ELi9EEvPKT_PKT0_S8_ifPKiSA_SA_iPKfiiiPfSD_PS3_PT2_iSC_SC_.private_seg_size, 0+max(.L__assert_fail.private_seg_size)
	.set _Z39paged_attention_ll4mi_QKV_mfma16_kernelI14__hip_bfloat16S0_LN4vllm18Fp8KVCacheDataTypeE0EhLi32ELi128ELi256ELb0ELi9EEvPKT_PKT0_S8_ifPKiSA_SA_iPKfiiiPfSD_PS3_PT2_iSC_SC_.uses_vcc, or(1, .L__assert_fail.uses_vcc)
	.set _Z39paged_attention_ll4mi_QKV_mfma16_kernelI14__hip_bfloat16S0_LN4vllm18Fp8KVCacheDataTypeE0EhLi32ELi128ELi256ELb0ELi9EEvPKT_PKT0_S8_ifPKiSA_SA_iPKfiiiPfSD_PS3_PT2_iSC_SC_.uses_flat_scratch, or(0, .L__assert_fail.uses_flat_scratch)
	.set _Z39paged_attention_ll4mi_QKV_mfma16_kernelI14__hip_bfloat16S0_LN4vllm18Fp8KVCacheDataTypeE0EhLi32ELi128ELi256ELb0ELi9EEvPKT_PKT0_S8_ifPKiSA_SA_iPKfiiiPfSD_PS3_PT2_iSC_SC_.has_dyn_sized_stack, or(0, .L__assert_fail.has_dyn_sized_stack)
	.set _Z39paged_attention_ll4mi_QKV_mfma16_kernelI14__hip_bfloat16S0_LN4vllm18Fp8KVCacheDataTypeE0EhLi32ELi128ELi256ELb0ELi9EEvPKT_PKT0_S8_ifPKiSA_SA_iPKfiiiPfSD_PS3_PT2_iSC_SC_.has_recursion, or(0, .L__assert_fail.has_recursion)
	.set _Z39paged_attention_ll4mi_QKV_mfma16_kernelI14__hip_bfloat16S0_LN4vllm18Fp8KVCacheDataTypeE0EhLi32ELi128ELi256ELb0ELi9EEvPKT_PKT0_S8_ifPKiSA_SA_iPKfiiiPfSD_PS3_PT2_iSC_SC_.has_indirect_call, or(0, .L__assert_fail.has_indirect_call)
	.section	.AMDGPU.csdata,"",@progbits
; Kernel info:
; codeLenInByte = 68
; TotalNumSgprs: 36
; NumVgprs: 51
; ScratchSize: 64
; MemoryBound: 0
; FloatMode: 240
; IeeeMode: 1
; LDSByteSize: 0 bytes/workgroup (compile time only)
; SGPRBlocks: 0
; VGPRBlocks: 3
; NumSGPRsForWavesPerEU: 36
; NumVGPRsForWavesPerEU: 51
; NamedBarCnt: 0
; Occupancy: 16
; WaveLimiterHint : 1
; COMPUTE_PGM_RSRC2:SCRATCH_EN: 1
; COMPUTE_PGM_RSRC2:USER_SGPR: 2
; COMPUTE_PGM_RSRC2:TRAP_HANDLER: 0
; COMPUTE_PGM_RSRC2:TGID_X_EN: 1
; COMPUTE_PGM_RSRC2:TGID_Y_EN: 0
; COMPUTE_PGM_RSRC2:TGID_Z_EN: 0
; COMPUTE_PGM_RSRC2:TIDIG_COMP_CNT: 0
	.section	.text._Z39paged_attention_ll4mi_QKV_mfma16_kernelI14__hip_bfloat16S0_LN4vllm18Fp8KVCacheDataTypeE0EhLi32ELi128ELi256ELb0ELi10EEvPKT_PKT0_S8_ifPKiSA_SA_iPKfiiiPfSD_PS3_PT2_iSC_SC_,"axG",@progbits,_Z39paged_attention_ll4mi_QKV_mfma16_kernelI14__hip_bfloat16S0_LN4vllm18Fp8KVCacheDataTypeE0EhLi32ELi128ELi256ELb0ELi10EEvPKT_PKT0_S8_ifPKiSA_SA_iPKfiiiPfSD_PS3_PT2_iSC_SC_,comdat
	.protected	_Z39paged_attention_ll4mi_QKV_mfma16_kernelI14__hip_bfloat16S0_LN4vllm18Fp8KVCacheDataTypeE0EhLi32ELi128ELi256ELb0ELi10EEvPKT_PKT0_S8_ifPKiSA_SA_iPKfiiiPfSD_PS3_PT2_iSC_SC_ ; -- Begin function _Z39paged_attention_ll4mi_QKV_mfma16_kernelI14__hip_bfloat16S0_LN4vllm18Fp8KVCacheDataTypeE0EhLi32ELi128ELi256ELb0ELi10EEvPKT_PKT0_S8_ifPKiSA_SA_iPKfiiiPfSD_PS3_PT2_iSC_SC_
	.globl	_Z39paged_attention_ll4mi_QKV_mfma16_kernelI14__hip_bfloat16S0_LN4vllm18Fp8KVCacheDataTypeE0EhLi32ELi128ELi256ELb0ELi10EEvPKT_PKT0_S8_ifPKiSA_SA_iPKfiiiPfSD_PS3_PT2_iSC_SC_
	.p2align	8
	.type	_Z39paged_attention_ll4mi_QKV_mfma16_kernelI14__hip_bfloat16S0_LN4vllm18Fp8KVCacheDataTypeE0EhLi32ELi128ELi256ELb0ELi10EEvPKT_PKT0_S8_ifPKiSA_SA_iPKfiiiPfSD_PS3_PT2_iSC_SC_,@function
_Z39paged_attention_ll4mi_QKV_mfma16_kernelI14__hip_bfloat16S0_LN4vllm18Fp8KVCacheDataTypeE0EhLi32ELi128ELi256ELb0ELi10EEvPKT_PKT0_S8_ifPKiSA_SA_iPKfiiiPfSD_PS3_PT2_iSC_SC_: ; @_Z39paged_attention_ll4mi_QKV_mfma16_kernelI14__hip_bfloat16S0_LN4vllm18Fp8KVCacheDataTypeE0EhLi32ELi128ELi256ELb0ELi10EEvPKT_PKT0_S8_ifPKiSA_SA_iPKfiiiPfSD_PS3_PT2_iSC_SC_
; %bb.0:
	s_get_pc_i64 s[2:3]
	s_add_nc_u64 s[2:3], s[2:3], __PRETTY_FUNCTION__._Z39paged_attention_ll4mi_QKV_mfma16_kernelI14__hip_bfloat16S0_LN4vllm18Fp8KVCacheDataTypeE0EhLi32ELi128ELi256ELb0ELi10EEvPKT_PKT0_S8_ifPKiSA_SA_iPKfiiiPfSD_PS3_PT2_iSC_SC_@rel64+4
	s_delay_alu instid0(SALU_CYCLE_1)
	v_dual_mov_b32 v0, 0xbb3 :: v_dual_mov_b32 v1, s2
	v_mov_b32_e32 v2, s3
	s_add_nc_u64 s[8:9], s[0:1], 0x90
	s_get_pc_i64 s[0:1]
	s_add_nc_u64 s[0:1], s[0:1], __assert_fail@rel64+4
	s_mov_b32 s32, 0
	s_swap_pc_i64 s[30:31], s[0:1]
	.section	.rodata,"a",@progbits
	.p2align	6, 0x0
	.amdhsa_kernel _Z39paged_attention_ll4mi_QKV_mfma16_kernelI14__hip_bfloat16S0_LN4vllm18Fp8KVCacheDataTypeE0EhLi32ELi128ELi256ELb0ELi10EEvPKT_PKT0_S8_ifPKiSA_SA_iPKfiiiPfSD_PS3_PT2_iSC_SC_
		.amdhsa_group_segment_fixed_size 0
		.amdhsa_private_segment_fixed_size 64
		.amdhsa_kernarg_size 400
		.amdhsa_user_sgpr_count 2
		.amdhsa_user_sgpr_dispatch_ptr 0
		.amdhsa_user_sgpr_queue_ptr 0
		.amdhsa_user_sgpr_kernarg_segment_ptr 1
		.amdhsa_user_sgpr_dispatch_id 0
		.amdhsa_user_sgpr_kernarg_preload_length 0
		.amdhsa_user_sgpr_kernarg_preload_offset 0
		.amdhsa_user_sgpr_private_segment_size 0
		.amdhsa_wavefront_size32 1
		.amdhsa_uses_dynamic_stack 0
		.amdhsa_enable_private_segment 1
		.amdhsa_system_sgpr_workgroup_id_x 1
		.amdhsa_system_sgpr_workgroup_id_y 0
		.amdhsa_system_sgpr_workgroup_id_z 0
		.amdhsa_system_sgpr_workgroup_info 0
		.amdhsa_system_vgpr_workitem_id 0
		.amdhsa_next_free_vgpr 51
		.amdhsa_next_free_sgpr 34
		.amdhsa_named_barrier_count 0
		.amdhsa_reserve_vcc 1
		.amdhsa_float_round_mode_32 0
		.amdhsa_float_round_mode_16_64 0
		.amdhsa_float_denorm_mode_32 3
		.amdhsa_float_denorm_mode_16_64 3
		.amdhsa_fp16_overflow 0
		.amdhsa_memory_ordered 1
		.amdhsa_forward_progress 1
		.amdhsa_inst_pref_size 1
		.amdhsa_round_robin_scheduling 0
		.amdhsa_exception_fp_ieee_invalid_op 0
		.amdhsa_exception_fp_denorm_src 0
		.amdhsa_exception_fp_ieee_div_zero 0
		.amdhsa_exception_fp_ieee_overflow 0
		.amdhsa_exception_fp_ieee_underflow 0
		.amdhsa_exception_fp_ieee_inexact 0
		.amdhsa_exception_int_div_zero 0
	.end_amdhsa_kernel
	.section	.text._Z39paged_attention_ll4mi_QKV_mfma16_kernelI14__hip_bfloat16S0_LN4vllm18Fp8KVCacheDataTypeE0EhLi32ELi128ELi256ELb0ELi10EEvPKT_PKT0_S8_ifPKiSA_SA_iPKfiiiPfSD_PS3_PT2_iSC_SC_,"axG",@progbits,_Z39paged_attention_ll4mi_QKV_mfma16_kernelI14__hip_bfloat16S0_LN4vllm18Fp8KVCacheDataTypeE0EhLi32ELi128ELi256ELb0ELi10EEvPKT_PKT0_S8_ifPKiSA_SA_iPKfiiiPfSD_PS3_PT2_iSC_SC_,comdat
.Lfunc_end719:
	.size	_Z39paged_attention_ll4mi_QKV_mfma16_kernelI14__hip_bfloat16S0_LN4vllm18Fp8KVCacheDataTypeE0EhLi32ELi128ELi256ELb0ELi10EEvPKT_PKT0_S8_ifPKiSA_SA_iPKfiiiPfSD_PS3_PT2_iSC_SC_, .Lfunc_end719-_Z39paged_attention_ll4mi_QKV_mfma16_kernelI14__hip_bfloat16S0_LN4vllm18Fp8KVCacheDataTypeE0EhLi32ELi128ELi256ELb0ELi10EEvPKT_PKT0_S8_ifPKiSA_SA_iPKfiiiPfSD_PS3_PT2_iSC_SC_
                                        ; -- End function
	.set _Z39paged_attention_ll4mi_QKV_mfma16_kernelI14__hip_bfloat16S0_LN4vllm18Fp8KVCacheDataTypeE0EhLi32ELi128ELi256ELb0ELi10EEvPKT_PKT0_S8_ifPKiSA_SA_iPKfiiiPfSD_PS3_PT2_iSC_SC_.num_vgpr, max(3, .L__assert_fail.num_vgpr)
	.set _Z39paged_attention_ll4mi_QKV_mfma16_kernelI14__hip_bfloat16S0_LN4vllm18Fp8KVCacheDataTypeE0EhLi32ELi128ELi256ELb0ELi10EEvPKT_PKT0_S8_ifPKiSA_SA_iPKfiiiPfSD_PS3_PT2_iSC_SC_.num_agpr, max(0, .L__assert_fail.num_agpr)
	.set _Z39paged_attention_ll4mi_QKV_mfma16_kernelI14__hip_bfloat16S0_LN4vllm18Fp8KVCacheDataTypeE0EhLi32ELi128ELi256ELb0ELi10EEvPKT_PKT0_S8_ifPKiSA_SA_iPKfiiiPfSD_PS3_PT2_iSC_SC_.numbered_sgpr, max(33, .L__assert_fail.numbered_sgpr)
	.set _Z39paged_attention_ll4mi_QKV_mfma16_kernelI14__hip_bfloat16S0_LN4vllm18Fp8KVCacheDataTypeE0EhLi32ELi128ELi256ELb0ELi10EEvPKT_PKT0_S8_ifPKiSA_SA_iPKfiiiPfSD_PS3_PT2_iSC_SC_.num_named_barrier, max(0, .L__assert_fail.num_named_barrier)
	.set _Z39paged_attention_ll4mi_QKV_mfma16_kernelI14__hip_bfloat16S0_LN4vllm18Fp8KVCacheDataTypeE0EhLi32ELi128ELi256ELb0ELi10EEvPKT_PKT0_S8_ifPKiSA_SA_iPKfiiiPfSD_PS3_PT2_iSC_SC_.private_seg_size, 0+max(.L__assert_fail.private_seg_size)
	.set _Z39paged_attention_ll4mi_QKV_mfma16_kernelI14__hip_bfloat16S0_LN4vllm18Fp8KVCacheDataTypeE0EhLi32ELi128ELi256ELb0ELi10EEvPKT_PKT0_S8_ifPKiSA_SA_iPKfiiiPfSD_PS3_PT2_iSC_SC_.uses_vcc, or(1, .L__assert_fail.uses_vcc)
	.set _Z39paged_attention_ll4mi_QKV_mfma16_kernelI14__hip_bfloat16S0_LN4vllm18Fp8KVCacheDataTypeE0EhLi32ELi128ELi256ELb0ELi10EEvPKT_PKT0_S8_ifPKiSA_SA_iPKfiiiPfSD_PS3_PT2_iSC_SC_.uses_flat_scratch, or(0, .L__assert_fail.uses_flat_scratch)
	.set _Z39paged_attention_ll4mi_QKV_mfma16_kernelI14__hip_bfloat16S0_LN4vllm18Fp8KVCacheDataTypeE0EhLi32ELi128ELi256ELb0ELi10EEvPKT_PKT0_S8_ifPKiSA_SA_iPKfiiiPfSD_PS3_PT2_iSC_SC_.has_dyn_sized_stack, or(0, .L__assert_fail.has_dyn_sized_stack)
	.set _Z39paged_attention_ll4mi_QKV_mfma16_kernelI14__hip_bfloat16S0_LN4vllm18Fp8KVCacheDataTypeE0EhLi32ELi128ELi256ELb0ELi10EEvPKT_PKT0_S8_ifPKiSA_SA_iPKfiiiPfSD_PS3_PT2_iSC_SC_.has_recursion, or(0, .L__assert_fail.has_recursion)
	.set _Z39paged_attention_ll4mi_QKV_mfma16_kernelI14__hip_bfloat16S0_LN4vllm18Fp8KVCacheDataTypeE0EhLi32ELi128ELi256ELb0ELi10EEvPKT_PKT0_S8_ifPKiSA_SA_iPKfiiiPfSD_PS3_PT2_iSC_SC_.has_indirect_call, or(0, .L__assert_fail.has_indirect_call)
	.section	.AMDGPU.csdata,"",@progbits
; Kernel info:
; codeLenInByte = 68
; TotalNumSgprs: 36
; NumVgprs: 51
; ScratchSize: 64
; MemoryBound: 0
; FloatMode: 240
; IeeeMode: 1
; LDSByteSize: 0 bytes/workgroup (compile time only)
; SGPRBlocks: 0
; VGPRBlocks: 3
; NumSGPRsForWavesPerEU: 36
; NumVGPRsForWavesPerEU: 51
; NamedBarCnt: 0
; Occupancy: 16
; WaveLimiterHint : 1
; COMPUTE_PGM_RSRC2:SCRATCH_EN: 1
; COMPUTE_PGM_RSRC2:USER_SGPR: 2
; COMPUTE_PGM_RSRC2:TRAP_HANDLER: 0
; COMPUTE_PGM_RSRC2:TGID_X_EN: 1
; COMPUTE_PGM_RSRC2:TGID_Y_EN: 0
; COMPUTE_PGM_RSRC2:TGID_Z_EN: 0
; COMPUTE_PGM_RSRC2:TIDIG_COMP_CNT: 0
	.section	.text._Z39paged_attention_ll4mi_QKV_mfma16_kernelI14__hip_bfloat16S0_LN4vllm18Fp8KVCacheDataTypeE0EhLi32ELi128ELi256ELb0ELi11EEvPKT_PKT0_S8_ifPKiSA_SA_iPKfiiiPfSD_PS3_PT2_iSC_SC_,"axG",@progbits,_Z39paged_attention_ll4mi_QKV_mfma16_kernelI14__hip_bfloat16S0_LN4vllm18Fp8KVCacheDataTypeE0EhLi32ELi128ELi256ELb0ELi11EEvPKT_PKT0_S8_ifPKiSA_SA_iPKfiiiPfSD_PS3_PT2_iSC_SC_,comdat
	.protected	_Z39paged_attention_ll4mi_QKV_mfma16_kernelI14__hip_bfloat16S0_LN4vllm18Fp8KVCacheDataTypeE0EhLi32ELi128ELi256ELb0ELi11EEvPKT_PKT0_S8_ifPKiSA_SA_iPKfiiiPfSD_PS3_PT2_iSC_SC_ ; -- Begin function _Z39paged_attention_ll4mi_QKV_mfma16_kernelI14__hip_bfloat16S0_LN4vllm18Fp8KVCacheDataTypeE0EhLi32ELi128ELi256ELb0ELi11EEvPKT_PKT0_S8_ifPKiSA_SA_iPKfiiiPfSD_PS3_PT2_iSC_SC_
	.globl	_Z39paged_attention_ll4mi_QKV_mfma16_kernelI14__hip_bfloat16S0_LN4vllm18Fp8KVCacheDataTypeE0EhLi32ELi128ELi256ELb0ELi11EEvPKT_PKT0_S8_ifPKiSA_SA_iPKfiiiPfSD_PS3_PT2_iSC_SC_
	.p2align	8
	.type	_Z39paged_attention_ll4mi_QKV_mfma16_kernelI14__hip_bfloat16S0_LN4vllm18Fp8KVCacheDataTypeE0EhLi32ELi128ELi256ELb0ELi11EEvPKT_PKT0_S8_ifPKiSA_SA_iPKfiiiPfSD_PS3_PT2_iSC_SC_,@function
_Z39paged_attention_ll4mi_QKV_mfma16_kernelI14__hip_bfloat16S0_LN4vllm18Fp8KVCacheDataTypeE0EhLi32ELi128ELi256ELb0ELi11EEvPKT_PKT0_S8_ifPKiSA_SA_iPKfiiiPfSD_PS3_PT2_iSC_SC_: ; @_Z39paged_attention_ll4mi_QKV_mfma16_kernelI14__hip_bfloat16S0_LN4vllm18Fp8KVCacheDataTypeE0EhLi32ELi128ELi256ELb0ELi11EEvPKT_PKT0_S8_ifPKiSA_SA_iPKfiiiPfSD_PS3_PT2_iSC_SC_
; %bb.0:
	s_get_pc_i64 s[2:3]
	s_add_nc_u64 s[2:3], s[2:3], __PRETTY_FUNCTION__._Z39paged_attention_ll4mi_QKV_mfma16_kernelI14__hip_bfloat16S0_LN4vllm18Fp8KVCacheDataTypeE0EhLi32ELi128ELi256ELb0ELi11EEvPKT_PKT0_S8_ifPKiSA_SA_iPKfiiiPfSD_PS3_PT2_iSC_SC_@rel64+4
	s_delay_alu instid0(SALU_CYCLE_1)
	v_dual_mov_b32 v0, 0xbb3 :: v_dual_mov_b32 v1, s2
	v_mov_b32_e32 v2, s3
	s_add_nc_u64 s[8:9], s[0:1], 0x90
	s_get_pc_i64 s[0:1]
	s_add_nc_u64 s[0:1], s[0:1], __assert_fail@rel64+4
	s_mov_b32 s32, 0
	s_swap_pc_i64 s[30:31], s[0:1]
	.section	.rodata,"a",@progbits
	.p2align	6, 0x0
	.amdhsa_kernel _Z39paged_attention_ll4mi_QKV_mfma16_kernelI14__hip_bfloat16S0_LN4vllm18Fp8KVCacheDataTypeE0EhLi32ELi128ELi256ELb0ELi11EEvPKT_PKT0_S8_ifPKiSA_SA_iPKfiiiPfSD_PS3_PT2_iSC_SC_
		.amdhsa_group_segment_fixed_size 0
		.amdhsa_private_segment_fixed_size 64
		.amdhsa_kernarg_size 400
		.amdhsa_user_sgpr_count 2
		.amdhsa_user_sgpr_dispatch_ptr 0
		.amdhsa_user_sgpr_queue_ptr 0
		.amdhsa_user_sgpr_kernarg_segment_ptr 1
		.amdhsa_user_sgpr_dispatch_id 0
		.amdhsa_user_sgpr_kernarg_preload_length 0
		.amdhsa_user_sgpr_kernarg_preload_offset 0
		.amdhsa_user_sgpr_private_segment_size 0
		.amdhsa_wavefront_size32 1
		.amdhsa_uses_dynamic_stack 0
		.amdhsa_enable_private_segment 1
		.amdhsa_system_sgpr_workgroup_id_x 1
		.amdhsa_system_sgpr_workgroup_id_y 0
		.amdhsa_system_sgpr_workgroup_id_z 0
		.amdhsa_system_sgpr_workgroup_info 0
		.amdhsa_system_vgpr_workitem_id 0
		.amdhsa_next_free_vgpr 51
		.amdhsa_next_free_sgpr 34
		.amdhsa_named_barrier_count 0
		.amdhsa_reserve_vcc 1
		.amdhsa_float_round_mode_32 0
		.amdhsa_float_round_mode_16_64 0
		.amdhsa_float_denorm_mode_32 3
		.amdhsa_float_denorm_mode_16_64 3
		.amdhsa_fp16_overflow 0
		.amdhsa_memory_ordered 1
		.amdhsa_forward_progress 1
		.amdhsa_inst_pref_size 1
		.amdhsa_round_robin_scheduling 0
		.amdhsa_exception_fp_ieee_invalid_op 0
		.amdhsa_exception_fp_denorm_src 0
		.amdhsa_exception_fp_ieee_div_zero 0
		.amdhsa_exception_fp_ieee_overflow 0
		.amdhsa_exception_fp_ieee_underflow 0
		.amdhsa_exception_fp_ieee_inexact 0
		.amdhsa_exception_int_div_zero 0
	.end_amdhsa_kernel
	.section	.text._Z39paged_attention_ll4mi_QKV_mfma16_kernelI14__hip_bfloat16S0_LN4vllm18Fp8KVCacheDataTypeE0EhLi32ELi128ELi256ELb0ELi11EEvPKT_PKT0_S8_ifPKiSA_SA_iPKfiiiPfSD_PS3_PT2_iSC_SC_,"axG",@progbits,_Z39paged_attention_ll4mi_QKV_mfma16_kernelI14__hip_bfloat16S0_LN4vllm18Fp8KVCacheDataTypeE0EhLi32ELi128ELi256ELb0ELi11EEvPKT_PKT0_S8_ifPKiSA_SA_iPKfiiiPfSD_PS3_PT2_iSC_SC_,comdat
.Lfunc_end720:
	.size	_Z39paged_attention_ll4mi_QKV_mfma16_kernelI14__hip_bfloat16S0_LN4vllm18Fp8KVCacheDataTypeE0EhLi32ELi128ELi256ELb0ELi11EEvPKT_PKT0_S8_ifPKiSA_SA_iPKfiiiPfSD_PS3_PT2_iSC_SC_, .Lfunc_end720-_Z39paged_attention_ll4mi_QKV_mfma16_kernelI14__hip_bfloat16S0_LN4vllm18Fp8KVCacheDataTypeE0EhLi32ELi128ELi256ELb0ELi11EEvPKT_PKT0_S8_ifPKiSA_SA_iPKfiiiPfSD_PS3_PT2_iSC_SC_
                                        ; -- End function
	.set _Z39paged_attention_ll4mi_QKV_mfma16_kernelI14__hip_bfloat16S0_LN4vllm18Fp8KVCacheDataTypeE0EhLi32ELi128ELi256ELb0ELi11EEvPKT_PKT0_S8_ifPKiSA_SA_iPKfiiiPfSD_PS3_PT2_iSC_SC_.num_vgpr, max(3, .L__assert_fail.num_vgpr)
	.set _Z39paged_attention_ll4mi_QKV_mfma16_kernelI14__hip_bfloat16S0_LN4vllm18Fp8KVCacheDataTypeE0EhLi32ELi128ELi256ELb0ELi11EEvPKT_PKT0_S8_ifPKiSA_SA_iPKfiiiPfSD_PS3_PT2_iSC_SC_.num_agpr, max(0, .L__assert_fail.num_agpr)
	.set _Z39paged_attention_ll4mi_QKV_mfma16_kernelI14__hip_bfloat16S0_LN4vllm18Fp8KVCacheDataTypeE0EhLi32ELi128ELi256ELb0ELi11EEvPKT_PKT0_S8_ifPKiSA_SA_iPKfiiiPfSD_PS3_PT2_iSC_SC_.numbered_sgpr, max(33, .L__assert_fail.numbered_sgpr)
	.set _Z39paged_attention_ll4mi_QKV_mfma16_kernelI14__hip_bfloat16S0_LN4vllm18Fp8KVCacheDataTypeE0EhLi32ELi128ELi256ELb0ELi11EEvPKT_PKT0_S8_ifPKiSA_SA_iPKfiiiPfSD_PS3_PT2_iSC_SC_.num_named_barrier, max(0, .L__assert_fail.num_named_barrier)
	.set _Z39paged_attention_ll4mi_QKV_mfma16_kernelI14__hip_bfloat16S0_LN4vllm18Fp8KVCacheDataTypeE0EhLi32ELi128ELi256ELb0ELi11EEvPKT_PKT0_S8_ifPKiSA_SA_iPKfiiiPfSD_PS3_PT2_iSC_SC_.private_seg_size, 0+max(.L__assert_fail.private_seg_size)
	.set _Z39paged_attention_ll4mi_QKV_mfma16_kernelI14__hip_bfloat16S0_LN4vllm18Fp8KVCacheDataTypeE0EhLi32ELi128ELi256ELb0ELi11EEvPKT_PKT0_S8_ifPKiSA_SA_iPKfiiiPfSD_PS3_PT2_iSC_SC_.uses_vcc, or(1, .L__assert_fail.uses_vcc)
	.set _Z39paged_attention_ll4mi_QKV_mfma16_kernelI14__hip_bfloat16S0_LN4vllm18Fp8KVCacheDataTypeE0EhLi32ELi128ELi256ELb0ELi11EEvPKT_PKT0_S8_ifPKiSA_SA_iPKfiiiPfSD_PS3_PT2_iSC_SC_.uses_flat_scratch, or(0, .L__assert_fail.uses_flat_scratch)
	.set _Z39paged_attention_ll4mi_QKV_mfma16_kernelI14__hip_bfloat16S0_LN4vllm18Fp8KVCacheDataTypeE0EhLi32ELi128ELi256ELb0ELi11EEvPKT_PKT0_S8_ifPKiSA_SA_iPKfiiiPfSD_PS3_PT2_iSC_SC_.has_dyn_sized_stack, or(0, .L__assert_fail.has_dyn_sized_stack)
	.set _Z39paged_attention_ll4mi_QKV_mfma16_kernelI14__hip_bfloat16S0_LN4vllm18Fp8KVCacheDataTypeE0EhLi32ELi128ELi256ELb0ELi11EEvPKT_PKT0_S8_ifPKiSA_SA_iPKfiiiPfSD_PS3_PT2_iSC_SC_.has_recursion, or(0, .L__assert_fail.has_recursion)
	.set _Z39paged_attention_ll4mi_QKV_mfma16_kernelI14__hip_bfloat16S0_LN4vllm18Fp8KVCacheDataTypeE0EhLi32ELi128ELi256ELb0ELi11EEvPKT_PKT0_S8_ifPKiSA_SA_iPKfiiiPfSD_PS3_PT2_iSC_SC_.has_indirect_call, or(0, .L__assert_fail.has_indirect_call)
	.section	.AMDGPU.csdata,"",@progbits
; Kernel info:
; codeLenInByte = 68
; TotalNumSgprs: 36
; NumVgprs: 51
; ScratchSize: 64
; MemoryBound: 0
; FloatMode: 240
; IeeeMode: 1
; LDSByteSize: 0 bytes/workgroup (compile time only)
; SGPRBlocks: 0
; VGPRBlocks: 3
; NumSGPRsForWavesPerEU: 36
; NumVGPRsForWavesPerEU: 51
; NamedBarCnt: 0
; Occupancy: 16
; WaveLimiterHint : 1
; COMPUTE_PGM_RSRC2:SCRATCH_EN: 1
; COMPUTE_PGM_RSRC2:USER_SGPR: 2
; COMPUTE_PGM_RSRC2:TRAP_HANDLER: 0
; COMPUTE_PGM_RSRC2:TGID_X_EN: 1
; COMPUTE_PGM_RSRC2:TGID_Y_EN: 0
; COMPUTE_PGM_RSRC2:TGID_Z_EN: 0
; COMPUTE_PGM_RSRC2:TIDIG_COMP_CNT: 0
	.section	.text._Z39paged_attention_ll4mi_QKV_mfma16_kernelI14__hip_bfloat16S0_LN4vllm18Fp8KVCacheDataTypeE0EhLi32ELi128ELi256ELb0ELi12EEvPKT_PKT0_S8_ifPKiSA_SA_iPKfiiiPfSD_PS3_PT2_iSC_SC_,"axG",@progbits,_Z39paged_attention_ll4mi_QKV_mfma16_kernelI14__hip_bfloat16S0_LN4vllm18Fp8KVCacheDataTypeE0EhLi32ELi128ELi256ELb0ELi12EEvPKT_PKT0_S8_ifPKiSA_SA_iPKfiiiPfSD_PS3_PT2_iSC_SC_,comdat
	.protected	_Z39paged_attention_ll4mi_QKV_mfma16_kernelI14__hip_bfloat16S0_LN4vllm18Fp8KVCacheDataTypeE0EhLi32ELi128ELi256ELb0ELi12EEvPKT_PKT0_S8_ifPKiSA_SA_iPKfiiiPfSD_PS3_PT2_iSC_SC_ ; -- Begin function _Z39paged_attention_ll4mi_QKV_mfma16_kernelI14__hip_bfloat16S0_LN4vllm18Fp8KVCacheDataTypeE0EhLi32ELi128ELi256ELb0ELi12EEvPKT_PKT0_S8_ifPKiSA_SA_iPKfiiiPfSD_PS3_PT2_iSC_SC_
	.globl	_Z39paged_attention_ll4mi_QKV_mfma16_kernelI14__hip_bfloat16S0_LN4vllm18Fp8KVCacheDataTypeE0EhLi32ELi128ELi256ELb0ELi12EEvPKT_PKT0_S8_ifPKiSA_SA_iPKfiiiPfSD_PS3_PT2_iSC_SC_
	.p2align	8
	.type	_Z39paged_attention_ll4mi_QKV_mfma16_kernelI14__hip_bfloat16S0_LN4vllm18Fp8KVCacheDataTypeE0EhLi32ELi128ELi256ELb0ELi12EEvPKT_PKT0_S8_ifPKiSA_SA_iPKfiiiPfSD_PS3_PT2_iSC_SC_,@function
_Z39paged_attention_ll4mi_QKV_mfma16_kernelI14__hip_bfloat16S0_LN4vllm18Fp8KVCacheDataTypeE0EhLi32ELi128ELi256ELb0ELi12EEvPKT_PKT0_S8_ifPKiSA_SA_iPKfiiiPfSD_PS3_PT2_iSC_SC_: ; @_Z39paged_attention_ll4mi_QKV_mfma16_kernelI14__hip_bfloat16S0_LN4vllm18Fp8KVCacheDataTypeE0EhLi32ELi128ELi256ELb0ELi12EEvPKT_PKT0_S8_ifPKiSA_SA_iPKfiiiPfSD_PS3_PT2_iSC_SC_
; %bb.0:
	s_get_pc_i64 s[2:3]
	s_add_nc_u64 s[2:3], s[2:3], __PRETTY_FUNCTION__._Z39paged_attention_ll4mi_QKV_mfma16_kernelI14__hip_bfloat16S0_LN4vllm18Fp8KVCacheDataTypeE0EhLi32ELi128ELi256ELb0ELi12EEvPKT_PKT0_S8_ifPKiSA_SA_iPKfiiiPfSD_PS3_PT2_iSC_SC_@rel64+4
	s_delay_alu instid0(SALU_CYCLE_1)
	v_dual_mov_b32 v0, 0xbb3 :: v_dual_mov_b32 v1, s2
	v_mov_b32_e32 v2, s3
	s_add_nc_u64 s[8:9], s[0:1], 0x90
	s_get_pc_i64 s[0:1]
	s_add_nc_u64 s[0:1], s[0:1], __assert_fail@rel64+4
	s_mov_b32 s32, 0
	s_swap_pc_i64 s[30:31], s[0:1]
	.section	.rodata,"a",@progbits
	.p2align	6, 0x0
	.amdhsa_kernel _Z39paged_attention_ll4mi_QKV_mfma16_kernelI14__hip_bfloat16S0_LN4vllm18Fp8KVCacheDataTypeE0EhLi32ELi128ELi256ELb0ELi12EEvPKT_PKT0_S8_ifPKiSA_SA_iPKfiiiPfSD_PS3_PT2_iSC_SC_
		.amdhsa_group_segment_fixed_size 0
		.amdhsa_private_segment_fixed_size 64
		.amdhsa_kernarg_size 400
		.amdhsa_user_sgpr_count 2
		.amdhsa_user_sgpr_dispatch_ptr 0
		.amdhsa_user_sgpr_queue_ptr 0
		.amdhsa_user_sgpr_kernarg_segment_ptr 1
		.amdhsa_user_sgpr_dispatch_id 0
		.amdhsa_user_sgpr_kernarg_preload_length 0
		.amdhsa_user_sgpr_kernarg_preload_offset 0
		.amdhsa_user_sgpr_private_segment_size 0
		.amdhsa_wavefront_size32 1
		.amdhsa_uses_dynamic_stack 0
		.amdhsa_enable_private_segment 1
		.amdhsa_system_sgpr_workgroup_id_x 1
		.amdhsa_system_sgpr_workgroup_id_y 0
		.amdhsa_system_sgpr_workgroup_id_z 0
		.amdhsa_system_sgpr_workgroup_info 0
		.amdhsa_system_vgpr_workitem_id 0
		.amdhsa_next_free_vgpr 51
		.amdhsa_next_free_sgpr 34
		.amdhsa_named_barrier_count 0
		.amdhsa_reserve_vcc 1
		.amdhsa_float_round_mode_32 0
		.amdhsa_float_round_mode_16_64 0
		.amdhsa_float_denorm_mode_32 3
		.amdhsa_float_denorm_mode_16_64 3
		.amdhsa_fp16_overflow 0
		.amdhsa_memory_ordered 1
		.amdhsa_forward_progress 1
		.amdhsa_inst_pref_size 1
		.amdhsa_round_robin_scheduling 0
		.amdhsa_exception_fp_ieee_invalid_op 0
		.amdhsa_exception_fp_denorm_src 0
		.amdhsa_exception_fp_ieee_div_zero 0
		.amdhsa_exception_fp_ieee_overflow 0
		.amdhsa_exception_fp_ieee_underflow 0
		.amdhsa_exception_fp_ieee_inexact 0
		.amdhsa_exception_int_div_zero 0
	.end_amdhsa_kernel
	.section	.text._Z39paged_attention_ll4mi_QKV_mfma16_kernelI14__hip_bfloat16S0_LN4vllm18Fp8KVCacheDataTypeE0EhLi32ELi128ELi256ELb0ELi12EEvPKT_PKT0_S8_ifPKiSA_SA_iPKfiiiPfSD_PS3_PT2_iSC_SC_,"axG",@progbits,_Z39paged_attention_ll4mi_QKV_mfma16_kernelI14__hip_bfloat16S0_LN4vllm18Fp8KVCacheDataTypeE0EhLi32ELi128ELi256ELb0ELi12EEvPKT_PKT0_S8_ifPKiSA_SA_iPKfiiiPfSD_PS3_PT2_iSC_SC_,comdat
.Lfunc_end721:
	.size	_Z39paged_attention_ll4mi_QKV_mfma16_kernelI14__hip_bfloat16S0_LN4vllm18Fp8KVCacheDataTypeE0EhLi32ELi128ELi256ELb0ELi12EEvPKT_PKT0_S8_ifPKiSA_SA_iPKfiiiPfSD_PS3_PT2_iSC_SC_, .Lfunc_end721-_Z39paged_attention_ll4mi_QKV_mfma16_kernelI14__hip_bfloat16S0_LN4vllm18Fp8KVCacheDataTypeE0EhLi32ELi128ELi256ELb0ELi12EEvPKT_PKT0_S8_ifPKiSA_SA_iPKfiiiPfSD_PS3_PT2_iSC_SC_
                                        ; -- End function
	.set _Z39paged_attention_ll4mi_QKV_mfma16_kernelI14__hip_bfloat16S0_LN4vllm18Fp8KVCacheDataTypeE0EhLi32ELi128ELi256ELb0ELi12EEvPKT_PKT0_S8_ifPKiSA_SA_iPKfiiiPfSD_PS3_PT2_iSC_SC_.num_vgpr, max(3, .L__assert_fail.num_vgpr)
	.set _Z39paged_attention_ll4mi_QKV_mfma16_kernelI14__hip_bfloat16S0_LN4vllm18Fp8KVCacheDataTypeE0EhLi32ELi128ELi256ELb0ELi12EEvPKT_PKT0_S8_ifPKiSA_SA_iPKfiiiPfSD_PS3_PT2_iSC_SC_.num_agpr, max(0, .L__assert_fail.num_agpr)
	.set _Z39paged_attention_ll4mi_QKV_mfma16_kernelI14__hip_bfloat16S0_LN4vllm18Fp8KVCacheDataTypeE0EhLi32ELi128ELi256ELb0ELi12EEvPKT_PKT0_S8_ifPKiSA_SA_iPKfiiiPfSD_PS3_PT2_iSC_SC_.numbered_sgpr, max(33, .L__assert_fail.numbered_sgpr)
	.set _Z39paged_attention_ll4mi_QKV_mfma16_kernelI14__hip_bfloat16S0_LN4vllm18Fp8KVCacheDataTypeE0EhLi32ELi128ELi256ELb0ELi12EEvPKT_PKT0_S8_ifPKiSA_SA_iPKfiiiPfSD_PS3_PT2_iSC_SC_.num_named_barrier, max(0, .L__assert_fail.num_named_barrier)
	.set _Z39paged_attention_ll4mi_QKV_mfma16_kernelI14__hip_bfloat16S0_LN4vllm18Fp8KVCacheDataTypeE0EhLi32ELi128ELi256ELb0ELi12EEvPKT_PKT0_S8_ifPKiSA_SA_iPKfiiiPfSD_PS3_PT2_iSC_SC_.private_seg_size, 0+max(.L__assert_fail.private_seg_size)
	.set _Z39paged_attention_ll4mi_QKV_mfma16_kernelI14__hip_bfloat16S0_LN4vllm18Fp8KVCacheDataTypeE0EhLi32ELi128ELi256ELb0ELi12EEvPKT_PKT0_S8_ifPKiSA_SA_iPKfiiiPfSD_PS3_PT2_iSC_SC_.uses_vcc, or(1, .L__assert_fail.uses_vcc)
	.set _Z39paged_attention_ll4mi_QKV_mfma16_kernelI14__hip_bfloat16S0_LN4vllm18Fp8KVCacheDataTypeE0EhLi32ELi128ELi256ELb0ELi12EEvPKT_PKT0_S8_ifPKiSA_SA_iPKfiiiPfSD_PS3_PT2_iSC_SC_.uses_flat_scratch, or(0, .L__assert_fail.uses_flat_scratch)
	.set _Z39paged_attention_ll4mi_QKV_mfma16_kernelI14__hip_bfloat16S0_LN4vllm18Fp8KVCacheDataTypeE0EhLi32ELi128ELi256ELb0ELi12EEvPKT_PKT0_S8_ifPKiSA_SA_iPKfiiiPfSD_PS3_PT2_iSC_SC_.has_dyn_sized_stack, or(0, .L__assert_fail.has_dyn_sized_stack)
	.set _Z39paged_attention_ll4mi_QKV_mfma16_kernelI14__hip_bfloat16S0_LN4vllm18Fp8KVCacheDataTypeE0EhLi32ELi128ELi256ELb0ELi12EEvPKT_PKT0_S8_ifPKiSA_SA_iPKfiiiPfSD_PS3_PT2_iSC_SC_.has_recursion, or(0, .L__assert_fail.has_recursion)
	.set _Z39paged_attention_ll4mi_QKV_mfma16_kernelI14__hip_bfloat16S0_LN4vllm18Fp8KVCacheDataTypeE0EhLi32ELi128ELi256ELb0ELi12EEvPKT_PKT0_S8_ifPKiSA_SA_iPKfiiiPfSD_PS3_PT2_iSC_SC_.has_indirect_call, or(0, .L__assert_fail.has_indirect_call)
	.section	.AMDGPU.csdata,"",@progbits
; Kernel info:
; codeLenInByte = 68
; TotalNumSgprs: 36
; NumVgprs: 51
; ScratchSize: 64
; MemoryBound: 0
; FloatMode: 240
; IeeeMode: 1
; LDSByteSize: 0 bytes/workgroup (compile time only)
; SGPRBlocks: 0
; VGPRBlocks: 3
; NumSGPRsForWavesPerEU: 36
; NumVGPRsForWavesPerEU: 51
; NamedBarCnt: 0
; Occupancy: 16
; WaveLimiterHint : 1
; COMPUTE_PGM_RSRC2:SCRATCH_EN: 1
; COMPUTE_PGM_RSRC2:USER_SGPR: 2
; COMPUTE_PGM_RSRC2:TRAP_HANDLER: 0
; COMPUTE_PGM_RSRC2:TGID_X_EN: 1
; COMPUTE_PGM_RSRC2:TGID_Y_EN: 0
; COMPUTE_PGM_RSRC2:TGID_Z_EN: 0
; COMPUTE_PGM_RSRC2:TIDIG_COMP_CNT: 0
	.section	.text._Z39paged_attention_ll4mi_QKV_mfma16_kernelI14__hip_bfloat16S0_LN4vllm18Fp8KVCacheDataTypeE0EhLi32ELi128ELi256ELb0ELi13EEvPKT_PKT0_S8_ifPKiSA_SA_iPKfiiiPfSD_PS3_PT2_iSC_SC_,"axG",@progbits,_Z39paged_attention_ll4mi_QKV_mfma16_kernelI14__hip_bfloat16S0_LN4vllm18Fp8KVCacheDataTypeE0EhLi32ELi128ELi256ELb0ELi13EEvPKT_PKT0_S8_ifPKiSA_SA_iPKfiiiPfSD_PS3_PT2_iSC_SC_,comdat
	.protected	_Z39paged_attention_ll4mi_QKV_mfma16_kernelI14__hip_bfloat16S0_LN4vllm18Fp8KVCacheDataTypeE0EhLi32ELi128ELi256ELb0ELi13EEvPKT_PKT0_S8_ifPKiSA_SA_iPKfiiiPfSD_PS3_PT2_iSC_SC_ ; -- Begin function _Z39paged_attention_ll4mi_QKV_mfma16_kernelI14__hip_bfloat16S0_LN4vllm18Fp8KVCacheDataTypeE0EhLi32ELi128ELi256ELb0ELi13EEvPKT_PKT0_S8_ifPKiSA_SA_iPKfiiiPfSD_PS3_PT2_iSC_SC_
	.globl	_Z39paged_attention_ll4mi_QKV_mfma16_kernelI14__hip_bfloat16S0_LN4vllm18Fp8KVCacheDataTypeE0EhLi32ELi128ELi256ELb0ELi13EEvPKT_PKT0_S8_ifPKiSA_SA_iPKfiiiPfSD_PS3_PT2_iSC_SC_
	.p2align	8
	.type	_Z39paged_attention_ll4mi_QKV_mfma16_kernelI14__hip_bfloat16S0_LN4vllm18Fp8KVCacheDataTypeE0EhLi32ELi128ELi256ELb0ELi13EEvPKT_PKT0_S8_ifPKiSA_SA_iPKfiiiPfSD_PS3_PT2_iSC_SC_,@function
_Z39paged_attention_ll4mi_QKV_mfma16_kernelI14__hip_bfloat16S0_LN4vllm18Fp8KVCacheDataTypeE0EhLi32ELi128ELi256ELb0ELi13EEvPKT_PKT0_S8_ifPKiSA_SA_iPKfiiiPfSD_PS3_PT2_iSC_SC_: ; @_Z39paged_attention_ll4mi_QKV_mfma16_kernelI14__hip_bfloat16S0_LN4vllm18Fp8KVCacheDataTypeE0EhLi32ELi128ELi256ELb0ELi13EEvPKT_PKT0_S8_ifPKiSA_SA_iPKfiiiPfSD_PS3_PT2_iSC_SC_
; %bb.0:
	s_get_pc_i64 s[2:3]
	s_add_nc_u64 s[2:3], s[2:3], __PRETTY_FUNCTION__._Z39paged_attention_ll4mi_QKV_mfma16_kernelI14__hip_bfloat16S0_LN4vllm18Fp8KVCacheDataTypeE0EhLi32ELi128ELi256ELb0ELi13EEvPKT_PKT0_S8_ifPKiSA_SA_iPKfiiiPfSD_PS3_PT2_iSC_SC_@rel64+4
	s_delay_alu instid0(SALU_CYCLE_1)
	v_dual_mov_b32 v0, 0xbb3 :: v_dual_mov_b32 v1, s2
	v_mov_b32_e32 v2, s3
	s_add_nc_u64 s[8:9], s[0:1], 0x90
	s_get_pc_i64 s[0:1]
	s_add_nc_u64 s[0:1], s[0:1], __assert_fail@rel64+4
	s_mov_b32 s32, 0
	s_swap_pc_i64 s[30:31], s[0:1]
	.section	.rodata,"a",@progbits
	.p2align	6, 0x0
	.amdhsa_kernel _Z39paged_attention_ll4mi_QKV_mfma16_kernelI14__hip_bfloat16S0_LN4vllm18Fp8KVCacheDataTypeE0EhLi32ELi128ELi256ELb0ELi13EEvPKT_PKT0_S8_ifPKiSA_SA_iPKfiiiPfSD_PS3_PT2_iSC_SC_
		.amdhsa_group_segment_fixed_size 0
		.amdhsa_private_segment_fixed_size 64
		.amdhsa_kernarg_size 400
		.amdhsa_user_sgpr_count 2
		.amdhsa_user_sgpr_dispatch_ptr 0
		.amdhsa_user_sgpr_queue_ptr 0
		.amdhsa_user_sgpr_kernarg_segment_ptr 1
		.amdhsa_user_sgpr_dispatch_id 0
		.amdhsa_user_sgpr_kernarg_preload_length 0
		.amdhsa_user_sgpr_kernarg_preload_offset 0
		.amdhsa_user_sgpr_private_segment_size 0
		.amdhsa_wavefront_size32 1
		.amdhsa_uses_dynamic_stack 0
		.amdhsa_enable_private_segment 1
		.amdhsa_system_sgpr_workgroup_id_x 1
		.amdhsa_system_sgpr_workgroup_id_y 0
		.amdhsa_system_sgpr_workgroup_id_z 0
		.amdhsa_system_sgpr_workgroup_info 0
		.amdhsa_system_vgpr_workitem_id 0
		.amdhsa_next_free_vgpr 51
		.amdhsa_next_free_sgpr 34
		.amdhsa_named_barrier_count 0
		.amdhsa_reserve_vcc 1
		.amdhsa_float_round_mode_32 0
		.amdhsa_float_round_mode_16_64 0
		.amdhsa_float_denorm_mode_32 3
		.amdhsa_float_denorm_mode_16_64 3
		.amdhsa_fp16_overflow 0
		.amdhsa_memory_ordered 1
		.amdhsa_forward_progress 1
		.amdhsa_inst_pref_size 1
		.amdhsa_round_robin_scheduling 0
		.amdhsa_exception_fp_ieee_invalid_op 0
		.amdhsa_exception_fp_denorm_src 0
		.amdhsa_exception_fp_ieee_div_zero 0
		.amdhsa_exception_fp_ieee_overflow 0
		.amdhsa_exception_fp_ieee_underflow 0
		.amdhsa_exception_fp_ieee_inexact 0
		.amdhsa_exception_int_div_zero 0
	.end_amdhsa_kernel
	.section	.text._Z39paged_attention_ll4mi_QKV_mfma16_kernelI14__hip_bfloat16S0_LN4vllm18Fp8KVCacheDataTypeE0EhLi32ELi128ELi256ELb0ELi13EEvPKT_PKT0_S8_ifPKiSA_SA_iPKfiiiPfSD_PS3_PT2_iSC_SC_,"axG",@progbits,_Z39paged_attention_ll4mi_QKV_mfma16_kernelI14__hip_bfloat16S0_LN4vllm18Fp8KVCacheDataTypeE0EhLi32ELi128ELi256ELb0ELi13EEvPKT_PKT0_S8_ifPKiSA_SA_iPKfiiiPfSD_PS3_PT2_iSC_SC_,comdat
.Lfunc_end722:
	.size	_Z39paged_attention_ll4mi_QKV_mfma16_kernelI14__hip_bfloat16S0_LN4vllm18Fp8KVCacheDataTypeE0EhLi32ELi128ELi256ELb0ELi13EEvPKT_PKT0_S8_ifPKiSA_SA_iPKfiiiPfSD_PS3_PT2_iSC_SC_, .Lfunc_end722-_Z39paged_attention_ll4mi_QKV_mfma16_kernelI14__hip_bfloat16S0_LN4vllm18Fp8KVCacheDataTypeE0EhLi32ELi128ELi256ELb0ELi13EEvPKT_PKT0_S8_ifPKiSA_SA_iPKfiiiPfSD_PS3_PT2_iSC_SC_
                                        ; -- End function
	.set _Z39paged_attention_ll4mi_QKV_mfma16_kernelI14__hip_bfloat16S0_LN4vllm18Fp8KVCacheDataTypeE0EhLi32ELi128ELi256ELb0ELi13EEvPKT_PKT0_S8_ifPKiSA_SA_iPKfiiiPfSD_PS3_PT2_iSC_SC_.num_vgpr, max(3, .L__assert_fail.num_vgpr)
	.set _Z39paged_attention_ll4mi_QKV_mfma16_kernelI14__hip_bfloat16S0_LN4vllm18Fp8KVCacheDataTypeE0EhLi32ELi128ELi256ELb0ELi13EEvPKT_PKT0_S8_ifPKiSA_SA_iPKfiiiPfSD_PS3_PT2_iSC_SC_.num_agpr, max(0, .L__assert_fail.num_agpr)
	.set _Z39paged_attention_ll4mi_QKV_mfma16_kernelI14__hip_bfloat16S0_LN4vllm18Fp8KVCacheDataTypeE0EhLi32ELi128ELi256ELb0ELi13EEvPKT_PKT0_S8_ifPKiSA_SA_iPKfiiiPfSD_PS3_PT2_iSC_SC_.numbered_sgpr, max(33, .L__assert_fail.numbered_sgpr)
	.set _Z39paged_attention_ll4mi_QKV_mfma16_kernelI14__hip_bfloat16S0_LN4vllm18Fp8KVCacheDataTypeE0EhLi32ELi128ELi256ELb0ELi13EEvPKT_PKT0_S8_ifPKiSA_SA_iPKfiiiPfSD_PS3_PT2_iSC_SC_.num_named_barrier, max(0, .L__assert_fail.num_named_barrier)
	.set _Z39paged_attention_ll4mi_QKV_mfma16_kernelI14__hip_bfloat16S0_LN4vllm18Fp8KVCacheDataTypeE0EhLi32ELi128ELi256ELb0ELi13EEvPKT_PKT0_S8_ifPKiSA_SA_iPKfiiiPfSD_PS3_PT2_iSC_SC_.private_seg_size, 0+max(.L__assert_fail.private_seg_size)
	.set _Z39paged_attention_ll4mi_QKV_mfma16_kernelI14__hip_bfloat16S0_LN4vllm18Fp8KVCacheDataTypeE0EhLi32ELi128ELi256ELb0ELi13EEvPKT_PKT0_S8_ifPKiSA_SA_iPKfiiiPfSD_PS3_PT2_iSC_SC_.uses_vcc, or(1, .L__assert_fail.uses_vcc)
	.set _Z39paged_attention_ll4mi_QKV_mfma16_kernelI14__hip_bfloat16S0_LN4vllm18Fp8KVCacheDataTypeE0EhLi32ELi128ELi256ELb0ELi13EEvPKT_PKT0_S8_ifPKiSA_SA_iPKfiiiPfSD_PS3_PT2_iSC_SC_.uses_flat_scratch, or(0, .L__assert_fail.uses_flat_scratch)
	.set _Z39paged_attention_ll4mi_QKV_mfma16_kernelI14__hip_bfloat16S0_LN4vllm18Fp8KVCacheDataTypeE0EhLi32ELi128ELi256ELb0ELi13EEvPKT_PKT0_S8_ifPKiSA_SA_iPKfiiiPfSD_PS3_PT2_iSC_SC_.has_dyn_sized_stack, or(0, .L__assert_fail.has_dyn_sized_stack)
	.set _Z39paged_attention_ll4mi_QKV_mfma16_kernelI14__hip_bfloat16S0_LN4vllm18Fp8KVCacheDataTypeE0EhLi32ELi128ELi256ELb0ELi13EEvPKT_PKT0_S8_ifPKiSA_SA_iPKfiiiPfSD_PS3_PT2_iSC_SC_.has_recursion, or(0, .L__assert_fail.has_recursion)
	.set _Z39paged_attention_ll4mi_QKV_mfma16_kernelI14__hip_bfloat16S0_LN4vllm18Fp8KVCacheDataTypeE0EhLi32ELi128ELi256ELb0ELi13EEvPKT_PKT0_S8_ifPKiSA_SA_iPKfiiiPfSD_PS3_PT2_iSC_SC_.has_indirect_call, or(0, .L__assert_fail.has_indirect_call)
	.section	.AMDGPU.csdata,"",@progbits
; Kernel info:
; codeLenInByte = 68
; TotalNumSgprs: 36
; NumVgprs: 51
; ScratchSize: 64
; MemoryBound: 0
; FloatMode: 240
; IeeeMode: 1
; LDSByteSize: 0 bytes/workgroup (compile time only)
; SGPRBlocks: 0
; VGPRBlocks: 3
; NumSGPRsForWavesPerEU: 36
; NumVGPRsForWavesPerEU: 51
; NamedBarCnt: 0
; Occupancy: 16
; WaveLimiterHint : 1
; COMPUTE_PGM_RSRC2:SCRATCH_EN: 1
; COMPUTE_PGM_RSRC2:USER_SGPR: 2
; COMPUTE_PGM_RSRC2:TRAP_HANDLER: 0
; COMPUTE_PGM_RSRC2:TGID_X_EN: 1
; COMPUTE_PGM_RSRC2:TGID_Y_EN: 0
; COMPUTE_PGM_RSRC2:TGID_Z_EN: 0
; COMPUTE_PGM_RSRC2:TIDIG_COMP_CNT: 0
	.section	.text._Z39paged_attention_ll4mi_QKV_mfma16_kernelI14__hip_bfloat16S0_LN4vllm18Fp8KVCacheDataTypeE0EhLi32ELi128ELi256ELb0ELi14EEvPKT_PKT0_S8_ifPKiSA_SA_iPKfiiiPfSD_PS3_PT2_iSC_SC_,"axG",@progbits,_Z39paged_attention_ll4mi_QKV_mfma16_kernelI14__hip_bfloat16S0_LN4vllm18Fp8KVCacheDataTypeE0EhLi32ELi128ELi256ELb0ELi14EEvPKT_PKT0_S8_ifPKiSA_SA_iPKfiiiPfSD_PS3_PT2_iSC_SC_,comdat
	.protected	_Z39paged_attention_ll4mi_QKV_mfma16_kernelI14__hip_bfloat16S0_LN4vllm18Fp8KVCacheDataTypeE0EhLi32ELi128ELi256ELb0ELi14EEvPKT_PKT0_S8_ifPKiSA_SA_iPKfiiiPfSD_PS3_PT2_iSC_SC_ ; -- Begin function _Z39paged_attention_ll4mi_QKV_mfma16_kernelI14__hip_bfloat16S0_LN4vllm18Fp8KVCacheDataTypeE0EhLi32ELi128ELi256ELb0ELi14EEvPKT_PKT0_S8_ifPKiSA_SA_iPKfiiiPfSD_PS3_PT2_iSC_SC_
	.globl	_Z39paged_attention_ll4mi_QKV_mfma16_kernelI14__hip_bfloat16S0_LN4vllm18Fp8KVCacheDataTypeE0EhLi32ELi128ELi256ELb0ELi14EEvPKT_PKT0_S8_ifPKiSA_SA_iPKfiiiPfSD_PS3_PT2_iSC_SC_
	.p2align	8
	.type	_Z39paged_attention_ll4mi_QKV_mfma16_kernelI14__hip_bfloat16S0_LN4vllm18Fp8KVCacheDataTypeE0EhLi32ELi128ELi256ELb0ELi14EEvPKT_PKT0_S8_ifPKiSA_SA_iPKfiiiPfSD_PS3_PT2_iSC_SC_,@function
_Z39paged_attention_ll4mi_QKV_mfma16_kernelI14__hip_bfloat16S0_LN4vllm18Fp8KVCacheDataTypeE0EhLi32ELi128ELi256ELb0ELi14EEvPKT_PKT0_S8_ifPKiSA_SA_iPKfiiiPfSD_PS3_PT2_iSC_SC_: ; @_Z39paged_attention_ll4mi_QKV_mfma16_kernelI14__hip_bfloat16S0_LN4vllm18Fp8KVCacheDataTypeE0EhLi32ELi128ELi256ELb0ELi14EEvPKT_PKT0_S8_ifPKiSA_SA_iPKfiiiPfSD_PS3_PT2_iSC_SC_
; %bb.0:
	s_get_pc_i64 s[2:3]
	s_add_nc_u64 s[2:3], s[2:3], __PRETTY_FUNCTION__._Z39paged_attention_ll4mi_QKV_mfma16_kernelI14__hip_bfloat16S0_LN4vllm18Fp8KVCacheDataTypeE0EhLi32ELi128ELi256ELb0ELi14EEvPKT_PKT0_S8_ifPKiSA_SA_iPKfiiiPfSD_PS3_PT2_iSC_SC_@rel64+4
	s_delay_alu instid0(SALU_CYCLE_1)
	v_dual_mov_b32 v0, 0xbb3 :: v_dual_mov_b32 v1, s2
	v_mov_b32_e32 v2, s3
	s_add_nc_u64 s[8:9], s[0:1], 0x90
	s_get_pc_i64 s[0:1]
	s_add_nc_u64 s[0:1], s[0:1], __assert_fail@rel64+4
	s_mov_b32 s32, 0
	s_swap_pc_i64 s[30:31], s[0:1]
	.section	.rodata,"a",@progbits
	.p2align	6, 0x0
	.amdhsa_kernel _Z39paged_attention_ll4mi_QKV_mfma16_kernelI14__hip_bfloat16S0_LN4vllm18Fp8KVCacheDataTypeE0EhLi32ELi128ELi256ELb0ELi14EEvPKT_PKT0_S8_ifPKiSA_SA_iPKfiiiPfSD_PS3_PT2_iSC_SC_
		.amdhsa_group_segment_fixed_size 0
		.amdhsa_private_segment_fixed_size 64
		.amdhsa_kernarg_size 400
		.amdhsa_user_sgpr_count 2
		.amdhsa_user_sgpr_dispatch_ptr 0
		.amdhsa_user_sgpr_queue_ptr 0
		.amdhsa_user_sgpr_kernarg_segment_ptr 1
		.amdhsa_user_sgpr_dispatch_id 0
		.amdhsa_user_sgpr_kernarg_preload_length 0
		.amdhsa_user_sgpr_kernarg_preload_offset 0
		.amdhsa_user_sgpr_private_segment_size 0
		.amdhsa_wavefront_size32 1
		.amdhsa_uses_dynamic_stack 0
		.amdhsa_enable_private_segment 1
		.amdhsa_system_sgpr_workgroup_id_x 1
		.amdhsa_system_sgpr_workgroup_id_y 0
		.amdhsa_system_sgpr_workgroup_id_z 0
		.amdhsa_system_sgpr_workgroup_info 0
		.amdhsa_system_vgpr_workitem_id 0
		.amdhsa_next_free_vgpr 51
		.amdhsa_next_free_sgpr 34
		.amdhsa_named_barrier_count 0
		.amdhsa_reserve_vcc 1
		.amdhsa_float_round_mode_32 0
		.amdhsa_float_round_mode_16_64 0
		.amdhsa_float_denorm_mode_32 3
		.amdhsa_float_denorm_mode_16_64 3
		.amdhsa_fp16_overflow 0
		.amdhsa_memory_ordered 1
		.amdhsa_forward_progress 1
		.amdhsa_inst_pref_size 1
		.amdhsa_round_robin_scheduling 0
		.amdhsa_exception_fp_ieee_invalid_op 0
		.amdhsa_exception_fp_denorm_src 0
		.amdhsa_exception_fp_ieee_div_zero 0
		.amdhsa_exception_fp_ieee_overflow 0
		.amdhsa_exception_fp_ieee_underflow 0
		.amdhsa_exception_fp_ieee_inexact 0
		.amdhsa_exception_int_div_zero 0
	.end_amdhsa_kernel
	.section	.text._Z39paged_attention_ll4mi_QKV_mfma16_kernelI14__hip_bfloat16S0_LN4vllm18Fp8KVCacheDataTypeE0EhLi32ELi128ELi256ELb0ELi14EEvPKT_PKT0_S8_ifPKiSA_SA_iPKfiiiPfSD_PS3_PT2_iSC_SC_,"axG",@progbits,_Z39paged_attention_ll4mi_QKV_mfma16_kernelI14__hip_bfloat16S0_LN4vllm18Fp8KVCacheDataTypeE0EhLi32ELi128ELi256ELb0ELi14EEvPKT_PKT0_S8_ifPKiSA_SA_iPKfiiiPfSD_PS3_PT2_iSC_SC_,comdat
.Lfunc_end723:
	.size	_Z39paged_attention_ll4mi_QKV_mfma16_kernelI14__hip_bfloat16S0_LN4vllm18Fp8KVCacheDataTypeE0EhLi32ELi128ELi256ELb0ELi14EEvPKT_PKT0_S8_ifPKiSA_SA_iPKfiiiPfSD_PS3_PT2_iSC_SC_, .Lfunc_end723-_Z39paged_attention_ll4mi_QKV_mfma16_kernelI14__hip_bfloat16S0_LN4vllm18Fp8KVCacheDataTypeE0EhLi32ELi128ELi256ELb0ELi14EEvPKT_PKT0_S8_ifPKiSA_SA_iPKfiiiPfSD_PS3_PT2_iSC_SC_
                                        ; -- End function
	.set _Z39paged_attention_ll4mi_QKV_mfma16_kernelI14__hip_bfloat16S0_LN4vllm18Fp8KVCacheDataTypeE0EhLi32ELi128ELi256ELb0ELi14EEvPKT_PKT0_S8_ifPKiSA_SA_iPKfiiiPfSD_PS3_PT2_iSC_SC_.num_vgpr, max(3, .L__assert_fail.num_vgpr)
	.set _Z39paged_attention_ll4mi_QKV_mfma16_kernelI14__hip_bfloat16S0_LN4vllm18Fp8KVCacheDataTypeE0EhLi32ELi128ELi256ELb0ELi14EEvPKT_PKT0_S8_ifPKiSA_SA_iPKfiiiPfSD_PS3_PT2_iSC_SC_.num_agpr, max(0, .L__assert_fail.num_agpr)
	.set _Z39paged_attention_ll4mi_QKV_mfma16_kernelI14__hip_bfloat16S0_LN4vllm18Fp8KVCacheDataTypeE0EhLi32ELi128ELi256ELb0ELi14EEvPKT_PKT0_S8_ifPKiSA_SA_iPKfiiiPfSD_PS3_PT2_iSC_SC_.numbered_sgpr, max(33, .L__assert_fail.numbered_sgpr)
	.set _Z39paged_attention_ll4mi_QKV_mfma16_kernelI14__hip_bfloat16S0_LN4vllm18Fp8KVCacheDataTypeE0EhLi32ELi128ELi256ELb0ELi14EEvPKT_PKT0_S8_ifPKiSA_SA_iPKfiiiPfSD_PS3_PT2_iSC_SC_.num_named_barrier, max(0, .L__assert_fail.num_named_barrier)
	.set _Z39paged_attention_ll4mi_QKV_mfma16_kernelI14__hip_bfloat16S0_LN4vllm18Fp8KVCacheDataTypeE0EhLi32ELi128ELi256ELb0ELi14EEvPKT_PKT0_S8_ifPKiSA_SA_iPKfiiiPfSD_PS3_PT2_iSC_SC_.private_seg_size, 0+max(.L__assert_fail.private_seg_size)
	.set _Z39paged_attention_ll4mi_QKV_mfma16_kernelI14__hip_bfloat16S0_LN4vllm18Fp8KVCacheDataTypeE0EhLi32ELi128ELi256ELb0ELi14EEvPKT_PKT0_S8_ifPKiSA_SA_iPKfiiiPfSD_PS3_PT2_iSC_SC_.uses_vcc, or(1, .L__assert_fail.uses_vcc)
	.set _Z39paged_attention_ll4mi_QKV_mfma16_kernelI14__hip_bfloat16S0_LN4vllm18Fp8KVCacheDataTypeE0EhLi32ELi128ELi256ELb0ELi14EEvPKT_PKT0_S8_ifPKiSA_SA_iPKfiiiPfSD_PS3_PT2_iSC_SC_.uses_flat_scratch, or(0, .L__assert_fail.uses_flat_scratch)
	.set _Z39paged_attention_ll4mi_QKV_mfma16_kernelI14__hip_bfloat16S0_LN4vllm18Fp8KVCacheDataTypeE0EhLi32ELi128ELi256ELb0ELi14EEvPKT_PKT0_S8_ifPKiSA_SA_iPKfiiiPfSD_PS3_PT2_iSC_SC_.has_dyn_sized_stack, or(0, .L__assert_fail.has_dyn_sized_stack)
	.set _Z39paged_attention_ll4mi_QKV_mfma16_kernelI14__hip_bfloat16S0_LN4vllm18Fp8KVCacheDataTypeE0EhLi32ELi128ELi256ELb0ELi14EEvPKT_PKT0_S8_ifPKiSA_SA_iPKfiiiPfSD_PS3_PT2_iSC_SC_.has_recursion, or(0, .L__assert_fail.has_recursion)
	.set _Z39paged_attention_ll4mi_QKV_mfma16_kernelI14__hip_bfloat16S0_LN4vllm18Fp8KVCacheDataTypeE0EhLi32ELi128ELi256ELb0ELi14EEvPKT_PKT0_S8_ifPKiSA_SA_iPKfiiiPfSD_PS3_PT2_iSC_SC_.has_indirect_call, or(0, .L__assert_fail.has_indirect_call)
	.section	.AMDGPU.csdata,"",@progbits
; Kernel info:
; codeLenInByte = 68
; TotalNumSgprs: 36
; NumVgprs: 51
; ScratchSize: 64
; MemoryBound: 0
; FloatMode: 240
; IeeeMode: 1
; LDSByteSize: 0 bytes/workgroup (compile time only)
; SGPRBlocks: 0
; VGPRBlocks: 3
; NumSGPRsForWavesPerEU: 36
; NumVGPRsForWavesPerEU: 51
; NamedBarCnt: 0
; Occupancy: 16
; WaveLimiterHint : 1
; COMPUTE_PGM_RSRC2:SCRATCH_EN: 1
; COMPUTE_PGM_RSRC2:USER_SGPR: 2
; COMPUTE_PGM_RSRC2:TRAP_HANDLER: 0
; COMPUTE_PGM_RSRC2:TGID_X_EN: 1
; COMPUTE_PGM_RSRC2:TGID_Y_EN: 0
; COMPUTE_PGM_RSRC2:TGID_Z_EN: 0
; COMPUTE_PGM_RSRC2:TIDIG_COMP_CNT: 0
	.section	.text._Z39paged_attention_ll4mi_QKV_mfma16_kernelI14__hip_bfloat16S0_LN4vllm18Fp8KVCacheDataTypeE0EhLi32ELi128ELi256ELb0ELi15EEvPKT_PKT0_S8_ifPKiSA_SA_iPKfiiiPfSD_PS3_PT2_iSC_SC_,"axG",@progbits,_Z39paged_attention_ll4mi_QKV_mfma16_kernelI14__hip_bfloat16S0_LN4vllm18Fp8KVCacheDataTypeE0EhLi32ELi128ELi256ELb0ELi15EEvPKT_PKT0_S8_ifPKiSA_SA_iPKfiiiPfSD_PS3_PT2_iSC_SC_,comdat
	.protected	_Z39paged_attention_ll4mi_QKV_mfma16_kernelI14__hip_bfloat16S0_LN4vllm18Fp8KVCacheDataTypeE0EhLi32ELi128ELi256ELb0ELi15EEvPKT_PKT0_S8_ifPKiSA_SA_iPKfiiiPfSD_PS3_PT2_iSC_SC_ ; -- Begin function _Z39paged_attention_ll4mi_QKV_mfma16_kernelI14__hip_bfloat16S0_LN4vllm18Fp8KVCacheDataTypeE0EhLi32ELi128ELi256ELb0ELi15EEvPKT_PKT0_S8_ifPKiSA_SA_iPKfiiiPfSD_PS3_PT2_iSC_SC_
	.globl	_Z39paged_attention_ll4mi_QKV_mfma16_kernelI14__hip_bfloat16S0_LN4vllm18Fp8KVCacheDataTypeE0EhLi32ELi128ELi256ELb0ELi15EEvPKT_PKT0_S8_ifPKiSA_SA_iPKfiiiPfSD_PS3_PT2_iSC_SC_
	.p2align	8
	.type	_Z39paged_attention_ll4mi_QKV_mfma16_kernelI14__hip_bfloat16S0_LN4vllm18Fp8KVCacheDataTypeE0EhLi32ELi128ELi256ELb0ELi15EEvPKT_PKT0_S8_ifPKiSA_SA_iPKfiiiPfSD_PS3_PT2_iSC_SC_,@function
_Z39paged_attention_ll4mi_QKV_mfma16_kernelI14__hip_bfloat16S0_LN4vllm18Fp8KVCacheDataTypeE0EhLi32ELi128ELi256ELb0ELi15EEvPKT_PKT0_S8_ifPKiSA_SA_iPKfiiiPfSD_PS3_PT2_iSC_SC_: ; @_Z39paged_attention_ll4mi_QKV_mfma16_kernelI14__hip_bfloat16S0_LN4vllm18Fp8KVCacheDataTypeE0EhLi32ELi128ELi256ELb0ELi15EEvPKT_PKT0_S8_ifPKiSA_SA_iPKfiiiPfSD_PS3_PT2_iSC_SC_
; %bb.0:
	s_get_pc_i64 s[2:3]
	s_add_nc_u64 s[2:3], s[2:3], __PRETTY_FUNCTION__._Z39paged_attention_ll4mi_QKV_mfma16_kernelI14__hip_bfloat16S0_LN4vllm18Fp8KVCacheDataTypeE0EhLi32ELi128ELi256ELb0ELi15EEvPKT_PKT0_S8_ifPKiSA_SA_iPKfiiiPfSD_PS3_PT2_iSC_SC_@rel64+4
	s_delay_alu instid0(SALU_CYCLE_1)
	v_dual_mov_b32 v0, 0xbb3 :: v_dual_mov_b32 v1, s2
	v_mov_b32_e32 v2, s3
	s_add_nc_u64 s[8:9], s[0:1], 0x90
	s_get_pc_i64 s[0:1]
	s_add_nc_u64 s[0:1], s[0:1], __assert_fail@rel64+4
	s_mov_b32 s32, 0
	s_swap_pc_i64 s[30:31], s[0:1]
	.section	.rodata,"a",@progbits
	.p2align	6, 0x0
	.amdhsa_kernel _Z39paged_attention_ll4mi_QKV_mfma16_kernelI14__hip_bfloat16S0_LN4vllm18Fp8KVCacheDataTypeE0EhLi32ELi128ELi256ELb0ELi15EEvPKT_PKT0_S8_ifPKiSA_SA_iPKfiiiPfSD_PS3_PT2_iSC_SC_
		.amdhsa_group_segment_fixed_size 0
		.amdhsa_private_segment_fixed_size 64
		.amdhsa_kernarg_size 400
		.amdhsa_user_sgpr_count 2
		.amdhsa_user_sgpr_dispatch_ptr 0
		.amdhsa_user_sgpr_queue_ptr 0
		.amdhsa_user_sgpr_kernarg_segment_ptr 1
		.amdhsa_user_sgpr_dispatch_id 0
		.amdhsa_user_sgpr_kernarg_preload_length 0
		.amdhsa_user_sgpr_kernarg_preload_offset 0
		.amdhsa_user_sgpr_private_segment_size 0
		.amdhsa_wavefront_size32 1
		.amdhsa_uses_dynamic_stack 0
		.amdhsa_enable_private_segment 1
		.amdhsa_system_sgpr_workgroup_id_x 1
		.amdhsa_system_sgpr_workgroup_id_y 0
		.amdhsa_system_sgpr_workgroup_id_z 0
		.amdhsa_system_sgpr_workgroup_info 0
		.amdhsa_system_vgpr_workitem_id 0
		.amdhsa_next_free_vgpr 51
		.amdhsa_next_free_sgpr 34
		.amdhsa_named_barrier_count 0
		.amdhsa_reserve_vcc 1
		.amdhsa_float_round_mode_32 0
		.amdhsa_float_round_mode_16_64 0
		.amdhsa_float_denorm_mode_32 3
		.amdhsa_float_denorm_mode_16_64 3
		.amdhsa_fp16_overflow 0
		.amdhsa_memory_ordered 1
		.amdhsa_forward_progress 1
		.amdhsa_inst_pref_size 1
		.amdhsa_round_robin_scheduling 0
		.amdhsa_exception_fp_ieee_invalid_op 0
		.amdhsa_exception_fp_denorm_src 0
		.amdhsa_exception_fp_ieee_div_zero 0
		.amdhsa_exception_fp_ieee_overflow 0
		.amdhsa_exception_fp_ieee_underflow 0
		.amdhsa_exception_fp_ieee_inexact 0
		.amdhsa_exception_int_div_zero 0
	.end_amdhsa_kernel
	.section	.text._Z39paged_attention_ll4mi_QKV_mfma16_kernelI14__hip_bfloat16S0_LN4vllm18Fp8KVCacheDataTypeE0EhLi32ELi128ELi256ELb0ELi15EEvPKT_PKT0_S8_ifPKiSA_SA_iPKfiiiPfSD_PS3_PT2_iSC_SC_,"axG",@progbits,_Z39paged_attention_ll4mi_QKV_mfma16_kernelI14__hip_bfloat16S0_LN4vllm18Fp8KVCacheDataTypeE0EhLi32ELi128ELi256ELb0ELi15EEvPKT_PKT0_S8_ifPKiSA_SA_iPKfiiiPfSD_PS3_PT2_iSC_SC_,comdat
.Lfunc_end724:
	.size	_Z39paged_attention_ll4mi_QKV_mfma16_kernelI14__hip_bfloat16S0_LN4vllm18Fp8KVCacheDataTypeE0EhLi32ELi128ELi256ELb0ELi15EEvPKT_PKT0_S8_ifPKiSA_SA_iPKfiiiPfSD_PS3_PT2_iSC_SC_, .Lfunc_end724-_Z39paged_attention_ll4mi_QKV_mfma16_kernelI14__hip_bfloat16S0_LN4vllm18Fp8KVCacheDataTypeE0EhLi32ELi128ELi256ELb0ELi15EEvPKT_PKT0_S8_ifPKiSA_SA_iPKfiiiPfSD_PS3_PT2_iSC_SC_
                                        ; -- End function
	.set _Z39paged_attention_ll4mi_QKV_mfma16_kernelI14__hip_bfloat16S0_LN4vllm18Fp8KVCacheDataTypeE0EhLi32ELi128ELi256ELb0ELi15EEvPKT_PKT0_S8_ifPKiSA_SA_iPKfiiiPfSD_PS3_PT2_iSC_SC_.num_vgpr, max(3, .L__assert_fail.num_vgpr)
	.set _Z39paged_attention_ll4mi_QKV_mfma16_kernelI14__hip_bfloat16S0_LN4vllm18Fp8KVCacheDataTypeE0EhLi32ELi128ELi256ELb0ELi15EEvPKT_PKT0_S8_ifPKiSA_SA_iPKfiiiPfSD_PS3_PT2_iSC_SC_.num_agpr, max(0, .L__assert_fail.num_agpr)
	.set _Z39paged_attention_ll4mi_QKV_mfma16_kernelI14__hip_bfloat16S0_LN4vllm18Fp8KVCacheDataTypeE0EhLi32ELi128ELi256ELb0ELi15EEvPKT_PKT0_S8_ifPKiSA_SA_iPKfiiiPfSD_PS3_PT2_iSC_SC_.numbered_sgpr, max(33, .L__assert_fail.numbered_sgpr)
	.set _Z39paged_attention_ll4mi_QKV_mfma16_kernelI14__hip_bfloat16S0_LN4vllm18Fp8KVCacheDataTypeE0EhLi32ELi128ELi256ELb0ELi15EEvPKT_PKT0_S8_ifPKiSA_SA_iPKfiiiPfSD_PS3_PT2_iSC_SC_.num_named_barrier, max(0, .L__assert_fail.num_named_barrier)
	.set _Z39paged_attention_ll4mi_QKV_mfma16_kernelI14__hip_bfloat16S0_LN4vllm18Fp8KVCacheDataTypeE0EhLi32ELi128ELi256ELb0ELi15EEvPKT_PKT0_S8_ifPKiSA_SA_iPKfiiiPfSD_PS3_PT2_iSC_SC_.private_seg_size, 0+max(.L__assert_fail.private_seg_size)
	.set _Z39paged_attention_ll4mi_QKV_mfma16_kernelI14__hip_bfloat16S0_LN4vllm18Fp8KVCacheDataTypeE0EhLi32ELi128ELi256ELb0ELi15EEvPKT_PKT0_S8_ifPKiSA_SA_iPKfiiiPfSD_PS3_PT2_iSC_SC_.uses_vcc, or(1, .L__assert_fail.uses_vcc)
	.set _Z39paged_attention_ll4mi_QKV_mfma16_kernelI14__hip_bfloat16S0_LN4vllm18Fp8KVCacheDataTypeE0EhLi32ELi128ELi256ELb0ELi15EEvPKT_PKT0_S8_ifPKiSA_SA_iPKfiiiPfSD_PS3_PT2_iSC_SC_.uses_flat_scratch, or(0, .L__assert_fail.uses_flat_scratch)
	.set _Z39paged_attention_ll4mi_QKV_mfma16_kernelI14__hip_bfloat16S0_LN4vllm18Fp8KVCacheDataTypeE0EhLi32ELi128ELi256ELb0ELi15EEvPKT_PKT0_S8_ifPKiSA_SA_iPKfiiiPfSD_PS3_PT2_iSC_SC_.has_dyn_sized_stack, or(0, .L__assert_fail.has_dyn_sized_stack)
	.set _Z39paged_attention_ll4mi_QKV_mfma16_kernelI14__hip_bfloat16S0_LN4vllm18Fp8KVCacheDataTypeE0EhLi32ELi128ELi256ELb0ELi15EEvPKT_PKT0_S8_ifPKiSA_SA_iPKfiiiPfSD_PS3_PT2_iSC_SC_.has_recursion, or(0, .L__assert_fail.has_recursion)
	.set _Z39paged_attention_ll4mi_QKV_mfma16_kernelI14__hip_bfloat16S0_LN4vllm18Fp8KVCacheDataTypeE0EhLi32ELi128ELi256ELb0ELi15EEvPKT_PKT0_S8_ifPKiSA_SA_iPKfiiiPfSD_PS3_PT2_iSC_SC_.has_indirect_call, or(0, .L__assert_fail.has_indirect_call)
	.section	.AMDGPU.csdata,"",@progbits
; Kernel info:
; codeLenInByte = 68
; TotalNumSgprs: 36
; NumVgprs: 51
; ScratchSize: 64
; MemoryBound: 0
; FloatMode: 240
; IeeeMode: 1
; LDSByteSize: 0 bytes/workgroup (compile time only)
; SGPRBlocks: 0
; VGPRBlocks: 3
; NumSGPRsForWavesPerEU: 36
; NumVGPRsForWavesPerEU: 51
; NamedBarCnt: 0
; Occupancy: 16
; WaveLimiterHint : 1
; COMPUTE_PGM_RSRC2:SCRATCH_EN: 1
; COMPUTE_PGM_RSRC2:USER_SGPR: 2
; COMPUTE_PGM_RSRC2:TRAP_HANDLER: 0
; COMPUTE_PGM_RSRC2:TGID_X_EN: 1
; COMPUTE_PGM_RSRC2:TGID_Y_EN: 0
; COMPUTE_PGM_RSRC2:TGID_Z_EN: 0
; COMPUTE_PGM_RSRC2:TIDIG_COMP_CNT: 0
	.section	.text._Z39paged_attention_ll4mi_QKV_mfma16_kernelI14__hip_bfloat16S0_LN4vllm18Fp8KVCacheDataTypeE0EhLi32ELi128ELi256ELb0ELi16EEvPKT_PKT0_S8_ifPKiSA_SA_iPKfiiiPfSD_PS3_PT2_iSC_SC_,"axG",@progbits,_Z39paged_attention_ll4mi_QKV_mfma16_kernelI14__hip_bfloat16S0_LN4vllm18Fp8KVCacheDataTypeE0EhLi32ELi128ELi256ELb0ELi16EEvPKT_PKT0_S8_ifPKiSA_SA_iPKfiiiPfSD_PS3_PT2_iSC_SC_,comdat
	.protected	_Z39paged_attention_ll4mi_QKV_mfma16_kernelI14__hip_bfloat16S0_LN4vllm18Fp8KVCacheDataTypeE0EhLi32ELi128ELi256ELb0ELi16EEvPKT_PKT0_S8_ifPKiSA_SA_iPKfiiiPfSD_PS3_PT2_iSC_SC_ ; -- Begin function _Z39paged_attention_ll4mi_QKV_mfma16_kernelI14__hip_bfloat16S0_LN4vllm18Fp8KVCacheDataTypeE0EhLi32ELi128ELi256ELb0ELi16EEvPKT_PKT0_S8_ifPKiSA_SA_iPKfiiiPfSD_PS3_PT2_iSC_SC_
	.globl	_Z39paged_attention_ll4mi_QKV_mfma16_kernelI14__hip_bfloat16S0_LN4vllm18Fp8KVCacheDataTypeE0EhLi32ELi128ELi256ELb0ELi16EEvPKT_PKT0_S8_ifPKiSA_SA_iPKfiiiPfSD_PS3_PT2_iSC_SC_
	.p2align	8
	.type	_Z39paged_attention_ll4mi_QKV_mfma16_kernelI14__hip_bfloat16S0_LN4vllm18Fp8KVCacheDataTypeE0EhLi32ELi128ELi256ELb0ELi16EEvPKT_PKT0_S8_ifPKiSA_SA_iPKfiiiPfSD_PS3_PT2_iSC_SC_,@function
_Z39paged_attention_ll4mi_QKV_mfma16_kernelI14__hip_bfloat16S0_LN4vllm18Fp8KVCacheDataTypeE0EhLi32ELi128ELi256ELb0ELi16EEvPKT_PKT0_S8_ifPKiSA_SA_iPKfiiiPfSD_PS3_PT2_iSC_SC_: ; @_Z39paged_attention_ll4mi_QKV_mfma16_kernelI14__hip_bfloat16S0_LN4vllm18Fp8KVCacheDataTypeE0EhLi32ELi128ELi256ELb0ELi16EEvPKT_PKT0_S8_ifPKiSA_SA_iPKfiiiPfSD_PS3_PT2_iSC_SC_
; %bb.0:
	s_get_pc_i64 s[2:3]
	s_add_nc_u64 s[2:3], s[2:3], __PRETTY_FUNCTION__._Z39paged_attention_ll4mi_QKV_mfma16_kernelI14__hip_bfloat16S0_LN4vllm18Fp8KVCacheDataTypeE0EhLi32ELi128ELi256ELb0ELi16EEvPKT_PKT0_S8_ifPKiSA_SA_iPKfiiiPfSD_PS3_PT2_iSC_SC_@rel64+4
	s_delay_alu instid0(SALU_CYCLE_1)
	v_dual_mov_b32 v0, 0xbb3 :: v_dual_mov_b32 v1, s2
	v_mov_b32_e32 v2, s3
	s_add_nc_u64 s[8:9], s[0:1], 0x90
	s_get_pc_i64 s[0:1]
	s_add_nc_u64 s[0:1], s[0:1], __assert_fail@rel64+4
	s_mov_b32 s32, 0
	s_swap_pc_i64 s[30:31], s[0:1]
	.section	.rodata,"a",@progbits
	.p2align	6, 0x0
	.amdhsa_kernel _Z39paged_attention_ll4mi_QKV_mfma16_kernelI14__hip_bfloat16S0_LN4vllm18Fp8KVCacheDataTypeE0EhLi32ELi128ELi256ELb0ELi16EEvPKT_PKT0_S8_ifPKiSA_SA_iPKfiiiPfSD_PS3_PT2_iSC_SC_
		.amdhsa_group_segment_fixed_size 0
		.amdhsa_private_segment_fixed_size 64
		.amdhsa_kernarg_size 400
		.amdhsa_user_sgpr_count 2
		.amdhsa_user_sgpr_dispatch_ptr 0
		.amdhsa_user_sgpr_queue_ptr 0
		.amdhsa_user_sgpr_kernarg_segment_ptr 1
		.amdhsa_user_sgpr_dispatch_id 0
		.amdhsa_user_sgpr_kernarg_preload_length 0
		.amdhsa_user_sgpr_kernarg_preload_offset 0
		.amdhsa_user_sgpr_private_segment_size 0
		.amdhsa_wavefront_size32 1
		.amdhsa_uses_dynamic_stack 0
		.amdhsa_enable_private_segment 1
		.amdhsa_system_sgpr_workgroup_id_x 1
		.amdhsa_system_sgpr_workgroup_id_y 0
		.amdhsa_system_sgpr_workgroup_id_z 0
		.amdhsa_system_sgpr_workgroup_info 0
		.amdhsa_system_vgpr_workitem_id 0
		.amdhsa_next_free_vgpr 51
		.amdhsa_next_free_sgpr 34
		.amdhsa_named_barrier_count 0
		.amdhsa_reserve_vcc 1
		.amdhsa_float_round_mode_32 0
		.amdhsa_float_round_mode_16_64 0
		.amdhsa_float_denorm_mode_32 3
		.amdhsa_float_denorm_mode_16_64 3
		.amdhsa_fp16_overflow 0
		.amdhsa_memory_ordered 1
		.amdhsa_forward_progress 1
		.amdhsa_inst_pref_size 1
		.amdhsa_round_robin_scheduling 0
		.amdhsa_exception_fp_ieee_invalid_op 0
		.amdhsa_exception_fp_denorm_src 0
		.amdhsa_exception_fp_ieee_div_zero 0
		.amdhsa_exception_fp_ieee_overflow 0
		.amdhsa_exception_fp_ieee_underflow 0
		.amdhsa_exception_fp_ieee_inexact 0
		.amdhsa_exception_int_div_zero 0
	.end_amdhsa_kernel
	.section	.text._Z39paged_attention_ll4mi_QKV_mfma16_kernelI14__hip_bfloat16S0_LN4vllm18Fp8KVCacheDataTypeE0EhLi32ELi128ELi256ELb0ELi16EEvPKT_PKT0_S8_ifPKiSA_SA_iPKfiiiPfSD_PS3_PT2_iSC_SC_,"axG",@progbits,_Z39paged_attention_ll4mi_QKV_mfma16_kernelI14__hip_bfloat16S0_LN4vllm18Fp8KVCacheDataTypeE0EhLi32ELi128ELi256ELb0ELi16EEvPKT_PKT0_S8_ifPKiSA_SA_iPKfiiiPfSD_PS3_PT2_iSC_SC_,comdat
.Lfunc_end725:
	.size	_Z39paged_attention_ll4mi_QKV_mfma16_kernelI14__hip_bfloat16S0_LN4vllm18Fp8KVCacheDataTypeE0EhLi32ELi128ELi256ELb0ELi16EEvPKT_PKT0_S8_ifPKiSA_SA_iPKfiiiPfSD_PS3_PT2_iSC_SC_, .Lfunc_end725-_Z39paged_attention_ll4mi_QKV_mfma16_kernelI14__hip_bfloat16S0_LN4vllm18Fp8KVCacheDataTypeE0EhLi32ELi128ELi256ELb0ELi16EEvPKT_PKT0_S8_ifPKiSA_SA_iPKfiiiPfSD_PS3_PT2_iSC_SC_
                                        ; -- End function
	.set _Z39paged_attention_ll4mi_QKV_mfma16_kernelI14__hip_bfloat16S0_LN4vllm18Fp8KVCacheDataTypeE0EhLi32ELi128ELi256ELb0ELi16EEvPKT_PKT0_S8_ifPKiSA_SA_iPKfiiiPfSD_PS3_PT2_iSC_SC_.num_vgpr, max(3, .L__assert_fail.num_vgpr)
	.set _Z39paged_attention_ll4mi_QKV_mfma16_kernelI14__hip_bfloat16S0_LN4vllm18Fp8KVCacheDataTypeE0EhLi32ELi128ELi256ELb0ELi16EEvPKT_PKT0_S8_ifPKiSA_SA_iPKfiiiPfSD_PS3_PT2_iSC_SC_.num_agpr, max(0, .L__assert_fail.num_agpr)
	.set _Z39paged_attention_ll4mi_QKV_mfma16_kernelI14__hip_bfloat16S0_LN4vllm18Fp8KVCacheDataTypeE0EhLi32ELi128ELi256ELb0ELi16EEvPKT_PKT0_S8_ifPKiSA_SA_iPKfiiiPfSD_PS3_PT2_iSC_SC_.numbered_sgpr, max(33, .L__assert_fail.numbered_sgpr)
	.set _Z39paged_attention_ll4mi_QKV_mfma16_kernelI14__hip_bfloat16S0_LN4vllm18Fp8KVCacheDataTypeE0EhLi32ELi128ELi256ELb0ELi16EEvPKT_PKT0_S8_ifPKiSA_SA_iPKfiiiPfSD_PS3_PT2_iSC_SC_.num_named_barrier, max(0, .L__assert_fail.num_named_barrier)
	.set _Z39paged_attention_ll4mi_QKV_mfma16_kernelI14__hip_bfloat16S0_LN4vllm18Fp8KVCacheDataTypeE0EhLi32ELi128ELi256ELb0ELi16EEvPKT_PKT0_S8_ifPKiSA_SA_iPKfiiiPfSD_PS3_PT2_iSC_SC_.private_seg_size, 0+max(.L__assert_fail.private_seg_size)
	.set _Z39paged_attention_ll4mi_QKV_mfma16_kernelI14__hip_bfloat16S0_LN4vllm18Fp8KVCacheDataTypeE0EhLi32ELi128ELi256ELb0ELi16EEvPKT_PKT0_S8_ifPKiSA_SA_iPKfiiiPfSD_PS3_PT2_iSC_SC_.uses_vcc, or(1, .L__assert_fail.uses_vcc)
	.set _Z39paged_attention_ll4mi_QKV_mfma16_kernelI14__hip_bfloat16S0_LN4vllm18Fp8KVCacheDataTypeE0EhLi32ELi128ELi256ELb0ELi16EEvPKT_PKT0_S8_ifPKiSA_SA_iPKfiiiPfSD_PS3_PT2_iSC_SC_.uses_flat_scratch, or(0, .L__assert_fail.uses_flat_scratch)
	.set _Z39paged_attention_ll4mi_QKV_mfma16_kernelI14__hip_bfloat16S0_LN4vllm18Fp8KVCacheDataTypeE0EhLi32ELi128ELi256ELb0ELi16EEvPKT_PKT0_S8_ifPKiSA_SA_iPKfiiiPfSD_PS3_PT2_iSC_SC_.has_dyn_sized_stack, or(0, .L__assert_fail.has_dyn_sized_stack)
	.set _Z39paged_attention_ll4mi_QKV_mfma16_kernelI14__hip_bfloat16S0_LN4vllm18Fp8KVCacheDataTypeE0EhLi32ELi128ELi256ELb0ELi16EEvPKT_PKT0_S8_ifPKiSA_SA_iPKfiiiPfSD_PS3_PT2_iSC_SC_.has_recursion, or(0, .L__assert_fail.has_recursion)
	.set _Z39paged_attention_ll4mi_QKV_mfma16_kernelI14__hip_bfloat16S0_LN4vllm18Fp8KVCacheDataTypeE0EhLi32ELi128ELi256ELb0ELi16EEvPKT_PKT0_S8_ifPKiSA_SA_iPKfiiiPfSD_PS3_PT2_iSC_SC_.has_indirect_call, or(0, .L__assert_fail.has_indirect_call)
	.section	.AMDGPU.csdata,"",@progbits
; Kernel info:
; codeLenInByte = 68
; TotalNumSgprs: 36
; NumVgprs: 51
; ScratchSize: 64
; MemoryBound: 0
; FloatMode: 240
; IeeeMode: 1
; LDSByteSize: 0 bytes/workgroup (compile time only)
; SGPRBlocks: 0
; VGPRBlocks: 3
; NumSGPRsForWavesPerEU: 36
; NumVGPRsForWavesPerEU: 51
; NamedBarCnt: 0
; Occupancy: 16
; WaveLimiterHint : 1
; COMPUTE_PGM_RSRC2:SCRATCH_EN: 1
; COMPUTE_PGM_RSRC2:USER_SGPR: 2
; COMPUTE_PGM_RSRC2:TRAP_HANDLER: 0
; COMPUTE_PGM_RSRC2:TGID_X_EN: 1
; COMPUTE_PGM_RSRC2:TGID_Y_EN: 0
; COMPUTE_PGM_RSRC2:TGID_Z_EN: 0
; COMPUTE_PGM_RSRC2:TIDIG_COMP_CNT: 0
	.section	.text._Z39paged_attention_ll4mi_QKV_mfma16_kernelI14__hip_bfloat16S0_LN4vllm18Fp8KVCacheDataTypeE0EhLi32ELi128ELi256ELb0ELi1EEvPKT_PKT0_S8_ifPKiSA_SA_iPKfiiiPfSD_PS3_PT2_iSC_SC_,"axG",@progbits,_Z39paged_attention_ll4mi_QKV_mfma16_kernelI14__hip_bfloat16S0_LN4vllm18Fp8KVCacheDataTypeE0EhLi32ELi128ELi256ELb0ELi1EEvPKT_PKT0_S8_ifPKiSA_SA_iPKfiiiPfSD_PS3_PT2_iSC_SC_,comdat
	.protected	_Z39paged_attention_ll4mi_QKV_mfma16_kernelI14__hip_bfloat16S0_LN4vllm18Fp8KVCacheDataTypeE0EhLi32ELi128ELi256ELb0ELi1EEvPKT_PKT0_S8_ifPKiSA_SA_iPKfiiiPfSD_PS3_PT2_iSC_SC_ ; -- Begin function _Z39paged_attention_ll4mi_QKV_mfma16_kernelI14__hip_bfloat16S0_LN4vllm18Fp8KVCacheDataTypeE0EhLi32ELi128ELi256ELb0ELi1EEvPKT_PKT0_S8_ifPKiSA_SA_iPKfiiiPfSD_PS3_PT2_iSC_SC_
	.globl	_Z39paged_attention_ll4mi_QKV_mfma16_kernelI14__hip_bfloat16S0_LN4vllm18Fp8KVCacheDataTypeE0EhLi32ELi128ELi256ELb0ELi1EEvPKT_PKT0_S8_ifPKiSA_SA_iPKfiiiPfSD_PS3_PT2_iSC_SC_
	.p2align	8
	.type	_Z39paged_attention_ll4mi_QKV_mfma16_kernelI14__hip_bfloat16S0_LN4vllm18Fp8KVCacheDataTypeE0EhLi32ELi128ELi256ELb0ELi1EEvPKT_PKT0_S8_ifPKiSA_SA_iPKfiiiPfSD_PS3_PT2_iSC_SC_,@function
_Z39paged_attention_ll4mi_QKV_mfma16_kernelI14__hip_bfloat16S0_LN4vllm18Fp8KVCacheDataTypeE0EhLi32ELi128ELi256ELb0ELi1EEvPKT_PKT0_S8_ifPKiSA_SA_iPKfiiiPfSD_PS3_PT2_iSC_SC_: ; @_Z39paged_attention_ll4mi_QKV_mfma16_kernelI14__hip_bfloat16S0_LN4vllm18Fp8KVCacheDataTypeE0EhLi32ELi128ELi256ELb0ELi1EEvPKT_PKT0_S8_ifPKiSA_SA_iPKfiiiPfSD_PS3_PT2_iSC_SC_
; %bb.0:
	s_get_pc_i64 s[2:3]
	s_add_nc_u64 s[2:3], s[2:3], __PRETTY_FUNCTION__._Z39paged_attention_ll4mi_QKV_mfma16_kernelI14__hip_bfloat16S0_LN4vllm18Fp8KVCacheDataTypeE0EhLi32ELi128ELi256ELb0ELi1EEvPKT_PKT0_S8_ifPKiSA_SA_iPKfiiiPfSD_PS3_PT2_iSC_SC_@rel64+4
	s_delay_alu instid0(SALU_CYCLE_1)
	v_dual_mov_b32 v0, 0xbb3 :: v_dual_mov_b32 v1, s2
	v_mov_b32_e32 v2, s3
	s_add_nc_u64 s[8:9], s[0:1], 0x90
	s_get_pc_i64 s[0:1]
	s_add_nc_u64 s[0:1], s[0:1], __assert_fail@rel64+4
	s_mov_b32 s32, 0
	s_swap_pc_i64 s[30:31], s[0:1]
	.section	.rodata,"a",@progbits
	.p2align	6, 0x0
	.amdhsa_kernel _Z39paged_attention_ll4mi_QKV_mfma16_kernelI14__hip_bfloat16S0_LN4vllm18Fp8KVCacheDataTypeE0EhLi32ELi128ELi256ELb0ELi1EEvPKT_PKT0_S8_ifPKiSA_SA_iPKfiiiPfSD_PS3_PT2_iSC_SC_
		.amdhsa_group_segment_fixed_size 0
		.amdhsa_private_segment_fixed_size 64
		.amdhsa_kernarg_size 400
		.amdhsa_user_sgpr_count 2
		.amdhsa_user_sgpr_dispatch_ptr 0
		.amdhsa_user_sgpr_queue_ptr 0
		.amdhsa_user_sgpr_kernarg_segment_ptr 1
		.amdhsa_user_sgpr_dispatch_id 0
		.amdhsa_user_sgpr_kernarg_preload_length 0
		.amdhsa_user_sgpr_kernarg_preload_offset 0
		.amdhsa_user_sgpr_private_segment_size 0
		.amdhsa_wavefront_size32 1
		.amdhsa_uses_dynamic_stack 0
		.amdhsa_enable_private_segment 1
		.amdhsa_system_sgpr_workgroup_id_x 1
		.amdhsa_system_sgpr_workgroup_id_y 0
		.amdhsa_system_sgpr_workgroup_id_z 0
		.amdhsa_system_sgpr_workgroup_info 0
		.amdhsa_system_vgpr_workitem_id 0
		.amdhsa_next_free_vgpr 51
		.amdhsa_next_free_sgpr 34
		.amdhsa_named_barrier_count 0
		.amdhsa_reserve_vcc 1
		.amdhsa_float_round_mode_32 0
		.amdhsa_float_round_mode_16_64 0
		.amdhsa_float_denorm_mode_32 3
		.amdhsa_float_denorm_mode_16_64 3
		.amdhsa_fp16_overflow 0
		.amdhsa_memory_ordered 1
		.amdhsa_forward_progress 1
		.amdhsa_inst_pref_size 1
		.amdhsa_round_robin_scheduling 0
		.amdhsa_exception_fp_ieee_invalid_op 0
		.amdhsa_exception_fp_denorm_src 0
		.amdhsa_exception_fp_ieee_div_zero 0
		.amdhsa_exception_fp_ieee_overflow 0
		.amdhsa_exception_fp_ieee_underflow 0
		.amdhsa_exception_fp_ieee_inexact 0
		.amdhsa_exception_int_div_zero 0
	.end_amdhsa_kernel
	.section	.text._Z39paged_attention_ll4mi_QKV_mfma16_kernelI14__hip_bfloat16S0_LN4vllm18Fp8KVCacheDataTypeE0EhLi32ELi128ELi256ELb0ELi1EEvPKT_PKT0_S8_ifPKiSA_SA_iPKfiiiPfSD_PS3_PT2_iSC_SC_,"axG",@progbits,_Z39paged_attention_ll4mi_QKV_mfma16_kernelI14__hip_bfloat16S0_LN4vllm18Fp8KVCacheDataTypeE0EhLi32ELi128ELi256ELb0ELi1EEvPKT_PKT0_S8_ifPKiSA_SA_iPKfiiiPfSD_PS3_PT2_iSC_SC_,comdat
.Lfunc_end726:
	.size	_Z39paged_attention_ll4mi_QKV_mfma16_kernelI14__hip_bfloat16S0_LN4vllm18Fp8KVCacheDataTypeE0EhLi32ELi128ELi256ELb0ELi1EEvPKT_PKT0_S8_ifPKiSA_SA_iPKfiiiPfSD_PS3_PT2_iSC_SC_, .Lfunc_end726-_Z39paged_attention_ll4mi_QKV_mfma16_kernelI14__hip_bfloat16S0_LN4vllm18Fp8KVCacheDataTypeE0EhLi32ELi128ELi256ELb0ELi1EEvPKT_PKT0_S8_ifPKiSA_SA_iPKfiiiPfSD_PS3_PT2_iSC_SC_
                                        ; -- End function
	.set _Z39paged_attention_ll4mi_QKV_mfma16_kernelI14__hip_bfloat16S0_LN4vllm18Fp8KVCacheDataTypeE0EhLi32ELi128ELi256ELb0ELi1EEvPKT_PKT0_S8_ifPKiSA_SA_iPKfiiiPfSD_PS3_PT2_iSC_SC_.num_vgpr, max(3, .L__assert_fail.num_vgpr)
	.set _Z39paged_attention_ll4mi_QKV_mfma16_kernelI14__hip_bfloat16S0_LN4vllm18Fp8KVCacheDataTypeE0EhLi32ELi128ELi256ELb0ELi1EEvPKT_PKT0_S8_ifPKiSA_SA_iPKfiiiPfSD_PS3_PT2_iSC_SC_.num_agpr, max(0, .L__assert_fail.num_agpr)
	.set _Z39paged_attention_ll4mi_QKV_mfma16_kernelI14__hip_bfloat16S0_LN4vllm18Fp8KVCacheDataTypeE0EhLi32ELi128ELi256ELb0ELi1EEvPKT_PKT0_S8_ifPKiSA_SA_iPKfiiiPfSD_PS3_PT2_iSC_SC_.numbered_sgpr, max(33, .L__assert_fail.numbered_sgpr)
	.set _Z39paged_attention_ll4mi_QKV_mfma16_kernelI14__hip_bfloat16S0_LN4vllm18Fp8KVCacheDataTypeE0EhLi32ELi128ELi256ELb0ELi1EEvPKT_PKT0_S8_ifPKiSA_SA_iPKfiiiPfSD_PS3_PT2_iSC_SC_.num_named_barrier, max(0, .L__assert_fail.num_named_barrier)
	.set _Z39paged_attention_ll4mi_QKV_mfma16_kernelI14__hip_bfloat16S0_LN4vllm18Fp8KVCacheDataTypeE0EhLi32ELi128ELi256ELb0ELi1EEvPKT_PKT0_S8_ifPKiSA_SA_iPKfiiiPfSD_PS3_PT2_iSC_SC_.private_seg_size, 0+max(.L__assert_fail.private_seg_size)
	.set _Z39paged_attention_ll4mi_QKV_mfma16_kernelI14__hip_bfloat16S0_LN4vllm18Fp8KVCacheDataTypeE0EhLi32ELi128ELi256ELb0ELi1EEvPKT_PKT0_S8_ifPKiSA_SA_iPKfiiiPfSD_PS3_PT2_iSC_SC_.uses_vcc, or(1, .L__assert_fail.uses_vcc)
	.set _Z39paged_attention_ll4mi_QKV_mfma16_kernelI14__hip_bfloat16S0_LN4vllm18Fp8KVCacheDataTypeE0EhLi32ELi128ELi256ELb0ELi1EEvPKT_PKT0_S8_ifPKiSA_SA_iPKfiiiPfSD_PS3_PT2_iSC_SC_.uses_flat_scratch, or(0, .L__assert_fail.uses_flat_scratch)
	.set _Z39paged_attention_ll4mi_QKV_mfma16_kernelI14__hip_bfloat16S0_LN4vllm18Fp8KVCacheDataTypeE0EhLi32ELi128ELi256ELb0ELi1EEvPKT_PKT0_S8_ifPKiSA_SA_iPKfiiiPfSD_PS3_PT2_iSC_SC_.has_dyn_sized_stack, or(0, .L__assert_fail.has_dyn_sized_stack)
	.set _Z39paged_attention_ll4mi_QKV_mfma16_kernelI14__hip_bfloat16S0_LN4vllm18Fp8KVCacheDataTypeE0EhLi32ELi128ELi256ELb0ELi1EEvPKT_PKT0_S8_ifPKiSA_SA_iPKfiiiPfSD_PS3_PT2_iSC_SC_.has_recursion, or(0, .L__assert_fail.has_recursion)
	.set _Z39paged_attention_ll4mi_QKV_mfma16_kernelI14__hip_bfloat16S0_LN4vllm18Fp8KVCacheDataTypeE0EhLi32ELi128ELi256ELb0ELi1EEvPKT_PKT0_S8_ifPKiSA_SA_iPKfiiiPfSD_PS3_PT2_iSC_SC_.has_indirect_call, or(0, .L__assert_fail.has_indirect_call)
	.section	.AMDGPU.csdata,"",@progbits
; Kernel info:
; codeLenInByte = 68
; TotalNumSgprs: 36
; NumVgprs: 51
; ScratchSize: 64
; MemoryBound: 0
; FloatMode: 240
; IeeeMode: 1
; LDSByteSize: 0 bytes/workgroup (compile time only)
; SGPRBlocks: 0
; VGPRBlocks: 3
; NumSGPRsForWavesPerEU: 36
; NumVGPRsForWavesPerEU: 51
; NamedBarCnt: 0
; Occupancy: 16
; WaveLimiterHint : 1
; COMPUTE_PGM_RSRC2:SCRATCH_EN: 1
; COMPUTE_PGM_RSRC2:USER_SGPR: 2
; COMPUTE_PGM_RSRC2:TRAP_HANDLER: 0
; COMPUTE_PGM_RSRC2:TGID_X_EN: 1
; COMPUTE_PGM_RSRC2:TGID_Y_EN: 0
; COMPUTE_PGM_RSRC2:TGID_Z_EN: 0
; COMPUTE_PGM_RSRC2:TIDIG_COMP_CNT: 0
	.section	.text._Z39paged_attention_ll4mi_QKV_mfma16_kernelI14__hip_bfloat16S0_LN4vllm18Fp8KVCacheDataTypeE0EhLi32ELi128ELi256ELb0ELi2EEvPKT_PKT0_S8_ifPKiSA_SA_iPKfiiiPfSD_PS3_PT2_iSC_SC_,"axG",@progbits,_Z39paged_attention_ll4mi_QKV_mfma16_kernelI14__hip_bfloat16S0_LN4vllm18Fp8KVCacheDataTypeE0EhLi32ELi128ELi256ELb0ELi2EEvPKT_PKT0_S8_ifPKiSA_SA_iPKfiiiPfSD_PS3_PT2_iSC_SC_,comdat
	.protected	_Z39paged_attention_ll4mi_QKV_mfma16_kernelI14__hip_bfloat16S0_LN4vllm18Fp8KVCacheDataTypeE0EhLi32ELi128ELi256ELb0ELi2EEvPKT_PKT0_S8_ifPKiSA_SA_iPKfiiiPfSD_PS3_PT2_iSC_SC_ ; -- Begin function _Z39paged_attention_ll4mi_QKV_mfma16_kernelI14__hip_bfloat16S0_LN4vllm18Fp8KVCacheDataTypeE0EhLi32ELi128ELi256ELb0ELi2EEvPKT_PKT0_S8_ifPKiSA_SA_iPKfiiiPfSD_PS3_PT2_iSC_SC_
	.globl	_Z39paged_attention_ll4mi_QKV_mfma16_kernelI14__hip_bfloat16S0_LN4vllm18Fp8KVCacheDataTypeE0EhLi32ELi128ELi256ELb0ELi2EEvPKT_PKT0_S8_ifPKiSA_SA_iPKfiiiPfSD_PS3_PT2_iSC_SC_
	.p2align	8
	.type	_Z39paged_attention_ll4mi_QKV_mfma16_kernelI14__hip_bfloat16S0_LN4vllm18Fp8KVCacheDataTypeE0EhLi32ELi128ELi256ELb0ELi2EEvPKT_PKT0_S8_ifPKiSA_SA_iPKfiiiPfSD_PS3_PT2_iSC_SC_,@function
_Z39paged_attention_ll4mi_QKV_mfma16_kernelI14__hip_bfloat16S0_LN4vllm18Fp8KVCacheDataTypeE0EhLi32ELi128ELi256ELb0ELi2EEvPKT_PKT0_S8_ifPKiSA_SA_iPKfiiiPfSD_PS3_PT2_iSC_SC_: ; @_Z39paged_attention_ll4mi_QKV_mfma16_kernelI14__hip_bfloat16S0_LN4vllm18Fp8KVCacheDataTypeE0EhLi32ELi128ELi256ELb0ELi2EEvPKT_PKT0_S8_ifPKiSA_SA_iPKfiiiPfSD_PS3_PT2_iSC_SC_
; %bb.0:
	s_get_pc_i64 s[2:3]
	s_add_nc_u64 s[2:3], s[2:3], __PRETTY_FUNCTION__._Z39paged_attention_ll4mi_QKV_mfma16_kernelI14__hip_bfloat16S0_LN4vllm18Fp8KVCacheDataTypeE0EhLi32ELi128ELi256ELb0ELi2EEvPKT_PKT0_S8_ifPKiSA_SA_iPKfiiiPfSD_PS3_PT2_iSC_SC_@rel64+4
	s_delay_alu instid0(SALU_CYCLE_1)
	v_dual_mov_b32 v0, 0xbb3 :: v_dual_mov_b32 v1, s2
	v_mov_b32_e32 v2, s3
	s_add_nc_u64 s[8:9], s[0:1], 0x90
	s_get_pc_i64 s[0:1]
	s_add_nc_u64 s[0:1], s[0:1], __assert_fail@rel64+4
	s_mov_b32 s32, 0
	s_swap_pc_i64 s[30:31], s[0:1]
	.section	.rodata,"a",@progbits
	.p2align	6, 0x0
	.amdhsa_kernel _Z39paged_attention_ll4mi_QKV_mfma16_kernelI14__hip_bfloat16S0_LN4vllm18Fp8KVCacheDataTypeE0EhLi32ELi128ELi256ELb0ELi2EEvPKT_PKT0_S8_ifPKiSA_SA_iPKfiiiPfSD_PS3_PT2_iSC_SC_
		.amdhsa_group_segment_fixed_size 0
		.amdhsa_private_segment_fixed_size 64
		.amdhsa_kernarg_size 400
		.amdhsa_user_sgpr_count 2
		.amdhsa_user_sgpr_dispatch_ptr 0
		.amdhsa_user_sgpr_queue_ptr 0
		.amdhsa_user_sgpr_kernarg_segment_ptr 1
		.amdhsa_user_sgpr_dispatch_id 0
		.amdhsa_user_sgpr_kernarg_preload_length 0
		.amdhsa_user_sgpr_kernarg_preload_offset 0
		.amdhsa_user_sgpr_private_segment_size 0
		.amdhsa_wavefront_size32 1
		.amdhsa_uses_dynamic_stack 0
		.amdhsa_enable_private_segment 1
		.amdhsa_system_sgpr_workgroup_id_x 1
		.amdhsa_system_sgpr_workgroup_id_y 0
		.amdhsa_system_sgpr_workgroup_id_z 0
		.amdhsa_system_sgpr_workgroup_info 0
		.amdhsa_system_vgpr_workitem_id 0
		.amdhsa_next_free_vgpr 51
		.amdhsa_next_free_sgpr 34
		.amdhsa_named_barrier_count 0
		.amdhsa_reserve_vcc 1
		.amdhsa_float_round_mode_32 0
		.amdhsa_float_round_mode_16_64 0
		.amdhsa_float_denorm_mode_32 3
		.amdhsa_float_denorm_mode_16_64 3
		.amdhsa_fp16_overflow 0
		.amdhsa_memory_ordered 1
		.amdhsa_forward_progress 1
		.amdhsa_inst_pref_size 1
		.amdhsa_round_robin_scheduling 0
		.amdhsa_exception_fp_ieee_invalid_op 0
		.amdhsa_exception_fp_denorm_src 0
		.amdhsa_exception_fp_ieee_div_zero 0
		.amdhsa_exception_fp_ieee_overflow 0
		.amdhsa_exception_fp_ieee_underflow 0
		.amdhsa_exception_fp_ieee_inexact 0
		.amdhsa_exception_int_div_zero 0
	.end_amdhsa_kernel
	.section	.text._Z39paged_attention_ll4mi_QKV_mfma16_kernelI14__hip_bfloat16S0_LN4vllm18Fp8KVCacheDataTypeE0EhLi32ELi128ELi256ELb0ELi2EEvPKT_PKT0_S8_ifPKiSA_SA_iPKfiiiPfSD_PS3_PT2_iSC_SC_,"axG",@progbits,_Z39paged_attention_ll4mi_QKV_mfma16_kernelI14__hip_bfloat16S0_LN4vllm18Fp8KVCacheDataTypeE0EhLi32ELi128ELi256ELb0ELi2EEvPKT_PKT0_S8_ifPKiSA_SA_iPKfiiiPfSD_PS3_PT2_iSC_SC_,comdat
.Lfunc_end727:
	.size	_Z39paged_attention_ll4mi_QKV_mfma16_kernelI14__hip_bfloat16S0_LN4vllm18Fp8KVCacheDataTypeE0EhLi32ELi128ELi256ELb0ELi2EEvPKT_PKT0_S8_ifPKiSA_SA_iPKfiiiPfSD_PS3_PT2_iSC_SC_, .Lfunc_end727-_Z39paged_attention_ll4mi_QKV_mfma16_kernelI14__hip_bfloat16S0_LN4vllm18Fp8KVCacheDataTypeE0EhLi32ELi128ELi256ELb0ELi2EEvPKT_PKT0_S8_ifPKiSA_SA_iPKfiiiPfSD_PS3_PT2_iSC_SC_
                                        ; -- End function
	.set _Z39paged_attention_ll4mi_QKV_mfma16_kernelI14__hip_bfloat16S0_LN4vllm18Fp8KVCacheDataTypeE0EhLi32ELi128ELi256ELb0ELi2EEvPKT_PKT0_S8_ifPKiSA_SA_iPKfiiiPfSD_PS3_PT2_iSC_SC_.num_vgpr, max(3, .L__assert_fail.num_vgpr)
	.set _Z39paged_attention_ll4mi_QKV_mfma16_kernelI14__hip_bfloat16S0_LN4vllm18Fp8KVCacheDataTypeE0EhLi32ELi128ELi256ELb0ELi2EEvPKT_PKT0_S8_ifPKiSA_SA_iPKfiiiPfSD_PS3_PT2_iSC_SC_.num_agpr, max(0, .L__assert_fail.num_agpr)
	.set _Z39paged_attention_ll4mi_QKV_mfma16_kernelI14__hip_bfloat16S0_LN4vllm18Fp8KVCacheDataTypeE0EhLi32ELi128ELi256ELb0ELi2EEvPKT_PKT0_S8_ifPKiSA_SA_iPKfiiiPfSD_PS3_PT2_iSC_SC_.numbered_sgpr, max(33, .L__assert_fail.numbered_sgpr)
	.set _Z39paged_attention_ll4mi_QKV_mfma16_kernelI14__hip_bfloat16S0_LN4vllm18Fp8KVCacheDataTypeE0EhLi32ELi128ELi256ELb0ELi2EEvPKT_PKT0_S8_ifPKiSA_SA_iPKfiiiPfSD_PS3_PT2_iSC_SC_.num_named_barrier, max(0, .L__assert_fail.num_named_barrier)
	.set _Z39paged_attention_ll4mi_QKV_mfma16_kernelI14__hip_bfloat16S0_LN4vllm18Fp8KVCacheDataTypeE0EhLi32ELi128ELi256ELb0ELi2EEvPKT_PKT0_S8_ifPKiSA_SA_iPKfiiiPfSD_PS3_PT2_iSC_SC_.private_seg_size, 0+max(.L__assert_fail.private_seg_size)
	.set _Z39paged_attention_ll4mi_QKV_mfma16_kernelI14__hip_bfloat16S0_LN4vllm18Fp8KVCacheDataTypeE0EhLi32ELi128ELi256ELb0ELi2EEvPKT_PKT0_S8_ifPKiSA_SA_iPKfiiiPfSD_PS3_PT2_iSC_SC_.uses_vcc, or(1, .L__assert_fail.uses_vcc)
	.set _Z39paged_attention_ll4mi_QKV_mfma16_kernelI14__hip_bfloat16S0_LN4vllm18Fp8KVCacheDataTypeE0EhLi32ELi128ELi256ELb0ELi2EEvPKT_PKT0_S8_ifPKiSA_SA_iPKfiiiPfSD_PS3_PT2_iSC_SC_.uses_flat_scratch, or(0, .L__assert_fail.uses_flat_scratch)
	.set _Z39paged_attention_ll4mi_QKV_mfma16_kernelI14__hip_bfloat16S0_LN4vllm18Fp8KVCacheDataTypeE0EhLi32ELi128ELi256ELb0ELi2EEvPKT_PKT0_S8_ifPKiSA_SA_iPKfiiiPfSD_PS3_PT2_iSC_SC_.has_dyn_sized_stack, or(0, .L__assert_fail.has_dyn_sized_stack)
	.set _Z39paged_attention_ll4mi_QKV_mfma16_kernelI14__hip_bfloat16S0_LN4vllm18Fp8KVCacheDataTypeE0EhLi32ELi128ELi256ELb0ELi2EEvPKT_PKT0_S8_ifPKiSA_SA_iPKfiiiPfSD_PS3_PT2_iSC_SC_.has_recursion, or(0, .L__assert_fail.has_recursion)
	.set _Z39paged_attention_ll4mi_QKV_mfma16_kernelI14__hip_bfloat16S0_LN4vllm18Fp8KVCacheDataTypeE0EhLi32ELi128ELi256ELb0ELi2EEvPKT_PKT0_S8_ifPKiSA_SA_iPKfiiiPfSD_PS3_PT2_iSC_SC_.has_indirect_call, or(0, .L__assert_fail.has_indirect_call)
	.section	.AMDGPU.csdata,"",@progbits
; Kernel info:
; codeLenInByte = 68
; TotalNumSgprs: 36
; NumVgprs: 51
; ScratchSize: 64
; MemoryBound: 0
; FloatMode: 240
; IeeeMode: 1
; LDSByteSize: 0 bytes/workgroup (compile time only)
; SGPRBlocks: 0
; VGPRBlocks: 3
; NumSGPRsForWavesPerEU: 36
; NumVGPRsForWavesPerEU: 51
; NamedBarCnt: 0
; Occupancy: 16
; WaveLimiterHint : 1
; COMPUTE_PGM_RSRC2:SCRATCH_EN: 1
; COMPUTE_PGM_RSRC2:USER_SGPR: 2
; COMPUTE_PGM_RSRC2:TRAP_HANDLER: 0
; COMPUTE_PGM_RSRC2:TGID_X_EN: 1
; COMPUTE_PGM_RSRC2:TGID_Y_EN: 0
; COMPUTE_PGM_RSRC2:TGID_Z_EN: 0
; COMPUTE_PGM_RSRC2:TIDIG_COMP_CNT: 0
	.section	.text._Z39paged_attention_ll4mi_QKV_mfma16_kernelI14__hip_bfloat16S0_LN4vllm18Fp8KVCacheDataTypeE0EhLi32ELi128ELi256ELb0ELi3EEvPKT_PKT0_S8_ifPKiSA_SA_iPKfiiiPfSD_PS3_PT2_iSC_SC_,"axG",@progbits,_Z39paged_attention_ll4mi_QKV_mfma16_kernelI14__hip_bfloat16S0_LN4vllm18Fp8KVCacheDataTypeE0EhLi32ELi128ELi256ELb0ELi3EEvPKT_PKT0_S8_ifPKiSA_SA_iPKfiiiPfSD_PS3_PT2_iSC_SC_,comdat
	.protected	_Z39paged_attention_ll4mi_QKV_mfma16_kernelI14__hip_bfloat16S0_LN4vllm18Fp8KVCacheDataTypeE0EhLi32ELi128ELi256ELb0ELi3EEvPKT_PKT0_S8_ifPKiSA_SA_iPKfiiiPfSD_PS3_PT2_iSC_SC_ ; -- Begin function _Z39paged_attention_ll4mi_QKV_mfma16_kernelI14__hip_bfloat16S0_LN4vllm18Fp8KVCacheDataTypeE0EhLi32ELi128ELi256ELb0ELi3EEvPKT_PKT0_S8_ifPKiSA_SA_iPKfiiiPfSD_PS3_PT2_iSC_SC_
	.globl	_Z39paged_attention_ll4mi_QKV_mfma16_kernelI14__hip_bfloat16S0_LN4vllm18Fp8KVCacheDataTypeE0EhLi32ELi128ELi256ELb0ELi3EEvPKT_PKT0_S8_ifPKiSA_SA_iPKfiiiPfSD_PS3_PT2_iSC_SC_
	.p2align	8
	.type	_Z39paged_attention_ll4mi_QKV_mfma16_kernelI14__hip_bfloat16S0_LN4vllm18Fp8KVCacheDataTypeE0EhLi32ELi128ELi256ELb0ELi3EEvPKT_PKT0_S8_ifPKiSA_SA_iPKfiiiPfSD_PS3_PT2_iSC_SC_,@function
_Z39paged_attention_ll4mi_QKV_mfma16_kernelI14__hip_bfloat16S0_LN4vllm18Fp8KVCacheDataTypeE0EhLi32ELi128ELi256ELb0ELi3EEvPKT_PKT0_S8_ifPKiSA_SA_iPKfiiiPfSD_PS3_PT2_iSC_SC_: ; @_Z39paged_attention_ll4mi_QKV_mfma16_kernelI14__hip_bfloat16S0_LN4vllm18Fp8KVCacheDataTypeE0EhLi32ELi128ELi256ELb0ELi3EEvPKT_PKT0_S8_ifPKiSA_SA_iPKfiiiPfSD_PS3_PT2_iSC_SC_
; %bb.0:
	s_get_pc_i64 s[2:3]
	s_add_nc_u64 s[2:3], s[2:3], __PRETTY_FUNCTION__._Z39paged_attention_ll4mi_QKV_mfma16_kernelI14__hip_bfloat16S0_LN4vllm18Fp8KVCacheDataTypeE0EhLi32ELi128ELi256ELb0ELi3EEvPKT_PKT0_S8_ifPKiSA_SA_iPKfiiiPfSD_PS3_PT2_iSC_SC_@rel64+4
	s_delay_alu instid0(SALU_CYCLE_1)
	v_dual_mov_b32 v0, 0xbb3 :: v_dual_mov_b32 v1, s2
	v_mov_b32_e32 v2, s3
	s_add_nc_u64 s[8:9], s[0:1], 0x90
	s_get_pc_i64 s[0:1]
	s_add_nc_u64 s[0:1], s[0:1], __assert_fail@rel64+4
	s_mov_b32 s32, 0
	s_swap_pc_i64 s[30:31], s[0:1]
	.section	.rodata,"a",@progbits
	.p2align	6, 0x0
	.amdhsa_kernel _Z39paged_attention_ll4mi_QKV_mfma16_kernelI14__hip_bfloat16S0_LN4vllm18Fp8KVCacheDataTypeE0EhLi32ELi128ELi256ELb0ELi3EEvPKT_PKT0_S8_ifPKiSA_SA_iPKfiiiPfSD_PS3_PT2_iSC_SC_
		.amdhsa_group_segment_fixed_size 0
		.amdhsa_private_segment_fixed_size 64
		.amdhsa_kernarg_size 400
		.amdhsa_user_sgpr_count 2
		.amdhsa_user_sgpr_dispatch_ptr 0
		.amdhsa_user_sgpr_queue_ptr 0
		.amdhsa_user_sgpr_kernarg_segment_ptr 1
		.amdhsa_user_sgpr_dispatch_id 0
		.amdhsa_user_sgpr_kernarg_preload_length 0
		.amdhsa_user_sgpr_kernarg_preload_offset 0
		.amdhsa_user_sgpr_private_segment_size 0
		.amdhsa_wavefront_size32 1
		.amdhsa_uses_dynamic_stack 0
		.amdhsa_enable_private_segment 1
		.amdhsa_system_sgpr_workgroup_id_x 1
		.amdhsa_system_sgpr_workgroup_id_y 0
		.amdhsa_system_sgpr_workgroup_id_z 0
		.amdhsa_system_sgpr_workgroup_info 0
		.amdhsa_system_vgpr_workitem_id 0
		.amdhsa_next_free_vgpr 51
		.amdhsa_next_free_sgpr 34
		.amdhsa_named_barrier_count 0
		.amdhsa_reserve_vcc 1
		.amdhsa_float_round_mode_32 0
		.amdhsa_float_round_mode_16_64 0
		.amdhsa_float_denorm_mode_32 3
		.amdhsa_float_denorm_mode_16_64 3
		.amdhsa_fp16_overflow 0
		.amdhsa_memory_ordered 1
		.amdhsa_forward_progress 1
		.amdhsa_inst_pref_size 1
		.amdhsa_round_robin_scheduling 0
		.amdhsa_exception_fp_ieee_invalid_op 0
		.amdhsa_exception_fp_denorm_src 0
		.amdhsa_exception_fp_ieee_div_zero 0
		.amdhsa_exception_fp_ieee_overflow 0
		.amdhsa_exception_fp_ieee_underflow 0
		.amdhsa_exception_fp_ieee_inexact 0
		.amdhsa_exception_int_div_zero 0
	.end_amdhsa_kernel
	.section	.text._Z39paged_attention_ll4mi_QKV_mfma16_kernelI14__hip_bfloat16S0_LN4vllm18Fp8KVCacheDataTypeE0EhLi32ELi128ELi256ELb0ELi3EEvPKT_PKT0_S8_ifPKiSA_SA_iPKfiiiPfSD_PS3_PT2_iSC_SC_,"axG",@progbits,_Z39paged_attention_ll4mi_QKV_mfma16_kernelI14__hip_bfloat16S0_LN4vllm18Fp8KVCacheDataTypeE0EhLi32ELi128ELi256ELb0ELi3EEvPKT_PKT0_S8_ifPKiSA_SA_iPKfiiiPfSD_PS3_PT2_iSC_SC_,comdat
.Lfunc_end728:
	.size	_Z39paged_attention_ll4mi_QKV_mfma16_kernelI14__hip_bfloat16S0_LN4vllm18Fp8KVCacheDataTypeE0EhLi32ELi128ELi256ELb0ELi3EEvPKT_PKT0_S8_ifPKiSA_SA_iPKfiiiPfSD_PS3_PT2_iSC_SC_, .Lfunc_end728-_Z39paged_attention_ll4mi_QKV_mfma16_kernelI14__hip_bfloat16S0_LN4vllm18Fp8KVCacheDataTypeE0EhLi32ELi128ELi256ELb0ELi3EEvPKT_PKT0_S8_ifPKiSA_SA_iPKfiiiPfSD_PS3_PT2_iSC_SC_
                                        ; -- End function
	.set _Z39paged_attention_ll4mi_QKV_mfma16_kernelI14__hip_bfloat16S0_LN4vllm18Fp8KVCacheDataTypeE0EhLi32ELi128ELi256ELb0ELi3EEvPKT_PKT0_S8_ifPKiSA_SA_iPKfiiiPfSD_PS3_PT2_iSC_SC_.num_vgpr, max(3, .L__assert_fail.num_vgpr)
	.set _Z39paged_attention_ll4mi_QKV_mfma16_kernelI14__hip_bfloat16S0_LN4vllm18Fp8KVCacheDataTypeE0EhLi32ELi128ELi256ELb0ELi3EEvPKT_PKT0_S8_ifPKiSA_SA_iPKfiiiPfSD_PS3_PT2_iSC_SC_.num_agpr, max(0, .L__assert_fail.num_agpr)
	.set _Z39paged_attention_ll4mi_QKV_mfma16_kernelI14__hip_bfloat16S0_LN4vllm18Fp8KVCacheDataTypeE0EhLi32ELi128ELi256ELb0ELi3EEvPKT_PKT0_S8_ifPKiSA_SA_iPKfiiiPfSD_PS3_PT2_iSC_SC_.numbered_sgpr, max(33, .L__assert_fail.numbered_sgpr)
	.set _Z39paged_attention_ll4mi_QKV_mfma16_kernelI14__hip_bfloat16S0_LN4vllm18Fp8KVCacheDataTypeE0EhLi32ELi128ELi256ELb0ELi3EEvPKT_PKT0_S8_ifPKiSA_SA_iPKfiiiPfSD_PS3_PT2_iSC_SC_.num_named_barrier, max(0, .L__assert_fail.num_named_barrier)
	.set _Z39paged_attention_ll4mi_QKV_mfma16_kernelI14__hip_bfloat16S0_LN4vllm18Fp8KVCacheDataTypeE0EhLi32ELi128ELi256ELb0ELi3EEvPKT_PKT0_S8_ifPKiSA_SA_iPKfiiiPfSD_PS3_PT2_iSC_SC_.private_seg_size, 0+max(.L__assert_fail.private_seg_size)
	.set _Z39paged_attention_ll4mi_QKV_mfma16_kernelI14__hip_bfloat16S0_LN4vllm18Fp8KVCacheDataTypeE0EhLi32ELi128ELi256ELb0ELi3EEvPKT_PKT0_S8_ifPKiSA_SA_iPKfiiiPfSD_PS3_PT2_iSC_SC_.uses_vcc, or(1, .L__assert_fail.uses_vcc)
	.set _Z39paged_attention_ll4mi_QKV_mfma16_kernelI14__hip_bfloat16S0_LN4vllm18Fp8KVCacheDataTypeE0EhLi32ELi128ELi256ELb0ELi3EEvPKT_PKT0_S8_ifPKiSA_SA_iPKfiiiPfSD_PS3_PT2_iSC_SC_.uses_flat_scratch, or(0, .L__assert_fail.uses_flat_scratch)
	.set _Z39paged_attention_ll4mi_QKV_mfma16_kernelI14__hip_bfloat16S0_LN4vllm18Fp8KVCacheDataTypeE0EhLi32ELi128ELi256ELb0ELi3EEvPKT_PKT0_S8_ifPKiSA_SA_iPKfiiiPfSD_PS3_PT2_iSC_SC_.has_dyn_sized_stack, or(0, .L__assert_fail.has_dyn_sized_stack)
	.set _Z39paged_attention_ll4mi_QKV_mfma16_kernelI14__hip_bfloat16S0_LN4vllm18Fp8KVCacheDataTypeE0EhLi32ELi128ELi256ELb0ELi3EEvPKT_PKT0_S8_ifPKiSA_SA_iPKfiiiPfSD_PS3_PT2_iSC_SC_.has_recursion, or(0, .L__assert_fail.has_recursion)
	.set _Z39paged_attention_ll4mi_QKV_mfma16_kernelI14__hip_bfloat16S0_LN4vllm18Fp8KVCacheDataTypeE0EhLi32ELi128ELi256ELb0ELi3EEvPKT_PKT0_S8_ifPKiSA_SA_iPKfiiiPfSD_PS3_PT2_iSC_SC_.has_indirect_call, or(0, .L__assert_fail.has_indirect_call)
	.section	.AMDGPU.csdata,"",@progbits
; Kernel info:
; codeLenInByte = 68
; TotalNumSgprs: 36
; NumVgprs: 51
; ScratchSize: 64
; MemoryBound: 0
; FloatMode: 240
; IeeeMode: 1
; LDSByteSize: 0 bytes/workgroup (compile time only)
; SGPRBlocks: 0
; VGPRBlocks: 3
; NumSGPRsForWavesPerEU: 36
; NumVGPRsForWavesPerEU: 51
; NamedBarCnt: 0
; Occupancy: 16
; WaveLimiterHint : 1
; COMPUTE_PGM_RSRC2:SCRATCH_EN: 1
; COMPUTE_PGM_RSRC2:USER_SGPR: 2
; COMPUTE_PGM_RSRC2:TRAP_HANDLER: 0
; COMPUTE_PGM_RSRC2:TGID_X_EN: 1
; COMPUTE_PGM_RSRC2:TGID_Y_EN: 0
; COMPUTE_PGM_RSRC2:TGID_Z_EN: 0
; COMPUTE_PGM_RSRC2:TIDIG_COMP_CNT: 0
	.section	.text._Z39paged_attention_ll4mi_QKV_mfma16_kernelI14__hip_bfloat16S0_LN4vllm18Fp8KVCacheDataTypeE0EhLi32ELi128ELi256ELb0ELi4EEvPKT_PKT0_S8_ifPKiSA_SA_iPKfiiiPfSD_PS3_PT2_iSC_SC_,"axG",@progbits,_Z39paged_attention_ll4mi_QKV_mfma16_kernelI14__hip_bfloat16S0_LN4vllm18Fp8KVCacheDataTypeE0EhLi32ELi128ELi256ELb0ELi4EEvPKT_PKT0_S8_ifPKiSA_SA_iPKfiiiPfSD_PS3_PT2_iSC_SC_,comdat
	.protected	_Z39paged_attention_ll4mi_QKV_mfma16_kernelI14__hip_bfloat16S0_LN4vllm18Fp8KVCacheDataTypeE0EhLi32ELi128ELi256ELb0ELi4EEvPKT_PKT0_S8_ifPKiSA_SA_iPKfiiiPfSD_PS3_PT2_iSC_SC_ ; -- Begin function _Z39paged_attention_ll4mi_QKV_mfma16_kernelI14__hip_bfloat16S0_LN4vllm18Fp8KVCacheDataTypeE0EhLi32ELi128ELi256ELb0ELi4EEvPKT_PKT0_S8_ifPKiSA_SA_iPKfiiiPfSD_PS3_PT2_iSC_SC_
	.globl	_Z39paged_attention_ll4mi_QKV_mfma16_kernelI14__hip_bfloat16S0_LN4vllm18Fp8KVCacheDataTypeE0EhLi32ELi128ELi256ELb0ELi4EEvPKT_PKT0_S8_ifPKiSA_SA_iPKfiiiPfSD_PS3_PT2_iSC_SC_
	.p2align	8
	.type	_Z39paged_attention_ll4mi_QKV_mfma16_kernelI14__hip_bfloat16S0_LN4vllm18Fp8KVCacheDataTypeE0EhLi32ELi128ELi256ELb0ELi4EEvPKT_PKT0_S8_ifPKiSA_SA_iPKfiiiPfSD_PS3_PT2_iSC_SC_,@function
_Z39paged_attention_ll4mi_QKV_mfma16_kernelI14__hip_bfloat16S0_LN4vllm18Fp8KVCacheDataTypeE0EhLi32ELi128ELi256ELb0ELi4EEvPKT_PKT0_S8_ifPKiSA_SA_iPKfiiiPfSD_PS3_PT2_iSC_SC_: ; @_Z39paged_attention_ll4mi_QKV_mfma16_kernelI14__hip_bfloat16S0_LN4vllm18Fp8KVCacheDataTypeE0EhLi32ELi128ELi256ELb0ELi4EEvPKT_PKT0_S8_ifPKiSA_SA_iPKfiiiPfSD_PS3_PT2_iSC_SC_
; %bb.0:
	s_get_pc_i64 s[2:3]
	s_add_nc_u64 s[2:3], s[2:3], __PRETTY_FUNCTION__._Z39paged_attention_ll4mi_QKV_mfma16_kernelI14__hip_bfloat16S0_LN4vllm18Fp8KVCacheDataTypeE0EhLi32ELi128ELi256ELb0ELi4EEvPKT_PKT0_S8_ifPKiSA_SA_iPKfiiiPfSD_PS3_PT2_iSC_SC_@rel64+4
	s_delay_alu instid0(SALU_CYCLE_1)
	v_dual_mov_b32 v0, 0xbb3 :: v_dual_mov_b32 v1, s2
	v_mov_b32_e32 v2, s3
	s_add_nc_u64 s[8:9], s[0:1], 0x90
	s_get_pc_i64 s[0:1]
	s_add_nc_u64 s[0:1], s[0:1], __assert_fail@rel64+4
	s_mov_b32 s32, 0
	s_swap_pc_i64 s[30:31], s[0:1]
	.section	.rodata,"a",@progbits
	.p2align	6, 0x0
	.amdhsa_kernel _Z39paged_attention_ll4mi_QKV_mfma16_kernelI14__hip_bfloat16S0_LN4vllm18Fp8KVCacheDataTypeE0EhLi32ELi128ELi256ELb0ELi4EEvPKT_PKT0_S8_ifPKiSA_SA_iPKfiiiPfSD_PS3_PT2_iSC_SC_
		.amdhsa_group_segment_fixed_size 0
		.amdhsa_private_segment_fixed_size 64
		.amdhsa_kernarg_size 400
		.amdhsa_user_sgpr_count 2
		.amdhsa_user_sgpr_dispatch_ptr 0
		.amdhsa_user_sgpr_queue_ptr 0
		.amdhsa_user_sgpr_kernarg_segment_ptr 1
		.amdhsa_user_sgpr_dispatch_id 0
		.amdhsa_user_sgpr_kernarg_preload_length 0
		.amdhsa_user_sgpr_kernarg_preload_offset 0
		.amdhsa_user_sgpr_private_segment_size 0
		.amdhsa_wavefront_size32 1
		.amdhsa_uses_dynamic_stack 0
		.amdhsa_enable_private_segment 1
		.amdhsa_system_sgpr_workgroup_id_x 1
		.amdhsa_system_sgpr_workgroup_id_y 0
		.amdhsa_system_sgpr_workgroup_id_z 0
		.amdhsa_system_sgpr_workgroup_info 0
		.amdhsa_system_vgpr_workitem_id 0
		.amdhsa_next_free_vgpr 51
		.amdhsa_next_free_sgpr 34
		.amdhsa_named_barrier_count 0
		.amdhsa_reserve_vcc 1
		.amdhsa_float_round_mode_32 0
		.amdhsa_float_round_mode_16_64 0
		.amdhsa_float_denorm_mode_32 3
		.amdhsa_float_denorm_mode_16_64 3
		.amdhsa_fp16_overflow 0
		.amdhsa_memory_ordered 1
		.amdhsa_forward_progress 1
		.amdhsa_inst_pref_size 1
		.amdhsa_round_robin_scheduling 0
		.amdhsa_exception_fp_ieee_invalid_op 0
		.amdhsa_exception_fp_denorm_src 0
		.amdhsa_exception_fp_ieee_div_zero 0
		.amdhsa_exception_fp_ieee_overflow 0
		.amdhsa_exception_fp_ieee_underflow 0
		.amdhsa_exception_fp_ieee_inexact 0
		.amdhsa_exception_int_div_zero 0
	.end_amdhsa_kernel
	.section	.text._Z39paged_attention_ll4mi_QKV_mfma16_kernelI14__hip_bfloat16S0_LN4vllm18Fp8KVCacheDataTypeE0EhLi32ELi128ELi256ELb0ELi4EEvPKT_PKT0_S8_ifPKiSA_SA_iPKfiiiPfSD_PS3_PT2_iSC_SC_,"axG",@progbits,_Z39paged_attention_ll4mi_QKV_mfma16_kernelI14__hip_bfloat16S0_LN4vllm18Fp8KVCacheDataTypeE0EhLi32ELi128ELi256ELb0ELi4EEvPKT_PKT0_S8_ifPKiSA_SA_iPKfiiiPfSD_PS3_PT2_iSC_SC_,comdat
.Lfunc_end729:
	.size	_Z39paged_attention_ll4mi_QKV_mfma16_kernelI14__hip_bfloat16S0_LN4vllm18Fp8KVCacheDataTypeE0EhLi32ELi128ELi256ELb0ELi4EEvPKT_PKT0_S8_ifPKiSA_SA_iPKfiiiPfSD_PS3_PT2_iSC_SC_, .Lfunc_end729-_Z39paged_attention_ll4mi_QKV_mfma16_kernelI14__hip_bfloat16S0_LN4vllm18Fp8KVCacheDataTypeE0EhLi32ELi128ELi256ELb0ELi4EEvPKT_PKT0_S8_ifPKiSA_SA_iPKfiiiPfSD_PS3_PT2_iSC_SC_
                                        ; -- End function
	.set _Z39paged_attention_ll4mi_QKV_mfma16_kernelI14__hip_bfloat16S0_LN4vllm18Fp8KVCacheDataTypeE0EhLi32ELi128ELi256ELb0ELi4EEvPKT_PKT0_S8_ifPKiSA_SA_iPKfiiiPfSD_PS3_PT2_iSC_SC_.num_vgpr, max(3, .L__assert_fail.num_vgpr)
	.set _Z39paged_attention_ll4mi_QKV_mfma16_kernelI14__hip_bfloat16S0_LN4vllm18Fp8KVCacheDataTypeE0EhLi32ELi128ELi256ELb0ELi4EEvPKT_PKT0_S8_ifPKiSA_SA_iPKfiiiPfSD_PS3_PT2_iSC_SC_.num_agpr, max(0, .L__assert_fail.num_agpr)
	.set _Z39paged_attention_ll4mi_QKV_mfma16_kernelI14__hip_bfloat16S0_LN4vllm18Fp8KVCacheDataTypeE0EhLi32ELi128ELi256ELb0ELi4EEvPKT_PKT0_S8_ifPKiSA_SA_iPKfiiiPfSD_PS3_PT2_iSC_SC_.numbered_sgpr, max(33, .L__assert_fail.numbered_sgpr)
	.set _Z39paged_attention_ll4mi_QKV_mfma16_kernelI14__hip_bfloat16S0_LN4vllm18Fp8KVCacheDataTypeE0EhLi32ELi128ELi256ELb0ELi4EEvPKT_PKT0_S8_ifPKiSA_SA_iPKfiiiPfSD_PS3_PT2_iSC_SC_.num_named_barrier, max(0, .L__assert_fail.num_named_barrier)
	.set _Z39paged_attention_ll4mi_QKV_mfma16_kernelI14__hip_bfloat16S0_LN4vllm18Fp8KVCacheDataTypeE0EhLi32ELi128ELi256ELb0ELi4EEvPKT_PKT0_S8_ifPKiSA_SA_iPKfiiiPfSD_PS3_PT2_iSC_SC_.private_seg_size, 0+max(.L__assert_fail.private_seg_size)
	.set _Z39paged_attention_ll4mi_QKV_mfma16_kernelI14__hip_bfloat16S0_LN4vllm18Fp8KVCacheDataTypeE0EhLi32ELi128ELi256ELb0ELi4EEvPKT_PKT0_S8_ifPKiSA_SA_iPKfiiiPfSD_PS3_PT2_iSC_SC_.uses_vcc, or(1, .L__assert_fail.uses_vcc)
	.set _Z39paged_attention_ll4mi_QKV_mfma16_kernelI14__hip_bfloat16S0_LN4vllm18Fp8KVCacheDataTypeE0EhLi32ELi128ELi256ELb0ELi4EEvPKT_PKT0_S8_ifPKiSA_SA_iPKfiiiPfSD_PS3_PT2_iSC_SC_.uses_flat_scratch, or(0, .L__assert_fail.uses_flat_scratch)
	.set _Z39paged_attention_ll4mi_QKV_mfma16_kernelI14__hip_bfloat16S0_LN4vllm18Fp8KVCacheDataTypeE0EhLi32ELi128ELi256ELb0ELi4EEvPKT_PKT0_S8_ifPKiSA_SA_iPKfiiiPfSD_PS3_PT2_iSC_SC_.has_dyn_sized_stack, or(0, .L__assert_fail.has_dyn_sized_stack)
	.set _Z39paged_attention_ll4mi_QKV_mfma16_kernelI14__hip_bfloat16S0_LN4vllm18Fp8KVCacheDataTypeE0EhLi32ELi128ELi256ELb0ELi4EEvPKT_PKT0_S8_ifPKiSA_SA_iPKfiiiPfSD_PS3_PT2_iSC_SC_.has_recursion, or(0, .L__assert_fail.has_recursion)
	.set _Z39paged_attention_ll4mi_QKV_mfma16_kernelI14__hip_bfloat16S0_LN4vllm18Fp8KVCacheDataTypeE0EhLi32ELi128ELi256ELb0ELi4EEvPKT_PKT0_S8_ifPKiSA_SA_iPKfiiiPfSD_PS3_PT2_iSC_SC_.has_indirect_call, or(0, .L__assert_fail.has_indirect_call)
	.section	.AMDGPU.csdata,"",@progbits
; Kernel info:
; codeLenInByte = 68
; TotalNumSgprs: 36
; NumVgprs: 51
; ScratchSize: 64
; MemoryBound: 0
; FloatMode: 240
; IeeeMode: 1
; LDSByteSize: 0 bytes/workgroup (compile time only)
; SGPRBlocks: 0
; VGPRBlocks: 3
; NumSGPRsForWavesPerEU: 36
; NumVGPRsForWavesPerEU: 51
; NamedBarCnt: 0
; Occupancy: 16
; WaveLimiterHint : 1
; COMPUTE_PGM_RSRC2:SCRATCH_EN: 1
; COMPUTE_PGM_RSRC2:USER_SGPR: 2
; COMPUTE_PGM_RSRC2:TRAP_HANDLER: 0
; COMPUTE_PGM_RSRC2:TGID_X_EN: 1
; COMPUTE_PGM_RSRC2:TGID_Y_EN: 0
; COMPUTE_PGM_RSRC2:TGID_Z_EN: 0
; COMPUTE_PGM_RSRC2:TIDIG_COMP_CNT: 0
	.section	.text._Z38paged_attention_ll4mi_QKV_mfma4_kernelI14__hip_bfloat16S0_LN4vllm18Fp8KVCacheDataTypeE0ES0_Li32ELi128ELi256ELb1ELi1EEvPKT_PKT0_S8_ifPKiSA_SA_iPKfiiiPfSD_PS3_PT2_iSC_SC_,"axG",@progbits,_Z38paged_attention_ll4mi_QKV_mfma4_kernelI14__hip_bfloat16S0_LN4vllm18Fp8KVCacheDataTypeE0ES0_Li32ELi128ELi256ELb1ELi1EEvPKT_PKT0_S8_ifPKiSA_SA_iPKfiiiPfSD_PS3_PT2_iSC_SC_,comdat
	.protected	_Z38paged_attention_ll4mi_QKV_mfma4_kernelI14__hip_bfloat16S0_LN4vllm18Fp8KVCacheDataTypeE0ES0_Li32ELi128ELi256ELb1ELi1EEvPKT_PKT0_S8_ifPKiSA_SA_iPKfiiiPfSD_PS3_PT2_iSC_SC_ ; -- Begin function _Z38paged_attention_ll4mi_QKV_mfma4_kernelI14__hip_bfloat16S0_LN4vllm18Fp8KVCacheDataTypeE0ES0_Li32ELi128ELi256ELb1ELi1EEvPKT_PKT0_S8_ifPKiSA_SA_iPKfiiiPfSD_PS3_PT2_iSC_SC_
	.globl	_Z38paged_attention_ll4mi_QKV_mfma4_kernelI14__hip_bfloat16S0_LN4vllm18Fp8KVCacheDataTypeE0ES0_Li32ELi128ELi256ELb1ELi1EEvPKT_PKT0_S8_ifPKiSA_SA_iPKfiiiPfSD_PS3_PT2_iSC_SC_
	.p2align	8
	.type	_Z38paged_attention_ll4mi_QKV_mfma4_kernelI14__hip_bfloat16S0_LN4vllm18Fp8KVCacheDataTypeE0ES0_Li32ELi128ELi256ELb1ELi1EEvPKT_PKT0_S8_ifPKiSA_SA_iPKfiiiPfSD_PS3_PT2_iSC_SC_,@function
_Z38paged_attention_ll4mi_QKV_mfma4_kernelI14__hip_bfloat16S0_LN4vllm18Fp8KVCacheDataTypeE0ES0_Li32ELi128ELi256ELb1ELi1EEvPKT_PKT0_S8_ifPKiSA_SA_iPKfiiiPfSD_PS3_PT2_iSC_SC_: ; @_Z38paged_attention_ll4mi_QKV_mfma4_kernelI14__hip_bfloat16S0_LN4vllm18Fp8KVCacheDataTypeE0ES0_Li32ELi128ELi256ELb1ELi1EEvPKT_PKT0_S8_ifPKiSA_SA_iPKfiiiPfSD_PS3_PT2_iSC_SC_
; %bb.0:
	s_get_pc_i64 s[2:3]
	s_add_nc_u64 s[2:3], s[2:3], __PRETTY_FUNCTION__._Z38paged_attention_ll4mi_QKV_mfma4_kernelI14__hip_bfloat16S0_LN4vllm18Fp8KVCacheDataTypeE0ES0_Li32ELi128ELi256ELb1ELi1EEvPKT_PKT0_S8_ifPKiSA_SA_iPKfiiiPfSD_PS3_PT2_iSC_SC_@rel64+4
	s_delay_alu instid0(SALU_CYCLE_1)
	v_dual_mov_b32 v0, 0xbce :: v_dual_mov_b32 v1, s2
	v_mov_b32_e32 v2, s3
	s_add_nc_u64 s[8:9], s[0:1], 0x90
	s_get_pc_i64 s[0:1]
	s_add_nc_u64 s[0:1], s[0:1], __assert_fail@rel64+4
	s_mov_b32 s32, 0
	s_swap_pc_i64 s[30:31], s[0:1]
	.section	.rodata,"a",@progbits
	.p2align	6, 0x0
	.amdhsa_kernel _Z38paged_attention_ll4mi_QKV_mfma4_kernelI14__hip_bfloat16S0_LN4vllm18Fp8KVCacheDataTypeE0ES0_Li32ELi128ELi256ELb1ELi1EEvPKT_PKT0_S8_ifPKiSA_SA_iPKfiiiPfSD_PS3_PT2_iSC_SC_
		.amdhsa_group_segment_fixed_size 0
		.amdhsa_private_segment_fixed_size 64
		.amdhsa_kernarg_size 400
		.amdhsa_user_sgpr_count 2
		.amdhsa_user_sgpr_dispatch_ptr 0
		.amdhsa_user_sgpr_queue_ptr 0
		.amdhsa_user_sgpr_kernarg_segment_ptr 1
		.amdhsa_user_sgpr_dispatch_id 0
		.amdhsa_user_sgpr_kernarg_preload_length 0
		.amdhsa_user_sgpr_kernarg_preload_offset 0
		.amdhsa_user_sgpr_private_segment_size 0
		.amdhsa_wavefront_size32 1
		.amdhsa_uses_dynamic_stack 0
		.amdhsa_enable_private_segment 1
		.amdhsa_system_sgpr_workgroup_id_x 1
		.amdhsa_system_sgpr_workgroup_id_y 0
		.amdhsa_system_sgpr_workgroup_id_z 0
		.amdhsa_system_sgpr_workgroup_info 0
		.amdhsa_system_vgpr_workitem_id 0
		.amdhsa_next_free_vgpr 51
		.amdhsa_next_free_sgpr 34
		.amdhsa_named_barrier_count 0
		.amdhsa_reserve_vcc 1
		.amdhsa_float_round_mode_32 0
		.amdhsa_float_round_mode_16_64 0
		.amdhsa_float_denorm_mode_32 3
		.amdhsa_float_denorm_mode_16_64 3
		.amdhsa_fp16_overflow 0
		.amdhsa_memory_ordered 1
		.amdhsa_forward_progress 1
		.amdhsa_inst_pref_size 1
		.amdhsa_round_robin_scheduling 0
		.amdhsa_exception_fp_ieee_invalid_op 0
		.amdhsa_exception_fp_denorm_src 0
		.amdhsa_exception_fp_ieee_div_zero 0
		.amdhsa_exception_fp_ieee_overflow 0
		.amdhsa_exception_fp_ieee_underflow 0
		.amdhsa_exception_fp_ieee_inexact 0
		.amdhsa_exception_int_div_zero 0
	.end_amdhsa_kernel
	.section	.text._Z38paged_attention_ll4mi_QKV_mfma4_kernelI14__hip_bfloat16S0_LN4vllm18Fp8KVCacheDataTypeE0ES0_Li32ELi128ELi256ELb1ELi1EEvPKT_PKT0_S8_ifPKiSA_SA_iPKfiiiPfSD_PS3_PT2_iSC_SC_,"axG",@progbits,_Z38paged_attention_ll4mi_QKV_mfma4_kernelI14__hip_bfloat16S0_LN4vllm18Fp8KVCacheDataTypeE0ES0_Li32ELi128ELi256ELb1ELi1EEvPKT_PKT0_S8_ifPKiSA_SA_iPKfiiiPfSD_PS3_PT2_iSC_SC_,comdat
.Lfunc_end730:
	.size	_Z38paged_attention_ll4mi_QKV_mfma4_kernelI14__hip_bfloat16S0_LN4vllm18Fp8KVCacheDataTypeE0ES0_Li32ELi128ELi256ELb1ELi1EEvPKT_PKT0_S8_ifPKiSA_SA_iPKfiiiPfSD_PS3_PT2_iSC_SC_, .Lfunc_end730-_Z38paged_attention_ll4mi_QKV_mfma4_kernelI14__hip_bfloat16S0_LN4vllm18Fp8KVCacheDataTypeE0ES0_Li32ELi128ELi256ELb1ELi1EEvPKT_PKT0_S8_ifPKiSA_SA_iPKfiiiPfSD_PS3_PT2_iSC_SC_
                                        ; -- End function
	.set _Z38paged_attention_ll4mi_QKV_mfma4_kernelI14__hip_bfloat16S0_LN4vllm18Fp8KVCacheDataTypeE0ES0_Li32ELi128ELi256ELb1ELi1EEvPKT_PKT0_S8_ifPKiSA_SA_iPKfiiiPfSD_PS3_PT2_iSC_SC_.num_vgpr, max(3, .L__assert_fail.num_vgpr)
	.set _Z38paged_attention_ll4mi_QKV_mfma4_kernelI14__hip_bfloat16S0_LN4vllm18Fp8KVCacheDataTypeE0ES0_Li32ELi128ELi256ELb1ELi1EEvPKT_PKT0_S8_ifPKiSA_SA_iPKfiiiPfSD_PS3_PT2_iSC_SC_.num_agpr, max(0, .L__assert_fail.num_agpr)
	.set _Z38paged_attention_ll4mi_QKV_mfma4_kernelI14__hip_bfloat16S0_LN4vllm18Fp8KVCacheDataTypeE0ES0_Li32ELi128ELi256ELb1ELi1EEvPKT_PKT0_S8_ifPKiSA_SA_iPKfiiiPfSD_PS3_PT2_iSC_SC_.numbered_sgpr, max(33, .L__assert_fail.numbered_sgpr)
	.set _Z38paged_attention_ll4mi_QKV_mfma4_kernelI14__hip_bfloat16S0_LN4vllm18Fp8KVCacheDataTypeE0ES0_Li32ELi128ELi256ELb1ELi1EEvPKT_PKT0_S8_ifPKiSA_SA_iPKfiiiPfSD_PS3_PT2_iSC_SC_.num_named_barrier, max(0, .L__assert_fail.num_named_barrier)
	.set _Z38paged_attention_ll4mi_QKV_mfma4_kernelI14__hip_bfloat16S0_LN4vllm18Fp8KVCacheDataTypeE0ES0_Li32ELi128ELi256ELb1ELi1EEvPKT_PKT0_S8_ifPKiSA_SA_iPKfiiiPfSD_PS3_PT2_iSC_SC_.private_seg_size, 0+max(.L__assert_fail.private_seg_size)
	.set _Z38paged_attention_ll4mi_QKV_mfma4_kernelI14__hip_bfloat16S0_LN4vllm18Fp8KVCacheDataTypeE0ES0_Li32ELi128ELi256ELb1ELi1EEvPKT_PKT0_S8_ifPKiSA_SA_iPKfiiiPfSD_PS3_PT2_iSC_SC_.uses_vcc, or(1, .L__assert_fail.uses_vcc)
	.set _Z38paged_attention_ll4mi_QKV_mfma4_kernelI14__hip_bfloat16S0_LN4vllm18Fp8KVCacheDataTypeE0ES0_Li32ELi128ELi256ELb1ELi1EEvPKT_PKT0_S8_ifPKiSA_SA_iPKfiiiPfSD_PS3_PT2_iSC_SC_.uses_flat_scratch, or(0, .L__assert_fail.uses_flat_scratch)
	.set _Z38paged_attention_ll4mi_QKV_mfma4_kernelI14__hip_bfloat16S0_LN4vllm18Fp8KVCacheDataTypeE0ES0_Li32ELi128ELi256ELb1ELi1EEvPKT_PKT0_S8_ifPKiSA_SA_iPKfiiiPfSD_PS3_PT2_iSC_SC_.has_dyn_sized_stack, or(0, .L__assert_fail.has_dyn_sized_stack)
	.set _Z38paged_attention_ll4mi_QKV_mfma4_kernelI14__hip_bfloat16S0_LN4vllm18Fp8KVCacheDataTypeE0ES0_Li32ELi128ELi256ELb1ELi1EEvPKT_PKT0_S8_ifPKiSA_SA_iPKfiiiPfSD_PS3_PT2_iSC_SC_.has_recursion, or(0, .L__assert_fail.has_recursion)
	.set _Z38paged_attention_ll4mi_QKV_mfma4_kernelI14__hip_bfloat16S0_LN4vllm18Fp8KVCacheDataTypeE0ES0_Li32ELi128ELi256ELb1ELi1EEvPKT_PKT0_S8_ifPKiSA_SA_iPKfiiiPfSD_PS3_PT2_iSC_SC_.has_indirect_call, or(0, .L__assert_fail.has_indirect_call)
	.section	.AMDGPU.csdata,"",@progbits
; Kernel info:
; codeLenInByte = 68
; TotalNumSgprs: 36
; NumVgprs: 51
; ScratchSize: 64
; MemoryBound: 0
; FloatMode: 240
; IeeeMode: 1
; LDSByteSize: 0 bytes/workgroup (compile time only)
; SGPRBlocks: 0
; VGPRBlocks: 3
; NumSGPRsForWavesPerEU: 36
; NumVGPRsForWavesPerEU: 51
; NamedBarCnt: 0
; Occupancy: 16
; WaveLimiterHint : 1
; COMPUTE_PGM_RSRC2:SCRATCH_EN: 1
; COMPUTE_PGM_RSRC2:USER_SGPR: 2
; COMPUTE_PGM_RSRC2:TRAP_HANDLER: 0
; COMPUTE_PGM_RSRC2:TGID_X_EN: 1
; COMPUTE_PGM_RSRC2:TGID_Y_EN: 0
; COMPUTE_PGM_RSRC2:TGID_Z_EN: 0
; COMPUTE_PGM_RSRC2:TIDIG_COMP_CNT: 0
	.section	.text._Z38paged_attention_ll4mi_QKV_mfma4_kernelI14__hip_bfloat16S0_LN4vllm18Fp8KVCacheDataTypeE0ES0_Li32ELi128ELi256ELb1ELi2EEvPKT_PKT0_S8_ifPKiSA_SA_iPKfiiiPfSD_PS3_PT2_iSC_SC_,"axG",@progbits,_Z38paged_attention_ll4mi_QKV_mfma4_kernelI14__hip_bfloat16S0_LN4vllm18Fp8KVCacheDataTypeE0ES0_Li32ELi128ELi256ELb1ELi2EEvPKT_PKT0_S8_ifPKiSA_SA_iPKfiiiPfSD_PS3_PT2_iSC_SC_,comdat
	.protected	_Z38paged_attention_ll4mi_QKV_mfma4_kernelI14__hip_bfloat16S0_LN4vllm18Fp8KVCacheDataTypeE0ES0_Li32ELi128ELi256ELb1ELi2EEvPKT_PKT0_S8_ifPKiSA_SA_iPKfiiiPfSD_PS3_PT2_iSC_SC_ ; -- Begin function _Z38paged_attention_ll4mi_QKV_mfma4_kernelI14__hip_bfloat16S0_LN4vllm18Fp8KVCacheDataTypeE0ES0_Li32ELi128ELi256ELb1ELi2EEvPKT_PKT0_S8_ifPKiSA_SA_iPKfiiiPfSD_PS3_PT2_iSC_SC_
	.globl	_Z38paged_attention_ll4mi_QKV_mfma4_kernelI14__hip_bfloat16S0_LN4vllm18Fp8KVCacheDataTypeE0ES0_Li32ELi128ELi256ELb1ELi2EEvPKT_PKT0_S8_ifPKiSA_SA_iPKfiiiPfSD_PS3_PT2_iSC_SC_
	.p2align	8
	.type	_Z38paged_attention_ll4mi_QKV_mfma4_kernelI14__hip_bfloat16S0_LN4vllm18Fp8KVCacheDataTypeE0ES0_Li32ELi128ELi256ELb1ELi2EEvPKT_PKT0_S8_ifPKiSA_SA_iPKfiiiPfSD_PS3_PT2_iSC_SC_,@function
_Z38paged_attention_ll4mi_QKV_mfma4_kernelI14__hip_bfloat16S0_LN4vllm18Fp8KVCacheDataTypeE0ES0_Li32ELi128ELi256ELb1ELi2EEvPKT_PKT0_S8_ifPKiSA_SA_iPKfiiiPfSD_PS3_PT2_iSC_SC_: ; @_Z38paged_attention_ll4mi_QKV_mfma4_kernelI14__hip_bfloat16S0_LN4vllm18Fp8KVCacheDataTypeE0ES0_Li32ELi128ELi256ELb1ELi2EEvPKT_PKT0_S8_ifPKiSA_SA_iPKfiiiPfSD_PS3_PT2_iSC_SC_
; %bb.0:
	s_get_pc_i64 s[2:3]
	s_add_nc_u64 s[2:3], s[2:3], __PRETTY_FUNCTION__._Z38paged_attention_ll4mi_QKV_mfma4_kernelI14__hip_bfloat16S0_LN4vllm18Fp8KVCacheDataTypeE0ES0_Li32ELi128ELi256ELb1ELi2EEvPKT_PKT0_S8_ifPKiSA_SA_iPKfiiiPfSD_PS3_PT2_iSC_SC_@rel64+4
	s_delay_alu instid0(SALU_CYCLE_1)
	v_dual_mov_b32 v0, 0xbce :: v_dual_mov_b32 v1, s2
	v_mov_b32_e32 v2, s3
	s_add_nc_u64 s[8:9], s[0:1], 0x90
	s_get_pc_i64 s[0:1]
	s_add_nc_u64 s[0:1], s[0:1], __assert_fail@rel64+4
	s_mov_b32 s32, 0
	s_swap_pc_i64 s[30:31], s[0:1]
	.section	.rodata,"a",@progbits
	.p2align	6, 0x0
	.amdhsa_kernel _Z38paged_attention_ll4mi_QKV_mfma4_kernelI14__hip_bfloat16S0_LN4vllm18Fp8KVCacheDataTypeE0ES0_Li32ELi128ELi256ELb1ELi2EEvPKT_PKT0_S8_ifPKiSA_SA_iPKfiiiPfSD_PS3_PT2_iSC_SC_
		.amdhsa_group_segment_fixed_size 0
		.amdhsa_private_segment_fixed_size 64
		.amdhsa_kernarg_size 400
		.amdhsa_user_sgpr_count 2
		.amdhsa_user_sgpr_dispatch_ptr 0
		.amdhsa_user_sgpr_queue_ptr 0
		.amdhsa_user_sgpr_kernarg_segment_ptr 1
		.amdhsa_user_sgpr_dispatch_id 0
		.amdhsa_user_sgpr_kernarg_preload_length 0
		.amdhsa_user_sgpr_kernarg_preload_offset 0
		.amdhsa_user_sgpr_private_segment_size 0
		.amdhsa_wavefront_size32 1
		.amdhsa_uses_dynamic_stack 0
		.amdhsa_enable_private_segment 1
		.amdhsa_system_sgpr_workgroup_id_x 1
		.amdhsa_system_sgpr_workgroup_id_y 0
		.amdhsa_system_sgpr_workgroup_id_z 0
		.amdhsa_system_sgpr_workgroup_info 0
		.amdhsa_system_vgpr_workitem_id 0
		.amdhsa_next_free_vgpr 51
		.amdhsa_next_free_sgpr 34
		.amdhsa_named_barrier_count 0
		.amdhsa_reserve_vcc 1
		.amdhsa_float_round_mode_32 0
		.amdhsa_float_round_mode_16_64 0
		.amdhsa_float_denorm_mode_32 3
		.amdhsa_float_denorm_mode_16_64 3
		.amdhsa_fp16_overflow 0
		.amdhsa_memory_ordered 1
		.amdhsa_forward_progress 1
		.amdhsa_inst_pref_size 1
		.amdhsa_round_robin_scheduling 0
		.amdhsa_exception_fp_ieee_invalid_op 0
		.amdhsa_exception_fp_denorm_src 0
		.amdhsa_exception_fp_ieee_div_zero 0
		.amdhsa_exception_fp_ieee_overflow 0
		.amdhsa_exception_fp_ieee_underflow 0
		.amdhsa_exception_fp_ieee_inexact 0
		.amdhsa_exception_int_div_zero 0
	.end_amdhsa_kernel
	.section	.text._Z38paged_attention_ll4mi_QKV_mfma4_kernelI14__hip_bfloat16S0_LN4vllm18Fp8KVCacheDataTypeE0ES0_Li32ELi128ELi256ELb1ELi2EEvPKT_PKT0_S8_ifPKiSA_SA_iPKfiiiPfSD_PS3_PT2_iSC_SC_,"axG",@progbits,_Z38paged_attention_ll4mi_QKV_mfma4_kernelI14__hip_bfloat16S0_LN4vllm18Fp8KVCacheDataTypeE0ES0_Li32ELi128ELi256ELb1ELi2EEvPKT_PKT0_S8_ifPKiSA_SA_iPKfiiiPfSD_PS3_PT2_iSC_SC_,comdat
.Lfunc_end731:
	.size	_Z38paged_attention_ll4mi_QKV_mfma4_kernelI14__hip_bfloat16S0_LN4vllm18Fp8KVCacheDataTypeE0ES0_Li32ELi128ELi256ELb1ELi2EEvPKT_PKT0_S8_ifPKiSA_SA_iPKfiiiPfSD_PS3_PT2_iSC_SC_, .Lfunc_end731-_Z38paged_attention_ll4mi_QKV_mfma4_kernelI14__hip_bfloat16S0_LN4vllm18Fp8KVCacheDataTypeE0ES0_Li32ELi128ELi256ELb1ELi2EEvPKT_PKT0_S8_ifPKiSA_SA_iPKfiiiPfSD_PS3_PT2_iSC_SC_
                                        ; -- End function
	.set _Z38paged_attention_ll4mi_QKV_mfma4_kernelI14__hip_bfloat16S0_LN4vllm18Fp8KVCacheDataTypeE0ES0_Li32ELi128ELi256ELb1ELi2EEvPKT_PKT0_S8_ifPKiSA_SA_iPKfiiiPfSD_PS3_PT2_iSC_SC_.num_vgpr, max(3, .L__assert_fail.num_vgpr)
	.set _Z38paged_attention_ll4mi_QKV_mfma4_kernelI14__hip_bfloat16S0_LN4vllm18Fp8KVCacheDataTypeE0ES0_Li32ELi128ELi256ELb1ELi2EEvPKT_PKT0_S8_ifPKiSA_SA_iPKfiiiPfSD_PS3_PT2_iSC_SC_.num_agpr, max(0, .L__assert_fail.num_agpr)
	.set _Z38paged_attention_ll4mi_QKV_mfma4_kernelI14__hip_bfloat16S0_LN4vllm18Fp8KVCacheDataTypeE0ES0_Li32ELi128ELi256ELb1ELi2EEvPKT_PKT0_S8_ifPKiSA_SA_iPKfiiiPfSD_PS3_PT2_iSC_SC_.numbered_sgpr, max(33, .L__assert_fail.numbered_sgpr)
	.set _Z38paged_attention_ll4mi_QKV_mfma4_kernelI14__hip_bfloat16S0_LN4vllm18Fp8KVCacheDataTypeE0ES0_Li32ELi128ELi256ELb1ELi2EEvPKT_PKT0_S8_ifPKiSA_SA_iPKfiiiPfSD_PS3_PT2_iSC_SC_.num_named_barrier, max(0, .L__assert_fail.num_named_barrier)
	.set _Z38paged_attention_ll4mi_QKV_mfma4_kernelI14__hip_bfloat16S0_LN4vllm18Fp8KVCacheDataTypeE0ES0_Li32ELi128ELi256ELb1ELi2EEvPKT_PKT0_S8_ifPKiSA_SA_iPKfiiiPfSD_PS3_PT2_iSC_SC_.private_seg_size, 0+max(.L__assert_fail.private_seg_size)
	.set _Z38paged_attention_ll4mi_QKV_mfma4_kernelI14__hip_bfloat16S0_LN4vllm18Fp8KVCacheDataTypeE0ES0_Li32ELi128ELi256ELb1ELi2EEvPKT_PKT0_S8_ifPKiSA_SA_iPKfiiiPfSD_PS3_PT2_iSC_SC_.uses_vcc, or(1, .L__assert_fail.uses_vcc)
	.set _Z38paged_attention_ll4mi_QKV_mfma4_kernelI14__hip_bfloat16S0_LN4vllm18Fp8KVCacheDataTypeE0ES0_Li32ELi128ELi256ELb1ELi2EEvPKT_PKT0_S8_ifPKiSA_SA_iPKfiiiPfSD_PS3_PT2_iSC_SC_.uses_flat_scratch, or(0, .L__assert_fail.uses_flat_scratch)
	.set _Z38paged_attention_ll4mi_QKV_mfma4_kernelI14__hip_bfloat16S0_LN4vllm18Fp8KVCacheDataTypeE0ES0_Li32ELi128ELi256ELb1ELi2EEvPKT_PKT0_S8_ifPKiSA_SA_iPKfiiiPfSD_PS3_PT2_iSC_SC_.has_dyn_sized_stack, or(0, .L__assert_fail.has_dyn_sized_stack)
	.set _Z38paged_attention_ll4mi_QKV_mfma4_kernelI14__hip_bfloat16S0_LN4vllm18Fp8KVCacheDataTypeE0ES0_Li32ELi128ELi256ELb1ELi2EEvPKT_PKT0_S8_ifPKiSA_SA_iPKfiiiPfSD_PS3_PT2_iSC_SC_.has_recursion, or(0, .L__assert_fail.has_recursion)
	.set _Z38paged_attention_ll4mi_QKV_mfma4_kernelI14__hip_bfloat16S0_LN4vllm18Fp8KVCacheDataTypeE0ES0_Li32ELi128ELi256ELb1ELi2EEvPKT_PKT0_S8_ifPKiSA_SA_iPKfiiiPfSD_PS3_PT2_iSC_SC_.has_indirect_call, or(0, .L__assert_fail.has_indirect_call)
	.section	.AMDGPU.csdata,"",@progbits
; Kernel info:
; codeLenInByte = 68
; TotalNumSgprs: 36
; NumVgprs: 51
; ScratchSize: 64
; MemoryBound: 0
; FloatMode: 240
; IeeeMode: 1
; LDSByteSize: 0 bytes/workgroup (compile time only)
; SGPRBlocks: 0
; VGPRBlocks: 3
; NumSGPRsForWavesPerEU: 36
; NumVGPRsForWavesPerEU: 51
; NamedBarCnt: 0
; Occupancy: 16
; WaveLimiterHint : 1
; COMPUTE_PGM_RSRC2:SCRATCH_EN: 1
; COMPUTE_PGM_RSRC2:USER_SGPR: 2
; COMPUTE_PGM_RSRC2:TRAP_HANDLER: 0
; COMPUTE_PGM_RSRC2:TGID_X_EN: 1
; COMPUTE_PGM_RSRC2:TGID_Y_EN: 0
; COMPUTE_PGM_RSRC2:TGID_Z_EN: 0
; COMPUTE_PGM_RSRC2:TIDIG_COMP_CNT: 0
	.section	.text._Z38paged_attention_ll4mi_QKV_mfma4_kernelI14__hip_bfloat16S0_LN4vllm18Fp8KVCacheDataTypeE0ES0_Li32ELi128ELi256ELb1ELi3EEvPKT_PKT0_S8_ifPKiSA_SA_iPKfiiiPfSD_PS3_PT2_iSC_SC_,"axG",@progbits,_Z38paged_attention_ll4mi_QKV_mfma4_kernelI14__hip_bfloat16S0_LN4vllm18Fp8KVCacheDataTypeE0ES0_Li32ELi128ELi256ELb1ELi3EEvPKT_PKT0_S8_ifPKiSA_SA_iPKfiiiPfSD_PS3_PT2_iSC_SC_,comdat
	.protected	_Z38paged_attention_ll4mi_QKV_mfma4_kernelI14__hip_bfloat16S0_LN4vllm18Fp8KVCacheDataTypeE0ES0_Li32ELi128ELi256ELb1ELi3EEvPKT_PKT0_S8_ifPKiSA_SA_iPKfiiiPfSD_PS3_PT2_iSC_SC_ ; -- Begin function _Z38paged_attention_ll4mi_QKV_mfma4_kernelI14__hip_bfloat16S0_LN4vllm18Fp8KVCacheDataTypeE0ES0_Li32ELi128ELi256ELb1ELi3EEvPKT_PKT0_S8_ifPKiSA_SA_iPKfiiiPfSD_PS3_PT2_iSC_SC_
	.globl	_Z38paged_attention_ll4mi_QKV_mfma4_kernelI14__hip_bfloat16S0_LN4vllm18Fp8KVCacheDataTypeE0ES0_Li32ELi128ELi256ELb1ELi3EEvPKT_PKT0_S8_ifPKiSA_SA_iPKfiiiPfSD_PS3_PT2_iSC_SC_
	.p2align	8
	.type	_Z38paged_attention_ll4mi_QKV_mfma4_kernelI14__hip_bfloat16S0_LN4vllm18Fp8KVCacheDataTypeE0ES0_Li32ELi128ELi256ELb1ELi3EEvPKT_PKT0_S8_ifPKiSA_SA_iPKfiiiPfSD_PS3_PT2_iSC_SC_,@function
_Z38paged_attention_ll4mi_QKV_mfma4_kernelI14__hip_bfloat16S0_LN4vllm18Fp8KVCacheDataTypeE0ES0_Li32ELi128ELi256ELb1ELi3EEvPKT_PKT0_S8_ifPKiSA_SA_iPKfiiiPfSD_PS3_PT2_iSC_SC_: ; @_Z38paged_attention_ll4mi_QKV_mfma4_kernelI14__hip_bfloat16S0_LN4vllm18Fp8KVCacheDataTypeE0ES0_Li32ELi128ELi256ELb1ELi3EEvPKT_PKT0_S8_ifPKiSA_SA_iPKfiiiPfSD_PS3_PT2_iSC_SC_
; %bb.0:
	s_get_pc_i64 s[2:3]
	s_add_nc_u64 s[2:3], s[2:3], __PRETTY_FUNCTION__._Z38paged_attention_ll4mi_QKV_mfma4_kernelI14__hip_bfloat16S0_LN4vllm18Fp8KVCacheDataTypeE0ES0_Li32ELi128ELi256ELb1ELi3EEvPKT_PKT0_S8_ifPKiSA_SA_iPKfiiiPfSD_PS3_PT2_iSC_SC_@rel64+4
	s_delay_alu instid0(SALU_CYCLE_1)
	v_dual_mov_b32 v0, 0xbce :: v_dual_mov_b32 v1, s2
	v_mov_b32_e32 v2, s3
	s_add_nc_u64 s[8:9], s[0:1], 0x90
	s_get_pc_i64 s[0:1]
	s_add_nc_u64 s[0:1], s[0:1], __assert_fail@rel64+4
	s_mov_b32 s32, 0
	s_swap_pc_i64 s[30:31], s[0:1]
	.section	.rodata,"a",@progbits
	.p2align	6, 0x0
	.amdhsa_kernel _Z38paged_attention_ll4mi_QKV_mfma4_kernelI14__hip_bfloat16S0_LN4vllm18Fp8KVCacheDataTypeE0ES0_Li32ELi128ELi256ELb1ELi3EEvPKT_PKT0_S8_ifPKiSA_SA_iPKfiiiPfSD_PS3_PT2_iSC_SC_
		.amdhsa_group_segment_fixed_size 0
		.amdhsa_private_segment_fixed_size 64
		.amdhsa_kernarg_size 400
		.amdhsa_user_sgpr_count 2
		.amdhsa_user_sgpr_dispatch_ptr 0
		.amdhsa_user_sgpr_queue_ptr 0
		.amdhsa_user_sgpr_kernarg_segment_ptr 1
		.amdhsa_user_sgpr_dispatch_id 0
		.amdhsa_user_sgpr_kernarg_preload_length 0
		.amdhsa_user_sgpr_kernarg_preload_offset 0
		.amdhsa_user_sgpr_private_segment_size 0
		.amdhsa_wavefront_size32 1
		.amdhsa_uses_dynamic_stack 0
		.amdhsa_enable_private_segment 1
		.amdhsa_system_sgpr_workgroup_id_x 1
		.amdhsa_system_sgpr_workgroup_id_y 0
		.amdhsa_system_sgpr_workgroup_id_z 0
		.amdhsa_system_sgpr_workgroup_info 0
		.amdhsa_system_vgpr_workitem_id 0
		.amdhsa_next_free_vgpr 51
		.amdhsa_next_free_sgpr 34
		.amdhsa_named_barrier_count 0
		.amdhsa_reserve_vcc 1
		.amdhsa_float_round_mode_32 0
		.amdhsa_float_round_mode_16_64 0
		.amdhsa_float_denorm_mode_32 3
		.amdhsa_float_denorm_mode_16_64 3
		.amdhsa_fp16_overflow 0
		.amdhsa_memory_ordered 1
		.amdhsa_forward_progress 1
		.amdhsa_inst_pref_size 1
		.amdhsa_round_robin_scheduling 0
		.amdhsa_exception_fp_ieee_invalid_op 0
		.amdhsa_exception_fp_denorm_src 0
		.amdhsa_exception_fp_ieee_div_zero 0
		.amdhsa_exception_fp_ieee_overflow 0
		.amdhsa_exception_fp_ieee_underflow 0
		.amdhsa_exception_fp_ieee_inexact 0
		.amdhsa_exception_int_div_zero 0
	.end_amdhsa_kernel
	.section	.text._Z38paged_attention_ll4mi_QKV_mfma4_kernelI14__hip_bfloat16S0_LN4vllm18Fp8KVCacheDataTypeE0ES0_Li32ELi128ELi256ELb1ELi3EEvPKT_PKT0_S8_ifPKiSA_SA_iPKfiiiPfSD_PS3_PT2_iSC_SC_,"axG",@progbits,_Z38paged_attention_ll4mi_QKV_mfma4_kernelI14__hip_bfloat16S0_LN4vllm18Fp8KVCacheDataTypeE0ES0_Li32ELi128ELi256ELb1ELi3EEvPKT_PKT0_S8_ifPKiSA_SA_iPKfiiiPfSD_PS3_PT2_iSC_SC_,comdat
.Lfunc_end732:
	.size	_Z38paged_attention_ll4mi_QKV_mfma4_kernelI14__hip_bfloat16S0_LN4vllm18Fp8KVCacheDataTypeE0ES0_Li32ELi128ELi256ELb1ELi3EEvPKT_PKT0_S8_ifPKiSA_SA_iPKfiiiPfSD_PS3_PT2_iSC_SC_, .Lfunc_end732-_Z38paged_attention_ll4mi_QKV_mfma4_kernelI14__hip_bfloat16S0_LN4vllm18Fp8KVCacheDataTypeE0ES0_Li32ELi128ELi256ELb1ELi3EEvPKT_PKT0_S8_ifPKiSA_SA_iPKfiiiPfSD_PS3_PT2_iSC_SC_
                                        ; -- End function
	.set _Z38paged_attention_ll4mi_QKV_mfma4_kernelI14__hip_bfloat16S0_LN4vllm18Fp8KVCacheDataTypeE0ES0_Li32ELi128ELi256ELb1ELi3EEvPKT_PKT0_S8_ifPKiSA_SA_iPKfiiiPfSD_PS3_PT2_iSC_SC_.num_vgpr, max(3, .L__assert_fail.num_vgpr)
	.set _Z38paged_attention_ll4mi_QKV_mfma4_kernelI14__hip_bfloat16S0_LN4vllm18Fp8KVCacheDataTypeE0ES0_Li32ELi128ELi256ELb1ELi3EEvPKT_PKT0_S8_ifPKiSA_SA_iPKfiiiPfSD_PS3_PT2_iSC_SC_.num_agpr, max(0, .L__assert_fail.num_agpr)
	.set _Z38paged_attention_ll4mi_QKV_mfma4_kernelI14__hip_bfloat16S0_LN4vllm18Fp8KVCacheDataTypeE0ES0_Li32ELi128ELi256ELb1ELi3EEvPKT_PKT0_S8_ifPKiSA_SA_iPKfiiiPfSD_PS3_PT2_iSC_SC_.numbered_sgpr, max(33, .L__assert_fail.numbered_sgpr)
	.set _Z38paged_attention_ll4mi_QKV_mfma4_kernelI14__hip_bfloat16S0_LN4vllm18Fp8KVCacheDataTypeE0ES0_Li32ELi128ELi256ELb1ELi3EEvPKT_PKT0_S8_ifPKiSA_SA_iPKfiiiPfSD_PS3_PT2_iSC_SC_.num_named_barrier, max(0, .L__assert_fail.num_named_barrier)
	.set _Z38paged_attention_ll4mi_QKV_mfma4_kernelI14__hip_bfloat16S0_LN4vllm18Fp8KVCacheDataTypeE0ES0_Li32ELi128ELi256ELb1ELi3EEvPKT_PKT0_S8_ifPKiSA_SA_iPKfiiiPfSD_PS3_PT2_iSC_SC_.private_seg_size, 0+max(.L__assert_fail.private_seg_size)
	.set _Z38paged_attention_ll4mi_QKV_mfma4_kernelI14__hip_bfloat16S0_LN4vllm18Fp8KVCacheDataTypeE0ES0_Li32ELi128ELi256ELb1ELi3EEvPKT_PKT0_S8_ifPKiSA_SA_iPKfiiiPfSD_PS3_PT2_iSC_SC_.uses_vcc, or(1, .L__assert_fail.uses_vcc)
	.set _Z38paged_attention_ll4mi_QKV_mfma4_kernelI14__hip_bfloat16S0_LN4vllm18Fp8KVCacheDataTypeE0ES0_Li32ELi128ELi256ELb1ELi3EEvPKT_PKT0_S8_ifPKiSA_SA_iPKfiiiPfSD_PS3_PT2_iSC_SC_.uses_flat_scratch, or(0, .L__assert_fail.uses_flat_scratch)
	.set _Z38paged_attention_ll4mi_QKV_mfma4_kernelI14__hip_bfloat16S0_LN4vllm18Fp8KVCacheDataTypeE0ES0_Li32ELi128ELi256ELb1ELi3EEvPKT_PKT0_S8_ifPKiSA_SA_iPKfiiiPfSD_PS3_PT2_iSC_SC_.has_dyn_sized_stack, or(0, .L__assert_fail.has_dyn_sized_stack)
	.set _Z38paged_attention_ll4mi_QKV_mfma4_kernelI14__hip_bfloat16S0_LN4vllm18Fp8KVCacheDataTypeE0ES0_Li32ELi128ELi256ELb1ELi3EEvPKT_PKT0_S8_ifPKiSA_SA_iPKfiiiPfSD_PS3_PT2_iSC_SC_.has_recursion, or(0, .L__assert_fail.has_recursion)
	.set _Z38paged_attention_ll4mi_QKV_mfma4_kernelI14__hip_bfloat16S0_LN4vllm18Fp8KVCacheDataTypeE0ES0_Li32ELi128ELi256ELb1ELi3EEvPKT_PKT0_S8_ifPKiSA_SA_iPKfiiiPfSD_PS3_PT2_iSC_SC_.has_indirect_call, or(0, .L__assert_fail.has_indirect_call)
	.section	.AMDGPU.csdata,"",@progbits
; Kernel info:
; codeLenInByte = 68
; TotalNumSgprs: 36
; NumVgprs: 51
; ScratchSize: 64
; MemoryBound: 0
; FloatMode: 240
; IeeeMode: 1
; LDSByteSize: 0 bytes/workgroup (compile time only)
; SGPRBlocks: 0
; VGPRBlocks: 3
; NumSGPRsForWavesPerEU: 36
; NumVGPRsForWavesPerEU: 51
; NamedBarCnt: 0
; Occupancy: 16
; WaveLimiterHint : 1
; COMPUTE_PGM_RSRC2:SCRATCH_EN: 1
; COMPUTE_PGM_RSRC2:USER_SGPR: 2
; COMPUTE_PGM_RSRC2:TRAP_HANDLER: 0
; COMPUTE_PGM_RSRC2:TGID_X_EN: 1
; COMPUTE_PGM_RSRC2:TGID_Y_EN: 0
; COMPUTE_PGM_RSRC2:TGID_Z_EN: 0
; COMPUTE_PGM_RSRC2:TIDIG_COMP_CNT: 0
	.section	.text._Z38paged_attention_ll4mi_QKV_mfma4_kernelI14__hip_bfloat16S0_LN4vllm18Fp8KVCacheDataTypeE0ES0_Li32ELi128ELi256ELb1ELi4EEvPKT_PKT0_S8_ifPKiSA_SA_iPKfiiiPfSD_PS3_PT2_iSC_SC_,"axG",@progbits,_Z38paged_attention_ll4mi_QKV_mfma4_kernelI14__hip_bfloat16S0_LN4vllm18Fp8KVCacheDataTypeE0ES0_Li32ELi128ELi256ELb1ELi4EEvPKT_PKT0_S8_ifPKiSA_SA_iPKfiiiPfSD_PS3_PT2_iSC_SC_,comdat
	.protected	_Z38paged_attention_ll4mi_QKV_mfma4_kernelI14__hip_bfloat16S0_LN4vllm18Fp8KVCacheDataTypeE0ES0_Li32ELi128ELi256ELb1ELi4EEvPKT_PKT0_S8_ifPKiSA_SA_iPKfiiiPfSD_PS3_PT2_iSC_SC_ ; -- Begin function _Z38paged_attention_ll4mi_QKV_mfma4_kernelI14__hip_bfloat16S0_LN4vllm18Fp8KVCacheDataTypeE0ES0_Li32ELi128ELi256ELb1ELi4EEvPKT_PKT0_S8_ifPKiSA_SA_iPKfiiiPfSD_PS3_PT2_iSC_SC_
	.globl	_Z38paged_attention_ll4mi_QKV_mfma4_kernelI14__hip_bfloat16S0_LN4vllm18Fp8KVCacheDataTypeE0ES0_Li32ELi128ELi256ELb1ELi4EEvPKT_PKT0_S8_ifPKiSA_SA_iPKfiiiPfSD_PS3_PT2_iSC_SC_
	.p2align	8
	.type	_Z38paged_attention_ll4mi_QKV_mfma4_kernelI14__hip_bfloat16S0_LN4vllm18Fp8KVCacheDataTypeE0ES0_Li32ELi128ELi256ELb1ELi4EEvPKT_PKT0_S8_ifPKiSA_SA_iPKfiiiPfSD_PS3_PT2_iSC_SC_,@function
_Z38paged_attention_ll4mi_QKV_mfma4_kernelI14__hip_bfloat16S0_LN4vllm18Fp8KVCacheDataTypeE0ES0_Li32ELi128ELi256ELb1ELi4EEvPKT_PKT0_S8_ifPKiSA_SA_iPKfiiiPfSD_PS3_PT2_iSC_SC_: ; @_Z38paged_attention_ll4mi_QKV_mfma4_kernelI14__hip_bfloat16S0_LN4vllm18Fp8KVCacheDataTypeE0ES0_Li32ELi128ELi256ELb1ELi4EEvPKT_PKT0_S8_ifPKiSA_SA_iPKfiiiPfSD_PS3_PT2_iSC_SC_
; %bb.0:
	s_get_pc_i64 s[2:3]
	s_add_nc_u64 s[2:3], s[2:3], __PRETTY_FUNCTION__._Z38paged_attention_ll4mi_QKV_mfma4_kernelI14__hip_bfloat16S0_LN4vllm18Fp8KVCacheDataTypeE0ES0_Li32ELi128ELi256ELb1ELi4EEvPKT_PKT0_S8_ifPKiSA_SA_iPKfiiiPfSD_PS3_PT2_iSC_SC_@rel64+4
	s_delay_alu instid0(SALU_CYCLE_1)
	v_dual_mov_b32 v0, 0xbce :: v_dual_mov_b32 v1, s2
	v_mov_b32_e32 v2, s3
	s_add_nc_u64 s[8:9], s[0:1], 0x90
	s_get_pc_i64 s[0:1]
	s_add_nc_u64 s[0:1], s[0:1], __assert_fail@rel64+4
	s_mov_b32 s32, 0
	s_swap_pc_i64 s[30:31], s[0:1]
	.section	.rodata,"a",@progbits
	.p2align	6, 0x0
	.amdhsa_kernel _Z38paged_attention_ll4mi_QKV_mfma4_kernelI14__hip_bfloat16S0_LN4vllm18Fp8KVCacheDataTypeE0ES0_Li32ELi128ELi256ELb1ELi4EEvPKT_PKT0_S8_ifPKiSA_SA_iPKfiiiPfSD_PS3_PT2_iSC_SC_
		.amdhsa_group_segment_fixed_size 0
		.amdhsa_private_segment_fixed_size 64
		.amdhsa_kernarg_size 400
		.amdhsa_user_sgpr_count 2
		.amdhsa_user_sgpr_dispatch_ptr 0
		.amdhsa_user_sgpr_queue_ptr 0
		.amdhsa_user_sgpr_kernarg_segment_ptr 1
		.amdhsa_user_sgpr_dispatch_id 0
		.amdhsa_user_sgpr_kernarg_preload_length 0
		.amdhsa_user_sgpr_kernarg_preload_offset 0
		.amdhsa_user_sgpr_private_segment_size 0
		.amdhsa_wavefront_size32 1
		.amdhsa_uses_dynamic_stack 0
		.amdhsa_enable_private_segment 1
		.amdhsa_system_sgpr_workgroup_id_x 1
		.amdhsa_system_sgpr_workgroup_id_y 0
		.amdhsa_system_sgpr_workgroup_id_z 0
		.amdhsa_system_sgpr_workgroup_info 0
		.amdhsa_system_vgpr_workitem_id 0
		.amdhsa_next_free_vgpr 51
		.amdhsa_next_free_sgpr 34
		.amdhsa_named_barrier_count 0
		.amdhsa_reserve_vcc 1
		.amdhsa_float_round_mode_32 0
		.amdhsa_float_round_mode_16_64 0
		.amdhsa_float_denorm_mode_32 3
		.amdhsa_float_denorm_mode_16_64 3
		.amdhsa_fp16_overflow 0
		.amdhsa_memory_ordered 1
		.amdhsa_forward_progress 1
		.amdhsa_inst_pref_size 1
		.amdhsa_round_robin_scheduling 0
		.amdhsa_exception_fp_ieee_invalid_op 0
		.amdhsa_exception_fp_denorm_src 0
		.amdhsa_exception_fp_ieee_div_zero 0
		.amdhsa_exception_fp_ieee_overflow 0
		.amdhsa_exception_fp_ieee_underflow 0
		.amdhsa_exception_fp_ieee_inexact 0
		.amdhsa_exception_int_div_zero 0
	.end_amdhsa_kernel
	.section	.text._Z38paged_attention_ll4mi_QKV_mfma4_kernelI14__hip_bfloat16S0_LN4vllm18Fp8KVCacheDataTypeE0ES0_Li32ELi128ELi256ELb1ELi4EEvPKT_PKT0_S8_ifPKiSA_SA_iPKfiiiPfSD_PS3_PT2_iSC_SC_,"axG",@progbits,_Z38paged_attention_ll4mi_QKV_mfma4_kernelI14__hip_bfloat16S0_LN4vllm18Fp8KVCacheDataTypeE0ES0_Li32ELi128ELi256ELb1ELi4EEvPKT_PKT0_S8_ifPKiSA_SA_iPKfiiiPfSD_PS3_PT2_iSC_SC_,comdat
.Lfunc_end733:
	.size	_Z38paged_attention_ll4mi_QKV_mfma4_kernelI14__hip_bfloat16S0_LN4vllm18Fp8KVCacheDataTypeE0ES0_Li32ELi128ELi256ELb1ELi4EEvPKT_PKT0_S8_ifPKiSA_SA_iPKfiiiPfSD_PS3_PT2_iSC_SC_, .Lfunc_end733-_Z38paged_attention_ll4mi_QKV_mfma4_kernelI14__hip_bfloat16S0_LN4vllm18Fp8KVCacheDataTypeE0ES0_Li32ELi128ELi256ELb1ELi4EEvPKT_PKT0_S8_ifPKiSA_SA_iPKfiiiPfSD_PS3_PT2_iSC_SC_
                                        ; -- End function
	.set _Z38paged_attention_ll4mi_QKV_mfma4_kernelI14__hip_bfloat16S0_LN4vllm18Fp8KVCacheDataTypeE0ES0_Li32ELi128ELi256ELb1ELi4EEvPKT_PKT0_S8_ifPKiSA_SA_iPKfiiiPfSD_PS3_PT2_iSC_SC_.num_vgpr, max(3, .L__assert_fail.num_vgpr)
	.set _Z38paged_attention_ll4mi_QKV_mfma4_kernelI14__hip_bfloat16S0_LN4vllm18Fp8KVCacheDataTypeE0ES0_Li32ELi128ELi256ELb1ELi4EEvPKT_PKT0_S8_ifPKiSA_SA_iPKfiiiPfSD_PS3_PT2_iSC_SC_.num_agpr, max(0, .L__assert_fail.num_agpr)
	.set _Z38paged_attention_ll4mi_QKV_mfma4_kernelI14__hip_bfloat16S0_LN4vllm18Fp8KVCacheDataTypeE0ES0_Li32ELi128ELi256ELb1ELi4EEvPKT_PKT0_S8_ifPKiSA_SA_iPKfiiiPfSD_PS3_PT2_iSC_SC_.numbered_sgpr, max(33, .L__assert_fail.numbered_sgpr)
	.set _Z38paged_attention_ll4mi_QKV_mfma4_kernelI14__hip_bfloat16S0_LN4vllm18Fp8KVCacheDataTypeE0ES0_Li32ELi128ELi256ELb1ELi4EEvPKT_PKT0_S8_ifPKiSA_SA_iPKfiiiPfSD_PS3_PT2_iSC_SC_.num_named_barrier, max(0, .L__assert_fail.num_named_barrier)
	.set _Z38paged_attention_ll4mi_QKV_mfma4_kernelI14__hip_bfloat16S0_LN4vllm18Fp8KVCacheDataTypeE0ES0_Li32ELi128ELi256ELb1ELi4EEvPKT_PKT0_S8_ifPKiSA_SA_iPKfiiiPfSD_PS3_PT2_iSC_SC_.private_seg_size, 0+max(.L__assert_fail.private_seg_size)
	.set _Z38paged_attention_ll4mi_QKV_mfma4_kernelI14__hip_bfloat16S0_LN4vllm18Fp8KVCacheDataTypeE0ES0_Li32ELi128ELi256ELb1ELi4EEvPKT_PKT0_S8_ifPKiSA_SA_iPKfiiiPfSD_PS3_PT2_iSC_SC_.uses_vcc, or(1, .L__assert_fail.uses_vcc)
	.set _Z38paged_attention_ll4mi_QKV_mfma4_kernelI14__hip_bfloat16S0_LN4vllm18Fp8KVCacheDataTypeE0ES0_Li32ELi128ELi256ELb1ELi4EEvPKT_PKT0_S8_ifPKiSA_SA_iPKfiiiPfSD_PS3_PT2_iSC_SC_.uses_flat_scratch, or(0, .L__assert_fail.uses_flat_scratch)
	.set _Z38paged_attention_ll4mi_QKV_mfma4_kernelI14__hip_bfloat16S0_LN4vllm18Fp8KVCacheDataTypeE0ES0_Li32ELi128ELi256ELb1ELi4EEvPKT_PKT0_S8_ifPKiSA_SA_iPKfiiiPfSD_PS3_PT2_iSC_SC_.has_dyn_sized_stack, or(0, .L__assert_fail.has_dyn_sized_stack)
	.set _Z38paged_attention_ll4mi_QKV_mfma4_kernelI14__hip_bfloat16S0_LN4vllm18Fp8KVCacheDataTypeE0ES0_Li32ELi128ELi256ELb1ELi4EEvPKT_PKT0_S8_ifPKiSA_SA_iPKfiiiPfSD_PS3_PT2_iSC_SC_.has_recursion, or(0, .L__assert_fail.has_recursion)
	.set _Z38paged_attention_ll4mi_QKV_mfma4_kernelI14__hip_bfloat16S0_LN4vllm18Fp8KVCacheDataTypeE0ES0_Li32ELi128ELi256ELb1ELi4EEvPKT_PKT0_S8_ifPKiSA_SA_iPKfiiiPfSD_PS3_PT2_iSC_SC_.has_indirect_call, or(0, .L__assert_fail.has_indirect_call)
	.section	.AMDGPU.csdata,"",@progbits
; Kernel info:
; codeLenInByte = 68
; TotalNumSgprs: 36
; NumVgprs: 51
; ScratchSize: 64
; MemoryBound: 0
; FloatMode: 240
; IeeeMode: 1
; LDSByteSize: 0 bytes/workgroup (compile time only)
; SGPRBlocks: 0
; VGPRBlocks: 3
; NumSGPRsForWavesPerEU: 36
; NumVGPRsForWavesPerEU: 51
; NamedBarCnt: 0
; Occupancy: 16
; WaveLimiterHint : 1
; COMPUTE_PGM_RSRC2:SCRATCH_EN: 1
; COMPUTE_PGM_RSRC2:USER_SGPR: 2
; COMPUTE_PGM_RSRC2:TRAP_HANDLER: 0
; COMPUTE_PGM_RSRC2:TGID_X_EN: 1
; COMPUTE_PGM_RSRC2:TGID_Y_EN: 0
; COMPUTE_PGM_RSRC2:TGID_Z_EN: 0
; COMPUTE_PGM_RSRC2:TIDIG_COMP_CNT: 0
	.section	.text._Z39paged_attention_ll4mi_QKV_mfma16_kernelI14__hip_bfloat16S0_LN4vllm18Fp8KVCacheDataTypeE0ES0_Li32ELi128ELi256ELb1ELi5EEvPKT_PKT0_S8_ifPKiSA_SA_iPKfiiiPfSD_PS3_PT2_iSC_SC_,"axG",@progbits,_Z39paged_attention_ll4mi_QKV_mfma16_kernelI14__hip_bfloat16S0_LN4vllm18Fp8KVCacheDataTypeE0ES0_Li32ELi128ELi256ELb1ELi5EEvPKT_PKT0_S8_ifPKiSA_SA_iPKfiiiPfSD_PS3_PT2_iSC_SC_,comdat
	.protected	_Z39paged_attention_ll4mi_QKV_mfma16_kernelI14__hip_bfloat16S0_LN4vllm18Fp8KVCacheDataTypeE0ES0_Li32ELi128ELi256ELb1ELi5EEvPKT_PKT0_S8_ifPKiSA_SA_iPKfiiiPfSD_PS3_PT2_iSC_SC_ ; -- Begin function _Z39paged_attention_ll4mi_QKV_mfma16_kernelI14__hip_bfloat16S0_LN4vllm18Fp8KVCacheDataTypeE0ES0_Li32ELi128ELi256ELb1ELi5EEvPKT_PKT0_S8_ifPKiSA_SA_iPKfiiiPfSD_PS3_PT2_iSC_SC_
	.globl	_Z39paged_attention_ll4mi_QKV_mfma16_kernelI14__hip_bfloat16S0_LN4vllm18Fp8KVCacheDataTypeE0ES0_Li32ELi128ELi256ELb1ELi5EEvPKT_PKT0_S8_ifPKiSA_SA_iPKfiiiPfSD_PS3_PT2_iSC_SC_
	.p2align	8
	.type	_Z39paged_attention_ll4mi_QKV_mfma16_kernelI14__hip_bfloat16S0_LN4vllm18Fp8KVCacheDataTypeE0ES0_Li32ELi128ELi256ELb1ELi5EEvPKT_PKT0_S8_ifPKiSA_SA_iPKfiiiPfSD_PS3_PT2_iSC_SC_,@function
_Z39paged_attention_ll4mi_QKV_mfma16_kernelI14__hip_bfloat16S0_LN4vllm18Fp8KVCacheDataTypeE0ES0_Li32ELi128ELi256ELb1ELi5EEvPKT_PKT0_S8_ifPKiSA_SA_iPKfiiiPfSD_PS3_PT2_iSC_SC_: ; @_Z39paged_attention_ll4mi_QKV_mfma16_kernelI14__hip_bfloat16S0_LN4vllm18Fp8KVCacheDataTypeE0ES0_Li32ELi128ELi256ELb1ELi5EEvPKT_PKT0_S8_ifPKiSA_SA_iPKfiiiPfSD_PS3_PT2_iSC_SC_
; %bb.0:
	s_get_pc_i64 s[2:3]
	s_add_nc_u64 s[2:3], s[2:3], __PRETTY_FUNCTION__._Z39paged_attention_ll4mi_QKV_mfma16_kernelI14__hip_bfloat16S0_LN4vllm18Fp8KVCacheDataTypeE0ES0_Li32ELi128ELi256ELb1ELi5EEvPKT_PKT0_S8_ifPKiSA_SA_iPKfiiiPfSD_PS3_PT2_iSC_SC_@rel64+4
	s_delay_alu instid0(SALU_CYCLE_1)
	v_dual_mov_b32 v0, 0xbb3 :: v_dual_mov_b32 v1, s2
	v_mov_b32_e32 v2, s3
	s_add_nc_u64 s[8:9], s[0:1], 0x90
	s_get_pc_i64 s[0:1]
	s_add_nc_u64 s[0:1], s[0:1], __assert_fail@rel64+4
	s_mov_b32 s32, 0
	s_swap_pc_i64 s[30:31], s[0:1]
	.section	.rodata,"a",@progbits
	.p2align	6, 0x0
	.amdhsa_kernel _Z39paged_attention_ll4mi_QKV_mfma16_kernelI14__hip_bfloat16S0_LN4vllm18Fp8KVCacheDataTypeE0ES0_Li32ELi128ELi256ELb1ELi5EEvPKT_PKT0_S8_ifPKiSA_SA_iPKfiiiPfSD_PS3_PT2_iSC_SC_
		.amdhsa_group_segment_fixed_size 0
		.amdhsa_private_segment_fixed_size 64
		.amdhsa_kernarg_size 400
		.amdhsa_user_sgpr_count 2
		.amdhsa_user_sgpr_dispatch_ptr 0
		.amdhsa_user_sgpr_queue_ptr 0
		.amdhsa_user_sgpr_kernarg_segment_ptr 1
		.amdhsa_user_sgpr_dispatch_id 0
		.amdhsa_user_sgpr_kernarg_preload_length 0
		.amdhsa_user_sgpr_kernarg_preload_offset 0
		.amdhsa_user_sgpr_private_segment_size 0
		.amdhsa_wavefront_size32 1
		.amdhsa_uses_dynamic_stack 0
		.amdhsa_enable_private_segment 1
		.amdhsa_system_sgpr_workgroup_id_x 1
		.amdhsa_system_sgpr_workgroup_id_y 0
		.amdhsa_system_sgpr_workgroup_id_z 0
		.amdhsa_system_sgpr_workgroup_info 0
		.amdhsa_system_vgpr_workitem_id 0
		.amdhsa_next_free_vgpr 51
		.amdhsa_next_free_sgpr 34
		.amdhsa_named_barrier_count 0
		.amdhsa_reserve_vcc 1
		.amdhsa_float_round_mode_32 0
		.amdhsa_float_round_mode_16_64 0
		.amdhsa_float_denorm_mode_32 3
		.amdhsa_float_denorm_mode_16_64 3
		.amdhsa_fp16_overflow 0
		.amdhsa_memory_ordered 1
		.amdhsa_forward_progress 1
		.amdhsa_inst_pref_size 1
		.amdhsa_round_robin_scheduling 0
		.amdhsa_exception_fp_ieee_invalid_op 0
		.amdhsa_exception_fp_denorm_src 0
		.amdhsa_exception_fp_ieee_div_zero 0
		.amdhsa_exception_fp_ieee_overflow 0
		.amdhsa_exception_fp_ieee_underflow 0
		.amdhsa_exception_fp_ieee_inexact 0
		.amdhsa_exception_int_div_zero 0
	.end_amdhsa_kernel
	.section	.text._Z39paged_attention_ll4mi_QKV_mfma16_kernelI14__hip_bfloat16S0_LN4vllm18Fp8KVCacheDataTypeE0ES0_Li32ELi128ELi256ELb1ELi5EEvPKT_PKT0_S8_ifPKiSA_SA_iPKfiiiPfSD_PS3_PT2_iSC_SC_,"axG",@progbits,_Z39paged_attention_ll4mi_QKV_mfma16_kernelI14__hip_bfloat16S0_LN4vllm18Fp8KVCacheDataTypeE0ES0_Li32ELi128ELi256ELb1ELi5EEvPKT_PKT0_S8_ifPKiSA_SA_iPKfiiiPfSD_PS3_PT2_iSC_SC_,comdat
.Lfunc_end734:
	.size	_Z39paged_attention_ll4mi_QKV_mfma16_kernelI14__hip_bfloat16S0_LN4vllm18Fp8KVCacheDataTypeE0ES0_Li32ELi128ELi256ELb1ELi5EEvPKT_PKT0_S8_ifPKiSA_SA_iPKfiiiPfSD_PS3_PT2_iSC_SC_, .Lfunc_end734-_Z39paged_attention_ll4mi_QKV_mfma16_kernelI14__hip_bfloat16S0_LN4vllm18Fp8KVCacheDataTypeE0ES0_Li32ELi128ELi256ELb1ELi5EEvPKT_PKT0_S8_ifPKiSA_SA_iPKfiiiPfSD_PS3_PT2_iSC_SC_
                                        ; -- End function
	.set _Z39paged_attention_ll4mi_QKV_mfma16_kernelI14__hip_bfloat16S0_LN4vllm18Fp8KVCacheDataTypeE0ES0_Li32ELi128ELi256ELb1ELi5EEvPKT_PKT0_S8_ifPKiSA_SA_iPKfiiiPfSD_PS3_PT2_iSC_SC_.num_vgpr, max(3, .L__assert_fail.num_vgpr)
	.set _Z39paged_attention_ll4mi_QKV_mfma16_kernelI14__hip_bfloat16S0_LN4vllm18Fp8KVCacheDataTypeE0ES0_Li32ELi128ELi256ELb1ELi5EEvPKT_PKT0_S8_ifPKiSA_SA_iPKfiiiPfSD_PS3_PT2_iSC_SC_.num_agpr, max(0, .L__assert_fail.num_agpr)
	.set _Z39paged_attention_ll4mi_QKV_mfma16_kernelI14__hip_bfloat16S0_LN4vllm18Fp8KVCacheDataTypeE0ES0_Li32ELi128ELi256ELb1ELi5EEvPKT_PKT0_S8_ifPKiSA_SA_iPKfiiiPfSD_PS3_PT2_iSC_SC_.numbered_sgpr, max(33, .L__assert_fail.numbered_sgpr)
	.set _Z39paged_attention_ll4mi_QKV_mfma16_kernelI14__hip_bfloat16S0_LN4vllm18Fp8KVCacheDataTypeE0ES0_Li32ELi128ELi256ELb1ELi5EEvPKT_PKT0_S8_ifPKiSA_SA_iPKfiiiPfSD_PS3_PT2_iSC_SC_.num_named_barrier, max(0, .L__assert_fail.num_named_barrier)
	.set _Z39paged_attention_ll4mi_QKV_mfma16_kernelI14__hip_bfloat16S0_LN4vllm18Fp8KVCacheDataTypeE0ES0_Li32ELi128ELi256ELb1ELi5EEvPKT_PKT0_S8_ifPKiSA_SA_iPKfiiiPfSD_PS3_PT2_iSC_SC_.private_seg_size, 0+max(.L__assert_fail.private_seg_size)
	.set _Z39paged_attention_ll4mi_QKV_mfma16_kernelI14__hip_bfloat16S0_LN4vllm18Fp8KVCacheDataTypeE0ES0_Li32ELi128ELi256ELb1ELi5EEvPKT_PKT0_S8_ifPKiSA_SA_iPKfiiiPfSD_PS3_PT2_iSC_SC_.uses_vcc, or(1, .L__assert_fail.uses_vcc)
	.set _Z39paged_attention_ll4mi_QKV_mfma16_kernelI14__hip_bfloat16S0_LN4vllm18Fp8KVCacheDataTypeE0ES0_Li32ELi128ELi256ELb1ELi5EEvPKT_PKT0_S8_ifPKiSA_SA_iPKfiiiPfSD_PS3_PT2_iSC_SC_.uses_flat_scratch, or(0, .L__assert_fail.uses_flat_scratch)
	.set _Z39paged_attention_ll4mi_QKV_mfma16_kernelI14__hip_bfloat16S0_LN4vllm18Fp8KVCacheDataTypeE0ES0_Li32ELi128ELi256ELb1ELi5EEvPKT_PKT0_S8_ifPKiSA_SA_iPKfiiiPfSD_PS3_PT2_iSC_SC_.has_dyn_sized_stack, or(0, .L__assert_fail.has_dyn_sized_stack)
	.set _Z39paged_attention_ll4mi_QKV_mfma16_kernelI14__hip_bfloat16S0_LN4vllm18Fp8KVCacheDataTypeE0ES0_Li32ELi128ELi256ELb1ELi5EEvPKT_PKT0_S8_ifPKiSA_SA_iPKfiiiPfSD_PS3_PT2_iSC_SC_.has_recursion, or(0, .L__assert_fail.has_recursion)
	.set _Z39paged_attention_ll4mi_QKV_mfma16_kernelI14__hip_bfloat16S0_LN4vllm18Fp8KVCacheDataTypeE0ES0_Li32ELi128ELi256ELb1ELi5EEvPKT_PKT0_S8_ifPKiSA_SA_iPKfiiiPfSD_PS3_PT2_iSC_SC_.has_indirect_call, or(0, .L__assert_fail.has_indirect_call)
	.section	.AMDGPU.csdata,"",@progbits
; Kernel info:
; codeLenInByte = 68
; TotalNumSgprs: 36
; NumVgprs: 51
; ScratchSize: 64
; MemoryBound: 0
; FloatMode: 240
; IeeeMode: 1
; LDSByteSize: 0 bytes/workgroup (compile time only)
; SGPRBlocks: 0
; VGPRBlocks: 3
; NumSGPRsForWavesPerEU: 36
; NumVGPRsForWavesPerEU: 51
; NamedBarCnt: 0
; Occupancy: 16
; WaveLimiterHint : 1
; COMPUTE_PGM_RSRC2:SCRATCH_EN: 1
; COMPUTE_PGM_RSRC2:USER_SGPR: 2
; COMPUTE_PGM_RSRC2:TRAP_HANDLER: 0
; COMPUTE_PGM_RSRC2:TGID_X_EN: 1
; COMPUTE_PGM_RSRC2:TGID_Y_EN: 0
; COMPUTE_PGM_RSRC2:TGID_Z_EN: 0
; COMPUTE_PGM_RSRC2:TIDIG_COMP_CNT: 0
	.section	.text._Z39paged_attention_ll4mi_QKV_mfma16_kernelI14__hip_bfloat16S0_LN4vllm18Fp8KVCacheDataTypeE0ES0_Li32ELi128ELi256ELb1ELi6EEvPKT_PKT0_S8_ifPKiSA_SA_iPKfiiiPfSD_PS3_PT2_iSC_SC_,"axG",@progbits,_Z39paged_attention_ll4mi_QKV_mfma16_kernelI14__hip_bfloat16S0_LN4vllm18Fp8KVCacheDataTypeE0ES0_Li32ELi128ELi256ELb1ELi6EEvPKT_PKT0_S8_ifPKiSA_SA_iPKfiiiPfSD_PS3_PT2_iSC_SC_,comdat
	.protected	_Z39paged_attention_ll4mi_QKV_mfma16_kernelI14__hip_bfloat16S0_LN4vllm18Fp8KVCacheDataTypeE0ES0_Li32ELi128ELi256ELb1ELi6EEvPKT_PKT0_S8_ifPKiSA_SA_iPKfiiiPfSD_PS3_PT2_iSC_SC_ ; -- Begin function _Z39paged_attention_ll4mi_QKV_mfma16_kernelI14__hip_bfloat16S0_LN4vllm18Fp8KVCacheDataTypeE0ES0_Li32ELi128ELi256ELb1ELi6EEvPKT_PKT0_S8_ifPKiSA_SA_iPKfiiiPfSD_PS3_PT2_iSC_SC_
	.globl	_Z39paged_attention_ll4mi_QKV_mfma16_kernelI14__hip_bfloat16S0_LN4vllm18Fp8KVCacheDataTypeE0ES0_Li32ELi128ELi256ELb1ELi6EEvPKT_PKT0_S8_ifPKiSA_SA_iPKfiiiPfSD_PS3_PT2_iSC_SC_
	.p2align	8
	.type	_Z39paged_attention_ll4mi_QKV_mfma16_kernelI14__hip_bfloat16S0_LN4vllm18Fp8KVCacheDataTypeE0ES0_Li32ELi128ELi256ELb1ELi6EEvPKT_PKT0_S8_ifPKiSA_SA_iPKfiiiPfSD_PS3_PT2_iSC_SC_,@function
_Z39paged_attention_ll4mi_QKV_mfma16_kernelI14__hip_bfloat16S0_LN4vllm18Fp8KVCacheDataTypeE0ES0_Li32ELi128ELi256ELb1ELi6EEvPKT_PKT0_S8_ifPKiSA_SA_iPKfiiiPfSD_PS3_PT2_iSC_SC_: ; @_Z39paged_attention_ll4mi_QKV_mfma16_kernelI14__hip_bfloat16S0_LN4vllm18Fp8KVCacheDataTypeE0ES0_Li32ELi128ELi256ELb1ELi6EEvPKT_PKT0_S8_ifPKiSA_SA_iPKfiiiPfSD_PS3_PT2_iSC_SC_
; %bb.0:
	s_get_pc_i64 s[2:3]
	s_add_nc_u64 s[2:3], s[2:3], __PRETTY_FUNCTION__._Z39paged_attention_ll4mi_QKV_mfma16_kernelI14__hip_bfloat16S0_LN4vllm18Fp8KVCacheDataTypeE0ES0_Li32ELi128ELi256ELb1ELi6EEvPKT_PKT0_S8_ifPKiSA_SA_iPKfiiiPfSD_PS3_PT2_iSC_SC_@rel64+4
	s_delay_alu instid0(SALU_CYCLE_1)
	v_dual_mov_b32 v0, 0xbb3 :: v_dual_mov_b32 v1, s2
	v_mov_b32_e32 v2, s3
	s_add_nc_u64 s[8:9], s[0:1], 0x90
	s_get_pc_i64 s[0:1]
	s_add_nc_u64 s[0:1], s[0:1], __assert_fail@rel64+4
	s_mov_b32 s32, 0
	s_swap_pc_i64 s[30:31], s[0:1]
	.section	.rodata,"a",@progbits
	.p2align	6, 0x0
	.amdhsa_kernel _Z39paged_attention_ll4mi_QKV_mfma16_kernelI14__hip_bfloat16S0_LN4vllm18Fp8KVCacheDataTypeE0ES0_Li32ELi128ELi256ELb1ELi6EEvPKT_PKT0_S8_ifPKiSA_SA_iPKfiiiPfSD_PS3_PT2_iSC_SC_
		.amdhsa_group_segment_fixed_size 0
		.amdhsa_private_segment_fixed_size 64
		.amdhsa_kernarg_size 400
		.amdhsa_user_sgpr_count 2
		.amdhsa_user_sgpr_dispatch_ptr 0
		.amdhsa_user_sgpr_queue_ptr 0
		.amdhsa_user_sgpr_kernarg_segment_ptr 1
		.amdhsa_user_sgpr_dispatch_id 0
		.amdhsa_user_sgpr_kernarg_preload_length 0
		.amdhsa_user_sgpr_kernarg_preload_offset 0
		.amdhsa_user_sgpr_private_segment_size 0
		.amdhsa_wavefront_size32 1
		.amdhsa_uses_dynamic_stack 0
		.amdhsa_enable_private_segment 1
		.amdhsa_system_sgpr_workgroup_id_x 1
		.amdhsa_system_sgpr_workgroup_id_y 0
		.amdhsa_system_sgpr_workgroup_id_z 0
		.amdhsa_system_sgpr_workgroup_info 0
		.amdhsa_system_vgpr_workitem_id 0
		.amdhsa_next_free_vgpr 51
		.amdhsa_next_free_sgpr 34
		.amdhsa_named_barrier_count 0
		.amdhsa_reserve_vcc 1
		.amdhsa_float_round_mode_32 0
		.amdhsa_float_round_mode_16_64 0
		.amdhsa_float_denorm_mode_32 3
		.amdhsa_float_denorm_mode_16_64 3
		.amdhsa_fp16_overflow 0
		.amdhsa_memory_ordered 1
		.amdhsa_forward_progress 1
		.amdhsa_inst_pref_size 1
		.amdhsa_round_robin_scheduling 0
		.amdhsa_exception_fp_ieee_invalid_op 0
		.amdhsa_exception_fp_denorm_src 0
		.amdhsa_exception_fp_ieee_div_zero 0
		.amdhsa_exception_fp_ieee_overflow 0
		.amdhsa_exception_fp_ieee_underflow 0
		.amdhsa_exception_fp_ieee_inexact 0
		.amdhsa_exception_int_div_zero 0
	.end_amdhsa_kernel
	.section	.text._Z39paged_attention_ll4mi_QKV_mfma16_kernelI14__hip_bfloat16S0_LN4vllm18Fp8KVCacheDataTypeE0ES0_Li32ELi128ELi256ELb1ELi6EEvPKT_PKT0_S8_ifPKiSA_SA_iPKfiiiPfSD_PS3_PT2_iSC_SC_,"axG",@progbits,_Z39paged_attention_ll4mi_QKV_mfma16_kernelI14__hip_bfloat16S0_LN4vllm18Fp8KVCacheDataTypeE0ES0_Li32ELi128ELi256ELb1ELi6EEvPKT_PKT0_S8_ifPKiSA_SA_iPKfiiiPfSD_PS3_PT2_iSC_SC_,comdat
.Lfunc_end735:
	.size	_Z39paged_attention_ll4mi_QKV_mfma16_kernelI14__hip_bfloat16S0_LN4vllm18Fp8KVCacheDataTypeE0ES0_Li32ELi128ELi256ELb1ELi6EEvPKT_PKT0_S8_ifPKiSA_SA_iPKfiiiPfSD_PS3_PT2_iSC_SC_, .Lfunc_end735-_Z39paged_attention_ll4mi_QKV_mfma16_kernelI14__hip_bfloat16S0_LN4vllm18Fp8KVCacheDataTypeE0ES0_Li32ELi128ELi256ELb1ELi6EEvPKT_PKT0_S8_ifPKiSA_SA_iPKfiiiPfSD_PS3_PT2_iSC_SC_
                                        ; -- End function
	.set _Z39paged_attention_ll4mi_QKV_mfma16_kernelI14__hip_bfloat16S0_LN4vllm18Fp8KVCacheDataTypeE0ES0_Li32ELi128ELi256ELb1ELi6EEvPKT_PKT0_S8_ifPKiSA_SA_iPKfiiiPfSD_PS3_PT2_iSC_SC_.num_vgpr, max(3, .L__assert_fail.num_vgpr)
	.set _Z39paged_attention_ll4mi_QKV_mfma16_kernelI14__hip_bfloat16S0_LN4vllm18Fp8KVCacheDataTypeE0ES0_Li32ELi128ELi256ELb1ELi6EEvPKT_PKT0_S8_ifPKiSA_SA_iPKfiiiPfSD_PS3_PT2_iSC_SC_.num_agpr, max(0, .L__assert_fail.num_agpr)
	.set _Z39paged_attention_ll4mi_QKV_mfma16_kernelI14__hip_bfloat16S0_LN4vllm18Fp8KVCacheDataTypeE0ES0_Li32ELi128ELi256ELb1ELi6EEvPKT_PKT0_S8_ifPKiSA_SA_iPKfiiiPfSD_PS3_PT2_iSC_SC_.numbered_sgpr, max(33, .L__assert_fail.numbered_sgpr)
	.set _Z39paged_attention_ll4mi_QKV_mfma16_kernelI14__hip_bfloat16S0_LN4vllm18Fp8KVCacheDataTypeE0ES0_Li32ELi128ELi256ELb1ELi6EEvPKT_PKT0_S8_ifPKiSA_SA_iPKfiiiPfSD_PS3_PT2_iSC_SC_.num_named_barrier, max(0, .L__assert_fail.num_named_barrier)
	.set _Z39paged_attention_ll4mi_QKV_mfma16_kernelI14__hip_bfloat16S0_LN4vllm18Fp8KVCacheDataTypeE0ES0_Li32ELi128ELi256ELb1ELi6EEvPKT_PKT0_S8_ifPKiSA_SA_iPKfiiiPfSD_PS3_PT2_iSC_SC_.private_seg_size, 0+max(.L__assert_fail.private_seg_size)
	.set _Z39paged_attention_ll4mi_QKV_mfma16_kernelI14__hip_bfloat16S0_LN4vllm18Fp8KVCacheDataTypeE0ES0_Li32ELi128ELi256ELb1ELi6EEvPKT_PKT0_S8_ifPKiSA_SA_iPKfiiiPfSD_PS3_PT2_iSC_SC_.uses_vcc, or(1, .L__assert_fail.uses_vcc)
	.set _Z39paged_attention_ll4mi_QKV_mfma16_kernelI14__hip_bfloat16S0_LN4vllm18Fp8KVCacheDataTypeE0ES0_Li32ELi128ELi256ELb1ELi6EEvPKT_PKT0_S8_ifPKiSA_SA_iPKfiiiPfSD_PS3_PT2_iSC_SC_.uses_flat_scratch, or(0, .L__assert_fail.uses_flat_scratch)
	.set _Z39paged_attention_ll4mi_QKV_mfma16_kernelI14__hip_bfloat16S0_LN4vllm18Fp8KVCacheDataTypeE0ES0_Li32ELi128ELi256ELb1ELi6EEvPKT_PKT0_S8_ifPKiSA_SA_iPKfiiiPfSD_PS3_PT2_iSC_SC_.has_dyn_sized_stack, or(0, .L__assert_fail.has_dyn_sized_stack)
	.set _Z39paged_attention_ll4mi_QKV_mfma16_kernelI14__hip_bfloat16S0_LN4vllm18Fp8KVCacheDataTypeE0ES0_Li32ELi128ELi256ELb1ELi6EEvPKT_PKT0_S8_ifPKiSA_SA_iPKfiiiPfSD_PS3_PT2_iSC_SC_.has_recursion, or(0, .L__assert_fail.has_recursion)
	.set _Z39paged_attention_ll4mi_QKV_mfma16_kernelI14__hip_bfloat16S0_LN4vllm18Fp8KVCacheDataTypeE0ES0_Li32ELi128ELi256ELb1ELi6EEvPKT_PKT0_S8_ifPKiSA_SA_iPKfiiiPfSD_PS3_PT2_iSC_SC_.has_indirect_call, or(0, .L__assert_fail.has_indirect_call)
	.section	.AMDGPU.csdata,"",@progbits
; Kernel info:
; codeLenInByte = 68
; TotalNumSgprs: 36
; NumVgprs: 51
; ScratchSize: 64
; MemoryBound: 0
; FloatMode: 240
; IeeeMode: 1
; LDSByteSize: 0 bytes/workgroup (compile time only)
; SGPRBlocks: 0
; VGPRBlocks: 3
; NumSGPRsForWavesPerEU: 36
; NumVGPRsForWavesPerEU: 51
; NamedBarCnt: 0
; Occupancy: 16
; WaveLimiterHint : 1
; COMPUTE_PGM_RSRC2:SCRATCH_EN: 1
; COMPUTE_PGM_RSRC2:USER_SGPR: 2
; COMPUTE_PGM_RSRC2:TRAP_HANDLER: 0
; COMPUTE_PGM_RSRC2:TGID_X_EN: 1
; COMPUTE_PGM_RSRC2:TGID_Y_EN: 0
; COMPUTE_PGM_RSRC2:TGID_Z_EN: 0
; COMPUTE_PGM_RSRC2:TIDIG_COMP_CNT: 0
	.section	.text._Z39paged_attention_ll4mi_QKV_mfma16_kernelI14__hip_bfloat16S0_LN4vllm18Fp8KVCacheDataTypeE0ES0_Li32ELi128ELi256ELb1ELi7EEvPKT_PKT0_S8_ifPKiSA_SA_iPKfiiiPfSD_PS3_PT2_iSC_SC_,"axG",@progbits,_Z39paged_attention_ll4mi_QKV_mfma16_kernelI14__hip_bfloat16S0_LN4vllm18Fp8KVCacheDataTypeE0ES0_Li32ELi128ELi256ELb1ELi7EEvPKT_PKT0_S8_ifPKiSA_SA_iPKfiiiPfSD_PS3_PT2_iSC_SC_,comdat
	.protected	_Z39paged_attention_ll4mi_QKV_mfma16_kernelI14__hip_bfloat16S0_LN4vllm18Fp8KVCacheDataTypeE0ES0_Li32ELi128ELi256ELb1ELi7EEvPKT_PKT0_S8_ifPKiSA_SA_iPKfiiiPfSD_PS3_PT2_iSC_SC_ ; -- Begin function _Z39paged_attention_ll4mi_QKV_mfma16_kernelI14__hip_bfloat16S0_LN4vllm18Fp8KVCacheDataTypeE0ES0_Li32ELi128ELi256ELb1ELi7EEvPKT_PKT0_S8_ifPKiSA_SA_iPKfiiiPfSD_PS3_PT2_iSC_SC_
	.globl	_Z39paged_attention_ll4mi_QKV_mfma16_kernelI14__hip_bfloat16S0_LN4vllm18Fp8KVCacheDataTypeE0ES0_Li32ELi128ELi256ELb1ELi7EEvPKT_PKT0_S8_ifPKiSA_SA_iPKfiiiPfSD_PS3_PT2_iSC_SC_
	.p2align	8
	.type	_Z39paged_attention_ll4mi_QKV_mfma16_kernelI14__hip_bfloat16S0_LN4vllm18Fp8KVCacheDataTypeE0ES0_Li32ELi128ELi256ELb1ELi7EEvPKT_PKT0_S8_ifPKiSA_SA_iPKfiiiPfSD_PS3_PT2_iSC_SC_,@function
_Z39paged_attention_ll4mi_QKV_mfma16_kernelI14__hip_bfloat16S0_LN4vllm18Fp8KVCacheDataTypeE0ES0_Li32ELi128ELi256ELb1ELi7EEvPKT_PKT0_S8_ifPKiSA_SA_iPKfiiiPfSD_PS3_PT2_iSC_SC_: ; @_Z39paged_attention_ll4mi_QKV_mfma16_kernelI14__hip_bfloat16S0_LN4vllm18Fp8KVCacheDataTypeE0ES0_Li32ELi128ELi256ELb1ELi7EEvPKT_PKT0_S8_ifPKiSA_SA_iPKfiiiPfSD_PS3_PT2_iSC_SC_
; %bb.0:
	s_get_pc_i64 s[2:3]
	s_add_nc_u64 s[2:3], s[2:3], __PRETTY_FUNCTION__._Z39paged_attention_ll4mi_QKV_mfma16_kernelI14__hip_bfloat16S0_LN4vllm18Fp8KVCacheDataTypeE0ES0_Li32ELi128ELi256ELb1ELi7EEvPKT_PKT0_S8_ifPKiSA_SA_iPKfiiiPfSD_PS3_PT2_iSC_SC_@rel64+4
	s_delay_alu instid0(SALU_CYCLE_1)
	v_dual_mov_b32 v0, 0xbb3 :: v_dual_mov_b32 v1, s2
	v_mov_b32_e32 v2, s3
	s_add_nc_u64 s[8:9], s[0:1], 0x90
	s_get_pc_i64 s[0:1]
	s_add_nc_u64 s[0:1], s[0:1], __assert_fail@rel64+4
	s_mov_b32 s32, 0
	s_swap_pc_i64 s[30:31], s[0:1]
	.section	.rodata,"a",@progbits
	.p2align	6, 0x0
	.amdhsa_kernel _Z39paged_attention_ll4mi_QKV_mfma16_kernelI14__hip_bfloat16S0_LN4vllm18Fp8KVCacheDataTypeE0ES0_Li32ELi128ELi256ELb1ELi7EEvPKT_PKT0_S8_ifPKiSA_SA_iPKfiiiPfSD_PS3_PT2_iSC_SC_
		.amdhsa_group_segment_fixed_size 0
		.amdhsa_private_segment_fixed_size 64
		.amdhsa_kernarg_size 400
		.amdhsa_user_sgpr_count 2
		.amdhsa_user_sgpr_dispatch_ptr 0
		.amdhsa_user_sgpr_queue_ptr 0
		.amdhsa_user_sgpr_kernarg_segment_ptr 1
		.amdhsa_user_sgpr_dispatch_id 0
		.amdhsa_user_sgpr_kernarg_preload_length 0
		.amdhsa_user_sgpr_kernarg_preload_offset 0
		.amdhsa_user_sgpr_private_segment_size 0
		.amdhsa_wavefront_size32 1
		.amdhsa_uses_dynamic_stack 0
		.amdhsa_enable_private_segment 1
		.amdhsa_system_sgpr_workgroup_id_x 1
		.amdhsa_system_sgpr_workgroup_id_y 0
		.amdhsa_system_sgpr_workgroup_id_z 0
		.amdhsa_system_sgpr_workgroup_info 0
		.amdhsa_system_vgpr_workitem_id 0
		.amdhsa_next_free_vgpr 51
		.amdhsa_next_free_sgpr 34
		.amdhsa_named_barrier_count 0
		.amdhsa_reserve_vcc 1
		.amdhsa_float_round_mode_32 0
		.amdhsa_float_round_mode_16_64 0
		.amdhsa_float_denorm_mode_32 3
		.amdhsa_float_denorm_mode_16_64 3
		.amdhsa_fp16_overflow 0
		.amdhsa_memory_ordered 1
		.amdhsa_forward_progress 1
		.amdhsa_inst_pref_size 1
		.amdhsa_round_robin_scheduling 0
		.amdhsa_exception_fp_ieee_invalid_op 0
		.amdhsa_exception_fp_denorm_src 0
		.amdhsa_exception_fp_ieee_div_zero 0
		.amdhsa_exception_fp_ieee_overflow 0
		.amdhsa_exception_fp_ieee_underflow 0
		.amdhsa_exception_fp_ieee_inexact 0
		.amdhsa_exception_int_div_zero 0
	.end_amdhsa_kernel
	.section	.text._Z39paged_attention_ll4mi_QKV_mfma16_kernelI14__hip_bfloat16S0_LN4vllm18Fp8KVCacheDataTypeE0ES0_Li32ELi128ELi256ELb1ELi7EEvPKT_PKT0_S8_ifPKiSA_SA_iPKfiiiPfSD_PS3_PT2_iSC_SC_,"axG",@progbits,_Z39paged_attention_ll4mi_QKV_mfma16_kernelI14__hip_bfloat16S0_LN4vllm18Fp8KVCacheDataTypeE0ES0_Li32ELi128ELi256ELb1ELi7EEvPKT_PKT0_S8_ifPKiSA_SA_iPKfiiiPfSD_PS3_PT2_iSC_SC_,comdat
.Lfunc_end736:
	.size	_Z39paged_attention_ll4mi_QKV_mfma16_kernelI14__hip_bfloat16S0_LN4vllm18Fp8KVCacheDataTypeE0ES0_Li32ELi128ELi256ELb1ELi7EEvPKT_PKT0_S8_ifPKiSA_SA_iPKfiiiPfSD_PS3_PT2_iSC_SC_, .Lfunc_end736-_Z39paged_attention_ll4mi_QKV_mfma16_kernelI14__hip_bfloat16S0_LN4vllm18Fp8KVCacheDataTypeE0ES0_Li32ELi128ELi256ELb1ELi7EEvPKT_PKT0_S8_ifPKiSA_SA_iPKfiiiPfSD_PS3_PT2_iSC_SC_
                                        ; -- End function
	.set _Z39paged_attention_ll4mi_QKV_mfma16_kernelI14__hip_bfloat16S0_LN4vllm18Fp8KVCacheDataTypeE0ES0_Li32ELi128ELi256ELb1ELi7EEvPKT_PKT0_S8_ifPKiSA_SA_iPKfiiiPfSD_PS3_PT2_iSC_SC_.num_vgpr, max(3, .L__assert_fail.num_vgpr)
	.set _Z39paged_attention_ll4mi_QKV_mfma16_kernelI14__hip_bfloat16S0_LN4vllm18Fp8KVCacheDataTypeE0ES0_Li32ELi128ELi256ELb1ELi7EEvPKT_PKT0_S8_ifPKiSA_SA_iPKfiiiPfSD_PS3_PT2_iSC_SC_.num_agpr, max(0, .L__assert_fail.num_agpr)
	.set _Z39paged_attention_ll4mi_QKV_mfma16_kernelI14__hip_bfloat16S0_LN4vllm18Fp8KVCacheDataTypeE0ES0_Li32ELi128ELi256ELb1ELi7EEvPKT_PKT0_S8_ifPKiSA_SA_iPKfiiiPfSD_PS3_PT2_iSC_SC_.numbered_sgpr, max(33, .L__assert_fail.numbered_sgpr)
	.set _Z39paged_attention_ll4mi_QKV_mfma16_kernelI14__hip_bfloat16S0_LN4vllm18Fp8KVCacheDataTypeE0ES0_Li32ELi128ELi256ELb1ELi7EEvPKT_PKT0_S8_ifPKiSA_SA_iPKfiiiPfSD_PS3_PT2_iSC_SC_.num_named_barrier, max(0, .L__assert_fail.num_named_barrier)
	.set _Z39paged_attention_ll4mi_QKV_mfma16_kernelI14__hip_bfloat16S0_LN4vllm18Fp8KVCacheDataTypeE0ES0_Li32ELi128ELi256ELb1ELi7EEvPKT_PKT0_S8_ifPKiSA_SA_iPKfiiiPfSD_PS3_PT2_iSC_SC_.private_seg_size, 0+max(.L__assert_fail.private_seg_size)
	.set _Z39paged_attention_ll4mi_QKV_mfma16_kernelI14__hip_bfloat16S0_LN4vllm18Fp8KVCacheDataTypeE0ES0_Li32ELi128ELi256ELb1ELi7EEvPKT_PKT0_S8_ifPKiSA_SA_iPKfiiiPfSD_PS3_PT2_iSC_SC_.uses_vcc, or(1, .L__assert_fail.uses_vcc)
	.set _Z39paged_attention_ll4mi_QKV_mfma16_kernelI14__hip_bfloat16S0_LN4vllm18Fp8KVCacheDataTypeE0ES0_Li32ELi128ELi256ELb1ELi7EEvPKT_PKT0_S8_ifPKiSA_SA_iPKfiiiPfSD_PS3_PT2_iSC_SC_.uses_flat_scratch, or(0, .L__assert_fail.uses_flat_scratch)
	.set _Z39paged_attention_ll4mi_QKV_mfma16_kernelI14__hip_bfloat16S0_LN4vllm18Fp8KVCacheDataTypeE0ES0_Li32ELi128ELi256ELb1ELi7EEvPKT_PKT0_S8_ifPKiSA_SA_iPKfiiiPfSD_PS3_PT2_iSC_SC_.has_dyn_sized_stack, or(0, .L__assert_fail.has_dyn_sized_stack)
	.set _Z39paged_attention_ll4mi_QKV_mfma16_kernelI14__hip_bfloat16S0_LN4vllm18Fp8KVCacheDataTypeE0ES0_Li32ELi128ELi256ELb1ELi7EEvPKT_PKT0_S8_ifPKiSA_SA_iPKfiiiPfSD_PS3_PT2_iSC_SC_.has_recursion, or(0, .L__assert_fail.has_recursion)
	.set _Z39paged_attention_ll4mi_QKV_mfma16_kernelI14__hip_bfloat16S0_LN4vllm18Fp8KVCacheDataTypeE0ES0_Li32ELi128ELi256ELb1ELi7EEvPKT_PKT0_S8_ifPKiSA_SA_iPKfiiiPfSD_PS3_PT2_iSC_SC_.has_indirect_call, or(0, .L__assert_fail.has_indirect_call)
	.section	.AMDGPU.csdata,"",@progbits
; Kernel info:
; codeLenInByte = 68
; TotalNumSgprs: 36
; NumVgprs: 51
; ScratchSize: 64
; MemoryBound: 0
; FloatMode: 240
; IeeeMode: 1
; LDSByteSize: 0 bytes/workgroup (compile time only)
; SGPRBlocks: 0
; VGPRBlocks: 3
; NumSGPRsForWavesPerEU: 36
; NumVGPRsForWavesPerEU: 51
; NamedBarCnt: 0
; Occupancy: 16
; WaveLimiterHint : 1
; COMPUTE_PGM_RSRC2:SCRATCH_EN: 1
; COMPUTE_PGM_RSRC2:USER_SGPR: 2
; COMPUTE_PGM_RSRC2:TRAP_HANDLER: 0
; COMPUTE_PGM_RSRC2:TGID_X_EN: 1
; COMPUTE_PGM_RSRC2:TGID_Y_EN: 0
; COMPUTE_PGM_RSRC2:TGID_Z_EN: 0
; COMPUTE_PGM_RSRC2:TIDIG_COMP_CNT: 0
	.section	.text._Z39paged_attention_ll4mi_QKV_mfma16_kernelI14__hip_bfloat16S0_LN4vllm18Fp8KVCacheDataTypeE0ES0_Li32ELi128ELi256ELb1ELi8EEvPKT_PKT0_S8_ifPKiSA_SA_iPKfiiiPfSD_PS3_PT2_iSC_SC_,"axG",@progbits,_Z39paged_attention_ll4mi_QKV_mfma16_kernelI14__hip_bfloat16S0_LN4vllm18Fp8KVCacheDataTypeE0ES0_Li32ELi128ELi256ELb1ELi8EEvPKT_PKT0_S8_ifPKiSA_SA_iPKfiiiPfSD_PS3_PT2_iSC_SC_,comdat
	.protected	_Z39paged_attention_ll4mi_QKV_mfma16_kernelI14__hip_bfloat16S0_LN4vllm18Fp8KVCacheDataTypeE0ES0_Li32ELi128ELi256ELb1ELi8EEvPKT_PKT0_S8_ifPKiSA_SA_iPKfiiiPfSD_PS3_PT2_iSC_SC_ ; -- Begin function _Z39paged_attention_ll4mi_QKV_mfma16_kernelI14__hip_bfloat16S0_LN4vllm18Fp8KVCacheDataTypeE0ES0_Li32ELi128ELi256ELb1ELi8EEvPKT_PKT0_S8_ifPKiSA_SA_iPKfiiiPfSD_PS3_PT2_iSC_SC_
	.globl	_Z39paged_attention_ll4mi_QKV_mfma16_kernelI14__hip_bfloat16S0_LN4vllm18Fp8KVCacheDataTypeE0ES0_Li32ELi128ELi256ELb1ELi8EEvPKT_PKT0_S8_ifPKiSA_SA_iPKfiiiPfSD_PS3_PT2_iSC_SC_
	.p2align	8
	.type	_Z39paged_attention_ll4mi_QKV_mfma16_kernelI14__hip_bfloat16S0_LN4vllm18Fp8KVCacheDataTypeE0ES0_Li32ELi128ELi256ELb1ELi8EEvPKT_PKT0_S8_ifPKiSA_SA_iPKfiiiPfSD_PS3_PT2_iSC_SC_,@function
_Z39paged_attention_ll4mi_QKV_mfma16_kernelI14__hip_bfloat16S0_LN4vllm18Fp8KVCacheDataTypeE0ES0_Li32ELi128ELi256ELb1ELi8EEvPKT_PKT0_S8_ifPKiSA_SA_iPKfiiiPfSD_PS3_PT2_iSC_SC_: ; @_Z39paged_attention_ll4mi_QKV_mfma16_kernelI14__hip_bfloat16S0_LN4vllm18Fp8KVCacheDataTypeE0ES0_Li32ELi128ELi256ELb1ELi8EEvPKT_PKT0_S8_ifPKiSA_SA_iPKfiiiPfSD_PS3_PT2_iSC_SC_
; %bb.0:
	s_get_pc_i64 s[2:3]
	s_add_nc_u64 s[2:3], s[2:3], __PRETTY_FUNCTION__._Z39paged_attention_ll4mi_QKV_mfma16_kernelI14__hip_bfloat16S0_LN4vllm18Fp8KVCacheDataTypeE0ES0_Li32ELi128ELi256ELb1ELi8EEvPKT_PKT0_S8_ifPKiSA_SA_iPKfiiiPfSD_PS3_PT2_iSC_SC_@rel64+4
	s_delay_alu instid0(SALU_CYCLE_1)
	v_dual_mov_b32 v0, 0xbb3 :: v_dual_mov_b32 v1, s2
	v_mov_b32_e32 v2, s3
	s_add_nc_u64 s[8:9], s[0:1], 0x90
	s_get_pc_i64 s[0:1]
	s_add_nc_u64 s[0:1], s[0:1], __assert_fail@rel64+4
	s_mov_b32 s32, 0
	s_swap_pc_i64 s[30:31], s[0:1]
	.section	.rodata,"a",@progbits
	.p2align	6, 0x0
	.amdhsa_kernel _Z39paged_attention_ll4mi_QKV_mfma16_kernelI14__hip_bfloat16S0_LN4vllm18Fp8KVCacheDataTypeE0ES0_Li32ELi128ELi256ELb1ELi8EEvPKT_PKT0_S8_ifPKiSA_SA_iPKfiiiPfSD_PS3_PT2_iSC_SC_
		.amdhsa_group_segment_fixed_size 0
		.amdhsa_private_segment_fixed_size 64
		.amdhsa_kernarg_size 400
		.amdhsa_user_sgpr_count 2
		.amdhsa_user_sgpr_dispatch_ptr 0
		.amdhsa_user_sgpr_queue_ptr 0
		.amdhsa_user_sgpr_kernarg_segment_ptr 1
		.amdhsa_user_sgpr_dispatch_id 0
		.amdhsa_user_sgpr_kernarg_preload_length 0
		.amdhsa_user_sgpr_kernarg_preload_offset 0
		.amdhsa_user_sgpr_private_segment_size 0
		.amdhsa_wavefront_size32 1
		.amdhsa_uses_dynamic_stack 0
		.amdhsa_enable_private_segment 1
		.amdhsa_system_sgpr_workgroup_id_x 1
		.amdhsa_system_sgpr_workgroup_id_y 0
		.amdhsa_system_sgpr_workgroup_id_z 0
		.amdhsa_system_sgpr_workgroup_info 0
		.amdhsa_system_vgpr_workitem_id 0
		.amdhsa_next_free_vgpr 51
		.amdhsa_next_free_sgpr 34
		.amdhsa_named_barrier_count 0
		.amdhsa_reserve_vcc 1
		.amdhsa_float_round_mode_32 0
		.amdhsa_float_round_mode_16_64 0
		.amdhsa_float_denorm_mode_32 3
		.amdhsa_float_denorm_mode_16_64 3
		.amdhsa_fp16_overflow 0
		.amdhsa_memory_ordered 1
		.amdhsa_forward_progress 1
		.amdhsa_inst_pref_size 1
		.amdhsa_round_robin_scheduling 0
		.amdhsa_exception_fp_ieee_invalid_op 0
		.amdhsa_exception_fp_denorm_src 0
		.amdhsa_exception_fp_ieee_div_zero 0
		.amdhsa_exception_fp_ieee_overflow 0
		.amdhsa_exception_fp_ieee_underflow 0
		.amdhsa_exception_fp_ieee_inexact 0
		.amdhsa_exception_int_div_zero 0
	.end_amdhsa_kernel
	.section	.text._Z39paged_attention_ll4mi_QKV_mfma16_kernelI14__hip_bfloat16S0_LN4vllm18Fp8KVCacheDataTypeE0ES0_Li32ELi128ELi256ELb1ELi8EEvPKT_PKT0_S8_ifPKiSA_SA_iPKfiiiPfSD_PS3_PT2_iSC_SC_,"axG",@progbits,_Z39paged_attention_ll4mi_QKV_mfma16_kernelI14__hip_bfloat16S0_LN4vllm18Fp8KVCacheDataTypeE0ES0_Li32ELi128ELi256ELb1ELi8EEvPKT_PKT0_S8_ifPKiSA_SA_iPKfiiiPfSD_PS3_PT2_iSC_SC_,comdat
.Lfunc_end737:
	.size	_Z39paged_attention_ll4mi_QKV_mfma16_kernelI14__hip_bfloat16S0_LN4vllm18Fp8KVCacheDataTypeE0ES0_Li32ELi128ELi256ELb1ELi8EEvPKT_PKT0_S8_ifPKiSA_SA_iPKfiiiPfSD_PS3_PT2_iSC_SC_, .Lfunc_end737-_Z39paged_attention_ll4mi_QKV_mfma16_kernelI14__hip_bfloat16S0_LN4vllm18Fp8KVCacheDataTypeE0ES0_Li32ELi128ELi256ELb1ELi8EEvPKT_PKT0_S8_ifPKiSA_SA_iPKfiiiPfSD_PS3_PT2_iSC_SC_
                                        ; -- End function
	.set _Z39paged_attention_ll4mi_QKV_mfma16_kernelI14__hip_bfloat16S0_LN4vllm18Fp8KVCacheDataTypeE0ES0_Li32ELi128ELi256ELb1ELi8EEvPKT_PKT0_S8_ifPKiSA_SA_iPKfiiiPfSD_PS3_PT2_iSC_SC_.num_vgpr, max(3, .L__assert_fail.num_vgpr)
	.set _Z39paged_attention_ll4mi_QKV_mfma16_kernelI14__hip_bfloat16S0_LN4vllm18Fp8KVCacheDataTypeE0ES0_Li32ELi128ELi256ELb1ELi8EEvPKT_PKT0_S8_ifPKiSA_SA_iPKfiiiPfSD_PS3_PT2_iSC_SC_.num_agpr, max(0, .L__assert_fail.num_agpr)
	.set _Z39paged_attention_ll4mi_QKV_mfma16_kernelI14__hip_bfloat16S0_LN4vllm18Fp8KVCacheDataTypeE0ES0_Li32ELi128ELi256ELb1ELi8EEvPKT_PKT0_S8_ifPKiSA_SA_iPKfiiiPfSD_PS3_PT2_iSC_SC_.numbered_sgpr, max(33, .L__assert_fail.numbered_sgpr)
	.set _Z39paged_attention_ll4mi_QKV_mfma16_kernelI14__hip_bfloat16S0_LN4vllm18Fp8KVCacheDataTypeE0ES0_Li32ELi128ELi256ELb1ELi8EEvPKT_PKT0_S8_ifPKiSA_SA_iPKfiiiPfSD_PS3_PT2_iSC_SC_.num_named_barrier, max(0, .L__assert_fail.num_named_barrier)
	.set _Z39paged_attention_ll4mi_QKV_mfma16_kernelI14__hip_bfloat16S0_LN4vllm18Fp8KVCacheDataTypeE0ES0_Li32ELi128ELi256ELb1ELi8EEvPKT_PKT0_S8_ifPKiSA_SA_iPKfiiiPfSD_PS3_PT2_iSC_SC_.private_seg_size, 0+max(.L__assert_fail.private_seg_size)
	.set _Z39paged_attention_ll4mi_QKV_mfma16_kernelI14__hip_bfloat16S0_LN4vllm18Fp8KVCacheDataTypeE0ES0_Li32ELi128ELi256ELb1ELi8EEvPKT_PKT0_S8_ifPKiSA_SA_iPKfiiiPfSD_PS3_PT2_iSC_SC_.uses_vcc, or(1, .L__assert_fail.uses_vcc)
	.set _Z39paged_attention_ll4mi_QKV_mfma16_kernelI14__hip_bfloat16S0_LN4vllm18Fp8KVCacheDataTypeE0ES0_Li32ELi128ELi256ELb1ELi8EEvPKT_PKT0_S8_ifPKiSA_SA_iPKfiiiPfSD_PS3_PT2_iSC_SC_.uses_flat_scratch, or(0, .L__assert_fail.uses_flat_scratch)
	.set _Z39paged_attention_ll4mi_QKV_mfma16_kernelI14__hip_bfloat16S0_LN4vllm18Fp8KVCacheDataTypeE0ES0_Li32ELi128ELi256ELb1ELi8EEvPKT_PKT0_S8_ifPKiSA_SA_iPKfiiiPfSD_PS3_PT2_iSC_SC_.has_dyn_sized_stack, or(0, .L__assert_fail.has_dyn_sized_stack)
	.set _Z39paged_attention_ll4mi_QKV_mfma16_kernelI14__hip_bfloat16S0_LN4vllm18Fp8KVCacheDataTypeE0ES0_Li32ELi128ELi256ELb1ELi8EEvPKT_PKT0_S8_ifPKiSA_SA_iPKfiiiPfSD_PS3_PT2_iSC_SC_.has_recursion, or(0, .L__assert_fail.has_recursion)
	.set _Z39paged_attention_ll4mi_QKV_mfma16_kernelI14__hip_bfloat16S0_LN4vllm18Fp8KVCacheDataTypeE0ES0_Li32ELi128ELi256ELb1ELi8EEvPKT_PKT0_S8_ifPKiSA_SA_iPKfiiiPfSD_PS3_PT2_iSC_SC_.has_indirect_call, or(0, .L__assert_fail.has_indirect_call)
	.section	.AMDGPU.csdata,"",@progbits
; Kernel info:
; codeLenInByte = 68
; TotalNumSgprs: 36
; NumVgprs: 51
; ScratchSize: 64
; MemoryBound: 0
; FloatMode: 240
; IeeeMode: 1
; LDSByteSize: 0 bytes/workgroup (compile time only)
; SGPRBlocks: 0
; VGPRBlocks: 3
; NumSGPRsForWavesPerEU: 36
; NumVGPRsForWavesPerEU: 51
; NamedBarCnt: 0
; Occupancy: 16
; WaveLimiterHint : 1
; COMPUTE_PGM_RSRC2:SCRATCH_EN: 1
; COMPUTE_PGM_RSRC2:USER_SGPR: 2
; COMPUTE_PGM_RSRC2:TRAP_HANDLER: 0
; COMPUTE_PGM_RSRC2:TGID_X_EN: 1
; COMPUTE_PGM_RSRC2:TGID_Y_EN: 0
; COMPUTE_PGM_RSRC2:TGID_Z_EN: 0
; COMPUTE_PGM_RSRC2:TIDIG_COMP_CNT: 0
	.section	.text._Z39paged_attention_ll4mi_QKV_mfma16_kernelI14__hip_bfloat16S0_LN4vllm18Fp8KVCacheDataTypeE0ES0_Li32ELi128ELi256ELb1ELi9EEvPKT_PKT0_S8_ifPKiSA_SA_iPKfiiiPfSD_PS3_PT2_iSC_SC_,"axG",@progbits,_Z39paged_attention_ll4mi_QKV_mfma16_kernelI14__hip_bfloat16S0_LN4vllm18Fp8KVCacheDataTypeE0ES0_Li32ELi128ELi256ELb1ELi9EEvPKT_PKT0_S8_ifPKiSA_SA_iPKfiiiPfSD_PS3_PT2_iSC_SC_,comdat
	.protected	_Z39paged_attention_ll4mi_QKV_mfma16_kernelI14__hip_bfloat16S0_LN4vllm18Fp8KVCacheDataTypeE0ES0_Li32ELi128ELi256ELb1ELi9EEvPKT_PKT0_S8_ifPKiSA_SA_iPKfiiiPfSD_PS3_PT2_iSC_SC_ ; -- Begin function _Z39paged_attention_ll4mi_QKV_mfma16_kernelI14__hip_bfloat16S0_LN4vllm18Fp8KVCacheDataTypeE0ES0_Li32ELi128ELi256ELb1ELi9EEvPKT_PKT0_S8_ifPKiSA_SA_iPKfiiiPfSD_PS3_PT2_iSC_SC_
	.globl	_Z39paged_attention_ll4mi_QKV_mfma16_kernelI14__hip_bfloat16S0_LN4vllm18Fp8KVCacheDataTypeE0ES0_Li32ELi128ELi256ELb1ELi9EEvPKT_PKT0_S8_ifPKiSA_SA_iPKfiiiPfSD_PS3_PT2_iSC_SC_
	.p2align	8
	.type	_Z39paged_attention_ll4mi_QKV_mfma16_kernelI14__hip_bfloat16S0_LN4vllm18Fp8KVCacheDataTypeE0ES0_Li32ELi128ELi256ELb1ELi9EEvPKT_PKT0_S8_ifPKiSA_SA_iPKfiiiPfSD_PS3_PT2_iSC_SC_,@function
_Z39paged_attention_ll4mi_QKV_mfma16_kernelI14__hip_bfloat16S0_LN4vllm18Fp8KVCacheDataTypeE0ES0_Li32ELi128ELi256ELb1ELi9EEvPKT_PKT0_S8_ifPKiSA_SA_iPKfiiiPfSD_PS3_PT2_iSC_SC_: ; @_Z39paged_attention_ll4mi_QKV_mfma16_kernelI14__hip_bfloat16S0_LN4vllm18Fp8KVCacheDataTypeE0ES0_Li32ELi128ELi256ELb1ELi9EEvPKT_PKT0_S8_ifPKiSA_SA_iPKfiiiPfSD_PS3_PT2_iSC_SC_
; %bb.0:
	s_get_pc_i64 s[2:3]
	s_add_nc_u64 s[2:3], s[2:3], __PRETTY_FUNCTION__._Z39paged_attention_ll4mi_QKV_mfma16_kernelI14__hip_bfloat16S0_LN4vllm18Fp8KVCacheDataTypeE0ES0_Li32ELi128ELi256ELb1ELi9EEvPKT_PKT0_S8_ifPKiSA_SA_iPKfiiiPfSD_PS3_PT2_iSC_SC_@rel64+4
	s_delay_alu instid0(SALU_CYCLE_1)
	v_dual_mov_b32 v0, 0xbb3 :: v_dual_mov_b32 v1, s2
	v_mov_b32_e32 v2, s3
	s_add_nc_u64 s[8:9], s[0:1], 0x90
	s_get_pc_i64 s[0:1]
	s_add_nc_u64 s[0:1], s[0:1], __assert_fail@rel64+4
	s_mov_b32 s32, 0
	s_swap_pc_i64 s[30:31], s[0:1]
	.section	.rodata,"a",@progbits
	.p2align	6, 0x0
	.amdhsa_kernel _Z39paged_attention_ll4mi_QKV_mfma16_kernelI14__hip_bfloat16S0_LN4vllm18Fp8KVCacheDataTypeE0ES0_Li32ELi128ELi256ELb1ELi9EEvPKT_PKT0_S8_ifPKiSA_SA_iPKfiiiPfSD_PS3_PT2_iSC_SC_
		.amdhsa_group_segment_fixed_size 0
		.amdhsa_private_segment_fixed_size 64
		.amdhsa_kernarg_size 400
		.amdhsa_user_sgpr_count 2
		.amdhsa_user_sgpr_dispatch_ptr 0
		.amdhsa_user_sgpr_queue_ptr 0
		.amdhsa_user_sgpr_kernarg_segment_ptr 1
		.amdhsa_user_sgpr_dispatch_id 0
		.amdhsa_user_sgpr_kernarg_preload_length 0
		.amdhsa_user_sgpr_kernarg_preload_offset 0
		.amdhsa_user_sgpr_private_segment_size 0
		.amdhsa_wavefront_size32 1
		.amdhsa_uses_dynamic_stack 0
		.amdhsa_enable_private_segment 1
		.amdhsa_system_sgpr_workgroup_id_x 1
		.amdhsa_system_sgpr_workgroup_id_y 0
		.amdhsa_system_sgpr_workgroup_id_z 0
		.amdhsa_system_sgpr_workgroup_info 0
		.amdhsa_system_vgpr_workitem_id 0
		.amdhsa_next_free_vgpr 51
		.amdhsa_next_free_sgpr 34
		.amdhsa_named_barrier_count 0
		.amdhsa_reserve_vcc 1
		.amdhsa_float_round_mode_32 0
		.amdhsa_float_round_mode_16_64 0
		.amdhsa_float_denorm_mode_32 3
		.amdhsa_float_denorm_mode_16_64 3
		.amdhsa_fp16_overflow 0
		.amdhsa_memory_ordered 1
		.amdhsa_forward_progress 1
		.amdhsa_inst_pref_size 1
		.amdhsa_round_robin_scheduling 0
		.amdhsa_exception_fp_ieee_invalid_op 0
		.amdhsa_exception_fp_denorm_src 0
		.amdhsa_exception_fp_ieee_div_zero 0
		.amdhsa_exception_fp_ieee_overflow 0
		.amdhsa_exception_fp_ieee_underflow 0
		.amdhsa_exception_fp_ieee_inexact 0
		.amdhsa_exception_int_div_zero 0
	.end_amdhsa_kernel
	.section	.text._Z39paged_attention_ll4mi_QKV_mfma16_kernelI14__hip_bfloat16S0_LN4vllm18Fp8KVCacheDataTypeE0ES0_Li32ELi128ELi256ELb1ELi9EEvPKT_PKT0_S8_ifPKiSA_SA_iPKfiiiPfSD_PS3_PT2_iSC_SC_,"axG",@progbits,_Z39paged_attention_ll4mi_QKV_mfma16_kernelI14__hip_bfloat16S0_LN4vllm18Fp8KVCacheDataTypeE0ES0_Li32ELi128ELi256ELb1ELi9EEvPKT_PKT0_S8_ifPKiSA_SA_iPKfiiiPfSD_PS3_PT2_iSC_SC_,comdat
.Lfunc_end738:
	.size	_Z39paged_attention_ll4mi_QKV_mfma16_kernelI14__hip_bfloat16S0_LN4vllm18Fp8KVCacheDataTypeE0ES0_Li32ELi128ELi256ELb1ELi9EEvPKT_PKT0_S8_ifPKiSA_SA_iPKfiiiPfSD_PS3_PT2_iSC_SC_, .Lfunc_end738-_Z39paged_attention_ll4mi_QKV_mfma16_kernelI14__hip_bfloat16S0_LN4vllm18Fp8KVCacheDataTypeE0ES0_Li32ELi128ELi256ELb1ELi9EEvPKT_PKT0_S8_ifPKiSA_SA_iPKfiiiPfSD_PS3_PT2_iSC_SC_
                                        ; -- End function
	.set _Z39paged_attention_ll4mi_QKV_mfma16_kernelI14__hip_bfloat16S0_LN4vllm18Fp8KVCacheDataTypeE0ES0_Li32ELi128ELi256ELb1ELi9EEvPKT_PKT0_S8_ifPKiSA_SA_iPKfiiiPfSD_PS3_PT2_iSC_SC_.num_vgpr, max(3, .L__assert_fail.num_vgpr)
	.set _Z39paged_attention_ll4mi_QKV_mfma16_kernelI14__hip_bfloat16S0_LN4vllm18Fp8KVCacheDataTypeE0ES0_Li32ELi128ELi256ELb1ELi9EEvPKT_PKT0_S8_ifPKiSA_SA_iPKfiiiPfSD_PS3_PT2_iSC_SC_.num_agpr, max(0, .L__assert_fail.num_agpr)
	.set _Z39paged_attention_ll4mi_QKV_mfma16_kernelI14__hip_bfloat16S0_LN4vllm18Fp8KVCacheDataTypeE0ES0_Li32ELi128ELi256ELb1ELi9EEvPKT_PKT0_S8_ifPKiSA_SA_iPKfiiiPfSD_PS3_PT2_iSC_SC_.numbered_sgpr, max(33, .L__assert_fail.numbered_sgpr)
	.set _Z39paged_attention_ll4mi_QKV_mfma16_kernelI14__hip_bfloat16S0_LN4vllm18Fp8KVCacheDataTypeE0ES0_Li32ELi128ELi256ELb1ELi9EEvPKT_PKT0_S8_ifPKiSA_SA_iPKfiiiPfSD_PS3_PT2_iSC_SC_.num_named_barrier, max(0, .L__assert_fail.num_named_barrier)
	.set _Z39paged_attention_ll4mi_QKV_mfma16_kernelI14__hip_bfloat16S0_LN4vllm18Fp8KVCacheDataTypeE0ES0_Li32ELi128ELi256ELb1ELi9EEvPKT_PKT0_S8_ifPKiSA_SA_iPKfiiiPfSD_PS3_PT2_iSC_SC_.private_seg_size, 0+max(.L__assert_fail.private_seg_size)
	.set _Z39paged_attention_ll4mi_QKV_mfma16_kernelI14__hip_bfloat16S0_LN4vllm18Fp8KVCacheDataTypeE0ES0_Li32ELi128ELi256ELb1ELi9EEvPKT_PKT0_S8_ifPKiSA_SA_iPKfiiiPfSD_PS3_PT2_iSC_SC_.uses_vcc, or(1, .L__assert_fail.uses_vcc)
	.set _Z39paged_attention_ll4mi_QKV_mfma16_kernelI14__hip_bfloat16S0_LN4vllm18Fp8KVCacheDataTypeE0ES0_Li32ELi128ELi256ELb1ELi9EEvPKT_PKT0_S8_ifPKiSA_SA_iPKfiiiPfSD_PS3_PT2_iSC_SC_.uses_flat_scratch, or(0, .L__assert_fail.uses_flat_scratch)
	.set _Z39paged_attention_ll4mi_QKV_mfma16_kernelI14__hip_bfloat16S0_LN4vllm18Fp8KVCacheDataTypeE0ES0_Li32ELi128ELi256ELb1ELi9EEvPKT_PKT0_S8_ifPKiSA_SA_iPKfiiiPfSD_PS3_PT2_iSC_SC_.has_dyn_sized_stack, or(0, .L__assert_fail.has_dyn_sized_stack)
	.set _Z39paged_attention_ll4mi_QKV_mfma16_kernelI14__hip_bfloat16S0_LN4vllm18Fp8KVCacheDataTypeE0ES0_Li32ELi128ELi256ELb1ELi9EEvPKT_PKT0_S8_ifPKiSA_SA_iPKfiiiPfSD_PS3_PT2_iSC_SC_.has_recursion, or(0, .L__assert_fail.has_recursion)
	.set _Z39paged_attention_ll4mi_QKV_mfma16_kernelI14__hip_bfloat16S0_LN4vllm18Fp8KVCacheDataTypeE0ES0_Li32ELi128ELi256ELb1ELi9EEvPKT_PKT0_S8_ifPKiSA_SA_iPKfiiiPfSD_PS3_PT2_iSC_SC_.has_indirect_call, or(0, .L__assert_fail.has_indirect_call)
	.section	.AMDGPU.csdata,"",@progbits
; Kernel info:
; codeLenInByte = 68
; TotalNumSgprs: 36
; NumVgprs: 51
; ScratchSize: 64
; MemoryBound: 0
; FloatMode: 240
; IeeeMode: 1
; LDSByteSize: 0 bytes/workgroup (compile time only)
; SGPRBlocks: 0
; VGPRBlocks: 3
; NumSGPRsForWavesPerEU: 36
; NumVGPRsForWavesPerEU: 51
; NamedBarCnt: 0
; Occupancy: 16
; WaveLimiterHint : 1
; COMPUTE_PGM_RSRC2:SCRATCH_EN: 1
; COMPUTE_PGM_RSRC2:USER_SGPR: 2
; COMPUTE_PGM_RSRC2:TRAP_HANDLER: 0
; COMPUTE_PGM_RSRC2:TGID_X_EN: 1
; COMPUTE_PGM_RSRC2:TGID_Y_EN: 0
; COMPUTE_PGM_RSRC2:TGID_Z_EN: 0
; COMPUTE_PGM_RSRC2:TIDIG_COMP_CNT: 0
	.section	.text._Z39paged_attention_ll4mi_QKV_mfma16_kernelI14__hip_bfloat16S0_LN4vllm18Fp8KVCacheDataTypeE0ES0_Li32ELi128ELi256ELb1ELi10EEvPKT_PKT0_S8_ifPKiSA_SA_iPKfiiiPfSD_PS3_PT2_iSC_SC_,"axG",@progbits,_Z39paged_attention_ll4mi_QKV_mfma16_kernelI14__hip_bfloat16S0_LN4vllm18Fp8KVCacheDataTypeE0ES0_Li32ELi128ELi256ELb1ELi10EEvPKT_PKT0_S8_ifPKiSA_SA_iPKfiiiPfSD_PS3_PT2_iSC_SC_,comdat
	.protected	_Z39paged_attention_ll4mi_QKV_mfma16_kernelI14__hip_bfloat16S0_LN4vllm18Fp8KVCacheDataTypeE0ES0_Li32ELi128ELi256ELb1ELi10EEvPKT_PKT0_S8_ifPKiSA_SA_iPKfiiiPfSD_PS3_PT2_iSC_SC_ ; -- Begin function _Z39paged_attention_ll4mi_QKV_mfma16_kernelI14__hip_bfloat16S0_LN4vllm18Fp8KVCacheDataTypeE0ES0_Li32ELi128ELi256ELb1ELi10EEvPKT_PKT0_S8_ifPKiSA_SA_iPKfiiiPfSD_PS3_PT2_iSC_SC_
	.globl	_Z39paged_attention_ll4mi_QKV_mfma16_kernelI14__hip_bfloat16S0_LN4vllm18Fp8KVCacheDataTypeE0ES0_Li32ELi128ELi256ELb1ELi10EEvPKT_PKT0_S8_ifPKiSA_SA_iPKfiiiPfSD_PS3_PT2_iSC_SC_
	.p2align	8
	.type	_Z39paged_attention_ll4mi_QKV_mfma16_kernelI14__hip_bfloat16S0_LN4vllm18Fp8KVCacheDataTypeE0ES0_Li32ELi128ELi256ELb1ELi10EEvPKT_PKT0_S8_ifPKiSA_SA_iPKfiiiPfSD_PS3_PT2_iSC_SC_,@function
_Z39paged_attention_ll4mi_QKV_mfma16_kernelI14__hip_bfloat16S0_LN4vllm18Fp8KVCacheDataTypeE0ES0_Li32ELi128ELi256ELb1ELi10EEvPKT_PKT0_S8_ifPKiSA_SA_iPKfiiiPfSD_PS3_PT2_iSC_SC_: ; @_Z39paged_attention_ll4mi_QKV_mfma16_kernelI14__hip_bfloat16S0_LN4vllm18Fp8KVCacheDataTypeE0ES0_Li32ELi128ELi256ELb1ELi10EEvPKT_PKT0_S8_ifPKiSA_SA_iPKfiiiPfSD_PS3_PT2_iSC_SC_
; %bb.0:
	s_get_pc_i64 s[2:3]
	s_add_nc_u64 s[2:3], s[2:3], __PRETTY_FUNCTION__._Z39paged_attention_ll4mi_QKV_mfma16_kernelI14__hip_bfloat16S0_LN4vllm18Fp8KVCacheDataTypeE0ES0_Li32ELi128ELi256ELb1ELi10EEvPKT_PKT0_S8_ifPKiSA_SA_iPKfiiiPfSD_PS3_PT2_iSC_SC_@rel64+4
	s_delay_alu instid0(SALU_CYCLE_1)
	v_dual_mov_b32 v0, 0xbb3 :: v_dual_mov_b32 v1, s2
	v_mov_b32_e32 v2, s3
	s_add_nc_u64 s[8:9], s[0:1], 0x90
	s_get_pc_i64 s[0:1]
	s_add_nc_u64 s[0:1], s[0:1], __assert_fail@rel64+4
	s_mov_b32 s32, 0
	s_swap_pc_i64 s[30:31], s[0:1]
	.section	.rodata,"a",@progbits
	.p2align	6, 0x0
	.amdhsa_kernel _Z39paged_attention_ll4mi_QKV_mfma16_kernelI14__hip_bfloat16S0_LN4vllm18Fp8KVCacheDataTypeE0ES0_Li32ELi128ELi256ELb1ELi10EEvPKT_PKT0_S8_ifPKiSA_SA_iPKfiiiPfSD_PS3_PT2_iSC_SC_
		.amdhsa_group_segment_fixed_size 0
		.amdhsa_private_segment_fixed_size 64
		.amdhsa_kernarg_size 400
		.amdhsa_user_sgpr_count 2
		.amdhsa_user_sgpr_dispatch_ptr 0
		.amdhsa_user_sgpr_queue_ptr 0
		.amdhsa_user_sgpr_kernarg_segment_ptr 1
		.amdhsa_user_sgpr_dispatch_id 0
		.amdhsa_user_sgpr_kernarg_preload_length 0
		.amdhsa_user_sgpr_kernarg_preload_offset 0
		.amdhsa_user_sgpr_private_segment_size 0
		.amdhsa_wavefront_size32 1
		.amdhsa_uses_dynamic_stack 0
		.amdhsa_enable_private_segment 1
		.amdhsa_system_sgpr_workgroup_id_x 1
		.amdhsa_system_sgpr_workgroup_id_y 0
		.amdhsa_system_sgpr_workgroup_id_z 0
		.amdhsa_system_sgpr_workgroup_info 0
		.amdhsa_system_vgpr_workitem_id 0
		.amdhsa_next_free_vgpr 51
		.amdhsa_next_free_sgpr 34
		.amdhsa_named_barrier_count 0
		.amdhsa_reserve_vcc 1
		.amdhsa_float_round_mode_32 0
		.amdhsa_float_round_mode_16_64 0
		.amdhsa_float_denorm_mode_32 3
		.amdhsa_float_denorm_mode_16_64 3
		.amdhsa_fp16_overflow 0
		.amdhsa_memory_ordered 1
		.amdhsa_forward_progress 1
		.amdhsa_inst_pref_size 1
		.amdhsa_round_robin_scheduling 0
		.amdhsa_exception_fp_ieee_invalid_op 0
		.amdhsa_exception_fp_denorm_src 0
		.amdhsa_exception_fp_ieee_div_zero 0
		.amdhsa_exception_fp_ieee_overflow 0
		.amdhsa_exception_fp_ieee_underflow 0
		.amdhsa_exception_fp_ieee_inexact 0
		.amdhsa_exception_int_div_zero 0
	.end_amdhsa_kernel
	.section	.text._Z39paged_attention_ll4mi_QKV_mfma16_kernelI14__hip_bfloat16S0_LN4vllm18Fp8KVCacheDataTypeE0ES0_Li32ELi128ELi256ELb1ELi10EEvPKT_PKT0_S8_ifPKiSA_SA_iPKfiiiPfSD_PS3_PT2_iSC_SC_,"axG",@progbits,_Z39paged_attention_ll4mi_QKV_mfma16_kernelI14__hip_bfloat16S0_LN4vllm18Fp8KVCacheDataTypeE0ES0_Li32ELi128ELi256ELb1ELi10EEvPKT_PKT0_S8_ifPKiSA_SA_iPKfiiiPfSD_PS3_PT2_iSC_SC_,comdat
.Lfunc_end739:
	.size	_Z39paged_attention_ll4mi_QKV_mfma16_kernelI14__hip_bfloat16S0_LN4vllm18Fp8KVCacheDataTypeE0ES0_Li32ELi128ELi256ELb1ELi10EEvPKT_PKT0_S8_ifPKiSA_SA_iPKfiiiPfSD_PS3_PT2_iSC_SC_, .Lfunc_end739-_Z39paged_attention_ll4mi_QKV_mfma16_kernelI14__hip_bfloat16S0_LN4vllm18Fp8KVCacheDataTypeE0ES0_Li32ELi128ELi256ELb1ELi10EEvPKT_PKT0_S8_ifPKiSA_SA_iPKfiiiPfSD_PS3_PT2_iSC_SC_
                                        ; -- End function
	.set _Z39paged_attention_ll4mi_QKV_mfma16_kernelI14__hip_bfloat16S0_LN4vllm18Fp8KVCacheDataTypeE0ES0_Li32ELi128ELi256ELb1ELi10EEvPKT_PKT0_S8_ifPKiSA_SA_iPKfiiiPfSD_PS3_PT2_iSC_SC_.num_vgpr, max(3, .L__assert_fail.num_vgpr)
	.set _Z39paged_attention_ll4mi_QKV_mfma16_kernelI14__hip_bfloat16S0_LN4vllm18Fp8KVCacheDataTypeE0ES0_Li32ELi128ELi256ELb1ELi10EEvPKT_PKT0_S8_ifPKiSA_SA_iPKfiiiPfSD_PS3_PT2_iSC_SC_.num_agpr, max(0, .L__assert_fail.num_agpr)
	.set _Z39paged_attention_ll4mi_QKV_mfma16_kernelI14__hip_bfloat16S0_LN4vllm18Fp8KVCacheDataTypeE0ES0_Li32ELi128ELi256ELb1ELi10EEvPKT_PKT0_S8_ifPKiSA_SA_iPKfiiiPfSD_PS3_PT2_iSC_SC_.numbered_sgpr, max(33, .L__assert_fail.numbered_sgpr)
	.set _Z39paged_attention_ll4mi_QKV_mfma16_kernelI14__hip_bfloat16S0_LN4vllm18Fp8KVCacheDataTypeE0ES0_Li32ELi128ELi256ELb1ELi10EEvPKT_PKT0_S8_ifPKiSA_SA_iPKfiiiPfSD_PS3_PT2_iSC_SC_.num_named_barrier, max(0, .L__assert_fail.num_named_barrier)
	.set _Z39paged_attention_ll4mi_QKV_mfma16_kernelI14__hip_bfloat16S0_LN4vllm18Fp8KVCacheDataTypeE0ES0_Li32ELi128ELi256ELb1ELi10EEvPKT_PKT0_S8_ifPKiSA_SA_iPKfiiiPfSD_PS3_PT2_iSC_SC_.private_seg_size, 0+max(.L__assert_fail.private_seg_size)
	.set _Z39paged_attention_ll4mi_QKV_mfma16_kernelI14__hip_bfloat16S0_LN4vllm18Fp8KVCacheDataTypeE0ES0_Li32ELi128ELi256ELb1ELi10EEvPKT_PKT0_S8_ifPKiSA_SA_iPKfiiiPfSD_PS3_PT2_iSC_SC_.uses_vcc, or(1, .L__assert_fail.uses_vcc)
	.set _Z39paged_attention_ll4mi_QKV_mfma16_kernelI14__hip_bfloat16S0_LN4vllm18Fp8KVCacheDataTypeE0ES0_Li32ELi128ELi256ELb1ELi10EEvPKT_PKT0_S8_ifPKiSA_SA_iPKfiiiPfSD_PS3_PT2_iSC_SC_.uses_flat_scratch, or(0, .L__assert_fail.uses_flat_scratch)
	.set _Z39paged_attention_ll4mi_QKV_mfma16_kernelI14__hip_bfloat16S0_LN4vllm18Fp8KVCacheDataTypeE0ES0_Li32ELi128ELi256ELb1ELi10EEvPKT_PKT0_S8_ifPKiSA_SA_iPKfiiiPfSD_PS3_PT2_iSC_SC_.has_dyn_sized_stack, or(0, .L__assert_fail.has_dyn_sized_stack)
	.set _Z39paged_attention_ll4mi_QKV_mfma16_kernelI14__hip_bfloat16S0_LN4vllm18Fp8KVCacheDataTypeE0ES0_Li32ELi128ELi256ELb1ELi10EEvPKT_PKT0_S8_ifPKiSA_SA_iPKfiiiPfSD_PS3_PT2_iSC_SC_.has_recursion, or(0, .L__assert_fail.has_recursion)
	.set _Z39paged_attention_ll4mi_QKV_mfma16_kernelI14__hip_bfloat16S0_LN4vllm18Fp8KVCacheDataTypeE0ES0_Li32ELi128ELi256ELb1ELi10EEvPKT_PKT0_S8_ifPKiSA_SA_iPKfiiiPfSD_PS3_PT2_iSC_SC_.has_indirect_call, or(0, .L__assert_fail.has_indirect_call)
	.section	.AMDGPU.csdata,"",@progbits
; Kernel info:
; codeLenInByte = 68
; TotalNumSgprs: 36
; NumVgprs: 51
; ScratchSize: 64
; MemoryBound: 0
; FloatMode: 240
; IeeeMode: 1
; LDSByteSize: 0 bytes/workgroup (compile time only)
; SGPRBlocks: 0
; VGPRBlocks: 3
; NumSGPRsForWavesPerEU: 36
; NumVGPRsForWavesPerEU: 51
; NamedBarCnt: 0
; Occupancy: 16
; WaveLimiterHint : 1
; COMPUTE_PGM_RSRC2:SCRATCH_EN: 1
; COMPUTE_PGM_RSRC2:USER_SGPR: 2
; COMPUTE_PGM_RSRC2:TRAP_HANDLER: 0
; COMPUTE_PGM_RSRC2:TGID_X_EN: 1
; COMPUTE_PGM_RSRC2:TGID_Y_EN: 0
; COMPUTE_PGM_RSRC2:TGID_Z_EN: 0
; COMPUTE_PGM_RSRC2:TIDIG_COMP_CNT: 0
	.section	.text._Z39paged_attention_ll4mi_QKV_mfma16_kernelI14__hip_bfloat16S0_LN4vllm18Fp8KVCacheDataTypeE0ES0_Li32ELi128ELi256ELb1ELi11EEvPKT_PKT0_S8_ifPKiSA_SA_iPKfiiiPfSD_PS3_PT2_iSC_SC_,"axG",@progbits,_Z39paged_attention_ll4mi_QKV_mfma16_kernelI14__hip_bfloat16S0_LN4vllm18Fp8KVCacheDataTypeE0ES0_Li32ELi128ELi256ELb1ELi11EEvPKT_PKT0_S8_ifPKiSA_SA_iPKfiiiPfSD_PS3_PT2_iSC_SC_,comdat
	.protected	_Z39paged_attention_ll4mi_QKV_mfma16_kernelI14__hip_bfloat16S0_LN4vllm18Fp8KVCacheDataTypeE0ES0_Li32ELi128ELi256ELb1ELi11EEvPKT_PKT0_S8_ifPKiSA_SA_iPKfiiiPfSD_PS3_PT2_iSC_SC_ ; -- Begin function _Z39paged_attention_ll4mi_QKV_mfma16_kernelI14__hip_bfloat16S0_LN4vllm18Fp8KVCacheDataTypeE0ES0_Li32ELi128ELi256ELb1ELi11EEvPKT_PKT0_S8_ifPKiSA_SA_iPKfiiiPfSD_PS3_PT2_iSC_SC_
	.globl	_Z39paged_attention_ll4mi_QKV_mfma16_kernelI14__hip_bfloat16S0_LN4vllm18Fp8KVCacheDataTypeE0ES0_Li32ELi128ELi256ELb1ELi11EEvPKT_PKT0_S8_ifPKiSA_SA_iPKfiiiPfSD_PS3_PT2_iSC_SC_
	.p2align	8
	.type	_Z39paged_attention_ll4mi_QKV_mfma16_kernelI14__hip_bfloat16S0_LN4vllm18Fp8KVCacheDataTypeE0ES0_Li32ELi128ELi256ELb1ELi11EEvPKT_PKT0_S8_ifPKiSA_SA_iPKfiiiPfSD_PS3_PT2_iSC_SC_,@function
_Z39paged_attention_ll4mi_QKV_mfma16_kernelI14__hip_bfloat16S0_LN4vllm18Fp8KVCacheDataTypeE0ES0_Li32ELi128ELi256ELb1ELi11EEvPKT_PKT0_S8_ifPKiSA_SA_iPKfiiiPfSD_PS3_PT2_iSC_SC_: ; @_Z39paged_attention_ll4mi_QKV_mfma16_kernelI14__hip_bfloat16S0_LN4vllm18Fp8KVCacheDataTypeE0ES0_Li32ELi128ELi256ELb1ELi11EEvPKT_PKT0_S8_ifPKiSA_SA_iPKfiiiPfSD_PS3_PT2_iSC_SC_
; %bb.0:
	s_get_pc_i64 s[2:3]
	s_add_nc_u64 s[2:3], s[2:3], __PRETTY_FUNCTION__._Z39paged_attention_ll4mi_QKV_mfma16_kernelI14__hip_bfloat16S0_LN4vllm18Fp8KVCacheDataTypeE0ES0_Li32ELi128ELi256ELb1ELi11EEvPKT_PKT0_S8_ifPKiSA_SA_iPKfiiiPfSD_PS3_PT2_iSC_SC_@rel64+4
	s_delay_alu instid0(SALU_CYCLE_1)
	v_dual_mov_b32 v0, 0xbb3 :: v_dual_mov_b32 v1, s2
	v_mov_b32_e32 v2, s3
	s_add_nc_u64 s[8:9], s[0:1], 0x90
	s_get_pc_i64 s[0:1]
	s_add_nc_u64 s[0:1], s[0:1], __assert_fail@rel64+4
	s_mov_b32 s32, 0
	s_swap_pc_i64 s[30:31], s[0:1]
	.section	.rodata,"a",@progbits
	.p2align	6, 0x0
	.amdhsa_kernel _Z39paged_attention_ll4mi_QKV_mfma16_kernelI14__hip_bfloat16S0_LN4vllm18Fp8KVCacheDataTypeE0ES0_Li32ELi128ELi256ELb1ELi11EEvPKT_PKT0_S8_ifPKiSA_SA_iPKfiiiPfSD_PS3_PT2_iSC_SC_
		.amdhsa_group_segment_fixed_size 0
		.amdhsa_private_segment_fixed_size 64
		.amdhsa_kernarg_size 400
		.amdhsa_user_sgpr_count 2
		.amdhsa_user_sgpr_dispatch_ptr 0
		.amdhsa_user_sgpr_queue_ptr 0
		.amdhsa_user_sgpr_kernarg_segment_ptr 1
		.amdhsa_user_sgpr_dispatch_id 0
		.amdhsa_user_sgpr_kernarg_preload_length 0
		.amdhsa_user_sgpr_kernarg_preload_offset 0
		.amdhsa_user_sgpr_private_segment_size 0
		.amdhsa_wavefront_size32 1
		.amdhsa_uses_dynamic_stack 0
		.amdhsa_enable_private_segment 1
		.amdhsa_system_sgpr_workgroup_id_x 1
		.amdhsa_system_sgpr_workgroup_id_y 0
		.amdhsa_system_sgpr_workgroup_id_z 0
		.amdhsa_system_sgpr_workgroup_info 0
		.amdhsa_system_vgpr_workitem_id 0
		.amdhsa_next_free_vgpr 51
		.amdhsa_next_free_sgpr 34
		.amdhsa_named_barrier_count 0
		.amdhsa_reserve_vcc 1
		.amdhsa_float_round_mode_32 0
		.amdhsa_float_round_mode_16_64 0
		.amdhsa_float_denorm_mode_32 3
		.amdhsa_float_denorm_mode_16_64 3
		.amdhsa_fp16_overflow 0
		.amdhsa_memory_ordered 1
		.amdhsa_forward_progress 1
		.amdhsa_inst_pref_size 1
		.amdhsa_round_robin_scheduling 0
		.amdhsa_exception_fp_ieee_invalid_op 0
		.amdhsa_exception_fp_denorm_src 0
		.amdhsa_exception_fp_ieee_div_zero 0
		.amdhsa_exception_fp_ieee_overflow 0
		.amdhsa_exception_fp_ieee_underflow 0
		.amdhsa_exception_fp_ieee_inexact 0
		.amdhsa_exception_int_div_zero 0
	.end_amdhsa_kernel
	.section	.text._Z39paged_attention_ll4mi_QKV_mfma16_kernelI14__hip_bfloat16S0_LN4vllm18Fp8KVCacheDataTypeE0ES0_Li32ELi128ELi256ELb1ELi11EEvPKT_PKT0_S8_ifPKiSA_SA_iPKfiiiPfSD_PS3_PT2_iSC_SC_,"axG",@progbits,_Z39paged_attention_ll4mi_QKV_mfma16_kernelI14__hip_bfloat16S0_LN4vllm18Fp8KVCacheDataTypeE0ES0_Li32ELi128ELi256ELb1ELi11EEvPKT_PKT0_S8_ifPKiSA_SA_iPKfiiiPfSD_PS3_PT2_iSC_SC_,comdat
.Lfunc_end740:
	.size	_Z39paged_attention_ll4mi_QKV_mfma16_kernelI14__hip_bfloat16S0_LN4vllm18Fp8KVCacheDataTypeE0ES0_Li32ELi128ELi256ELb1ELi11EEvPKT_PKT0_S8_ifPKiSA_SA_iPKfiiiPfSD_PS3_PT2_iSC_SC_, .Lfunc_end740-_Z39paged_attention_ll4mi_QKV_mfma16_kernelI14__hip_bfloat16S0_LN4vllm18Fp8KVCacheDataTypeE0ES0_Li32ELi128ELi256ELb1ELi11EEvPKT_PKT0_S8_ifPKiSA_SA_iPKfiiiPfSD_PS3_PT2_iSC_SC_
                                        ; -- End function
	.set _Z39paged_attention_ll4mi_QKV_mfma16_kernelI14__hip_bfloat16S0_LN4vllm18Fp8KVCacheDataTypeE0ES0_Li32ELi128ELi256ELb1ELi11EEvPKT_PKT0_S8_ifPKiSA_SA_iPKfiiiPfSD_PS3_PT2_iSC_SC_.num_vgpr, max(3, .L__assert_fail.num_vgpr)
	.set _Z39paged_attention_ll4mi_QKV_mfma16_kernelI14__hip_bfloat16S0_LN4vllm18Fp8KVCacheDataTypeE0ES0_Li32ELi128ELi256ELb1ELi11EEvPKT_PKT0_S8_ifPKiSA_SA_iPKfiiiPfSD_PS3_PT2_iSC_SC_.num_agpr, max(0, .L__assert_fail.num_agpr)
	.set _Z39paged_attention_ll4mi_QKV_mfma16_kernelI14__hip_bfloat16S0_LN4vllm18Fp8KVCacheDataTypeE0ES0_Li32ELi128ELi256ELb1ELi11EEvPKT_PKT0_S8_ifPKiSA_SA_iPKfiiiPfSD_PS3_PT2_iSC_SC_.numbered_sgpr, max(33, .L__assert_fail.numbered_sgpr)
	.set _Z39paged_attention_ll4mi_QKV_mfma16_kernelI14__hip_bfloat16S0_LN4vllm18Fp8KVCacheDataTypeE0ES0_Li32ELi128ELi256ELb1ELi11EEvPKT_PKT0_S8_ifPKiSA_SA_iPKfiiiPfSD_PS3_PT2_iSC_SC_.num_named_barrier, max(0, .L__assert_fail.num_named_barrier)
	.set _Z39paged_attention_ll4mi_QKV_mfma16_kernelI14__hip_bfloat16S0_LN4vllm18Fp8KVCacheDataTypeE0ES0_Li32ELi128ELi256ELb1ELi11EEvPKT_PKT0_S8_ifPKiSA_SA_iPKfiiiPfSD_PS3_PT2_iSC_SC_.private_seg_size, 0+max(.L__assert_fail.private_seg_size)
	.set _Z39paged_attention_ll4mi_QKV_mfma16_kernelI14__hip_bfloat16S0_LN4vllm18Fp8KVCacheDataTypeE0ES0_Li32ELi128ELi256ELb1ELi11EEvPKT_PKT0_S8_ifPKiSA_SA_iPKfiiiPfSD_PS3_PT2_iSC_SC_.uses_vcc, or(1, .L__assert_fail.uses_vcc)
	.set _Z39paged_attention_ll4mi_QKV_mfma16_kernelI14__hip_bfloat16S0_LN4vllm18Fp8KVCacheDataTypeE0ES0_Li32ELi128ELi256ELb1ELi11EEvPKT_PKT0_S8_ifPKiSA_SA_iPKfiiiPfSD_PS3_PT2_iSC_SC_.uses_flat_scratch, or(0, .L__assert_fail.uses_flat_scratch)
	.set _Z39paged_attention_ll4mi_QKV_mfma16_kernelI14__hip_bfloat16S0_LN4vllm18Fp8KVCacheDataTypeE0ES0_Li32ELi128ELi256ELb1ELi11EEvPKT_PKT0_S8_ifPKiSA_SA_iPKfiiiPfSD_PS3_PT2_iSC_SC_.has_dyn_sized_stack, or(0, .L__assert_fail.has_dyn_sized_stack)
	.set _Z39paged_attention_ll4mi_QKV_mfma16_kernelI14__hip_bfloat16S0_LN4vllm18Fp8KVCacheDataTypeE0ES0_Li32ELi128ELi256ELb1ELi11EEvPKT_PKT0_S8_ifPKiSA_SA_iPKfiiiPfSD_PS3_PT2_iSC_SC_.has_recursion, or(0, .L__assert_fail.has_recursion)
	.set _Z39paged_attention_ll4mi_QKV_mfma16_kernelI14__hip_bfloat16S0_LN4vllm18Fp8KVCacheDataTypeE0ES0_Li32ELi128ELi256ELb1ELi11EEvPKT_PKT0_S8_ifPKiSA_SA_iPKfiiiPfSD_PS3_PT2_iSC_SC_.has_indirect_call, or(0, .L__assert_fail.has_indirect_call)
	.section	.AMDGPU.csdata,"",@progbits
; Kernel info:
; codeLenInByte = 68
; TotalNumSgprs: 36
; NumVgprs: 51
; ScratchSize: 64
; MemoryBound: 0
; FloatMode: 240
; IeeeMode: 1
; LDSByteSize: 0 bytes/workgroup (compile time only)
; SGPRBlocks: 0
; VGPRBlocks: 3
; NumSGPRsForWavesPerEU: 36
; NumVGPRsForWavesPerEU: 51
; NamedBarCnt: 0
; Occupancy: 16
; WaveLimiterHint : 1
; COMPUTE_PGM_RSRC2:SCRATCH_EN: 1
; COMPUTE_PGM_RSRC2:USER_SGPR: 2
; COMPUTE_PGM_RSRC2:TRAP_HANDLER: 0
; COMPUTE_PGM_RSRC2:TGID_X_EN: 1
; COMPUTE_PGM_RSRC2:TGID_Y_EN: 0
; COMPUTE_PGM_RSRC2:TGID_Z_EN: 0
; COMPUTE_PGM_RSRC2:TIDIG_COMP_CNT: 0
	.section	.text._Z39paged_attention_ll4mi_QKV_mfma16_kernelI14__hip_bfloat16S0_LN4vllm18Fp8KVCacheDataTypeE0ES0_Li32ELi128ELi256ELb1ELi12EEvPKT_PKT0_S8_ifPKiSA_SA_iPKfiiiPfSD_PS3_PT2_iSC_SC_,"axG",@progbits,_Z39paged_attention_ll4mi_QKV_mfma16_kernelI14__hip_bfloat16S0_LN4vllm18Fp8KVCacheDataTypeE0ES0_Li32ELi128ELi256ELb1ELi12EEvPKT_PKT0_S8_ifPKiSA_SA_iPKfiiiPfSD_PS3_PT2_iSC_SC_,comdat
	.protected	_Z39paged_attention_ll4mi_QKV_mfma16_kernelI14__hip_bfloat16S0_LN4vllm18Fp8KVCacheDataTypeE0ES0_Li32ELi128ELi256ELb1ELi12EEvPKT_PKT0_S8_ifPKiSA_SA_iPKfiiiPfSD_PS3_PT2_iSC_SC_ ; -- Begin function _Z39paged_attention_ll4mi_QKV_mfma16_kernelI14__hip_bfloat16S0_LN4vllm18Fp8KVCacheDataTypeE0ES0_Li32ELi128ELi256ELb1ELi12EEvPKT_PKT0_S8_ifPKiSA_SA_iPKfiiiPfSD_PS3_PT2_iSC_SC_
	.globl	_Z39paged_attention_ll4mi_QKV_mfma16_kernelI14__hip_bfloat16S0_LN4vllm18Fp8KVCacheDataTypeE0ES0_Li32ELi128ELi256ELb1ELi12EEvPKT_PKT0_S8_ifPKiSA_SA_iPKfiiiPfSD_PS3_PT2_iSC_SC_
	.p2align	8
	.type	_Z39paged_attention_ll4mi_QKV_mfma16_kernelI14__hip_bfloat16S0_LN4vllm18Fp8KVCacheDataTypeE0ES0_Li32ELi128ELi256ELb1ELi12EEvPKT_PKT0_S8_ifPKiSA_SA_iPKfiiiPfSD_PS3_PT2_iSC_SC_,@function
_Z39paged_attention_ll4mi_QKV_mfma16_kernelI14__hip_bfloat16S0_LN4vllm18Fp8KVCacheDataTypeE0ES0_Li32ELi128ELi256ELb1ELi12EEvPKT_PKT0_S8_ifPKiSA_SA_iPKfiiiPfSD_PS3_PT2_iSC_SC_: ; @_Z39paged_attention_ll4mi_QKV_mfma16_kernelI14__hip_bfloat16S0_LN4vllm18Fp8KVCacheDataTypeE0ES0_Li32ELi128ELi256ELb1ELi12EEvPKT_PKT0_S8_ifPKiSA_SA_iPKfiiiPfSD_PS3_PT2_iSC_SC_
; %bb.0:
	s_get_pc_i64 s[2:3]
	s_add_nc_u64 s[2:3], s[2:3], __PRETTY_FUNCTION__._Z39paged_attention_ll4mi_QKV_mfma16_kernelI14__hip_bfloat16S0_LN4vllm18Fp8KVCacheDataTypeE0ES0_Li32ELi128ELi256ELb1ELi12EEvPKT_PKT0_S8_ifPKiSA_SA_iPKfiiiPfSD_PS3_PT2_iSC_SC_@rel64+4
	s_delay_alu instid0(SALU_CYCLE_1)
	v_dual_mov_b32 v0, 0xbb3 :: v_dual_mov_b32 v1, s2
	v_mov_b32_e32 v2, s3
	s_add_nc_u64 s[8:9], s[0:1], 0x90
	s_get_pc_i64 s[0:1]
	s_add_nc_u64 s[0:1], s[0:1], __assert_fail@rel64+4
	s_mov_b32 s32, 0
	s_swap_pc_i64 s[30:31], s[0:1]
	.section	.rodata,"a",@progbits
	.p2align	6, 0x0
	.amdhsa_kernel _Z39paged_attention_ll4mi_QKV_mfma16_kernelI14__hip_bfloat16S0_LN4vllm18Fp8KVCacheDataTypeE0ES0_Li32ELi128ELi256ELb1ELi12EEvPKT_PKT0_S8_ifPKiSA_SA_iPKfiiiPfSD_PS3_PT2_iSC_SC_
		.amdhsa_group_segment_fixed_size 0
		.amdhsa_private_segment_fixed_size 64
		.amdhsa_kernarg_size 400
		.amdhsa_user_sgpr_count 2
		.amdhsa_user_sgpr_dispatch_ptr 0
		.amdhsa_user_sgpr_queue_ptr 0
		.amdhsa_user_sgpr_kernarg_segment_ptr 1
		.amdhsa_user_sgpr_dispatch_id 0
		.amdhsa_user_sgpr_kernarg_preload_length 0
		.amdhsa_user_sgpr_kernarg_preload_offset 0
		.amdhsa_user_sgpr_private_segment_size 0
		.amdhsa_wavefront_size32 1
		.amdhsa_uses_dynamic_stack 0
		.amdhsa_enable_private_segment 1
		.amdhsa_system_sgpr_workgroup_id_x 1
		.amdhsa_system_sgpr_workgroup_id_y 0
		.amdhsa_system_sgpr_workgroup_id_z 0
		.amdhsa_system_sgpr_workgroup_info 0
		.amdhsa_system_vgpr_workitem_id 0
		.amdhsa_next_free_vgpr 51
		.amdhsa_next_free_sgpr 34
		.amdhsa_named_barrier_count 0
		.amdhsa_reserve_vcc 1
		.amdhsa_float_round_mode_32 0
		.amdhsa_float_round_mode_16_64 0
		.amdhsa_float_denorm_mode_32 3
		.amdhsa_float_denorm_mode_16_64 3
		.amdhsa_fp16_overflow 0
		.amdhsa_memory_ordered 1
		.amdhsa_forward_progress 1
		.amdhsa_inst_pref_size 1
		.amdhsa_round_robin_scheduling 0
		.amdhsa_exception_fp_ieee_invalid_op 0
		.amdhsa_exception_fp_denorm_src 0
		.amdhsa_exception_fp_ieee_div_zero 0
		.amdhsa_exception_fp_ieee_overflow 0
		.amdhsa_exception_fp_ieee_underflow 0
		.amdhsa_exception_fp_ieee_inexact 0
		.amdhsa_exception_int_div_zero 0
	.end_amdhsa_kernel
	.section	.text._Z39paged_attention_ll4mi_QKV_mfma16_kernelI14__hip_bfloat16S0_LN4vllm18Fp8KVCacheDataTypeE0ES0_Li32ELi128ELi256ELb1ELi12EEvPKT_PKT0_S8_ifPKiSA_SA_iPKfiiiPfSD_PS3_PT2_iSC_SC_,"axG",@progbits,_Z39paged_attention_ll4mi_QKV_mfma16_kernelI14__hip_bfloat16S0_LN4vllm18Fp8KVCacheDataTypeE0ES0_Li32ELi128ELi256ELb1ELi12EEvPKT_PKT0_S8_ifPKiSA_SA_iPKfiiiPfSD_PS3_PT2_iSC_SC_,comdat
.Lfunc_end741:
	.size	_Z39paged_attention_ll4mi_QKV_mfma16_kernelI14__hip_bfloat16S0_LN4vllm18Fp8KVCacheDataTypeE0ES0_Li32ELi128ELi256ELb1ELi12EEvPKT_PKT0_S8_ifPKiSA_SA_iPKfiiiPfSD_PS3_PT2_iSC_SC_, .Lfunc_end741-_Z39paged_attention_ll4mi_QKV_mfma16_kernelI14__hip_bfloat16S0_LN4vllm18Fp8KVCacheDataTypeE0ES0_Li32ELi128ELi256ELb1ELi12EEvPKT_PKT0_S8_ifPKiSA_SA_iPKfiiiPfSD_PS3_PT2_iSC_SC_
                                        ; -- End function
	.set _Z39paged_attention_ll4mi_QKV_mfma16_kernelI14__hip_bfloat16S0_LN4vllm18Fp8KVCacheDataTypeE0ES0_Li32ELi128ELi256ELb1ELi12EEvPKT_PKT0_S8_ifPKiSA_SA_iPKfiiiPfSD_PS3_PT2_iSC_SC_.num_vgpr, max(3, .L__assert_fail.num_vgpr)
	.set _Z39paged_attention_ll4mi_QKV_mfma16_kernelI14__hip_bfloat16S0_LN4vllm18Fp8KVCacheDataTypeE0ES0_Li32ELi128ELi256ELb1ELi12EEvPKT_PKT0_S8_ifPKiSA_SA_iPKfiiiPfSD_PS3_PT2_iSC_SC_.num_agpr, max(0, .L__assert_fail.num_agpr)
	.set _Z39paged_attention_ll4mi_QKV_mfma16_kernelI14__hip_bfloat16S0_LN4vllm18Fp8KVCacheDataTypeE0ES0_Li32ELi128ELi256ELb1ELi12EEvPKT_PKT0_S8_ifPKiSA_SA_iPKfiiiPfSD_PS3_PT2_iSC_SC_.numbered_sgpr, max(33, .L__assert_fail.numbered_sgpr)
	.set _Z39paged_attention_ll4mi_QKV_mfma16_kernelI14__hip_bfloat16S0_LN4vllm18Fp8KVCacheDataTypeE0ES0_Li32ELi128ELi256ELb1ELi12EEvPKT_PKT0_S8_ifPKiSA_SA_iPKfiiiPfSD_PS3_PT2_iSC_SC_.num_named_barrier, max(0, .L__assert_fail.num_named_barrier)
	.set _Z39paged_attention_ll4mi_QKV_mfma16_kernelI14__hip_bfloat16S0_LN4vllm18Fp8KVCacheDataTypeE0ES0_Li32ELi128ELi256ELb1ELi12EEvPKT_PKT0_S8_ifPKiSA_SA_iPKfiiiPfSD_PS3_PT2_iSC_SC_.private_seg_size, 0+max(.L__assert_fail.private_seg_size)
	.set _Z39paged_attention_ll4mi_QKV_mfma16_kernelI14__hip_bfloat16S0_LN4vllm18Fp8KVCacheDataTypeE0ES0_Li32ELi128ELi256ELb1ELi12EEvPKT_PKT0_S8_ifPKiSA_SA_iPKfiiiPfSD_PS3_PT2_iSC_SC_.uses_vcc, or(1, .L__assert_fail.uses_vcc)
	.set _Z39paged_attention_ll4mi_QKV_mfma16_kernelI14__hip_bfloat16S0_LN4vllm18Fp8KVCacheDataTypeE0ES0_Li32ELi128ELi256ELb1ELi12EEvPKT_PKT0_S8_ifPKiSA_SA_iPKfiiiPfSD_PS3_PT2_iSC_SC_.uses_flat_scratch, or(0, .L__assert_fail.uses_flat_scratch)
	.set _Z39paged_attention_ll4mi_QKV_mfma16_kernelI14__hip_bfloat16S0_LN4vllm18Fp8KVCacheDataTypeE0ES0_Li32ELi128ELi256ELb1ELi12EEvPKT_PKT0_S8_ifPKiSA_SA_iPKfiiiPfSD_PS3_PT2_iSC_SC_.has_dyn_sized_stack, or(0, .L__assert_fail.has_dyn_sized_stack)
	.set _Z39paged_attention_ll4mi_QKV_mfma16_kernelI14__hip_bfloat16S0_LN4vllm18Fp8KVCacheDataTypeE0ES0_Li32ELi128ELi256ELb1ELi12EEvPKT_PKT0_S8_ifPKiSA_SA_iPKfiiiPfSD_PS3_PT2_iSC_SC_.has_recursion, or(0, .L__assert_fail.has_recursion)
	.set _Z39paged_attention_ll4mi_QKV_mfma16_kernelI14__hip_bfloat16S0_LN4vllm18Fp8KVCacheDataTypeE0ES0_Li32ELi128ELi256ELb1ELi12EEvPKT_PKT0_S8_ifPKiSA_SA_iPKfiiiPfSD_PS3_PT2_iSC_SC_.has_indirect_call, or(0, .L__assert_fail.has_indirect_call)
	.section	.AMDGPU.csdata,"",@progbits
; Kernel info:
; codeLenInByte = 68
; TotalNumSgprs: 36
; NumVgprs: 51
; ScratchSize: 64
; MemoryBound: 0
; FloatMode: 240
; IeeeMode: 1
; LDSByteSize: 0 bytes/workgroup (compile time only)
; SGPRBlocks: 0
; VGPRBlocks: 3
; NumSGPRsForWavesPerEU: 36
; NumVGPRsForWavesPerEU: 51
; NamedBarCnt: 0
; Occupancy: 16
; WaveLimiterHint : 1
; COMPUTE_PGM_RSRC2:SCRATCH_EN: 1
; COMPUTE_PGM_RSRC2:USER_SGPR: 2
; COMPUTE_PGM_RSRC2:TRAP_HANDLER: 0
; COMPUTE_PGM_RSRC2:TGID_X_EN: 1
; COMPUTE_PGM_RSRC2:TGID_Y_EN: 0
; COMPUTE_PGM_RSRC2:TGID_Z_EN: 0
; COMPUTE_PGM_RSRC2:TIDIG_COMP_CNT: 0
	.section	.text._Z39paged_attention_ll4mi_QKV_mfma16_kernelI14__hip_bfloat16S0_LN4vllm18Fp8KVCacheDataTypeE0ES0_Li32ELi128ELi256ELb1ELi13EEvPKT_PKT0_S8_ifPKiSA_SA_iPKfiiiPfSD_PS3_PT2_iSC_SC_,"axG",@progbits,_Z39paged_attention_ll4mi_QKV_mfma16_kernelI14__hip_bfloat16S0_LN4vllm18Fp8KVCacheDataTypeE0ES0_Li32ELi128ELi256ELb1ELi13EEvPKT_PKT0_S8_ifPKiSA_SA_iPKfiiiPfSD_PS3_PT2_iSC_SC_,comdat
	.protected	_Z39paged_attention_ll4mi_QKV_mfma16_kernelI14__hip_bfloat16S0_LN4vllm18Fp8KVCacheDataTypeE0ES0_Li32ELi128ELi256ELb1ELi13EEvPKT_PKT0_S8_ifPKiSA_SA_iPKfiiiPfSD_PS3_PT2_iSC_SC_ ; -- Begin function _Z39paged_attention_ll4mi_QKV_mfma16_kernelI14__hip_bfloat16S0_LN4vllm18Fp8KVCacheDataTypeE0ES0_Li32ELi128ELi256ELb1ELi13EEvPKT_PKT0_S8_ifPKiSA_SA_iPKfiiiPfSD_PS3_PT2_iSC_SC_
	.globl	_Z39paged_attention_ll4mi_QKV_mfma16_kernelI14__hip_bfloat16S0_LN4vllm18Fp8KVCacheDataTypeE0ES0_Li32ELi128ELi256ELb1ELi13EEvPKT_PKT0_S8_ifPKiSA_SA_iPKfiiiPfSD_PS3_PT2_iSC_SC_
	.p2align	8
	.type	_Z39paged_attention_ll4mi_QKV_mfma16_kernelI14__hip_bfloat16S0_LN4vllm18Fp8KVCacheDataTypeE0ES0_Li32ELi128ELi256ELb1ELi13EEvPKT_PKT0_S8_ifPKiSA_SA_iPKfiiiPfSD_PS3_PT2_iSC_SC_,@function
_Z39paged_attention_ll4mi_QKV_mfma16_kernelI14__hip_bfloat16S0_LN4vllm18Fp8KVCacheDataTypeE0ES0_Li32ELi128ELi256ELb1ELi13EEvPKT_PKT0_S8_ifPKiSA_SA_iPKfiiiPfSD_PS3_PT2_iSC_SC_: ; @_Z39paged_attention_ll4mi_QKV_mfma16_kernelI14__hip_bfloat16S0_LN4vllm18Fp8KVCacheDataTypeE0ES0_Li32ELi128ELi256ELb1ELi13EEvPKT_PKT0_S8_ifPKiSA_SA_iPKfiiiPfSD_PS3_PT2_iSC_SC_
; %bb.0:
	s_get_pc_i64 s[2:3]
	s_add_nc_u64 s[2:3], s[2:3], __PRETTY_FUNCTION__._Z39paged_attention_ll4mi_QKV_mfma16_kernelI14__hip_bfloat16S0_LN4vllm18Fp8KVCacheDataTypeE0ES0_Li32ELi128ELi256ELb1ELi13EEvPKT_PKT0_S8_ifPKiSA_SA_iPKfiiiPfSD_PS3_PT2_iSC_SC_@rel64+4
	s_delay_alu instid0(SALU_CYCLE_1)
	v_dual_mov_b32 v0, 0xbb3 :: v_dual_mov_b32 v1, s2
	v_mov_b32_e32 v2, s3
	s_add_nc_u64 s[8:9], s[0:1], 0x90
	s_get_pc_i64 s[0:1]
	s_add_nc_u64 s[0:1], s[0:1], __assert_fail@rel64+4
	s_mov_b32 s32, 0
	s_swap_pc_i64 s[30:31], s[0:1]
	.section	.rodata,"a",@progbits
	.p2align	6, 0x0
	.amdhsa_kernel _Z39paged_attention_ll4mi_QKV_mfma16_kernelI14__hip_bfloat16S0_LN4vllm18Fp8KVCacheDataTypeE0ES0_Li32ELi128ELi256ELb1ELi13EEvPKT_PKT0_S8_ifPKiSA_SA_iPKfiiiPfSD_PS3_PT2_iSC_SC_
		.amdhsa_group_segment_fixed_size 0
		.amdhsa_private_segment_fixed_size 64
		.amdhsa_kernarg_size 400
		.amdhsa_user_sgpr_count 2
		.amdhsa_user_sgpr_dispatch_ptr 0
		.amdhsa_user_sgpr_queue_ptr 0
		.amdhsa_user_sgpr_kernarg_segment_ptr 1
		.amdhsa_user_sgpr_dispatch_id 0
		.amdhsa_user_sgpr_kernarg_preload_length 0
		.amdhsa_user_sgpr_kernarg_preload_offset 0
		.amdhsa_user_sgpr_private_segment_size 0
		.amdhsa_wavefront_size32 1
		.amdhsa_uses_dynamic_stack 0
		.amdhsa_enable_private_segment 1
		.amdhsa_system_sgpr_workgroup_id_x 1
		.amdhsa_system_sgpr_workgroup_id_y 0
		.amdhsa_system_sgpr_workgroup_id_z 0
		.amdhsa_system_sgpr_workgroup_info 0
		.amdhsa_system_vgpr_workitem_id 0
		.amdhsa_next_free_vgpr 51
		.amdhsa_next_free_sgpr 34
		.amdhsa_named_barrier_count 0
		.amdhsa_reserve_vcc 1
		.amdhsa_float_round_mode_32 0
		.amdhsa_float_round_mode_16_64 0
		.amdhsa_float_denorm_mode_32 3
		.amdhsa_float_denorm_mode_16_64 3
		.amdhsa_fp16_overflow 0
		.amdhsa_memory_ordered 1
		.amdhsa_forward_progress 1
		.amdhsa_inst_pref_size 1
		.amdhsa_round_robin_scheduling 0
		.amdhsa_exception_fp_ieee_invalid_op 0
		.amdhsa_exception_fp_denorm_src 0
		.amdhsa_exception_fp_ieee_div_zero 0
		.amdhsa_exception_fp_ieee_overflow 0
		.amdhsa_exception_fp_ieee_underflow 0
		.amdhsa_exception_fp_ieee_inexact 0
		.amdhsa_exception_int_div_zero 0
	.end_amdhsa_kernel
	.section	.text._Z39paged_attention_ll4mi_QKV_mfma16_kernelI14__hip_bfloat16S0_LN4vllm18Fp8KVCacheDataTypeE0ES0_Li32ELi128ELi256ELb1ELi13EEvPKT_PKT0_S8_ifPKiSA_SA_iPKfiiiPfSD_PS3_PT2_iSC_SC_,"axG",@progbits,_Z39paged_attention_ll4mi_QKV_mfma16_kernelI14__hip_bfloat16S0_LN4vllm18Fp8KVCacheDataTypeE0ES0_Li32ELi128ELi256ELb1ELi13EEvPKT_PKT0_S8_ifPKiSA_SA_iPKfiiiPfSD_PS3_PT2_iSC_SC_,comdat
.Lfunc_end742:
	.size	_Z39paged_attention_ll4mi_QKV_mfma16_kernelI14__hip_bfloat16S0_LN4vllm18Fp8KVCacheDataTypeE0ES0_Li32ELi128ELi256ELb1ELi13EEvPKT_PKT0_S8_ifPKiSA_SA_iPKfiiiPfSD_PS3_PT2_iSC_SC_, .Lfunc_end742-_Z39paged_attention_ll4mi_QKV_mfma16_kernelI14__hip_bfloat16S0_LN4vllm18Fp8KVCacheDataTypeE0ES0_Li32ELi128ELi256ELb1ELi13EEvPKT_PKT0_S8_ifPKiSA_SA_iPKfiiiPfSD_PS3_PT2_iSC_SC_
                                        ; -- End function
	.set _Z39paged_attention_ll4mi_QKV_mfma16_kernelI14__hip_bfloat16S0_LN4vllm18Fp8KVCacheDataTypeE0ES0_Li32ELi128ELi256ELb1ELi13EEvPKT_PKT0_S8_ifPKiSA_SA_iPKfiiiPfSD_PS3_PT2_iSC_SC_.num_vgpr, max(3, .L__assert_fail.num_vgpr)
	.set _Z39paged_attention_ll4mi_QKV_mfma16_kernelI14__hip_bfloat16S0_LN4vllm18Fp8KVCacheDataTypeE0ES0_Li32ELi128ELi256ELb1ELi13EEvPKT_PKT0_S8_ifPKiSA_SA_iPKfiiiPfSD_PS3_PT2_iSC_SC_.num_agpr, max(0, .L__assert_fail.num_agpr)
	.set _Z39paged_attention_ll4mi_QKV_mfma16_kernelI14__hip_bfloat16S0_LN4vllm18Fp8KVCacheDataTypeE0ES0_Li32ELi128ELi256ELb1ELi13EEvPKT_PKT0_S8_ifPKiSA_SA_iPKfiiiPfSD_PS3_PT2_iSC_SC_.numbered_sgpr, max(33, .L__assert_fail.numbered_sgpr)
	.set _Z39paged_attention_ll4mi_QKV_mfma16_kernelI14__hip_bfloat16S0_LN4vllm18Fp8KVCacheDataTypeE0ES0_Li32ELi128ELi256ELb1ELi13EEvPKT_PKT0_S8_ifPKiSA_SA_iPKfiiiPfSD_PS3_PT2_iSC_SC_.num_named_barrier, max(0, .L__assert_fail.num_named_barrier)
	.set _Z39paged_attention_ll4mi_QKV_mfma16_kernelI14__hip_bfloat16S0_LN4vllm18Fp8KVCacheDataTypeE0ES0_Li32ELi128ELi256ELb1ELi13EEvPKT_PKT0_S8_ifPKiSA_SA_iPKfiiiPfSD_PS3_PT2_iSC_SC_.private_seg_size, 0+max(.L__assert_fail.private_seg_size)
	.set _Z39paged_attention_ll4mi_QKV_mfma16_kernelI14__hip_bfloat16S0_LN4vllm18Fp8KVCacheDataTypeE0ES0_Li32ELi128ELi256ELb1ELi13EEvPKT_PKT0_S8_ifPKiSA_SA_iPKfiiiPfSD_PS3_PT2_iSC_SC_.uses_vcc, or(1, .L__assert_fail.uses_vcc)
	.set _Z39paged_attention_ll4mi_QKV_mfma16_kernelI14__hip_bfloat16S0_LN4vllm18Fp8KVCacheDataTypeE0ES0_Li32ELi128ELi256ELb1ELi13EEvPKT_PKT0_S8_ifPKiSA_SA_iPKfiiiPfSD_PS3_PT2_iSC_SC_.uses_flat_scratch, or(0, .L__assert_fail.uses_flat_scratch)
	.set _Z39paged_attention_ll4mi_QKV_mfma16_kernelI14__hip_bfloat16S0_LN4vllm18Fp8KVCacheDataTypeE0ES0_Li32ELi128ELi256ELb1ELi13EEvPKT_PKT0_S8_ifPKiSA_SA_iPKfiiiPfSD_PS3_PT2_iSC_SC_.has_dyn_sized_stack, or(0, .L__assert_fail.has_dyn_sized_stack)
	.set _Z39paged_attention_ll4mi_QKV_mfma16_kernelI14__hip_bfloat16S0_LN4vllm18Fp8KVCacheDataTypeE0ES0_Li32ELi128ELi256ELb1ELi13EEvPKT_PKT0_S8_ifPKiSA_SA_iPKfiiiPfSD_PS3_PT2_iSC_SC_.has_recursion, or(0, .L__assert_fail.has_recursion)
	.set _Z39paged_attention_ll4mi_QKV_mfma16_kernelI14__hip_bfloat16S0_LN4vllm18Fp8KVCacheDataTypeE0ES0_Li32ELi128ELi256ELb1ELi13EEvPKT_PKT0_S8_ifPKiSA_SA_iPKfiiiPfSD_PS3_PT2_iSC_SC_.has_indirect_call, or(0, .L__assert_fail.has_indirect_call)
	.section	.AMDGPU.csdata,"",@progbits
; Kernel info:
; codeLenInByte = 68
; TotalNumSgprs: 36
; NumVgprs: 51
; ScratchSize: 64
; MemoryBound: 0
; FloatMode: 240
; IeeeMode: 1
; LDSByteSize: 0 bytes/workgroup (compile time only)
; SGPRBlocks: 0
; VGPRBlocks: 3
; NumSGPRsForWavesPerEU: 36
; NumVGPRsForWavesPerEU: 51
; NamedBarCnt: 0
; Occupancy: 16
; WaveLimiterHint : 1
; COMPUTE_PGM_RSRC2:SCRATCH_EN: 1
; COMPUTE_PGM_RSRC2:USER_SGPR: 2
; COMPUTE_PGM_RSRC2:TRAP_HANDLER: 0
; COMPUTE_PGM_RSRC2:TGID_X_EN: 1
; COMPUTE_PGM_RSRC2:TGID_Y_EN: 0
; COMPUTE_PGM_RSRC2:TGID_Z_EN: 0
; COMPUTE_PGM_RSRC2:TIDIG_COMP_CNT: 0
	.section	.text._Z39paged_attention_ll4mi_QKV_mfma16_kernelI14__hip_bfloat16S0_LN4vllm18Fp8KVCacheDataTypeE0ES0_Li32ELi128ELi256ELb1ELi14EEvPKT_PKT0_S8_ifPKiSA_SA_iPKfiiiPfSD_PS3_PT2_iSC_SC_,"axG",@progbits,_Z39paged_attention_ll4mi_QKV_mfma16_kernelI14__hip_bfloat16S0_LN4vllm18Fp8KVCacheDataTypeE0ES0_Li32ELi128ELi256ELb1ELi14EEvPKT_PKT0_S8_ifPKiSA_SA_iPKfiiiPfSD_PS3_PT2_iSC_SC_,comdat
	.protected	_Z39paged_attention_ll4mi_QKV_mfma16_kernelI14__hip_bfloat16S0_LN4vllm18Fp8KVCacheDataTypeE0ES0_Li32ELi128ELi256ELb1ELi14EEvPKT_PKT0_S8_ifPKiSA_SA_iPKfiiiPfSD_PS3_PT2_iSC_SC_ ; -- Begin function _Z39paged_attention_ll4mi_QKV_mfma16_kernelI14__hip_bfloat16S0_LN4vllm18Fp8KVCacheDataTypeE0ES0_Li32ELi128ELi256ELb1ELi14EEvPKT_PKT0_S8_ifPKiSA_SA_iPKfiiiPfSD_PS3_PT2_iSC_SC_
	.globl	_Z39paged_attention_ll4mi_QKV_mfma16_kernelI14__hip_bfloat16S0_LN4vllm18Fp8KVCacheDataTypeE0ES0_Li32ELi128ELi256ELb1ELi14EEvPKT_PKT0_S8_ifPKiSA_SA_iPKfiiiPfSD_PS3_PT2_iSC_SC_
	.p2align	8
	.type	_Z39paged_attention_ll4mi_QKV_mfma16_kernelI14__hip_bfloat16S0_LN4vllm18Fp8KVCacheDataTypeE0ES0_Li32ELi128ELi256ELb1ELi14EEvPKT_PKT0_S8_ifPKiSA_SA_iPKfiiiPfSD_PS3_PT2_iSC_SC_,@function
_Z39paged_attention_ll4mi_QKV_mfma16_kernelI14__hip_bfloat16S0_LN4vllm18Fp8KVCacheDataTypeE0ES0_Li32ELi128ELi256ELb1ELi14EEvPKT_PKT0_S8_ifPKiSA_SA_iPKfiiiPfSD_PS3_PT2_iSC_SC_: ; @_Z39paged_attention_ll4mi_QKV_mfma16_kernelI14__hip_bfloat16S0_LN4vllm18Fp8KVCacheDataTypeE0ES0_Li32ELi128ELi256ELb1ELi14EEvPKT_PKT0_S8_ifPKiSA_SA_iPKfiiiPfSD_PS3_PT2_iSC_SC_
; %bb.0:
	s_get_pc_i64 s[2:3]
	s_add_nc_u64 s[2:3], s[2:3], __PRETTY_FUNCTION__._Z39paged_attention_ll4mi_QKV_mfma16_kernelI14__hip_bfloat16S0_LN4vllm18Fp8KVCacheDataTypeE0ES0_Li32ELi128ELi256ELb1ELi14EEvPKT_PKT0_S8_ifPKiSA_SA_iPKfiiiPfSD_PS3_PT2_iSC_SC_@rel64+4
	s_delay_alu instid0(SALU_CYCLE_1)
	v_dual_mov_b32 v0, 0xbb3 :: v_dual_mov_b32 v1, s2
	v_mov_b32_e32 v2, s3
	s_add_nc_u64 s[8:9], s[0:1], 0x90
	s_get_pc_i64 s[0:1]
	s_add_nc_u64 s[0:1], s[0:1], __assert_fail@rel64+4
	s_mov_b32 s32, 0
	s_swap_pc_i64 s[30:31], s[0:1]
	.section	.rodata,"a",@progbits
	.p2align	6, 0x0
	.amdhsa_kernel _Z39paged_attention_ll4mi_QKV_mfma16_kernelI14__hip_bfloat16S0_LN4vllm18Fp8KVCacheDataTypeE0ES0_Li32ELi128ELi256ELb1ELi14EEvPKT_PKT0_S8_ifPKiSA_SA_iPKfiiiPfSD_PS3_PT2_iSC_SC_
		.amdhsa_group_segment_fixed_size 0
		.amdhsa_private_segment_fixed_size 64
		.amdhsa_kernarg_size 400
		.amdhsa_user_sgpr_count 2
		.amdhsa_user_sgpr_dispatch_ptr 0
		.amdhsa_user_sgpr_queue_ptr 0
		.amdhsa_user_sgpr_kernarg_segment_ptr 1
		.amdhsa_user_sgpr_dispatch_id 0
		.amdhsa_user_sgpr_kernarg_preload_length 0
		.amdhsa_user_sgpr_kernarg_preload_offset 0
		.amdhsa_user_sgpr_private_segment_size 0
		.amdhsa_wavefront_size32 1
		.amdhsa_uses_dynamic_stack 0
		.amdhsa_enable_private_segment 1
		.amdhsa_system_sgpr_workgroup_id_x 1
		.amdhsa_system_sgpr_workgroup_id_y 0
		.amdhsa_system_sgpr_workgroup_id_z 0
		.amdhsa_system_sgpr_workgroup_info 0
		.amdhsa_system_vgpr_workitem_id 0
		.amdhsa_next_free_vgpr 51
		.amdhsa_next_free_sgpr 34
		.amdhsa_named_barrier_count 0
		.amdhsa_reserve_vcc 1
		.amdhsa_float_round_mode_32 0
		.amdhsa_float_round_mode_16_64 0
		.amdhsa_float_denorm_mode_32 3
		.amdhsa_float_denorm_mode_16_64 3
		.amdhsa_fp16_overflow 0
		.amdhsa_memory_ordered 1
		.amdhsa_forward_progress 1
		.amdhsa_inst_pref_size 1
		.amdhsa_round_robin_scheduling 0
		.amdhsa_exception_fp_ieee_invalid_op 0
		.amdhsa_exception_fp_denorm_src 0
		.amdhsa_exception_fp_ieee_div_zero 0
		.amdhsa_exception_fp_ieee_overflow 0
		.amdhsa_exception_fp_ieee_underflow 0
		.amdhsa_exception_fp_ieee_inexact 0
		.amdhsa_exception_int_div_zero 0
	.end_amdhsa_kernel
	.section	.text._Z39paged_attention_ll4mi_QKV_mfma16_kernelI14__hip_bfloat16S0_LN4vllm18Fp8KVCacheDataTypeE0ES0_Li32ELi128ELi256ELb1ELi14EEvPKT_PKT0_S8_ifPKiSA_SA_iPKfiiiPfSD_PS3_PT2_iSC_SC_,"axG",@progbits,_Z39paged_attention_ll4mi_QKV_mfma16_kernelI14__hip_bfloat16S0_LN4vllm18Fp8KVCacheDataTypeE0ES0_Li32ELi128ELi256ELb1ELi14EEvPKT_PKT0_S8_ifPKiSA_SA_iPKfiiiPfSD_PS3_PT2_iSC_SC_,comdat
.Lfunc_end743:
	.size	_Z39paged_attention_ll4mi_QKV_mfma16_kernelI14__hip_bfloat16S0_LN4vllm18Fp8KVCacheDataTypeE0ES0_Li32ELi128ELi256ELb1ELi14EEvPKT_PKT0_S8_ifPKiSA_SA_iPKfiiiPfSD_PS3_PT2_iSC_SC_, .Lfunc_end743-_Z39paged_attention_ll4mi_QKV_mfma16_kernelI14__hip_bfloat16S0_LN4vllm18Fp8KVCacheDataTypeE0ES0_Li32ELi128ELi256ELb1ELi14EEvPKT_PKT0_S8_ifPKiSA_SA_iPKfiiiPfSD_PS3_PT2_iSC_SC_
                                        ; -- End function
	.set _Z39paged_attention_ll4mi_QKV_mfma16_kernelI14__hip_bfloat16S0_LN4vllm18Fp8KVCacheDataTypeE0ES0_Li32ELi128ELi256ELb1ELi14EEvPKT_PKT0_S8_ifPKiSA_SA_iPKfiiiPfSD_PS3_PT2_iSC_SC_.num_vgpr, max(3, .L__assert_fail.num_vgpr)
	.set _Z39paged_attention_ll4mi_QKV_mfma16_kernelI14__hip_bfloat16S0_LN4vllm18Fp8KVCacheDataTypeE0ES0_Li32ELi128ELi256ELb1ELi14EEvPKT_PKT0_S8_ifPKiSA_SA_iPKfiiiPfSD_PS3_PT2_iSC_SC_.num_agpr, max(0, .L__assert_fail.num_agpr)
	.set _Z39paged_attention_ll4mi_QKV_mfma16_kernelI14__hip_bfloat16S0_LN4vllm18Fp8KVCacheDataTypeE0ES0_Li32ELi128ELi256ELb1ELi14EEvPKT_PKT0_S8_ifPKiSA_SA_iPKfiiiPfSD_PS3_PT2_iSC_SC_.numbered_sgpr, max(33, .L__assert_fail.numbered_sgpr)
	.set _Z39paged_attention_ll4mi_QKV_mfma16_kernelI14__hip_bfloat16S0_LN4vllm18Fp8KVCacheDataTypeE0ES0_Li32ELi128ELi256ELb1ELi14EEvPKT_PKT0_S8_ifPKiSA_SA_iPKfiiiPfSD_PS3_PT2_iSC_SC_.num_named_barrier, max(0, .L__assert_fail.num_named_barrier)
	.set _Z39paged_attention_ll4mi_QKV_mfma16_kernelI14__hip_bfloat16S0_LN4vllm18Fp8KVCacheDataTypeE0ES0_Li32ELi128ELi256ELb1ELi14EEvPKT_PKT0_S8_ifPKiSA_SA_iPKfiiiPfSD_PS3_PT2_iSC_SC_.private_seg_size, 0+max(.L__assert_fail.private_seg_size)
	.set _Z39paged_attention_ll4mi_QKV_mfma16_kernelI14__hip_bfloat16S0_LN4vllm18Fp8KVCacheDataTypeE0ES0_Li32ELi128ELi256ELb1ELi14EEvPKT_PKT0_S8_ifPKiSA_SA_iPKfiiiPfSD_PS3_PT2_iSC_SC_.uses_vcc, or(1, .L__assert_fail.uses_vcc)
	.set _Z39paged_attention_ll4mi_QKV_mfma16_kernelI14__hip_bfloat16S0_LN4vllm18Fp8KVCacheDataTypeE0ES0_Li32ELi128ELi256ELb1ELi14EEvPKT_PKT0_S8_ifPKiSA_SA_iPKfiiiPfSD_PS3_PT2_iSC_SC_.uses_flat_scratch, or(0, .L__assert_fail.uses_flat_scratch)
	.set _Z39paged_attention_ll4mi_QKV_mfma16_kernelI14__hip_bfloat16S0_LN4vllm18Fp8KVCacheDataTypeE0ES0_Li32ELi128ELi256ELb1ELi14EEvPKT_PKT0_S8_ifPKiSA_SA_iPKfiiiPfSD_PS3_PT2_iSC_SC_.has_dyn_sized_stack, or(0, .L__assert_fail.has_dyn_sized_stack)
	.set _Z39paged_attention_ll4mi_QKV_mfma16_kernelI14__hip_bfloat16S0_LN4vllm18Fp8KVCacheDataTypeE0ES0_Li32ELi128ELi256ELb1ELi14EEvPKT_PKT0_S8_ifPKiSA_SA_iPKfiiiPfSD_PS3_PT2_iSC_SC_.has_recursion, or(0, .L__assert_fail.has_recursion)
	.set _Z39paged_attention_ll4mi_QKV_mfma16_kernelI14__hip_bfloat16S0_LN4vllm18Fp8KVCacheDataTypeE0ES0_Li32ELi128ELi256ELb1ELi14EEvPKT_PKT0_S8_ifPKiSA_SA_iPKfiiiPfSD_PS3_PT2_iSC_SC_.has_indirect_call, or(0, .L__assert_fail.has_indirect_call)
	.section	.AMDGPU.csdata,"",@progbits
; Kernel info:
; codeLenInByte = 68
; TotalNumSgprs: 36
; NumVgprs: 51
; ScratchSize: 64
; MemoryBound: 0
; FloatMode: 240
; IeeeMode: 1
; LDSByteSize: 0 bytes/workgroup (compile time only)
; SGPRBlocks: 0
; VGPRBlocks: 3
; NumSGPRsForWavesPerEU: 36
; NumVGPRsForWavesPerEU: 51
; NamedBarCnt: 0
; Occupancy: 16
; WaveLimiterHint : 1
; COMPUTE_PGM_RSRC2:SCRATCH_EN: 1
; COMPUTE_PGM_RSRC2:USER_SGPR: 2
; COMPUTE_PGM_RSRC2:TRAP_HANDLER: 0
; COMPUTE_PGM_RSRC2:TGID_X_EN: 1
; COMPUTE_PGM_RSRC2:TGID_Y_EN: 0
; COMPUTE_PGM_RSRC2:TGID_Z_EN: 0
; COMPUTE_PGM_RSRC2:TIDIG_COMP_CNT: 0
	.section	.text._Z39paged_attention_ll4mi_QKV_mfma16_kernelI14__hip_bfloat16S0_LN4vllm18Fp8KVCacheDataTypeE0ES0_Li32ELi128ELi256ELb1ELi15EEvPKT_PKT0_S8_ifPKiSA_SA_iPKfiiiPfSD_PS3_PT2_iSC_SC_,"axG",@progbits,_Z39paged_attention_ll4mi_QKV_mfma16_kernelI14__hip_bfloat16S0_LN4vllm18Fp8KVCacheDataTypeE0ES0_Li32ELi128ELi256ELb1ELi15EEvPKT_PKT0_S8_ifPKiSA_SA_iPKfiiiPfSD_PS3_PT2_iSC_SC_,comdat
	.protected	_Z39paged_attention_ll4mi_QKV_mfma16_kernelI14__hip_bfloat16S0_LN4vllm18Fp8KVCacheDataTypeE0ES0_Li32ELi128ELi256ELb1ELi15EEvPKT_PKT0_S8_ifPKiSA_SA_iPKfiiiPfSD_PS3_PT2_iSC_SC_ ; -- Begin function _Z39paged_attention_ll4mi_QKV_mfma16_kernelI14__hip_bfloat16S0_LN4vllm18Fp8KVCacheDataTypeE0ES0_Li32ELi128ELi256ELb1ELi15EEvPKT_PKT0_S8_ifPKiSA_SA_iPKfiiiPfSD_PS3_PT2_iSC_SC_
	.globl	_Z39paged_attention_ll4mi_QKV_mfma16_kernelI14__hip_bfloat16S0_LN4vllm18Fp8KVCacheDataTypeE0ES0_Li32ELi128ELi256ELb1ELi15EEvPKT_PKT0_S8_ifPKiSA_SA_iPKfiiiPfSD_PS3_PT2_iSC_SC_
	.p2align	8
	.type	_Z39paged_attention_ll4mi_QKV_mfma16_kernelI14__hip_bfloat16S0_LN4vllm18Fp8KVCacheDataTypeE0ES0_Li32ELi128ELi256ELb1ELi15EEvPKT_PKT0_S8_ifPKiSA_SA_iPKfiiiPfSD_PS3_PT2_iSC_SC_,@function
_Z39paged_attention_ll4mi_QKV_mfma16_kernelI14__hip_bfloat16S0_LN4vllm18Fp8KVCacheDataTypeE0ES0_Li32ELi128ELi256ELb1ELi15EEvPKT_PKT0_S8_ifPKiSA_SA_iPKfiiiPfSD_PS3_PT2_iSC_SC_: ; @_Z39paged_attention_ll4mi_QKV_mfma16_kernelI14__hip_bfloat16S0_LN4vllm18Fp8KVCacheDataTypeE0ES0_Li32ELi128ELi256ELb1ELi15EEvPKT_PKT0_S8_ifPKiSA_SA_iPKfiiiPfSD_PS3_PT2_iSC_SC_
; %bb.0:
	s_get_pc_i64 s[2:3]
	s_add_nc_u64 s[2:3], s[2:3], __PRETTY_FUNCTION__._Z39paged_attention_ll4mi_QKV_mfma16_kernelI14__hip_bfloat16S0_LN4vllm18Fp8KVCacheDataTypeE0ES0_Li32ELi128ELi256ELb1ELi15EEvPKT_PKT0_S8_ifPKiSA_SA_iPKfiiiPfSD_PS3_PT2_iSC_SC_@rel64+4
	s_delay_alu instid0(SALU_CYCLE_1)
	v_dual_mov_b32 v0, 0xbb3 :: v_dual_mov_b32 v1, s2
	v_mov_b32_e32 v2, s3
	s_add_nc_u64 s[8:9], s[0:1], 0x90
	s_get_pc_i64 s[0:1]
	s_add_nc_u64 s[0:1], s[0:1], __assert_fail@rel64+4
	s_mov_b32 s32, 0
	s_swap_pc_i64 s[30:31], s[0:1]
	.section	.rodata,"a",@progbits
	.p2align	6, 0x0
	.amdhsa_kernel _Z39paged_attention_ll4mi_QKV_mfma16_kernelI14__hip_bfloat16S0_LN4vllm18Fp8KVCacheDataTypeE0ES0_Li32ELi128ELi256ELb1ELi15EEvPKT_PKT0_S8_ifPKiSA_SA_iPKfiiiPfSD_PS3_PT2_iSC_SC_
		.amdhsa_group_segment_fixed_size 0
		.amdhsa_private_segment_fixed_size 64
		.amdhsa_kernarg_size 400
		.amdhsa_user_sgpr_count 2
		.amdhsa_user_sgpr_dispatch_ptr 0
		.amdhsa_user_sgpr_queue_ptr 0
		.amdhsa_user_sgpr_kernarg_segment_ptr 1
		.amdhsa_user_sgpr_dispatch_id 0
		.amdhsa_user_sgpr_kernarg_preload_length 0
		.amdhsa_user_sgpr_kernarg_preload_offset 0
		.amdhsa_user_sgpr_private_segment_size 0
		.amdhsa_wavefront_size32 1
		.amdhsa_uses_dynamic_stack 0
		.amdhsa_enable_private_segment 1
		.amdhsa_system_sgpr_workgroup_id_x 1
		.amdhsa_system_sgpr_workgroup_id_y 0
		.amdhsa_system_sgpr_workgroup_id_z 0
		.amdhsa_system_sgpr_workgroup_info 0
		.amdhsa_system_vgpr_workitem_id 0
		.amdhsa_next_free_vgpr 51
		.amdhsa_next_free_sgpr 34
		.amdhsa_named_barrier_count 0
		.amdhsa_reserve_vcc 1
		.amdhsa_float_round_mode_32 0
		.amdhsa_float_round_mode_16_64 0
		.amdhsa_float_denorm_mode_32 3
		.amdhsa_float_denorm_mode_16_64 3
		.amdhsa_fp16_overflow 0
		.amdhsa_memory_ordered 1
		.amdhsa_forward_progress 1
		.amdhsa_inst_pref_size 1
		.amdhsa_round_robin_scheduling 0
		.amdhsa_exception_fp_ieee_invalid_op 0
		.amdhsa_exception_fp_denorm_src 0
		.amdhsa_exception_fp_ieee_div_zero 0
		.amdhsa_exception_fp_ieee_overflow 0
		.amdhsa_exception_fp_ieee_underflow 0
		.amdhsa_exception_fp_ieee_inexact 0
		.amdhsa_exception_int_div_zero 0
	.end_amdhsa_kernel
	.section	.text._Z39paged_attention_ll4mi_QKV_mfma16_kernelI14__hip_bfloat16S0_LN4vllm18Fp8KVCacheDataTypeE0ES0_Li32ELi128ELi256ELb1ELi15EEvPKT_PKT0_S8_ifPKiSA_SA_iPKfiiiPfSD_PS3_PT2_iSC_SC_,"axG",@progbits,_Z39paged_attention_ll4mi_QKV_mfma16_kernelI14__hip_bfloat16S0_LN4vllm18Fp8KVCacheDataTypeE0ES0_Li32ELi128ELi256ELb1ELi15EEvPKT_PKT0_S8_ifPKiSA_SA_iPKfiiiPfSD_PS3_PT2_iSC_SC_,comdat
.Lfunc_end744:
	.size	_Z39paged_attention_ll4mi_QKV_mfma16_kernelI14__hip_bfloat16S0_LN4vllm18Fp8KVCacheDataTypeE0ES0_Li32ELi128ELi256ELb1ELi15EEvPKT_PKT0_S8_ifPKiSA_SA_iPKfiiiPfSD_PS3_PT2_iSC_SC_, .Lfunc_end744-_Z39paged_attention_ll4mi_QKV_mfma16_kernelI14__hip_bfloat16S0_LN4vllm18Fp8KVCacheDataTypeE0ES0_Li32ELi128ELi256ELb1ELi15EEvPKT_PKT0_S8_ifPKiSA_SA_iPKfiiiPfSD_PS3_PT2_iSC_SC_
                                        ; -- End function
	.set _Z39paged_attention_ll4mi_QKV_mfma16_kernelI14__hip_bfloat16S0_LN4vllm18Fp8KVCacheDataTypeE0ES0_Li32ELi128ELi256ELb1ELi15EEvPKT_PKT0_S8_ifPKiSA_SA_iPKfiiiPfSD_PS3_PT2_iSC_SC_.num_vgpr, max(3, .L__assert_fail.num_vgpr)
	.set _Z39paged_attention_ll4mi_QKV_mfma16_kernelI14__hip_bfloat16S0_LN4vllm18Fp8KVCacheDataTypeE0ES0_Li32ELi128ELi256ELb1ELi15EEvPKT_PKT0_S8_ifPKiSA_SA_iPKfiiiPfSD_PS3_PT2_iSC_SC_.num_agpr, max(0, .L__assert_fail.num_agpr)
	.set _Z39paged_attention_ll4mi_QKV_mfma16_kernelI14__hip_bfloat16S0_LN4vllm18Fp8KVCacheDataTypeE0ES0_Li32ELi128ELi256ELb1ELi15EEvPKT_PKT0_S8_ifPKiSA_SA_iPKfiiiPfSD_PS3_PT2_iSC_SC_.numbered_sgpr, max(33, .L__assert_fail.numbered_sgpr)
	.set _Z39paged_attention_ll4mi_QKV_mfma16_kernelI14__hip_bfloat16S0_LN4vllm18Fp8KVCacheDataTypeE0ES0_Li32ELi128ELi256ELb1ELi15EEvPKT_PKT0_S8_ifPKiSA_SA_iPKfiiiPfSD_PS3_PT2_iSC_SC_.num_named_barrier, max(0, .L__assert_fail.num_named_barrier)
	.set _Z39paged_attention_ll4mi_QKV_mfma16_kernelI14__hip_bfloat16S0_LN4vllm18Fp8KVCacheDataTypeE0ES0_Li32ELi128ELi256ELb1ELi15EEvPKT_PKT0_S8_ifPKiSA_SA_iPKfiiiPfSD_PS3_PT2_iSC_SC_.private_seg_size, 0+max(.L__assert_fail.private_seg_size)
	.set _Z39paged_attention_ll4mi_QKV_mfma16_kernelI14__hip_bfloat16S0_LN4vllm18Fp8KVCacheDataTypeE0ES0_Li32ELi128ELi256ELb1ELi15EEvPKT_PKT0_S8_ifPKiSA_SA_iPKfiiiPfSD_PS3_PT2_iSC_SC_.uses_vcc, or(1, .L__assert_fail.uses_vcc)
	.set _Z39paged_attention_ll4mi_QKV_mfma16_kernelI14__hip_bfloat16S0_LN4vllm18Fp8KVCacheDataTypeE0ES0_Li32ELi128ELi256ELb1ELi15EEvPKT_PKT0_S8_ifPKiSA_SA_iPKfiiiPfSD_PS3_PT2_iSC_SC_.uses_flat_scratch, or(0, .L__assert_fail.uses_flat_scratch)
	.set _Z39paged_attention_ll4mi_QKV_mfma16_kernelI14__hip_bfloat16S0_LN4vllm18Fp8KVCacheDataTypeE0ES0_Li32ELi128ELi256ELb1ELi15EEvPKT_PKT0_S8_ifPKiSA_SA_iPKfiiiPfSD_PS3_PT2_iSC_SC_.has_dyn_sized_stack, or(0, .L__assert_fail.has_dyn_sized_stack)
	.set _Z39paged_attention_ll4mi_QKV_mfma16_kernelI14__hip_bfloat16S0_LN4vllm18Fp8KVCacheDataTypeE0ES0_Li32ELi128ELi256ELb1ELi15EEvPKT_PKT0_S8_ifPKiSA_SA_iPKfiiiPfSD_PS3_PT2_iSC_SC_.has_recursion, or(0, .L__assert_fail.has_recursion)
	.set _Z39paged_attention_ll4mi_QKV_mfma16_kernelI14__hip_bfloat16S0_LN4vllm18Fp8KVCacheDataTypeE0ES0_Li32ELi128ELi256ELb1ELi15EEvPKT_PKT0_S8_ifPKiSA_SA_iPKfiiiPfSD_PS3_PT2_iSC_SC_.has_indirect_call, or(0, .L__assert_fail.has_indirect_call)
	.section	.AMDGPU.csdata,"",@progbits
; Kernel info:
; codeLenInByte = 68
; TotalNumSgprs: 36
; NumVgprs: 51
; ScratchSize: 64
; MemoryBound: 0
; FloatMode: 240
; IeeeMode: 1
; LDSByteSize: 0 bytes/workgroup (compile time only)
; SGPRBlocks: 0
; VGPRBlocks: 3
; NumSGPRsForWavesPerEU: 36
; NumVGPRsForWavesPerEU: 51
; NamedBarCnt: 0
; Occupancy: 16
; WaveLimiterHint : 1
; COMPUTE_PGM_RSRC2:SCRATCH_EN: 1
; COMPUTE_PGM_RSRC2:USER_SGPR: 2
; COMPUTE_PGM_RSRC2:TRAP_HANDLER: 0
; COMPUTE_PGM_RSRC2:TGID_X_EN: 1
; COMPUTE_PGM_RSRC2:TGID_Y_EN: 0
; COMPUTE_PGM_RSRC2:TGID_Z_EN: 0
; COMPUTE_PGM_RSRC2:TIDIG_COMP_CNT: 0
	.section	.text._Z39paged_attention_ll4mi_QKV_mfma16_kernelI14__hip_bfloat16S0_LN4vllm18Fp8KVCacheDataTypeE0ES0_Li32ELi128ELi256ELb1ELi16EEvPKT_PKT0_S8_ifPKiSA_SA_iPKfiiiPfSD_PS3_PT2_iSC_SC_,"axG",@progbits,_Z39paged_attention_ll4mi_QKV_mfma16_kernelI14__hip_bfloat16S0_LN4vllm18Fp8KVCacheDataTypeE0ES0_Li32ELi128ELi256ELb1ELi16EEvPKT_PKT0_S8_ifPKiSA_SA_iPKfiiiPfSD_PS3_PT2_iSC_SC_,comdat
	.protected	_Z39paged_attention_ll4mi_QKV_mfma16_kernelI14__hip_bfloat16S0_LN4vllm18Fp8KVCacheDataTypeE0ES0_Li32ELi128ELi256ELb1ELi16EEvPKT_PKT0_S8_ifPKiSA_SA_iPKfiiiPfSD_PS3_PT2_iSC_SC_ ; -- Begin function _Z39paged_attention_ll4mi_QKV_mfma16_kernelI14__hip_bfloat16S0_LN4vllm18Fp8KVCacheDataTypeE0ES0_Li32ELi128ELi256ELb1ELi16EEvPKT_PKT0_S8_ifPKiSA_SA_iPKfiiiPfSD_PS3_PT2_iSC_SC_
	.globl	_Z39paged_attention_ll4mi_QKV_mfma16_kernelI14__hip_bfloat16S0_LN4vllm18Fp8KVCacheDataTypeE0ES0_Li32ELi128ELi256ELb1ELi16EEvPKT_PKT0_S8_ifPKiSA_SA_iPKfiiiPfSD_PS3_PT2_iSC_SC_
	.p2align	8
	.type	_Z39paged_attention_ll4mi_QKV_mfma16_kernelI14__hip_bfloat16S0_LN4vllm18Fp8KVCacheDataTypeE0ES0_Li32ELi128ELi256ELb1ELi16EEvPKT_PKT0_S8_ifPKiSA_SA_iPKfiiiPfSD_PS3_PT2_iSC_SC_,@function
_Z39paged_attention_ll4mi_QKV_mfma16_kernelI14__hip_bfloat16S0_LN4vllm18Fp8KVCacheDataTypeE0ES0_Li32ELi128ELi256ELb1ELi16EEvPKT_PKT0_S8_ifPKiSA_SA_iPKfiiiPfSD_PS3_PT2_iSC_SC_: ; @_Z39paged_attention_ll4mi_QKV_mfma16_kernelI14__hip_bfloat16S0_LN4vllm18Fp8KVCacheDataTypeE0ES0_Li32ELi128ELi256ELb1ELi16EEvPKT_PKT0_S8_ifPKiSA_SA_iPKfiiiPfSD_PS3_PT2_iSC_SC_
; %bb.0:
	s_get_pc_i64 s[2:3]
	s_add_nc_u64 s[2:3], s[2:3], __PRETTY_FUNCTION__._Z39paged_attention_ll4mi_QKV_mfma16_kernelI14__hip_bfloat16S0_LN4vllm18Fp8KVCacheDataTypeE0ES0_Li32ELi128ELi256ELb1ELi16EEvPKT_PKT0_S8_ifPKiSA_SA_iPKfiiiPfSD_PS3_PT2_iSC_SC_@rel64+4
	s_delay_alu instid0(SALU_CYCLE_1)
	v_dual_mov_b32 v0, 0xbb3 :: v_dual_mov_b32 v1, s2
	v_mov_b32_e32 v2, s3
	s_add_nc_u64 s[8:9], s[0:1], 0x90
	s_get_pc_i64 s[0:1]
	s_add_nc_u64 s[0:1], s[0:1], __assert_fail@rel64+4
	s_mov_b32 s32, 0
	s_swap_pc_i64 s[30:31], s[0:1]
	.section	.rodata,"a",@progbits
	.p2align	6, 0x0
	.amdhsa_kernel _Z39paged_attention_ll4mi_QKV_mfma16_kernelI14__hip_bfloat16S0_LN4vllm18Fp8KVCacheDataTypeE0ES0_Li32ELi128ELi256ELb1ELi16EEvPKT_PKT0_S8_ifPKiSA_SA_iPKfiiiPfSD_PS3_PT2_iSC_SC_
		.amdhsa_group_segment_fixed_size 0
		.amdhsa_private_segment_fixed_size 64
		.amdhsa_kernarg_size 400
		.amdhsa_user_sgpr_count 2
		.amdhsa_user_sgpr_dispatch_ptr 0
		.amdhsa_user_sgpr_queue_ptr 0
		.amdhsa_user_sgpr_kernarg_segment_ptr 1
		.amdhsa_user_sgpr_dispatch_id 0
		.amdhsa_user_sgpr_kernarg_preload_length 0
		.amdhsa_user_sgpr_kernarg_preload_offset 0
		.amdhsa_user_sgpr_private_segment_size 0
		.amdhsa_wavefront_size32 1
		.amdhsa_uses_dynamic_stack 0
		.amdhsa_enable_private_segment 1
		.amdhsa_system_sgpr_workgroup_id_x 1
		.amdhsa_system_sgpr_workgroup_id_y 0
		.amdhsa_system_sgpr_workgroup_id_z 0
		.amdhsa_system_sgpr_workgroup_info 0
		.amdhsa_system_vgpr_workitem_id 0
		.amdhsa_next_free_vgpr 51
		.amdhsa_next_free_sgpr 34
		.amdhsa_named_barrier_count 0
		.amdhsa_reserve_vcc 1
		.amdhsa_float_round_mode_32 0
		.amdhsa_float_round_mode_16_64 0
		.amdhsa_float_denorm_mode_32 3
		.amdhsa_float_denorm_mode_16_64 3
		.amdhsa_fp16_overflow 0
		.amdhsa_memory_ordered 1
		.amdhsa_forward_progress 1
		.amdhsa_inst_pref_size 1
		.amdhsa_round_robin_scheduling 0
		.amdhsa_exception_fp_ieee_invalid_op 0
		.amdhsa_exception_fp_denorm_src 0
		.amdhsa_exception_fp_ieee_div_zero 0
		.amdhsa_exception_fp_ieee_overflow 0
		.amdhsa_exception_fp_ieee_underflow 0
		.amdhsa_exception_fp_ieee_inexact 0
		.amdhsa_exception_int_div_zero 0
	.end_amdhsa_kernel
	.section	.text._Z39paged_attention_ll4mi_QKV_mfma16_kernelI14__hip_bfloat16S0_LN4vllm18Fp8KVCacheDataTypeE0ES0_Li32ELi128ELi256ELb1ELi16EEvPKT_PKT0_S8_ifPKiSA_SA_iPKfiiiPfSD_PS3_PT2_iSC_SC_,"axG",@progbits,_Z39paged_attention_ll4mi_QKV_mfma16_kernelI14__hip_bfloat16S0_LN4vllm18Fp8KVCacheDataTypeE0ES0_Li32ELi128ELi256ELb1ELi16EEvPKT_PKT0_S8_ifPKiSA_SA_iPKfiiiPfSD_PS3_PT2_iSC_SC_,comdat
.Lfunc_end745:
	.size	_Z39paged_attention_ll4mi_QKV_mfma16_kernelI14__hip_bfloat16S0_LN4vllm18Fp8KVCacheDataTypeE0ES0_Li32ELi128ELi256ELb1ELi16EEvPKT_PKT0_S8_ifPKiSA_SA_iPKfiiiPfSD_PS3_PT2_iSC_SC_, .Lfunc_end745-_Z39paged_attention_ll4mi_QKV_mfma16_kernelI14__hip_bfloat16S0_LN4vllm18Fp8KVCacheDataTypeE0ES0_Li32ELi128ELi256ELb1ELi16EEvPKT_PKT0_S8_ifPKiSA_SA_iPKfiiiPfSD_PS3_PT2_iSC_SC_
                                        ; -- End function
	.set _Z39paged_attention_ll4mi_QKV_mfma16_kernelI14__hip_bfloat16S0_LN4vllm18Fp8KVCacheDataTypeE0ES0_Li32ELi128ELi256ELb1ELi16EEvPKT_PKT0_S8_ifPKiSA_SA_iPKfiiiPfSD_PS3_PT2_iSC_SC_.num_vgpr, max(3, .L__assert_fail.num_vgpr)
	.set _Z39paged_attention_ll4mi_QKV_mfma16_kernelI14__hip_bfloat16S0_LN4vllm18Fp8KVCacheDataTypeE0ES0_Li32ELi128ELi256ELb1ELi16EEvPKT_PKT0_S8_ifPKiSA_SA_iPKfiiiPfSD_PS3_PT2_iSC_SC_.num_agpr, max(0, .L__assert_fail.num_agpr)
	.set _Z39paged_attention_ll4mi_QKV_mfma16_kernelI14__hip_bfloat16S0_LN4vllm18Fp8KVCacheDataTypeE0ES0_Li32ELi128ELi256ELb1ELi16EEvPKT_PKT0_S8_ifPKiSA_SA_iPKfiiiPfSD_PS3_PT2_iSC_SC_.numbered_sgpr, max(33, .L__assert_fail.numbered_sgpr)
	.set _Z39paged_attention_ll4mi_QKV_mfma16_kernelI14__hip_bfloat16S0_LN4vllm18Fp8KVCacheDataTypeE0ES0_Li32ELi128ELi256ELb1ELi16EEvPKT_PKT0_S8_ifPKiSA_SA_iPKfiiiPfSD_PS3_PT2_iSC_SC_.num_named_barrier, max(0, .L__assert_fail.num_named_barrier)
	.set _Z39paged_attention_ll4mi_QKV_mfma16_kernelI14__hip_bfloat16S0_LN4vllm18Fp8KVCacheDataTypeE0ES0_Li32ELi128ELi256ELb1ELi16EEvPKT_PKT0_S8_ifPKiSA_SA_iPKfiiiPfSD_PS3_PT2_iSC_SC_.private_seg_size, 0+max(.L__assert_fail.private_seg_size)
	.set _Z39paged_attention_ll4mi_QKV_mfma16_kernelI14__hip_bfloat16S0_LN4vllm18Fp8KVCacheDataTypeE0ES0_Li32ELi128ELi256ELb1ELi16EEvPKT_PKT0_S8_ifPKiSA_SA_iPKfiiiPfSD_PS3_PT2_iSC_SC_.uses_vcc, or(1, .L__assert_fail.uses_vcc)
	.set _Z39paged_attention_ll4mi_QKV_mfma16_kernelI14__hip_bfloat16S0_LN4vllm18Fp8KVCacheDataTypeE0ES0_Li32ELi128ELi256ELb1ELi16EEvPKT_PKT0_S8_ifPKiSA_SA_iPKfiiiPfSD_PS3_PT2_iSC_SC_.uses_flat_scratch, or(0, .L__assert_fail.uses_flat_scratch)
	.set _Z39paged_attention_ll4mi_QKV_mfma16_kernelI14__hip_bfloat16S0_LN4vllm18Fp8KVCacheDataTypeE0ES0_Li32ELi128ELi256ELb1ELi16EEvPKT_PKT0_S8_ifPKiSA_SA_iPKfiiiPfSD_PS3_PT2_iSC_SC_.has_dyn_sized_stack, or(0, .L__assert_fail.has_dyn_sized_stack)
	.set _Z39paged_attention_ll4mi_QKV_mfma16_kernelI14__hip_bfloat16S0_LN4vllm18Fp8KVCacheDataTypeE0ES0_Li32ELi128ELi256ELb1ELi16EEvPKT_PKT0_S8_ifPKiSA_SA_iPKfiiiPfSD_PS3_PT2_iSC_SC_.has_recursion, or(0, .L__assert_fail.has_recursion)
	.set _Z39paged_attention_ll4mi_QKV_mfma16_kernelI14__hip_bfloat16S0_LN4vllm18Fp8KVCacheDataTypeE0ES0_Li32ELi128ELi256ELb1ELi16EEvPKT_PKT0_S8_ifPKiSA_SA_iPKfiiiPfSD_PS3_PT2_iSC_SC_.has_indirect_call, or(0, .L__assert_fail.has_indirect_call)
	.section	.AMDGPU.csdata,"",@progbits
; Kernel info:
; codeLenInByte = 68
; TotalNumSgprs: 36
; NumVgprs: 51
; ScratchSize: 64
; MemoryBound: 0
; FloatMode: 240
; IeeeMode: 1
; LDSByteSize: 0 bytes/workgroup (compile time only)
; SGPRBlocks: 0
; VGPRBlocks: 3
; NumSGPRsForWavesPerEU: 36
; NumVGPRsForWavesPerEU: 51
; NamedBarCnt: 0
; Occupancy: 16
; WaveLimiterHint : 1
; COMPUTE_PGM_RSRC2:SCRATCH_EN: 1
; COMPUTE_PGM_RSRC2:USER_SGPR: 2
; COMPUTE_PGM_RSRC2:TRAP_HANDLER: 0
; COMPUTE_PGM_RSRC2:TGID_X_EN: 1
; COMPUTE_PGM_RSRC2:TGID_Y_EN: 0
; COMPUTE_PGM_RSRC2:TGID_Z_EN: 0
; COMPUTE_PGM_RSRC2:TIDIG_COMP_CNT: 0
	.section	.text._Z39paged_attention_ll4mi_QKV_mfma16_kernelI14__hip_bfloat16S0_LN4vllm18Fp8KVCacheDataTypeE0ES0_Li32ELi128ELi256ELb1ELi1EEvPKT_PKT0_S8_ifPKiSA_SA_iPKfiiiPfSD_PS3_PT2_iSC_SC_,"axG",@progbits,_Z39paged_attention_ll4mi_QKV_mfma16_kernelI14__hip_bfloat16S0_LN4vllm18Fp8KVCacheDataTypeE0ES0_Li32ELi128ELi256ELb1ELi1EEvPKT_PKT0_S8_ifPKiSA_SA_iPKfiiiPfSD_PS3_PT2_iSC_SC_,comdat
	.protected	_Z39paged_attention_ll4mi_QKV_mfma16_kernelI14__hip_bfloat16S0_LN4vllm18Fp8KVCacheDataTypeE0ES0_Li32ELi128ELi256ELb1ELi1EEvPKT_PKT0_S8_ifPKiSA_SA_iPKfiiiPfSD_PS3_PT2_iSC_SC_ ; -- Begin function _Z39paged_attention_ll4mi_QKV_mfma16_kernelI14__hip_bfloat16S0_LN4vllm18Fp8KVCacheDataTypeE0ES0_Li32ELi128ELi256ELb1ELi1EEvPKT_PKT0_S8_ifPKiSA_SA_iPKfiiiPfSD_PS3_PT2_iSC_SC_
	.globl	_Z39paged_attention_ll4mi_QKV_mfma16_kernelI14__hip_bfloat16S0_LN4vllm18Fp8KVCacheDataTypeE0ES0_Li32ELi128ELi256ELb1ELi1EEvPKT_PKT0_S8_ifPKiSA_SA_iPKfiiiPfSD_PS3_PT2_iSC_SC_
	.p2align	8
	.type	_Z39paged_attention_ll4mi_QKV_mfma16_kernelI14__hip_bfloat16S0_LN4vllm18Fp8KVCacheDataTypeE0ES0_Li32ELi128ELi256ELb1ELi1EEvPKT_PKT0_S8_ifPKiSA_SA_iPKfiiiPfSD_PS3_PT2_iSC_SC_,@function
_Z39paged_attention_ll4mi_QKV_mfma16_kernelI14__hip_bfloat16S0_LN4vllm18Fp8KVCacheDataTypeE0ES0_Li32ELi128ELi256ELb1ELi1EEvPKT_PKT0_S8_ifPKiSA_SA_iPKfiiiPfSD_PS3_PT2_iSC_SC_: ; @_Z39paged_attention_ll4mi_QKV_mfma16_kernelI14__hip_bfloat16S0_LN4vllm18Fp8KVCacheDataTypeE0ES0_Li32ELi128ELi256ELb1ELi1EEvPKT_PKT0_S8_ifPKiSA_SA_iPKfiiiPfSD_PS3_PT2_iSC_SC_
; %bb.0:
	s_get_pc_i64 s[2:3]
	s_add_nc_u64 s[2:3], s[2:3], __PRETTY_FUNCTION__._Z39paged_attention_ll4mi_QKV_mfma16_kernelI14__hip_bfloat16S0_LN4vllm18Fp8KVCacheDataTypeE0ES0_Li32ELi128ELi256ELb1ELi1EEvPKT_PKT0_S8_ifPKiSA_SA_iPKfiiiPfSD_PS3_PT2_iSC_SC_@rel64+4
	s_delay_alu instid0(SALU_CYCLE_1)
	v_dual_mov_b32 v0, 0xbb3 :: v_dual_mov_b32 v1, s2
	v_mov_b32_e32 v2, s3
	s_add_nc_u64 s[8:9], s[0:1], 0x90
	s_get_pc_i64 s[0:1]
	s_add_nc_u64 s[0:1], s[0:1], __assert_fail@rel64+4
	s_mov_b32 s32, 0
	s_swap_pc_i64 s[30:31], s[0:1]
	.section	.rodata,"a",@progbits
	.p2align	6, 0x0
	.amdhsa_kernel _Z39paged_attention_ll4mi_QKV_mfma16_kernelI14__hip_bfloat16S0_LN4vllm18Fp8KVCacheDataTypeE0ES0_Li32ELi128ELi256ELb1ELi1EEvPKT_PKT0_S8_ifPKiSA_SA_iPKfiiiPfSD_PS3_PT2_iSC_SC_
		.amdhsa_group_segment_fixed_size 0
		.amdhsa_private_segment_fixed_size 64
		.amdhsa_kernarg_size 400
		.amdhsa_user_sgpr_count 2
		.amdhsa_user_sgpr_dispatch_ptr 0
		.amdhsa_user_sgpr_queue_ptr 0
		.amdhsa_user_sgpr_kernarg_segment_ptr 1
		.amdhsa_user_sgpr_dispatch_id 0
		.amdhsa_user_sgpr_kernarg_preload_length 0
		.amdhsa_user_sgpr_kernarg_preload_offset 0
		.amdhsa_user_sgpr_private_segment_size 0
		.amdhsa_wavefront_size32 1
		.amdhsa_uses_dynamic_stack 0
		.amdhsa_enable_private_segment 1
		.amdhsa_system_sgpr_workgroup_id_x 1
		.amdhsa_system_sgpr_workgroup_id_y 0
		.amdhsa_system_sgpr_workgroup_id_z 0
		.amdhsa_system_sgpr_workgroup_info 0
		.amdhsa_system_vgpr_workitem_id 0
		.amdhsa_next_free_vgpr 51
		.amdhsa_next_free_sgpr 34
		.amdhsa_named_barrier_count 0
		.amdhsa_reserve_vcc 1
		.amdhsa_float_round_mode_32 0
		.amdhsa_float_round_mode_16_64 0
		.amdhsa_float_denorm_mode_32 3
		.amdhsa_float_denorm_mode_16_64 3
		.amdhsa_fp16_overflow 0
		.amdhsa_memory_ordered 1
		.amdhsa_forward_progress 1
		.amdhsa_inst_pref_size 1
		.amdhsa_round_robin_scheduling 0
		.amdhsa_exception_fp_ieee_invalid_op 0
		.amdhsa_exception_fp_denorm_src 0
		.amdhsa_exception_fp_ieee_div_zero 0
		.amdhsa_exception_fp_ieee_overflow 0
		.amdhsa_exception_fp_ieee_underflow 0
		.amdhsa_exception_fp_ieee_inexact 0
		.amdhsa_exception_int_div_zero 0
	.end_amdhsa_kernel
	.section	.text._Z39paged_attention_ll4mi_QKV_mfma16_kernelI14__hip_bfloat16S0_LN4vllm18Fp8KVCacheDataTypeE0ES0_Li32ELi128ELi256ELb1ELi1EEvPKT_PKT0_S8_ifPKiSA_SA_iPKfiiiPfSD_PS3_PT2_iSC_SC_,"axG",@progbits,_Z39paged_attention_ll4mi_QKV_mfma16_kernelI14__hip_bfloat16S0_LN4vllm18Fp8KVCacheDataTypeE0ES0_Li32ELi128ELi256ELb1ELi1EEvPKT_PKT0_S8_ifPKiSA_SA_iPKfiiiPfSD_PS3_PT2_iSC_SC_,comdat
.Lfunc_end746:
	.size	_Z39paged_attention_ll4mi_QKV_mfma16_kernelI14__hip_bfloat16S0_LN4vllm18Fp8KVCacheDataTypeE0ES0_Li32ELi128ELi256ELb1ELi1EEvPKT_PKT0_S8_ifPKiSA_SA_iPKfiiiPfSD_PS3_PT2_iSC_SC_, .Lfunc_end746-_Z39paged_attention_ll4mi_QKV_mfma16_kernelI14__hip_bfloat16S0_LN4vllm18Fp8KVCacheDataTypeE0ES0_Li32ELi128ELi256ELb1ELi1EEvPKT_PKT0_S8_ifPKiSA_SA_iPKfiiiPfSD_PS3_PT2_iSC_SC_
                                        ; -- End function
	.set _Z39paged_attention_ll4mi_QKV_mfma16_kernelI14__hip_bfloat16S0_LN4vllm18Fp8KVCacheDataTypeE0ES0_Li32ELi128ELi256ELb1ELi1EEvPKT_PKT0_S8_ifPKiSA_SA_iPKfiiiPfSD_PS3_PT2_iSC_SC_.num_vgpr, max(3, .L__assert_fail.num_vgpr)
	.set _Z39paged_attention_ll4mi_QKV_mfma16_kernelI14__hip_bfloat16S0_LN4vllm18Fp8KVCacheDataTypeE0ES0_Li32ELi128ELi256ELb1ELi1EEvPKT_PKT0_S8_ifPKiSA_SA_iPKfiiiPfSD_PS3_PT2_iSC_SC_.num_agpr, max(0, .L__assert_fail.num_agpr)
	.set _Z39paged_attention_ll4mi_QKV_mfma16_kernelI14__hip_bfloat16S0_LN4vllm18Fp8KVCacheDataTypeE0ES0_Li32ELi128ELi256ELb1ELi1EEvPKT_PKT0_S8_ifPKiSA_SA_iPKfiiiPfSD_PS3_PT2_iSC_SC_.numbered_sgpr, max(33, .L__assert_fail.numbered_sgpr)
	.set _Z39paged_attention_ll4mi_QKV_mfma16_kernelI14__hip_bfloat16S0_LN4vllm18Fp8KVCacheDataTypeE0ES0_Li32ELi128ELi256ELb1ELi1EEvPKT_PKT0_S8_ifPKiSA_SA_iPKfiiiPfSD_PS3_PT2_iSC_SC_.num_named_barrier, max(0, .L__assert_fail.num_named_barrier)
	.set _Z39paged_attention_ll4mi_QKV_mfma16_kernelI14__hip_bfloat16S0_LN4vllm18Fp8KVCacheDataTypeE0ES0_Li32ELi128ELi256ELb1ELi1EEvPKT_PKT0_S8_ifPKiSA_SA_iPKfiiiPfSD_PS3_PT2_iSC_SC_.private_seg_size, 0+max(.L__assert_fail.private_seg_size)
	.set _Z39paged_attention_ll4mi_QKV_mfma16_kernelI14__hip_bfloat16S0_LN4vllm18Fp8KVCacheDataTypeE0ES0_Li32ELi128ELi256ELb1ELi1EEvPKT_PKT0_S8_ifPKiSA_SA_iPKfiiiPfSD_PS3_PT2_iSC_SC_.uses_vcc, or(1, .L__assert_fail.uses_vcc)
	.set _Z39paged_attention_ll4mi_QKV_mfma16_kernelI14__hip_bfloat16S0_LN4vllm18Fp8KVCacheDataTypeE0ES0_Li32ELi128ELi256ELb1ELi1EEvPKT_PKT0_S8_ifPKiSA_SA_iPKfiiiPfSD_PS3_PT2_iSC_SC_.uses_flat_scratch, or(0, .L__assert_fail.uses_flat_scratch)
	.set _Z39paged_attention_ll4mi_QKV_mfma16_kernelI14__hip_bfloat16S0_LN4vllm18Fp8KVCacheDataTypeE0ES0_Li32ELi128ELi256ELb1ELi1EEvPKT_PKT0_S8_ifPKiSA_SA_iPKfiiiPfSD_PS3_PT2_iSC_SC_.has_dyn_sized_stack, or(0, .L__assert_fail.has_dyn_sized_stack)
	.set _Z39paged_attention_ll4mi_QKV_mfma16_kernelI14__hip_bfloat16S0_LN4vllm18Fp8KVCacheDataTypeE0ES0_Li32ELi128ELi256ELb1ELi1EEvPKT_PKT0_S8_ifPKiSA_SA_iPKfiiiPfSD_PS3_PT2_iSC_SC_.has_recursion, or(0, .L__assert_fail.has_recursion)
	.set _Z39paged_attention_ll4mi_QKV_mfma16_kernelI14__hip_bfloat16S0_LN4vllm18Fp8KVCacheDataTypeE0ES0_Li32ELi128ELi256ELb1ELi1EEvPKT_PKT0_S8_ifPKiSA_SA_iPKfiiiPfSD_PS3_PT2_iSC_SC_.has_indirect_call, or(0, .L__assert_fail.has_indirect_call)
	.section	.AMDGPU.csdata,"",@progbits
; Kernel info:
; codeLenInByte = 68
; TotalNumSgprs: 36
; NumVgprs: 51
; ScratchSize: 64
; MemoryBound: 0
; FloatMode: 240
; IeeeMode: 1
; LDSByteSize: 0 bytes/workgroup (compile time only)
; SGPRBlocks: 0
; VGPRBlocks: 3
; NumSGPRsForWavesPerEU: 36
; NumVGPRsForWavesPerEU: 51
; NamedBarCnt: 0
; Occupancy: 16
; WaveLimiterHint : 1
; COMPUTE_PGM_RSRC2:SCRATCH_EN: 1
; COMPUTE_PGM_RSRC2:USER_SGPR: 2
; COMPUTE_PGM_RSRC2:TRAP_HANDLER: 0
; COMPUTE_PGM_RSRC2:TGID_X_EN: 1
; COMPUTE_PGM_RSRC2:TGID_Y_EN: 0
; COMPUTE_PGM_RSRC2:TGID_Z_EN: 0
; COMPUTE_PGM_RSRC2:TIDIG_COMP_CNT: 0
	.section	.text._Z39paged_attention_ll4mi_QKV_mfma16_kernelI14__hip_bfloat16S0_LN4vllm18Fp8KVCacheDataTypeE0ES0_Li32ELi128ELi256ELb1ELi2EEvPKT_PKT0_S8_ifPKiSA_SA_iPKfiiiPfSD_PS3_PT2_iSC_SC_,"axG",@progbits,_Z39paged_attention_ll4mi_QKV_mfma16_kernelI14__hip_bfloat16S0_LN4vllm18Fp8KVCacheDataTypeE0ES0_Li32ELi128ELi256ELb1ELi2EEvPKT_PKT0_S8_ifPKiSA_SA_iPKfiiiPfSD_PS3_PT2_iSC_SC_,comdat
	.protected	_Z39paged_attention_ll4mi_QKV_mfma16_kernelI14__hip_bfloat16S0_LN4vllm18Fp8KVCacheDataTypeE0ES0_Li32ELi128ELi256ELb1ELi2EEvPKT_PKT0_S8_ifPKiSA_SA_iPKfiiiPfSD_PS3_PT2_iSC_SC_ ; -- Begin function _Z39paged_attention_ll4mi_QKV_mfma16_kernelI14__hip_bfloat16S0_LN4vllm18Fp8KVCacheDataTypeE0ES0_Li32ELi128ELi256ELb1ELi2EEvPKT_PKT0_S8_ifPKiSA_SA_iPKfiiiPfSD_PS3_PT2_iSC_SC_
	.globl	_Z39paged_attention_ll4mi_QKV_mfma16_kernelI14__hip_bfloat16S0_LN4vllm18Fp8KVCacheDataTypeE0ES0_Li32ELi128ELi256ELb1ELi2EEvPKT_PKT0_S8_ifPKiSA_SA_iPKfiiiPfSD_PS3_PT2_iSC_SC_
	.p2align	8
	.type	_Z39paged_attention_ll4mi_QKV_mfma16_kernelI14__hip_bfloat16S0_LN4vllm18Fp8KVCacheDataTypeE0ES0_Li32ELi128ELi256ELb1ELi2EEvPKT_PKT0_S8_ifPKiSA_SA_iPKfiiiPfSD_PS3_PT2_iSC_SC_,@function
_Z39paged_attention_ll4mi_QKV_mfma16_kernelI14__hip_bfloat16S0_LN4vllm18Fp8KVCacheDataTypeE0ES0_Li32ELi128ELi256ELb1ELi2EEvPKT_PKT0_S8_ifPKiSA_SA_iPKfiiiPfSD_PS3_PT2_iSC_SC_: ; @_Z39paged_attention_ll4mi_QKV_mfma16_kernelI14__hip_bfloat16S0_LN4vllm18Fp8KVCacheDataTypeE0ES0_Li32ELi128ELi256ELb1ELi2EEvPKT_PKT0_S8_ifPKiSA_SA_iPKfiiiPfSD_PS3_PT2_iSC_SC_
; %bb.0:
	s_get_pc_i64 s[2:3]
	s_add_nc_u64 s[2:3], s[2:3], __PRETTY_FUNCTION__._Z39paged_attention_ll4mi_QKV_mfma16_kernelI14__hip_bfloat16S0_LN4vllm18Fp8KVCacheDataTypeE0ES0_Li32ELi128ELi256ELb1ELi2EEvPKT_PKT0_S8_ifPKiSA_SA_iPKfiiiPfSD_PS3_PT2_iSC_SC_@rel64+4
	s_delay_alu instid0(SALU_CYCLE_1)
	v_dual_mov_b32 v0, 0xbb3 :: v_dual_mov_b32 v1, s2
	v_mov_b32_e32 v2, s3
	s_add_nc_u64 s[8:9], s[0:1], 0x90
	s_get_pc_i64 s[0:1]
	s_add_nc_u64 s[0:1], s[0:1], __assert_fail@rel64+4
	s_mov_b32 s32, 0
	s_swap_pc_i64 s[30:31], s[0:1]
	.section	.rodata,"a",@progbits
	.p2align	6, 0x0
	.amdhsa_kernel _Z39paged_attention_ll4mi_QKV_mfma16_kernelI14__hip_bfloat16S0_LN4vllm18Fp8KVCacheDataTypeE0ES0_Li32ELi128ELi256ELb1ELi2EEvPKT_PKT0_S8_ifPKiSA_SA_iPKfiiiPfSD_PS3_PT2_iSC_SC_
		.amdhsa_group_segment_fixed_size 0
		.amdhsa_private_segment_fixed_size 64
		.amdhsa_kernarg_size 400
		.amdhsa_user_sgpr_count 2
		.amdhsa_user_sgpr_dispatch_ptr 0
		.amdhsa_user_sgpr_queue_ptr 0
		.amdhsa_user_sgpr_kernarg_segment_ptr 1
		.amdhsa_user_sgpr_dispatch_id 0
		.amdhsa_user_sgpr_kernarg_preload_length 0
		.amdhsa_user_sgpr_kernarg_preload_offset 0
		.amdhsa_user_sgpr_private_segment_size 0
		.amdhsa_wavefront_size32 1
		.amdhsa_uses_dynamic_stack 0
		.amdhsa_enable_private_segment 1
		.amdhsa_system_sgpr_workgroup_id_x 1
		.amdhsa_system_sgpr_workgroup_id_y 0
		.amdhsa_system_sgpr_workgroup_id_z 0
		.amdhsa_system_sgpr_workgroup_info 0
		.amdhsa_system_vgpr_workitem_id 0
		.amdhsa_next_free_vgpr 51
		.amdhsa_next_free_sgpr 34
		.amdhsa_named_barrier_count 0
		.amdhsa_reserve_vcc 1
		.amdhsa_float_round_mode_32 0
		.amdhsa_float_round_mode_16_64 0
		.amdhsa_float_denorm_mode_32 3
		.amdhsa_float_denorm_mode_16_64 3
		.amdhsa_fp16_overflow 0
		.amdhsa_memory_ordered 1
		.amdhsa_forward_progress 1
		.amdhsa_inst_pref_size 1
		.amdhsa_round_robin_scheduling 0
		.amdhsa_exception_fp_ieee_invalid_op 0
		.amdhsa_exception_fp_denorm_src 0
		.amdhsa_exception_fp_ieee_div_zero 0
		.amdhsa_exception_fp_ieee_overflow 0
		.amdhsa_exception_fp_ieee_underflow 0
		.amdhsa_exception_fp_ieee_inexact 0
		.amdhsa_exception_int_div_zero 0
	.end_amdhsa_kernel
	.section	.text._Z39paged_attention_ll4mi_QKV_mfma16_kernelI14__hip_bfloat16S0_LN4vllm18Fp8KVCacheDataTypeE0ES0_Li32ELi128ELi256ELb1ELi2EEvPKT_PKT0_S8_ifPKiSA_SA_iPKfiiiPfSD_PS3_PT2_iSC_SC_,"axG",@progbits,_Z39paged_attention_ll4mi_QKV_mfma16_kernelI14__hip_bfloat16S0_LN4vllm18Fp8KVCacheDataTypeE0ES0_Li32ELi128ELi256ELb1ELi2EEvPKT_PKT0_S8_ifPKiSA_SA_iPKfiiiPfSD_PS3_PT2_iSC_SC_,comdat
.Lfunc_end747:
	.size	_Z39paged_attention_ll4mi_QKV_mfma16_kernelI14__hip_bfloat16S0_LN4vllm18Fp8KVCacheDataTypeE0ES0_Li32ELi128ELi256ELb1ELi2EEvPKT_PKT0_S8_ifPKiSA_SA_iPKfiiiPfSD_PS3_PT2_iSC_SC_, .Lfunc_end747-_Z39paged_attention_ll4mi_QKV_mfma16_kernelI14__hip_bfloat16S0_LN4vllm18Fp8KVCacheDataTypeE0ES0_Li32ELi128ELi256ELb1ELi2EEvPKT_PKT0_S8_ifPKiSA_SA_iPKfiiiPfSD_PS3_PT2_iSC_SC_
                                        ; -- End function
	.set _Z39paged_attention_ll4mi_QKV_mfma16_kernelI14__hip_bfloat16S0_LN4vllm18Fp8KVCacheDataTypeE0ES0_Li32ELi128ELi256ELb1ELi2EEvPKT_PKT0_S8_ifPKiSA_SA_iPKfiiiPfSD_PS3_PT2_iSC_SC_.num_vgpr, max(3, .L__assert_fail.num_vgpr)
	.set _Z39paged_attention_ll4mi_QKV_mfma16_kernelI14__hip_bfloat16S0_LN4vllm18Fp8KVCacheDataTypeE0ES0_Li32ELi128ELi256ELb1ELi2EEvPKT_PKT0_S8_ifPKiSA_SA_iPKfiiiPfSD_PS3_PT2_iSC_SC_.num_agpr, max(0, .L__assert_fail.num_agpr)
	.set _Z39paged_attention_ll4mi_QKV_mfma16_kernelI14__hip_bfloat16S0_LN4vllm18Fp8KVCacheDataTypeE0ES0_Li32ELi128ELi256ELb1ELi2EEvPKT_PKT0_S8_ifPKiSA_SA_iPKfiiiPfSD_PS3_PT2_iSC_SC_.numbered_sgpr, max(33, .L__assert_fail.numbered_sgpr)
	.set _Z39paged_attention_ll4mi_QKV_mfma16_kernelI14__hip_bfloat16S0_LN4vllm18Fp8KVCacheDataTypeE0ES0_Li32ELi128ELi256ELb1ELi2EEvPKT_PKT0_S8_ifPKiSA_SA_iPKfiiiPfSD_PS3_PT2_iSC_SC_.num_named_barrier, max(0, .L__assert_fail.num_named_barrier)
	.set _Z39paged_attention_ll4mi_QKV_mfma16_kernelI14__hip_bfloat16S0_LN4vllm18Fp8KVCacheDataTypeE0ES0_Li32ELi128ELi256ELb1ELi2EEvPKT_PKT0_S8_ifPKiSA_SA_iPKfiiiPfSD_PS3_PT2_iSC_SC_.private_seg_size, 0+max(.L__assert_fail.private_seg_size)
	.set _Z39paged_attention_ll4mi_QKV_mfma16_kernelI14__hip_bfloat16S0_LN4vllm18Fp8KVCacheDataTypeE0ES0_Li32ELi128ELi256ELb1ELi2EEvPKT_PKT0_S8_ifPKiSA_SA_iPKfiiiPfSD_PS3_PT2_iSC_SC_.uses_vcc, or(1, .L__assert_fail.uses_vcc)
	.set _Z39paged_attention_ll4mi_QKV_mfma16_kernelI14__hip_bfloat16S0_LN4vllm18Fp8KVCacheDataTypeE0ES0_Li32ELi128ELi256ELb1ELi2EEvPKT_PKT0_S8_ifPKiSA_SA_iPKfiiiPfSD_PS3_PT2_iSC_SC_.uses_flat_scratch, or(0, .L__assert_fail.uses_flat_scratch)
	.set _Z39paged_attention_ll4mi_QKV_mfma16_kernelI14__hip_bfloat16S0_LN4vllm18Fp8KVCacheDataTypeE0ES0_Li32ELi128ELi256ELb1ELi2EEvPKT_PKT0_S8_ifPKiSA_SA_iPKfiiiPfSD_PS3_PT2_iSC_SC_.has_dyn_sized_stack, or(0, .L__assert_fail.has_dyn_sized_stack)
	.set _Z39paged_attention_ll4mi_QKV_mfma16_kernelI14__hip_bfloat16S0_LN4vllm18Fp8KVCacheDataTypeE0ES0_Li32ELi128ELi256ELb1ELi2EEvPKT_PKT0_S8_ifPKiSA_SA_iPKfiiiPfSD_PS3_PT2_iSC_SC_.has_recursion, or(0, .L__assert_fail.has_recursion)
	.set _Z39paged_attention_ll4mi_QKV_mfma16_kernelI14__hip_bfloat16S0_LN4vllm18Fp8KVCacheDataTypeE0ES0_Li32ELi128ELi256ELb1ELi2EEvPKT_PKT0_S8_ifPKiSA_SA_iPKfiiiPfSD_PS3_PT2_iSC_SC_.has_indirect_call, or(0, .L__assert_fail.has_indirect_call)
	.section	.AMDGPU.csdata,"",@progbits
; Kernel info:
; codeLenInByte = 68
; TotalNumSgprs: 36
; NumVgprs: 51
; ScratchSize: 64
; MemoryBound: 0
; FloatMode: 240
; IeeeMode: 1
; LDSByteSize: 0 bytes/workgroup (compile time only)
; SGPRBlocks: 0
; VGPRBlocks: 3
; NumSGPRsForWavesPerEU: 36
; NumVGPRsForWavesPerEU: 51
; NamedBarCnt: 0
; Occupancy: 16
; WaveLimiterHint : 1
; COMPUTE_PGM_RSRC2:SCRATCH_EN: 1
; COMPUTE_PGM_RSRC2:USER_SGPR: 2
; COMPUTE_PGM_RSRC2:TRAP_HANDLER: 0
; COMPUTE_PGM_RSRC2:TGID_X_EN: 1
; COMPUTE_PGM_RSRC2:TGID_Y_EN: 0
; COMPUTE_PGM_RSRC2:TGID_Z_EN: 0
; COMPUTE_PGM_RSRC2:TIDIG_COMP_CNT: 0
	.section	.text._Z39paged_attention_ll4mi_QKV_mfma16_kernelI14__hip_bfloat16S0_LN4vllm18Fp8KVCacheDataTypeE0ES0_Li32ELi128ELi256ELb1ELi3EEvPKT_PKT0_S8_ifPKiSA_SA_iPKfiiiPfSD_PS3_PT2_iSC_SC_,"axG",@progbits,_Z39paged_attention_ll4mi_QKV_mfma16_kernelI14__hip_bfloat16S0_LN4vllm18Fp8KVCacheDataTypeE0ES0_Li32ELi128ELi256ELb1ELi3EEvPKT_PKT0_S8_ifPKiSA_SA_iPKfiiiPfSD_PS3_PT2_iSC_SC_,comdat
	.protected	_Z39paged_attention_ll4mi_QKV_mfma16_kernelI14__hip_bfloat16S0_LN4vllm18Fp8KVCacheDataTypeE0ES0_Li32ELi128ELi256ELb1ELi3EEvPKT_PKT0_S8_ifPKiSA_SA_iPKfiiiPfSD_PS3_PT2_iSC_SC_ ; -- Begin function _Z39paged_attention_ll4mi_QKV_mfma16_kernelI14__hip_bfloat16S0_LN4vllm18Fp8KVCacheDataTypeE0ES0_Li32ELi128ELi256ELb1ELi3EEvPKT_PKT0_S8_ifPKiSA_SA_iPKfiiiPfSD_PS3_PT2_iSC_SC_
	.globl	_Z39paged_attention_ll4mi_QKV_mfma16_kernelI14__hip_bfloat16S0_LN4vllm18Fp8KVCacheDataTypeE0ES0_Li32ELi128ELi256ELb1ELi3EEvPKT_PKT0_S8_ifPKiSA_SA_iPKfiiiPfSD_PS3_PT2_iSC_SC_
	.p2align	8
	.type	_Z39paged_attention_ll4mi_QKV_mfma16_kernelI14__hip_bfloat16S0_LN4vllm18Fp8KVCacheDataTypeE0ES0_Li32ELi128ELi256ELb1ELi3EEvPKT_PKT0_S8_ifPKiSA_SA_iPKfiiiPfSD_PS3_PT2_iSC_SC_,@function
_Z39paged_attention_ll4mi_QKV_mfma16_kernelI14__hip_bfloat16S0_LN4vllm18Fp8KVCacheDataTypeE0ES0_Li32ELi128ELi256ELb1ELi3EEvPKT_PKT0_S8_ifPKiSA_SA_iPKfiiiPfSD_PS3_PT2_iSC_SC_: ; @_Z39paged_attention_ll4mi_QKV_mfma16_kernelI14__hip_bfloat16S0_LN4vllm18Fp8KVCacheDataTypeE0ES0_Li32ELi128ELi256ELb1ELi3EEvPKT_PKT0_S8_ifPKiSA_SA_iPKfiiiPfSD_PS3_PT2_iSC_SC_
; %bb.0:
	s_get_pc_i64 s[2:3]
	s_add_nc_u64 s[2:3], s[2:3], __PRETTY_FUNCTION__._Z39paged_attention_ll4mi_QKV_mfma16_kernelI14__hip_bfloat16S0_LN4vllm18Fp8KVCacheDataTypeE0ES0_Li32ELi128ELi256ELb1ELi3EEvPKT_PKT0_S8_ifPKiSA_SA_iPKfiiiPfSD_PS3_PT2_iSC_SC_@rel64+4
	s_delay_alu instid0(SALU_CYCLE_1)
	v_dual_mov_b32 v0, 0xbb3 :: v_dual_mov_b32 v1, s2
	v_mov_b32_e32 v2, s3
	s_add_nc_u64 s[8:9], s[0:1], 0x90
	s_get_pc_i64 s[0:1]
	s_add_nc_u64 s[0:1], s[0:1], __assert_fail@rel64+4
	s_mov_b32 s32, 0
	s_swap_pc_i64 s[30:31], s[0:1]
	.section	.rodata,"a",@progbits
	.p2align	6, 0x0
	.amdhsa_kernel _Z39paged_attention_ll4mi_QKV_mfma16_kernelI14__hip_bfloat16S0_LN4vllm18Fp8KVCacheDataTypeE0ES0_Li32ELi128ELi256ELb1ELi3EEvPKT_PKT0_S8_ifPKiSA_SA_iPKfiiiPfSD_PS3_PT2_iSC_SC_
		.amdhsa_group_segment_fixed_size 0
		.amdhsa_private_segment_fixed_size 64
		.amdhsa_kernarg_size 400
		.amdhsa_user_sgpr_count 2
		.amdhsa_user_sgpr_dispatch_ptr 0
		.amdhsa_user_sgpr_queue_ptr 0
		.amdhsa_user_sgpr_kernarg_segment_ptr 1
		.amdhsa_user_sgpr_dispatch_id 0
		.amdhsa_user_sgpr_kernarg_preload_length 0
		.amdhsa_user_sgpr_kernarg_preload_offset 0
		.amdhsa_user_sgpr_private_segment_size 0
		.amdhsa_wavefront_size32 1
		.amdhsa_uses_dynamic_stack 0
		.amdhsa_enable_private_segment 1
		.amdhsa_system_sgpr_workgroup_id_x 1
		.amdhsa_system_sgpr_workgroup_id_y 0
		.amdhsa_system_sgpr_workgroup_id_z 0
		.amdhsa_system_sgpr_workgroup_info 0
		.amdhsa_system_vgpr_workitem_id 0
		.amdhsa_next_free_vgpr 51
		.amdhsa_next_free_sgpr 34
		.amdhsa_named_barrier_count 0
		.amdhsa_reserve_vcc 1
		.amdhsa_float_round_mode_32 0
		.amdhsa_float_round_mode_16_64 0
		.amdhsa_float_denorm_mode_32 3
		.amdhsa_float_denorm_mode_16_64 3
		.amdhsa_fp16_overflow 0
		.amdhsa_memory_ordered 1
		.amdhsa_forward_progress 1
		.amdhsa_inst_pref_size 1
		.amdhsa_round_robin_scheduling 0
		.amdhsa_exception_fp_ieee_invalid_op 0
		.amdhsa_exception_fp_denorm_src 0
		.amdhsa_exception_fp_ieee_div_zero 0
		.amdhsa_exception_fp_ieee_overflow 0
		.amdhsa_exception_fp_ieee_underflow 0
		.amdhsa_exception_fp_ieee_inexact 0
		.amdhsa_exception_int_div_zero 0
	.end_amdhsa_kernel
	.section	.text._Z39paged_attention_ll4mi_QKV_mfma16_kernelI14__hip_bfloat16S0_LN4vllm18Fp8KVCacheDataTypeE0ES0_Li32ELi128ELi256ELb1ELi3EEvPKT_PKT0_S8_ifPKiSA_SA_iPKfiiiPfSD_PS3_PT2_iSC_SC_,"axG",@progbits,_Z39paged_attention_ll4mi_QKV_mfma16_kernelI14__hip_bfloat16S0_LN4vllm18Fp8KVCacheDataTypeE0ES0_Li32ELi128ELi256ELb1ELi3EEvPKT_PKT0_S8_ifPKiSA_SA_iPKfiiiPfSD_PS3_PT2_iSC_SC_,comdat
.Lfunc_end748:
	.size	_Z39paged_attention_ll4mi_QKV_mfma16_kernelI14__hip_bfloat16S0_LN4vllm18Fp8KVCacheDataTypeE0ES0_Li32ELi128ELi256ELb1ELi3EEvPKT_PKT0_S8_ifPKiSA_SA_iPKfiiiPfSD_PS3_PT2_iSC_SC_, .Lfunc_end748-_Z39paged_attention_ll4mi_QKV_mfma16_kernelI14__hip_bfloat16S0_LN4vllm18Fp8KVCacheDataTypeE0ES0_Li32ELi128ELi256ELb1ELi3EEvPKT_PKT0_S8_ifPKiSA_SA_iPKfiiiPfSD_PS3_PT2_iSC_SC_
                                        ; -- End function
	.set _Z39paged_attention_ll4mi_QKV_mfma16_kernelI14__hip_bfloat16S0_LN4vllm18Fp8KVCacheDataTypeE0ES0_Li32ELi128ELi256ELb1ELi3EEvPKT_PKT0_S8_ifPKiSA_SA_iPKfiiiPfSD_PS3_PT2_iSC_SC_.num_vgpr, max(3, .L__assert_fail.num_vgpr)
	.set _Z39paged_attention_ll4mi_QKV_mfma16_kernelI14__hip_bfloat16S0_LN4vllm18Fp8KVCacheDataTypeE0ES0_Li32ELi128ELi256ELb1ELi3EEvPKT_PKT0_S8_ifPKiSA_SA_iPKfiiiPfSD_PS3_PT2_iSC_SC_.num_agpr, max(0, .L__assert_fail.num_agpr)
	.set _Z39paged_attention_ll4mi_QKV_mfma16_kernelI14__hip_bfloat16S0_LN4vllm18Fp8KVCacheDataTypeE0ES0_Li32ELi128ELi256ELb1ELi3EEvPKT_PKT0_S8_ifPKiSA_SA_iPKfiiiPfSD_PS3_PT2_iSC_SC_.numbered_sgpr, max(33, .L__assert_fail.numbered_sgpr)
	.set _Z39paged_attention_ll4mi_QKV_mfma16_kernelI14__hip_bfloat16S0_LN4vllm18Fp8KVCacheDataTypeE0ES0_Li32ELi128ELi256ELb1ELi3EEvPKT_PKT0_S8_ifPKiSA_SA_iPKfiiiPfSD_PS3_PT2_iSC_SC_.num_named_barrier, max(0, .L__assert_fail.num_named_barrier)
	.set _Z39paged_attention_ll4mi_QKV_mfma16_kernelI14__hip_bfloat16S0_LN4vllm18Fp8KVCacheDataTypeE0ES0_Li32ELi128ELi256ELb1ELi3EEvPKT_PKT0_S8_ifPKiSA_SA_iPKfiiiPfSD_PS3_PT2_iSC_SC_.private_seg_size, 0+max(.L__assert_fail.private_seg_size)
	.set _Z39paged_attention_ll4mi_QKV_mfma16_kernelI14__hip_bfloat16S0_LN4vllm18Fp8KVCacheDataTypeE0ES0_Li32ELi128ELi256ELb1ELi3EEvPKT_PKT0_S8_ifPKiSA_SA_iPKfiiiPfSD_PS3_PT2_iSC_SC_.uses_vcc, or(1, .L__assert_fail.uses_vcc)
	.set _Z39paged_attention_ll4mi_QKV_mfma16_kernelI14__hip_bfloat16S0_LN4vllm18Fp8KVCacheDataTypeE0ES0_Li32ELi128ELi256ELb1ELi3EEvPKT_PKT0_S8_ifPKiSA_SA_iPKfiiiPfSD_PS3_PT2_iSC_SC_.uses_flat_scratch, or(0, .L__assert_fail.uses_flat_scratch)
	.set _Z39paged_attention_ll4mi_QKV_mfma16_kernelI14__hip_bfloat16S0_LN4vllm18Fp8KVCacheDataTypeE0ES0_Li32ELi128ELi256ELb1ELi3EEvPKT_PKT0_S8_ifPKiSA_SA_iPKfiiiPfSD_PS3_PT2_iSC_SC_.has_dyn_sized_stack, or(0, .L__assert_fail.has_dyn_sized_stack)
	.set _Z39paged_attention_ll4mi_QKV_mfma16_kernelI14__hip_bfloat16S0_LN4vllm18Fp8KVCacheDataTypeE0ES0_Li32ELi128ELi256ELb1ELi3EEvPKT_PKT0_S8_ifPKiSA_SA_iPKfiiiPfSD_PS3_PT2_iSC_SC_.has_recursion, or(0, .L__assert_fail.has_recursion)
	.set _Z39paged_attention_ll4mi_QKV_mfma16_kernelI14__hip_bfloat16S0_LN4vllm18Fp8KVCacheDataTypeE0ES0_Li32ELi128ELi256ELb1ELi3EEvPKT_PKT0_S8_ifPKiSA_SA_iPKfiiiPfSD_PS3_PT2_iSC_SC_.has_indirect_call, or(0, .L__assert_fail.has_indirect_call)
	.section	.AMDGPU.csdata,"",@progbits
; Kernel info:
; codeLenInByte = 68
; TotalNumSgprs: 36
; NumVgprs: 51
; ScratchSize: 64
; MemoryBound: 0
; FloatMode: 240
; IeeeMode: 1
; LDSByteSize: 0 bytes/workgroup (compile time only)
; SGPRBlocks: 0
; VGPRBlocks: 3
; NumSGPRsForWavesPerEU: 36
; NumVGPRsForWavesPerEU: 51
; NamedBarCnt: 0
; Occupancy: 16
; WaveLimiterHint : 1
; COMPUTE_PGM_RSRC2:SCRATCH_EN: 1
; COMPUTE_PGM_RSRC2:USER_SGPR: 2
; COMPUTE_PGM_RSRC2:TRAP_HANDLER: 0
; COMPUTE_PGM_RSRC2:TGID_X_EN: 1
; COMPUTE_PGM_RSRC2:TGID_Y_EN: 0
; COMPUTE_PGM_RSRC2:TGID_Z_EN: 0
; COMPUTE_PGM_RSRC2:TIDIG_COMP_CNT: 0
	.section	.text._Z39paged_attention_ll4mi_QKV_mfma16_kernelI14__hip_bfloat16S0_LN4vllm18Fp8KVCacheDataTypeE0ES0_Li32ELi128ELi256ELb1ELi4EEvPKT_PKT0_S8_ifPKiSA_SA_iPKfiiiPfSD_PS3_PT2_iSC_SC_,"axG",@progbits,_Z39paged_attention_ll4mi_QKV_mfma16_kernelI14__hip_bfloat16S0_LN4vllm18Fp8KVCacheDataTypeE0ES0_Li32ELi128ELi256ELb1ELi4EEvPKT_PKT0_S8_ifPKiSA_SA_iPKfiiiPfSD_PS3_PT2_iSC_SC_,comdat
	.protected	_Z39paged_attention_ll4mi_QKV_mfma16_kernelI14__hip_bfloat16S0_LN4vllm18Fp8KVCacheDataTypeE0ES0_Li32ELi128ELi256ELb1ELi4EEvPKT_PKT0_S8_ifPKiSA_SA_iPKfiiiPfSD_PS3_PT2_iSC_SC_ ; -- Begin function _Z39paged_attention_ll4mi_QKV_mfma16_kernelI14__hip_bfloat16S0_LN4vllm18Fp8KVCacheDataTypeE0ES0_Li32ELi128ELi256ELb1ELi4EEvPKT_PKT0_S8_ifPKiSA_SA_iPKfiiiPfSD_PS3_PT2_iSC_SC_
	.globl	_Z39paged_attention_ll4mi_QKV_mfma16_kernelI14__hip_bfloat16S0_LN4vllm18Fp8KVCacheDataTypeE0ES0_Li32ELi128ELi256ELb1ELi4EEvPKT_PKT0_S8_ifPKiSA_SA_iPKfiiiPfSD_PS3_PT2_iSC_SC_
	.p2align	8
	.type	_Z39paged_attention_ll4mi_QKV_mfma16_kernelI14__hip_bfloat16S0_LN4vllm18Fp8KVCacheDataTypeE0ES0_Li32ELi128ELi256ELb1ELi4EEvPKT_PKT0_S8_ifPKiSA_SA_iPKfiiiPfSD_PS3_PT2_iSC_SC_,@function
_Z39paged_attention_ll4mi_QKV_mfma16_kernelI14__hip_bfloat16S0_LN4vllm18Fp8KVCacheDataTypeE0ES0_Li32ELi128ELi256ELb1ELi4EEvPKT_PKT0_S8_ifPKiSA_SA_iPKfiiiPfSD_PS3_PT2_iSC_SC_: ; @_Z39paged_attention_ll4mi_QKV_mfma16_kernelI14__hip_bfloat16S0_LN4vllm18Fp8KVCacheDataTypeE0ES0_Li32ELi128ELi256ELb1ELi4EEvPKT_PKT0_S8_ifPKiSA_SA_iPKfiiiPfSD_PS3_PT2_iSC_SC_
; %bb.0:
	s_get_pc_i64 s[2:3]
	s_add_nc_u64 s[2:3], s[2:3], __PRETTY_FUNCTION__._Z39paged_attention_ll4mi_QKV_mfma16_kernelI14__hip_bfloat16S0_LN4vllm18Fp8KVCacheDataTypeE0ES0_Li32ELi128ELi256ELb1ELi4EEvPKT_PKT0_S8_ifPKiSA_SA_iPKfiiiPfSD_PS3_PT2_iSC_SC_@rel64+4
	s_delay_alu instid0(SALU_CYCLE_1)
	v_dual_mov_b32 v0, 0xbb3 :: v_dual_mov_b32 v1, s2
	v_mov_b32_e32 v2, s3
	s_add_nc_u64 s[8:9], s[0:1], 0x90
	s_get_pc_i64 s[0:1]
	s_add_nc_u64 s[0:1], s[0:1], __assert_fail@rel64+4
	s_mov_b32 s32, 0
	s_swap_pc_i64 s[30:31], s[0:1]
	.section	.rodata,"a",@progbits
	.p2align	6, 0x0
	.amdhsa_kernel _Z39paged_attention_ll4mi_QKV_mfma16_kernelI14__hip_bfloat16S0_LN4vllm18Fp8KVCacheDataTypeE0ES0_Li32ELi128ELi256ELb1ELi4EEvPKT_PKT0_S8_ifPKiSA_SA_iPKfiiiPfSD_PS3_PT2_iSC_SC_
		.amdhsa_group_segment_fixed_size 0
		.amdhsa_private_segment_fixed_size 64
		.amdhsa_kernarg_size 400
		.amdhsa_user_sgpr_count 2
		.amdhsa_user_sgpr_dispatch_ptr 0
		.amdhsa_user_sgpr_queue_ptr 0
		.amdhsa_user_sgpr_kernarg_segment_ptr 1
		.amdhsa_user_sgpr_dispatch_id 0
		.amdhsa_user_sgpr_kernarg_preload_length 0
		.amdhsa_user_sgpr_kernarg_preload_offset 0
		.amdhsa_user_sgpr_private_segment_size 0
		.amdhsa_wavefront_size32 1
		.amdhsa_uses_dynamic_stack 0
		.amdhsa_enable_private_segment 1
		.amdhsa_system_sgpr_workgroup_id_x 1
		.amdhsa_system_sgpr_workgroup_id_y 0
		.amdhsa_system_sgpr_workgroup_id_z 0
		.amdhsa_system_sgpr_workgroup_info 0
		.amdhsa_system_vgpr_workitem_id 0
		.amdhsa_next_free_vgpr 51
		.amdhsa_next_free_sgpr 34
		.amdhsa_named_barrier_count 0
		.amdhsa_reserve_vcc 1
		.amdhsa_float_round_mode_32 0
		.amdhsa_float_round_mode_16_64 0
		.amdhsa_float_denorm_mode_32 3
		.amdhsa_float_denorm_mode_16_64 3
		.amdhsa_fp16_overflow 0
		.amdhsa_memory_ordered 1
		.amdhsa_forward_progress 1
		.amdhsa_inst_pref_size 1
		.amdhsa_round_robin_scheduling 0
		.amdhsa_exception_fp_ieee_invalid_op 0
		.amdhsa_exception_fp_denorm_src 0
		.amdhsa_exception_fp_ieee_div_zero 0
		.amdhsa_exception_fp_ieee_overflow 0
		.amdhsa_exception_fp_ieee_underflow 0
		.amdhsa_exception_fp_ieee_inexact 0
		.amdhsa_exception_int_div_zero 0
	.end_amdhsa_kernel
	.section	.text._Z39paged_attention_ll4mi_QKV_mfma16_kernelI14__hip_bfloat16S0_LN4vllm18Fp8KVCacheDataTypeE0ES0_Li32ELi128ELi256ELb1ELi4EEvPKT_PKT0_S8_ifPKiSA_SA_iPKfiiiPfSD_PS3_PT2_iSC_SC_,"axG",@progbits,_Z39paged_attention_ll4mi_QKV_mfma16_kernelI14__hip_bfloat16S0_LN4vllm18Fp8KVCacheDataTypeE0ES0_Li32ELi128ELi256ELb1ELi4EEvPKT_PKT0_S8_ifPKiSA_SA_iPKfiiiPfSD_PS3_PT2_iSC_SC_,comdat
.Lfunc_end749:
	.size	_Z39paged_attention_ll4mi_QKV_mfma16_kernelI14__hip_bfloat16S0_LN4vllm18Fp8KVCacheDataTypeE0ES0_Li32ELi128ELi256ELb1ELi4EEvPKT_PKT0_S8_ifPKiSA_SA_iPKfiiiPfSD_PS3_PT2_iSC_SC_, .Lfunc_end749-_Z39paged_attention_ll4mi_QKV_mfma16_kernelI14__hip_bfloat16S0_LN4vllm18Fp8KVCacheDataTypeE0ES0_Li32ELi128ELi256ELb1ELi4EEvPKT_PKT0_S8_ifPKiSA_SA_iPKfiiiPfSD_PS3_PT2_iSC_SC_
                                        ; -- End function
	.set _Z39paged_attention_ll4mi_QKV_mfma16_kernelI14__hip_bfloat16S0_LN4vllm18Fp8KVCacheDataTypeE0ES0_Li32ELi128ELi256ELb1ELi4EEvPKT_PKT0_S8_ifPKiSA_SA_iPKfiiiPfSD_PS3_PT2_iSC_SC_.num_vgpr, max(3, .L__assert_fail.num_vgpr)
	.set _Z39paged_attention_ll4mi_QKV_mfma16_kernelI14__hip_bfloat16S0_LN4vllm18Fp8KVCacheDataTypeE0ES0_Li32ELi128ELi256ELb1ELi4EEvPKT_PKT0_S8_ifPKiSA_SA_iPKfiiiPfSD_PS3_PT2_iSC_SC_.num_agpr, max(0, .L__assert_fail.num_agpr)
	.set _Z39paged_attention_ll4mi_QKV_mfma16_kernelI14__hip_bfloat16S0_LN4vllm18Fp8KVCacheDataTypeE0ES0_Li32ELi128ELi256ELb1ELi4EEvPKT_PKT0_S8_ifPKiSA_SA_iPKfiiiPfSD_PS3_PT2_iSC_SC_.numbered_sgpr, max(33, .L__assert_fail.numbered_sgpr)
	.set _Z39paged_attention_ll4mi_QKV_mfma16_kernelI14__hip_bfloat16S0_LN4vllm18Fp8KVCacheDataTypeE0ES0_Li32ELi128ELi256ELb1ELi4EEvPKT_PKT0_S8_ifPKiSA_SA_iPKfiiiPfSD_PS3_PT2_iSC_SC_.num_named_barrier, max(0, .L__assert_fail.num_named_barrier)
	.set _Z39paged_attention_ll4mi_QKV_mfma16_kernelI14__hip_bfloat16S0_LN4vllm18Fp8KVCacheDataTypeE0ES0_Li32ELi128ELi256ELb1ELi4EEvPKT_PKT0_S8_ifPKiSA_SA_iPKfiiiPfSD_PS3_PT2_iSC_SC_.private_seg_size, 0+max(.L__assert_fail.private_seg_size)
	.set _Z39paged_attention_ll4mi_QKV_mfma16_kernelI14__hip_bfloat16S0_LN4vllm18Fp8KVCacheDataTypeE0ES0_Li32ELi128ELi256ELb1ELi4EEvPKT_PKT0_S8_ifPKiSA_SA_iPKfiiiPfSD_PS3_PT2_iSC_SC_.uses_vcc, or(1, .L__assert_fail.uses_vcc)
	.set _Z39paged_attention_ll4mi_QKV_mfma16_kernelI14__hip_bfloat16S0_LN4vllm18Fp8KVCacheDataTypeE0ES0_Li32ELi128ELi256ELb1ELi4EEvPKT_PKT0_S8_ifPKiSA_SA_iPKfiiiPfSD_PS3_PT2_iSC_SC_.uses_flat_scratch, or(0, .L__assert_fail.uses_flat_scratch)
	.set _Z39paged_attention_ll4mi_QKV_mfma16_kernelI14__hip_bfloat16S0_LN4vllm18Fp8KVCacheDataTypeE0ES0_Li32ELi128ELi256ELb1ELi4EEvPKT_PKT0_S8_ifPKiSA_SA_iPKfiiiPfSD_PS3_PT2_iSC_SC_.has_dyn_sized_stack, or(0, .L__assert_fail.has_dyn_sized_stack)
	.set _Z39paged_attention_ll4mi_QKV_mfma16_kernelI14__hip_bfloat16S0_LN4vllm18Fp8KVCacheDataTypeE0ES0_Li32ELi128ELi256ELb1ELi4EEvPKT_PKT0_S8_ifPKiSA_SA_iPKfiiiPfSD_PS3_PT2_iSC_SC_.has_recursion, or(0, .L__assert_fail.has_recursion)
	.set _Z39paged_attention_ll4mi_QKV_mfma16_kernelI14__hip_bfloat16S0_LN4vllm18Fp8KVCacheDataTypeE0ES0_Li32ELi128ELi256ELb1ELi4EEvPKT_PKT0_S8_ifPKiSA_SA_iPKfiiiPfSD_PS3_PT2_iSC_SC_.has_indirect_call, or(0, .L__assert_fail.has_indirect_call)
	.section	.AMDGPU.csdata,"",@progbits
; Kernel info:
; codeLenInByte = 68
; TotalNumSgprs: 36
; NumVgprs: 51
; ScratchSize: 64
; MemoryBound: 0
; FloatMode: 240
; IeeeMode: 1
; LDSByteSize: 0 bytes/workgroup (compile time only)
; SGPRBlocks: 0
; VGPRBlocks: 3
; NumSGPRsForWavesPerEU: 36
; NumVGPRsForWavesPerEU: 51
; NamedBarCnt: 0
; Occupancy: 16
; WaveLimiterHint : 1
; COMPUTE_PGM_RSRC2:SCRATCH_EN: 1
; COMPUTE_PGM_RSRC2:USER_SGPR: 2
; COMPUTE_PGM_RSRC2:TRAP_HANDLER: 0
; COMPUTE_PGM_RSRC2:TGID_X_EN: 1
; COMPUTE_PGM_RSRC2:TGID_Y_EN: 0
; COMPUTE_PGM_RSRC2:TGID_Z_EN: 0
; COMPUTE_PGM_RSRC2:TIDIG_COMP_CNT: 0
	.section	.text._Z38paged_attention_ll4mi_QKV_mfma4_kernelI14__hip_bfloat16S0_LN4vllm18Fp8KVCacheDataTypeE0ES0_Li32ELi128ELi256ELb0ELi1EEvPKT_PKT0_S8_ifPKiSA_SA_iPKfiiiPfSD_PS3_PT2_iSC_SC_,"axG",@progbits,_Z38paged_attention_ll4mi_QKV_mfma4_kernelI14__hip_bfloat16S0_LN4vllm18Fp8KVCacheDataTypeE0ES0_Li32ELi128ELi256ELb0ELi1EEvPKT_PKT0_S8_ifPKiSA_SA_iPKfiiiPfSD_PS3_PT2_iSC_SC_,comdat
	.protected	_Z38paged_attention_ll4mi_QKV_mfma4_kernelI14__hip_bfloat16S0_LN4vllm18Fp8KVCacheDataTypeE0ES0_Li32ELi128ELi256ELb0ELi1EEvPKT_PKT0_S8_ifPKiSA_SA_iPKfiiiPfSD_PS3_PT2_iSC_SC_ ; -- Begin function _Z38paged_attention_ll4mi_QKV_mfma4_kernelI14__hip_bfloat16S0_LN4vllm18Fp8KVCacheDataTypeE0ES0_Li32ELi128ELi256ELb0ELi1EEvPKT_PKT0_S8_ifPKiSA_SA_iPKfiiiPfSD_PS3_PT2_iSC_SC_
	.globl	_Z38paged_attention_ll4mi_QKV_mfma4_kernelI14__hip_bfloat16S0_LN4vllm18Fp8KVCacheDataTypeE0ES0_Li32ELi128ELi256ELb0ELi1EEvPKT_PKT0_S8_ifPKiSA_SA_iPKfiiiPfSD_PS3_PT2_iSC_SC_
	.p2align	8
	.type	_Z38paged_attention_ll4mi_QKV_mfma4_kernelI14__hip_bfloat16S0_LN4vllm18Fp8KVCacheDataTypeE0ES0_Li32ELi128ELi256ELb0ELi1EEvPKT_PKT0_S8_ifPKiSA_SA_iPKfiiiPfSD_PS3_PT2_iSC_SC_,@function
_Z38paged_attention_ll4mi_QKV_mfma4_kernelI14__hip_bfloat16S0_LN4vllm18Fp8KVCacheDataTypeE0ES0_Li32ELi128ELi256ELb0ELi1EEvPKT_PKT0_S8_ifPKiSA_SA_iPKfiiiPfSD_PS3_PT2_iSC_SC_: ; @_Z38paged_attention_ll4mi_QKV_mfma4_kernelI14__hip_bfloat16S0_LN4vllm18Fp8KVCacheDataTypeE0ES0_Li32ELi128ELi256ELb0ELi1EEvPKT_PKT0_S8_ifPKiSA_SA_iPKfiiiPfSD_PS3_PT2_iSC_SC_
; %bb.0:
	s_get_pc_i64 s[2:3]
	s_add_nc_u64 s[2:3], s[2:3], __PRETTY_FUNCTION__._Z38paged_attention_ll4mi_QKV_mfma4_kernelI14__hip_bfloat16S0_LN4vllm18Fp8KVCacheDataTypeE0ES0_Li32ELi128ELi256ELb0ELi1EEvPKT_PKT0_S8_ifPKiSA_SA_iPKfiiiPfSD_PS3_PT2_iSC_SC_@rel64+4
	s_delay_alu instid0(SALU_CYCLE_1)
	v_dual_mov_b32 v0, 0xbce :: v_dual_mov_b32 v1, s2
	v_mov_b32_e32 v2, s3
	s_add_nc_u64 s[8:9], s[0:1], 0x90
	s_get_pc_i64 s[0:1]
	s_add_nc_u64 s[0:1], s[0:1], __assert_fail@rel64+4
	s_mov_b32 s32, 0
	s_swap_pc_i64 s[30:31], s[0:1]
	.section	.rodata,"a",@progbits
	.p2align	6, 0x0
	.amdhsa_kernel _Z38paged_attention_ll4mi_QKV_mfma4_kernelI14__hip_bfloat16S0_LN4vllm18Fp8KVCacheDataTypeE0ES0_Li32ELi128ELi256ELb0ELi1EEvPKT_PKT0_S8_ifPKiSA_SA_iPKfiiiPfSD_PS3_PT2_iSC_SC_
		.amdhsa_group_segment_fixed_size 0
		.amdhsa_private_segment_fixed_size 64
		.amdhsa_kernarg_size 400
		.amdhsa_user_sgpr_count 2
		.amdhsa_user_sgpr_dispatch_ptr 0
		.amdhsa_user_sgpr_queue_ptr 0
		.amdhsa_user_sgpr_kernarg_segment_ptr 1
		.amdhsa_user_sgpr_dispatch_id 0
		.amdhsa_user_sgpr_kernarg_preload_length 0
		.amdhsa_user_sgpr_kernarg_preload_offset 0
		.amdhsa_user_sgpr_private_segment_size 0
		.amdhsa_wavefront_size32 1
		.amdhsa_uses_dynamic_stack 0
		.amdhsa_enable_private_segment 1
		.amdhsa_system_sgpr_workgroup_id_x 1
		.amdhsa_system_sgpr_workgroup_id_y 0
		.amdhsa_system_sgpr_workgroup_id_z 0
		.amdhsa_system_sgpr_workgroup_info 0
		.amdhsa_system_vgpr_workitem_id 0
		.amdhsa_next_free_vgpr 51
		.amdhsa_next_free_sgpr 34
		.amdhsa_named_barrier_count 0
		.amdhsa_reserve_vcc 1
		.amdhsa_float_round_mode_32 0
		.amdhsa_float_round_mode_16_64 0
		.amdhsa_float_denorm_mode_32 3
		.amdhsa_float_denorm_mode_16_64 3
		.amdhsa_fp16_overflow 0
		.amdhsa_memory_ordered 1
		.amdhsa_forward_progress 1
		.amdhsa_inst_pref_size 1
		.amdhsa_round_robin_scheduling 0
		.amdhsa_exception_fp_ieee_invalid_op 0
		.amdhsa_exception_fp_denorm_src 0
		.amdhsa_exception_fp_ieee_div_zero 0
		.amdhsa_exception_fp_ieee_overflow 0
		.amdhsa_exception_fp_ieee_underflow 0
		.amdhsa_exception_fp_ieee_inexact 0
		.amdhsa_exception_int_div_zero 0
	.end_amdhsa_kernel
	.section	.text._Z38paged_attention_ll4mi_QKV_mfma4_kernelI14__hip_bfloat16S0_LN4vllm18Fp8KVCacheDataTypeE0ES0_Li32ELi128ELi256ELb0ELi1EEvPKT_PKT0_S8_ifPKiSA_SA_iPKfiiiPfSD_PS3_PT2_iSC_SC_,"axG",@progbits,_Z38paged_attention_ll4mi_QKV_mfma4_kernelI14__hip_bfloat16S0_LN4vllm18Fp8KVCacheDataTypeE0ES0_Li32ELi128ELi256ELb0ELi1EEvPKT_PKT0_S8_ifPKiSA_SA_iPKfiiiPfSD_PS3_PT2_iSC_SC_,comdat
.Lfunc_end750:
	.size	_Z38paged_attention_ll4mi_QKV_mfma4_kernelI14__hip_bfloat16S0_LN4vllm18Fp8KVCacheDataTypeE0ES0_Li32ELi128ELi256ELb0ELi1EEvPKT_PKT0_S8_ifPKiSA_SA_iPKfiiiPfSD_PS3_PT2_iSC_SC_, .Lfunc_end750-_Z38paged_attention_ll4mi_QKV_mfma4_kernelI14__hip_bfloat16S0_LN4vllm18Fp8KVCacheDataTypeE0ES0_Li32ELi128ELi256ELb0ELi1EEvPKT_PKT0_S8_ifPKiSA_SA_iPKfiiiPfSD_PS3_PT2_iSC_SC_
                                        ; -- End function
	.set _Z38paged_attention_ll4mi_QKV_mfma4_kernelI14__hip_bfloat16S0_LN4vllm18Fp8KVCacheDataTypeE0ES0_Li32ELi128ELi256ELb0ELi1EEvPKT_PKT0_S8_ifPKiSA_SA_iPKfiiiPfSD_PS3_PT2_iSC_SC_.num_vgpr, max(3, .L__assert_fail.num_vgpr)
	.set _Z38paged_attention_ll4mi_QKV_mfma4_kernelI14__hip_bfloat16S0_LN4vllm18Fp8KVCacheDataTypeE0ES0_Li32ELi128ELi256ELb0ELi1EEvPKT_PKT0_S8_ifPKiSA_SA_iPKfiiiPfSD_PS3_PT2_iSC_SC_.num_agpr, max(0, .L__assert_fail.num_agpr)
	.set _Z38paged_attention_ll4mi_QKV_mfma4_kernelI14__hip_bfloat16S0_LN4vllm18Fp8KVCacheDataTypeE0ES0_Li32ELi128ELi256ELb0ELi1EEvPKT_PKT0_S8_ifPKiSA_SA_iPKfiiiPfSD_PS3_PT2_iSC_SC_.numbered_sgpr, max(33, .L__assert_fail.numbered_sgpr)
	.set _Z38paged_attention_ll4mi_QKV_mfma4_kernelI14__hip_bfloat16S0_LN4vllm18Fp8KVCacheDataTypeE0ES0_Li32ELi128ELi256ELb0ELi1EEvPKT_PKT0_S8_ifPKiSA_SA_iPKfiiiPfSD_PS3_PT2_iSC_SC_.num_named_barrier, max(0, .L__assert_fail.num_named_barrier)
	.set _Z38paged_attention_ll4mi_QKV_mfma4_kernelI14__hip_bfloat16S0_LN4vllm18Fp8KVCacheDataTypeE0ES0_Li32ELi128ELi256ELb0ELi1EEvPKT_PKT0_S8_ifPKiSA_SA_iPKfiiiPfSD_PS3_PT2_iSC_SC_.private_seg_size, 0+max(.L__assert_fail.private_seg_size)
	.set _Z38paged_attention_ll4mi_QKV_mfma4_kernelI14__hip_bfloat16S0_LN4vllm18Fp8KVCacheDataTypeE0ES0_Li32ELi128ELi256ELb0ELi1EEvPKT_PKT0_S8_ifPKiSA_SA_iPKfiiiPfSD_PS3_PT2_iSC_SC_.uses_vcc, or(1, .L__assert_fail.uses_vcc)
	.set _Z38paged_attention_ll4mi_QKV_mfma4_kernelI14__hip_bfloat16S0_LN4vllm18Fp8KVCacheDataTypeE0ES0_Li32ELi128ELi256ELb0ELi1EEvPKT_PKT0_S8_ifPKiSA_SA_iPKfiiiPfSD_PS3_PT2_iSC_SC_.uses_flat_scratch, or(0, .L__assert_fail.uses_flat_scratch)
	.set _Z38paged_attention_ll4mi_QKV_mfma4_kernelI14__hip_bfloat16S0_LN4vllm18Fp8KVCacheDataTypeE0ES0_Li32ELi128ELi256ELb0ELi1EEvPKT_PKT0_S8_ifPKiSA_SA_iPKfiiiPfSD_PS3_PT2_iSC_SC_.has_dyn_sized_stack, or(0, .L__assert_fail.has_dyn_sized_stack)
	.set _Z38paged_attention_ll4mi_QKV_mfma4_kernelI14__hip_bfloat16S0_LN4vllm18Fp8KVCacheDataTypeE0ES0_Li32ELi128ELi256ELb0ELi1EEvPKT_PKT0_S8_ifPKiSA_SA_iPKfiiiPfSD_PS3_PT2_iSC_SC_.has_recursion, or(0, .L__assert_fail.has_recursion)
	.set _Z38paged_attention_ll4mi_QKV_mfma4_kernelI14__hip_bfloat16S0_LN4vllm18Fp8KVCacheDataTypeE0ES0_Li32ELi128ELi256ELb0ELi1EEvPKT_PKT0_S8_ifPKiSA_SA_iPKfiiiPfSD_PS3_PT2_iSC_SC_.has_indirect_call, or(0, .L__assert_fail.has_indirect_call)
	.section	.AMDGPU.csdata,"",@progbits
; Kernel info:
; codeLenInByte = 68
; TotalNumSgprs: 36
; NumVgprs: 51
; ScratchSize: 64
; MemoryBound: 0
; FloatMode: 240
; IeeeMode: 1
; LDSByteSize: 0 bytes/workgroup (compile time only)
; SGPRBlocks: 0
; VGPRBlocks: 3
; NumSGPRsForWavesPerEU: 36
; NumVGPRsForWavesPerEU: 51
; NamedBarCnt: 0
; Occupancy: 16
; WaveLimiterHint : 1
; COMPUTE_PGM_RSRC2:SCRATCH_EN: 1
; COMPUTE_PGM_RSRC2:USER_SGPR: 2
; COMPUTE_PGM_RSRC2:TRAP_HANDLER: 0
; COMPUTE_PGM_RSRC2:TGID_X_EN: 1
; COMPUTE_PGM_RSRC2:TGID_Y_EN: 0
; COMPUTE_PGM_RSRC2:TGID_Z_EN: 0
; COMPUTE_PGM_RSRC2:TIDIG_COMP_CNT: 0
	.section	.text._Z38paged_attention_ll4mi_QKV_mfma4_kernelI14__hip_bfloat16S0_LN4vllm18Fp8KVCacheDataTypeE0ES0_Li32ELi128ELi256ELb0ELi2EEvPKT_PKT0_S8_ifPKiSA_SA_iPKfiiiPfSD_PS3_PT2_iSC_SC_,"axG",@progbits,_Z38paged_attention_ll4mi_QKV_mfma4_kernelI14__hip_bfloat16S0_LN4vllm18Fp8KVCacheDataTypeE0ES0_Li32ELi128ELi256ELb0ELi2EEvPKT_PKT0_S8_ifPKiSA_SA_iPKfiiiPfSD_PS3_PT2_iSC_SC_,comdat
	.protected	_Z38paged_attention_ll4mi_QKV_mfma4_kernelI14__hip_bfloat16S0_LN4vllm18Fp8KVCacheDataTypeE0ES0_Li32ELi128ELi256ELb0ELi2EEvPKT_PKT0_S8_ifPKiSA_SA_iPKfiiiPfSD_PS3_PT2_iSC_SC_ ; -- Begin function _Z38paged_attention_ll4mi_QKV_mfma4_kernelI14__hip_bfloat16S0_LN4vllm18Fp8KVCacheDataTypeE0ES0_Li32ELi128ELi256ELb0ELi2EEvPKT_PKT0_S8_ifPKiSA_SA_iPKfiiiPfSD_PS3_PT2_iSC_SC_
	.globl	_Z38paged_attention_ll4mi_QKV_mfma4_kernelI14__hip_bfloat16S0_LN4vllm18Fp8KVCacheDataTypeE0ES0_Li32ELi128ELi256ELb0ELi2EEvPKT_PKT0_S8_ifPKiSA_SA_iPKfiiiPfSD_PS3_PT2_iSC_SC_
	.p2align	8
	.type	_Z38paged_attention_ll4mi_QKV_mfma4_kernelI14__hip_bfloat16S0_LN4vllm18Fp8KVCacheDataTypeE0ES0_Li32ELi128ELi256ELb0ELi2EEvPKT_PKT0_S8_ifPKiSA_SA_iPKfiiiPfSD_PS3_PT2_iSC_SC_,@function
_Z38paged_attention_ll4mi_QKV_mfma4_kernelI14__hip_bfloat16S0_LN4vllm18Fp8KVCacheDataTypeE0ES0_Li32ELi128ELi256ELb0ELi2EEvPKT_PKT0_S8_ifPKiSA_SA_iPKfiiiPfSD_PS3_PT2_iSC_SC_: ; @_Z38paged_attention_ll4mi_QKV_mfma4_kernelI14__hip_bfloat16S0_LN4vllm18Fp8KVCacheDataTypeE0ES0_Li32ELi128ELi256ELb0ELi2EEvPKT_PKT0_S8_ifPKiSA_SA_iPKfiiiPfSD_PS3_PT2_iSC_SC_
; %bb.0:
	s_get_pc_i64 s[2:3]
	s_add_nc_u64 s[2:3], s[2:3], __PRETTY_FUNCTION__._Z38paged_attention_ll4mi_QKV_mfma4_kernelI14__hip_bfloat16S0_LN4vllm18Fp8KVCacheDataTypeE0ES0_Li32ELi128ELi256ELb0ELi2EEvPKT_PKT0_S8_ifPKiSA_SA_iPKfiiiPfSD_PS3_PT2_iSC_SC_@rel64+4
	s_delay_alu instid0(SALU_CYCLE_1)
	v_dual_mov_b32 v0, 0xbce :: v_dual_mov_b32 v1, s2
	v_mov_b32_e32 v2, s3
	s_add_nc_u64 s[8:9], s[0:1], 0x90
	s_get_pc_i64 s[0:1]
	s_add_nc_u64 s[0:1], s[0:1], __assert_fail@rel64+4
	s_mov_b32 s32, 0
	s_swap_pc_i64 s[30:31], s[0:1]
	.section	.rodata,"a",@progbits
	.p2align	6, 0x0
	.amdhsa_kernel _Z38paged_attention_ll4mi_QKV_mfma4_kernelI14__hip_bfloat16S0_LN4vllm18Fp8KVCacheDataTypeE0ES0_Li32ELi128ELi256ELb0ELi2EEvPKT_PKT0_S8_ifPKiSA_SA_iPKfiiiPfSD_PS3_PT2_iSC_SC_
		.amdhsa_group_segment_fixed_size 0
		.amdhsa_private_segment_fixed_size 64
		.amdhsa_kernarg_size 400
		.amdhsa_user_sgpr_count 2
		.amdhsa_user_sgpr_dispatch_ptr 0
		.amdhsa_user_sgpr_queue_ptr 0
		.amdhsa_user_sgpr_kernarg_segment_ptr 1
		.amdhsa_user_sgpr_dispatch_id 0
		.amdhsa_user_sgpr_kernarg_preload_length 0
		.amdhsa_user_sgpr_kernarg_preload_offset 0
		.amdhsa_user_sgpr_private_segment_size 0
		.amdhsa_wavefront_size32 1
		.amdhsa_uses_dynamic_stack 0
		.amdhsa_enable_private_segment 1
		.amdhsa_system_sgpr_workgroup_id_x 1
		.amdhsa_system_sgpr_workgroup_id_y 0
		.amdhsa_system_sgpr_workgroup_id_z 0
		.amdhsa_system_sgpr_workgroup_info 0
		.amdhsa_system_vgpr_workitem_id 0
		.amdhsa_next_free_vgpr 51
		.amdhsa_next_free_sgpr 34
		.amdhsa_named_barrier_count 0
		.amdhsa_reserve_vcc 1
		.amdhsa_float_round_mode_32 0
		.amdhsa_float_round_mode_16_64 0
		.amdhsa_float_denorm_mode_32 3
		.amdhsa_float_denorm_mode_16_64 3
		.amdhsa_fp16_overflow 0
		.amdhsa_memory_ordered 1
		.amdhsa_forward_progress 1
		.amdhsa_inst_pref_size 1
		.amdhsa_round_robin_scheduling 0
		.amdhsa_exception_fp_ieee_invalid_op 0
		.amdhsa_exception_fp_denorm_src 0
		.amdhsa_exception_fp_ieee_div_zero 0
		.amdhsa_exception_fp_ieee_overflow 0
		.amdhsa_exception_fp_ieee_underflow 0
		.amdhsa_exception_fp_ieee_inexact 0
		.amdhsa_exception_int_div_zero 0
	.end_amdhsa_kernel
	.section	.text._Z38paged_attention_ll4mi_QKV_mfma4_kernelI14__hip_bfloat16S0_LN4vllm18Fp8KVCacheDataTypeE0ES0_Li32ELi128ELi256ELb0ELi2EEvPKT_PKT0_S8_ifPKiSA_SA_iPKfiiiPfSD_PS3_PT2_iSC_SC_,"axG",@progbits,_Z38paged_attention_ll4mi_QKV_mfma4_kernelI14__hip_bfloat16S0_LN4vllm18Fp8KVCacheDataTypeE0ES0_Li32ELi128ELi256ELb0ELi2EEvPKT_PKT0_S8_ifPKiSA_SA_iPKfiiiPfSD_PS3_PT2_iSC_SC_,comdat
.Lfunc_end751:
	.size	_Z38paged_attention_ll4mi_QKV_mfma4_kernelI14__hip_bfloat16S0_LN4vllm18Fp8KVCacheDataTypeE0ES0_Li32ELi128ELi256ELb0ELi2EEvPKT_PKT0_S8_ifPKiSA_SA_iPKfiiiPfSD_PS3_PT2_iSC_SC_, .Lfunc_end751-_Z38paged_attention_ll4mi_QKV_mfma4_kernelI14__hip_bfloat16S0_LN4vllm18Fp8KVCacheDataTypeE0ES0_Li32ELi128ELi256ELb0ELi2EEvPKT_PKT0_S8_ifPKiSA_SA_iPKfiiiPfSD_PS3_PT2_iSC_SC_
                                        ; -- End function
	.set _Z38paged_attention_ll4mi_QKV_mfma4_kernelI14__hip_bfloat16S0_LN4vllm18Fp8KVCacheDataTypeE0ES0_Li32ELi128ELi256ELb0ELi2EEvPKT_PKT0_S8_ifPKiSA_SA_iPKfiiiPfSD_PS3_PT2_iSC_SC_.num_vgpr, max(3, .L__assert_fail.num_vgpr)
	.set _Z38paged_attention_ll4mi_QKV_mfma4_kernelI14__hip_bfloat16S0_LN4vllm18Fp8KVCacheDataTypeE0ES0_Li32ELi128ELi256ELb0ELi2EEvPKT_PKT0_S8_ifPKiSA_SA_iPKfiiiPfSD_PS3_PT2_iSC_SC_.num_agpr, max(0, .L__assert_fail.num_agpr)
	.set _Z38paged_attention_ll4mi_QKV_mfma4_kernelI14__hip_bfloat16S0_LN4vllm18Fp8KVCacheDataTypeE0ES0_Li32ELi128ELi256ELb0ELi2EEvPKT_PKT0_S8_ifPKiSA_SA_iPKfiiiPfSD_PS3_PT2_iSC_SC_.numbered_sgpr, max(33, .L__assert_fail.numbered_sgpr)
	.set _Z38paged_attention_ll4mi_QKV_mfma4_kernelI14__hip_bfloat16S0_LN4vllm18Fp8KVCacheDataTypeE0ES0_Li32ELi128ELi256ELb0ELi2EEvPKT_PKT0_S8_ifPKiSA_SA_iPKfiiiPfSD_PS3_PT2_iSC_SC_.num_named_barrier, max(0, .L__assert_fail.num_named_barrier)
	.set _Z38paged_attention_ll4mi_QKV_mfma4_kernelI14__hip_bfloat16S0_LN4vllm18Fp8KVCacheDataTypeE0ES0_Li32ELi128ELi256ELb0ELi2EEvPKT_PKT0_S8_ifPKiSA_SA_iPKfiiiPfSD_PS3_PT2_iSC_SC_.private_seg_size, 0+max(.L__assert_fail.private_seg_size)
	.set _Z38paged_attention_ll4mi_QKV_mfma4_kernelI14__hip_bfloat16S0_LN4vllm18Fp8KVCacheDataTypeE0ES0_Li32ELi128ELi256ELb0ELi2EEvPKT_PKT0_S8_ifPKiSA_SA_iPKfiiiPfSD_PS3_PT2_iSC_SC_.uses_vcc, or(1, .L__assert_fail.uses_vcc)
	.set _Z38paged_attention_ll4mi_QKV_mfma4_kernelI14__hip_bfloat16S0_LN4vllm18Fp8KVCacheDataTypeE0ES0_Li32ELi128ELi256ELb0ELi2EEvPKT_PKT0_S8_ifPKiSA_SA_iPKfiiiPfSD_PS3_PT2_iSC_SC_.uses_flat_scratch, or(0, .L__assert_fail.uses_flat_scratch)
	.set _Z38paged_attention_ll4mi_QKV_mfma4_kernelI14__hip_bfloat16S0_LN4vllm18Fp8KVCacheDataTypeE0ES0_Li32ELi128ELi256ELb0ELi2EEvPKT_PKT0_S8_ifPKiSA_SA_iPKfiiiPfSD_PS3_PT2_iSC_SC_.has_dyn_sized_stack, or(0, .L__assert_fail.has_dyn_sized_stack)
	.set _Z38paged_attention_ll4mi_QKV_mfma4_kernelI14__hip_bfloat16S0_LN4vllm18Fp8KVCacheDataTypeE0ES0_Li32ELi128ELi256ELb0ELi2EEvPKT_PKT0_S8_ifPKiSA_SA_iPKfiiiPfSD_PS3_PT2_iSC_SC_.has_recursion, or(0, .L__assert_fail.has_recursion)
	.set _Z38paged_attention_ll4mi_QKV_mfma4_kernelI14__hip_bfloat16S0_LN4vllm18Fp8KVCacheDataTypeE0ES0_Li32ELi128ELi256ELb0ELi2EEvPKT_PKT0_S8_ifPKiSA_SA_iPKfiiiPfSD_PS3_PT2_iSC_SC_.has_indirect_call, or(0, .L__assert_fail.has_indirect_call)
	.section	.AMDGPU.csdata,"",@progbits
; Kernel info:
; codeLenInByte = 68
; TotalNumSgprs: 36
; NumVgprs: 51
; ScratchSize: 64
; MemoryBound: 0
; FloatMode: 240
; IeeeMode: 1
; LDSByteSize: 0 bytes/workgroup (compile time only)
; SGPRBlocks: 0
; VGPRBlocks: 3
; NumSGPRsForWavesPerEU: 36
; NumVGPRsForWavesPerEU: 51
; NamedBarCnt: 0
; Occupancy: 16
; WaveLimiterHint : 1
; COMPUTE_PGM_RSRC2:SCRATCH_EN: 1
; COMPUTE_PGM_RSRC2:USER_SGPR: 2
; COMPUTE_PGM_RSRC2:TRAP_HANDLER: 0
; COMPUTE_PGM_RSRC2:TGID_X_EN: 1
; COMPUTE_PGM_RSRC2:TGID_Y_EN: 0
; COMPUTE_PGM_RSRC2:TGID_Z_EN: 0
; COMPUTE_PGM_RSRC2:TIDIG_COMP_CNT: 0
	.section	.text._Z38paged_attention_ll4mi_QKV_mfma4_kernelI14__hip_bfloat16S0_LN4vllm18Fp8KVCacheDataTypeE0ES0_Li32ELi128ELi256ELb0ELi3EEvPKT_PKT0_S8_ifPKiSA_SA_iPKfiiiPfSD_PS3_PT2_iSC_SC_,"axG",@progbits,_Z38paged_attention_ll4mi_QKV_mfma4_kernelI14__hip_bfloat16S0_LN4vllm18Fp8KVCacheDataTypeE0ES0_Li32ELi128ELi256ELb0ELi3EEvPKT_PKT0_S8_ifPKiSA_SA_iPKfiiiPfSD_PS3_PT2_iSC_SC_,comdat
	.protected	_Z38paged_attention_ll4mi_QKV_mfma4_kernelI14__hip_bfloat16S0_LN4vllm18Fp8KVCacheDataTypeE0ES0_Li32ELi128ELi256ELb0ELi3EEvPKT_PKT0_S8_ifPKiSA_SA_iPKfiiiPfSD_PS3_PT2_iSC_SC_ ; -- Begin function _Z38paged_attention_ll4mi_QKV_mfma4_kernelI14__hip_bfloat16S0_LN4vllm18Fp8KVCacheDataTypeE0ES0_Li32ELi128ELi256ELb0ELi3EEvPKT_PKT0_S8_ifPKiSA_SA_iPKfiiiPfSD_PS3_PT2_iSC_SC_
	.globl	_Z38paged_attention_ll4mi_QKV_mfma4_kernelI14__hip_bfloat16S0_LN4vllm18Fp8KVCacheDataTypeE0ES0_Li32ELi128ELi256ELb0ELi3EEvPKT_PKT0_S8_ifPKiSA_SA_iPKfiiiPfSD_PS3_PT2_iSC_SC_
	.p2align	8
	.type	_Z38paged_attention_ll4mi_QKV_mfma4_kernelI14__hip_bfloat16S0_LN4vllm18Fp8KVCacheDataTypeE0ES0_Li32ELi128ELi256ELb0ELi3EEvPKT_PKT0_S8_ifPKiSA_SA_iPKfiiiPfSD_PS3_PT2_iSC_SC_,@function
_Z38paged_attention_ll4mi_QKV_mfma4_kernelI14__hip_bfloat16S0_LN4vllm18Fp8KVCacheDataTypeE0ES0_Li32ELi128ELi256ELb0ELi3EEvPKT_PKT0_S8_ifPKiSA_SA_iPKfiiiPfSD_PS3_PT2_iSC_SC_: ; @_Z38paged_attention_ll4mi_QKV_mfma4_kernelI14__hip_bfloat16S0_LN4vllm18Fp8KVCacheDataTypeE0ES0_Li32ELi128ELi256ELb0ELi3EEvPKT_PKT0_S8_ifPKiSA_SA_iPKfiiiPfSD_PS3_PT2_iSC_SC_
; %bb.0:
	s_get_pc_i64 s[2:3]
	s_add_nc_u64 s[2:3], s[2:3], __PRETTY_FUNCTION__._Z38paged_attention_ll4mi_QKV_mfma4_kernelI14__hip_bfloat16S0_LN4vllm18Fp8KVCacheDataTypeE0ES0_Li32ELi128ELi256ELb0ELi3EEvPKT_PKT0_S8_ifPKiSA_SA_iPKfiiiPfSD_PS3_PT2_iSC_SC_@rel64+4
	s_delay_alu instid0(SALU_CYCLE_1)
	v_dual_mov_b32 v0, 0xbce :: v_dual_mov_b32 v1, s2
	v_mov_b32_e32 v2, s3
	s_add_nc_u64 s[8:9], s[0:1], 0x90
	s_get_pc_i64 s[0:1]
	s_add_nc_u64 s[0:1], s[0:1], __assert_fail@rel64+4
	s_mov_b32 s32, 0
	s_swap_pc_i64 s[30:31], s[0:1]
	.section	.rodata,"a",@progbits
	.p2align	6, 0x0
	.amdhsa_kernel _Z38paged_attention_ll4mi_QKV_mfma4_kernelI14__hip_bfloat16S0_LN4vllm18Fp8KVCacheDataTypeE0ES0_Li32ELi128ELi256ELb0ELi3EEvPKT_PKT0_S8_ifPKiSA_SA_iPKfiiiPfSD_PS3_PT2_iSC_SC_
		.amdhsa_group_segment_fixed_size 0
		.amdhsa_private_segment_fixed_size 64
		.amdhsa_kernarg_size 400
		.amdhsa_user_sgpr_count 2
		.amdhsa_user_sgpr_dispatch_ptr 0
		.amdhsa_user_sgpr_queue_ptr 0
		.amdhsa_user_sgpr_kernarg_segment_ptr 1
		.amdhsa_user_sgpr_dispatch_id 0
		.amdhsa_user_sgpr_kernarg_preload_length 0
		.amdhsa_user_sgpr_kernarg_preload_offset 0
		.amdhsa_user_sgpr_private_segment_size 0
		.amdhsa_wavefront_size32 1
		.amdhsa_uses_dynamic_stack 0
		.amdhsa_enable_private_segment 1
		.amdhsa_system_sgpr_workgroup_id_x 1
		.amdhsa_system_sgpr_workgroup_id_y 0
		.amdhsa_system_sgpr_workgroup_id_z 0
		.amdhsa_system_sgpr_workgroup_info 0
		.amdhsa_system_vgpr_workitem_id 0
		.amdhsa_next_free_vgpr 51
		.amdhsa_next_free_sgpr 34
		.amdhsa_named_barrier_count 0
		.amdhsa_reserve_vcc 1
		.amdhsa_float_round_mode_32 0
		.amdhsa_float_round_mode_16_64 0
		.amdhsa_float_denorm_mode_32 3
		.amdhsa_float_denorm_mode_16_64 3
		.amdhsa_fp16_overflow 0
		.amdhsa_memory_ordered 1
		.amdhsa_forward_progress 1
		.amdhsa_inst_pref_size 1
		.amdhsa_round_robin_scheduling 0
		.amdhsa_exception_fp_ieee_invalid_op 0
		.amdhsa_exception_fp_denorm_src 0
		.amdhsa_exception_fp_ieee_div_zero 0
		.amdhsa_exception_fp_ieee_overflow 0
		.amdhsa_exception_fp_ieee_underflow 0
		.amdhsa_exception_fp_ieee_inexact 0
		.amdhsa_exception_int_div_zero 0
	.end_amdhsa_kernel
	.section	.text._Z38paged_attention_ll4mi_QKV_mfma4_kernelI14__hip_bfloat16S0_LN4vllm18Fp8KVCacheDataTypeE0ES0_Li32ELi128ELi256ELb0ELi3EEvPKT_PKT0_S8_ifPKiSA_SA_iPKfiiiPfSD_PS3_PT2_iSC_SC_,"axG",@progbits,_Z38paged_attention_ll4mi_QKV_mfma4_kernelI14__hip_bfloat16S0_LN4vllm18Fp8KVCacheDataTypeE0ES0_Li32ELi128ELi256ELb0ELi3EEvPKT_PKT0_S8_ifPKiSA_SA_iPKfiiiPfSD_PS3_PT2_iSC_SC_,comdat
.Lfunc_end752:
	.size	_Z38paged_attention_ll4mi_QKV_mfma4_kernelI14__hip_bfloat16S0_LN4vllm18Fp8KVCacheDataTypeE0ES0_Li32ELi128ELi256ELb0ELi3EEvPKT_PKT0_S8_ifPKiSA_SA_iPKfiiiPfSD_PS3_PT2_iSC_SC_, .Lfunc_end752-_Z38paged_attention_ll4mi_QKV_mfma4_kernelI14__hip_bfloat16S0_LN4vllm18Fp8KVCacheDataTypeE0ES0_Li32ELi128ELi256ELb0ELi3EEvPKT_PKT0_S8_ifPKiSA_SA_iPKfiiiPfSD_PS3_PT2_iSC_SC_
                                        ; -- End function
	.set _Z38paged_attention_ll4mi_QKV_mfma4_kernelI14__hip_bfloat16S0_LN4vllm18Fp8KVCacheDataTypeE0ES0_Li32ELi128ELi256ELb0ELi3EEvPKT_PKT0_S8_ifPKiSA_SA_iPKfiiiPfSD_PS3_PT2_iSC_SC_.num_vgpr, max(3, .L__assert_fail.num_vgpr)
	.set _Z38paged_attention_ll4mi_QKV_mfma4_kernelI14__hip_bfloat16S0_LN4vllm18Fp8KVCacheDataTypeE0ES0_Li32ELi128ELi256ELb0ELi3EEvPKT_PKT0_S8_ifPKiSA_SA_iPKfiiiPfSD_PS3_PT2_iSC_SC_.num_agpr, max(0, .L__assert_fail.num_agpr)
	.set _Z38paged_attention_ll4mi_QKV_mfma4_kernelI14__hip_bfloat16S0_LN4vllm18Fp8KVCacheDataTypeE0ES0_Li32ELi128ELi256ELb0ELi3EEvPKT_PKT0_S8_ifPKiSA_SA_iPKfiiiPfSD_PS3_PT2_iSC_SC_.numbered_sgpr, max(33, .L__assert_fail.numbered_sgpr)
	.set _Z38paged_attention_ll4mi_QKV_mfma4_kernelI14__hip_bfloat16S0_LN4vllm18Fp8KVCacheDataTypeE0ES0_Li32ELi128ELi256ELb0ELi3EEvPKT_PKT0_S8_ifPKiSA_SA_iPKfiiiPfSD_PS3_PT2_iSC_SC_.num_named_barrier, max(0, .L__assert_fail.num_named_barrier)
	.set _Z38paged_attention_ll4mi_QKV_mfma4_kernelI14__hip_bfloat16S0_LN4vllm18Fp8KVCacheDataTypeE0ES0_Li32ELi128ELi256ELb0ELi3EEvPKT_PKT0_S8_ifPKiSA_SA_iPKfiiiPfSD_PS3_PT2_iSC_SC_.private_seg_size, 0+max(.L__assert_fail.private_seg_size)
	.set _Z38paged_attention_ll4mi_QKV_mfma4_kernelI14__hip_bfloat16S0_LN4vllm18Fp8KVCacheDataTypeE0ES0_Li32ELi128ELi256ELb0ELi3EEvPKT_PKT0_S8_ifPKiSA_SA_iPKfiiiPfSD_PS3_PT2_iSC_SC_.uses_vcc, or(1, .L__assert_fail.uses_vcc)
	.set _Z38paged_attention_ll4mi_QKV_mfma4_kernelI14__hip_bfloat16S0_LN4vllm18Fp8KVCacheDataTypeE0ES0_Li32ELi128ELi256ELb0ELi3EEvPKT_PKT0_S8_ifPKiSA_SA_iPKfiiiPfSD_PS3_PT2_iSC_SC_.uses_flat_scratch, or(0, .L__assert_fail.uses_flat_scratch)
	.set _Z38paged_attention_ll4mi_QKV_mfma4_kernelI14__hip_bfloat16S0_LN4vllm18Fp8KVCacheDataTypeE0ES0_Li32ELi128ELi256ELb0ELi3EEvPKT_PKT0_S8_ifPKiSA_SA_iPKfiiiPfSD_PS3_PT2_iSC_SC_.has_dyn_sized_stack, or(0, .L__assert_fail.has_dyn_sized_stack)
	.set _Z38paged_attention_ll4mi_QKV_mfma4_kernelI14__hip_bfloat16S0_LN4vllm18Fp8KVCacheDataTypeE0ES0_Li32ELi128ELi256ELb0ELi3EEvPKT_PKT0_S8_ifPKiSA_SA_iPKfiiiPfSD_PS3_PT2_iSC_SC_.has_recursion, or(0, .L__assert_fail.has_recursion)
	.set _Z38paged_attention_ll4mi_QKV_mfma4_kernelI14__hip_bfloat16S0_LN4vllm18Fp8KVCacheDataTypeE0ES0_Li32ELi128ELi256ELb0ELi3EEvPKT_PKT0_S8_ifPKiSA_SA_iPKfiiiPfSD_PS3_PT2_iSC_SC_.has_indirect_call, or(0, .L__assert_fail.has_indirect_call)
	.section	.AMDGPU.csdata,"",@progbits
; Kernel info:
; codeLenInByte = 68
; TotalNumSgprs: 36
; NumVgprs: 51
; ScratchSize: 64
; MemoryBound: 0
; FloatMode: 240
; IeeeMode: 1
; LDSByteSize: 0 bytes/workgroup (compile time only)
; SGPRBlocks: 0
; VGPRBlocks: 3
; NumSGPRsForWavesPerEU: 36
; NumVGPRsForWavesPerEU: 51
; NamedBarCnt: 0
; Occupancy: 16
; WaveLimiterHint : 1
; COMPUTE_PGM_RSRC2:SCRATCH_EN: 1
; COMPUTE_PGM_RSRC2:USER_SGPR: 2
; COMPUTE_PGM_RSRC2:TRAP_HANDLER: 0
; COMPUTE_PGM_RSRC2:TGID_X_EN: 1
; COMPUTE_PGM_RSRC2:TGID_Y_EN: 0
; COMPUTE_PGM_RSRC2:TGID_Z_EN: 0
; COMPUTE_PGM_RSRC2:TIDIG_COMP_CNT: 0
	.section	.text._Z38paged_attention_ll4mi_QKV_mfma4_kernelI14__hip_bfloat16S0_LN4vllm18Fp8KVCacheDataTypeE0ES0_Li32ELi128ELi256ELb0ELi4EEvPKT_PKT0_S8_ifPKiSA_SA_iPKfiiiPfSD_PS3_PT2_iSC_SC_,"axG",@progbits,_Z38paged_attention_ll4mi_QKV_mfma4_kernelI14__hip_bfloat16S0_LN4vllm18Fp8KVCacheDataTypeE0ES0_Li32ELi128ELi256ELb0ELi4EEvPKT_PKT0_S8_ifPKiSA_SA_iPKfiiiPfSD_PS3_PT2_iSC_SC_,comdat
	.protected	_Z38paged_attention_ll4mi_QKV_mfma4_kernelI14__hip_bfloat16S0_LN4vllm18Fp8KVCacheDataTypeE0ES0_Li32ELi128ELi256ELb0ELi4EEvPKT_PKT0_S8_ifPKiSA_SA_iPKfiiiPfSD_PS3_PT2_iSC_SC_ ; -- Begin function _Z38paged_attention_ll4mi_QKV_mfma4_kernelI14__hip_bfloat16S0_LN4vllm18Fp8KVCacheDataTypeE0ES0_Li32ELi128ELi256ELb0ELi4EEvPKT_PKT0_S8_ifPKiSA_SA_iPKfiiiPfSD_PS3_PT2_iSC_SC_
	.globl	_Z38paged_attention_ll4mi_QKV_mfma4_kernelI14__hip_bfloat16S0_LN4vllm18Fp8KVCacheDataTypeE0ES0_Li32ELi128ELi256ELb0ELi4EEvPKT_PKT0_S8_ifPKiSA_SA_iPKfiiiPfSD_PS3_PT2_iSC_SC_
	.p2align	8
	.type	_Z38paged_attention_ll4mi_QKV_mfma4_kernelI14__hip_bfloat16S0_LN4vllm18Fp8KVCacheDataTypeE0ES0_Li32ELi128ELi256ELb0ELi4EEvPKT_PKT0_S8_ifPKiSA_SA_iPKfiiiPfSD_PS3_PT2_iSC_SC_,@function
_Z38paged_attention_ll4mi_QKV_mfma4_kernelI14__hip_bfloat16S0_LN4vllm18Fp8KVCacheDataTypeE0ES0_Li32ELi128ELi256ELb0ELi4EEvPKT_PKT0_S8_ifPKiSA_SA_iPKfiiiPfSD_PS3_PT2_iSC_SC_: ; @_Z38paged_attention_ll4mi_QKV_mfma4_kernelI14__hip_bfloat16S0_LN4vllm18Fp8KVCacheDataTypeE0ES0_Li32ELi128ELi256ELb0ELi4EEvPKT_PKT0_S8_ifPKiSA_SA_iPKfiiiPfSD_PS3_PT2_iSC_SC_
; %bb.0:
	s_get_pc_i64 s[2:3]
	s_add_nc_u64 s[2:3], s[2:3], __PRETTY_FUNCTION__._Z38paged_attention_ll4mi_QKV_mfma4_kernelI14__hip_bfloat16S0_LN4vllm18Fp8KVCacheDataTypeE0ES0_Li32ELi128ELi256ELb0ELi4EEvPKT_PKT0_S8_ifPKiSA_SA_iPKfiiiPfSD_PS3_PT2_iSC_SC_@rel64+4
	s_delay_alu instid0(SALU_CYCLE_1)
	v_dual_mov_b32 v0, 0xbce :: v_dual_mov_b32 v1, s2
	v_mov_b32_e32 v2, s3
	s_add_nc_u64 s[8:9], s[0:1], 0x90
	s_get_pc_i64 s[0:1]
	s_add_nc_u64 s[0:1], s[0:1], __assert_fail@rel64+4
	s_mov_b32 s32, 0
	s_swap_pc_i64 s[30:31], s[0:1]
	.section	.rodata,"a",@progbits
	.p2align	6, 0x0
	.amdhsa_kernel _Z38paged_attention_ll4mi_QKV_mfma4_kernelI14__hip_bfloat16S0_LN4vllm18Fp8KVCacheDataTypeE0ES0_Li32ELi128ELi256ELb0ELi4EEvPKT_PKT0_S8_ifPKiSA_SA_iPKfiiiPfSD_PS3_PT2_iSC_SC_
		.amdhsa_group_segment_fixed_size 0
		.amdhsa_private_segment_fixed_size 64
		.amdhsa_kernarg_size 400
		.amdhsa_user_sgpr_count 2
		.amdhsa_user_sgpr_dispatch_ptr 0
		.amdhsa_user_sgpr_queue_ptr 0
		.amdhsa_user_sgpr_kernarg_segment_ptr 1
		.amdhsa_user_sgpr_dispatch_id 0
		.amdhsa_user_sgpr_kernarg_preload_length 0
		.amdhsa_user_sgpr_kernarg_preload_offset 0
		.amdhsa_user_sgpr_private_segment_size 0
		.amdhsa_wavefront_size32 1
		.amdhsa_uses_dynamic_stack 0
		.amdhsa_enable_private_segment 1
		.amdhsa_system_sgpr_workgroup_id_x 1
		.amdhsa_system_sgpr_workgroup_id_y 0
		.amdhsa_system_sgpr_workgroup_id_z 0
		.amdhsa_system_sgpr_workgroup_info 0
		.amdhsa_system_vgpr_workitem_id 0
		.amdhsa_next_free_vgpr 51
		.amdhsa_next_free_sgpr 34
		.amdhsa_named_barrier_count 0
		.amdhsa_reserve_vcc 1
		.amdhsa_float_round_mode_32 0
		.amdhsa_float_round_mode_16_64 0
		.amdhsa_float_denorm_mode_32 3
		.amdhsa_float_denorm_mode_16_64 3
		.amdhsa_fp16_overflow 0
		.amdhsa_memory_ordered 1
		.amdhsa_forward_progress 1
		.amdhsa_inst_pref_size 1
		.amdhsa_round_robin_scheduling 0
		.amdhsa_exception_fp_ieee_invalid_op 0
		.amdhsa_exception_fp_denorm_src 0
		.amdhsa_exception_fp_ieee_div_zero 0
		.amdhsa_exception_fp_ieee_overflow 0
		.amdhsa_exception_fp_ieee_underflow 0
		.amdhsa_exception_fp_ieee_inexact 0
		.amdhsa_exception_int_div_zero 0
	.end_amdhsa_kernel
	.section	.text._Z38paged_attention_ll4mi_QKV_mfma4_kernelI14__hip_bfloat16S0_LN4vllm18Fp8KVCacheDataTypeE0ES0_Li32ELi128ELi256ELb0ELi4EEvPKT_PKT0_S8_ifPKiSA_SA_iPKfiiiPfSD_PS3_PT2_iSC_SC_,"axG",@progbits,_Z38paged_attention_ll4mi_QKV_mfma4_kernelI14__hip_bfloat16S0_LN4vllm18Fp8KVCacheDataTypeE0ES0_Li32ELi128ELi256ELb0ELi4EEvPKT_PKT0_S8_ifPKiSA_SA_iPKfiiiPfSD_PS3_PT2_iSC_SC_,comdat
.Lfunc_end753:
	.size	_Z38paged_attention_ll4mi_QKV_mfma4_kernelI14__hip_bfloat16S0_LN4vllm18Fp8KVCacheDataTypeE0ES0_Li32ELi128ELi256ELb0ELi4EEvPKT_PKT0_S8_ifPKiSA_SA_iPKfiiiPfSD_PS3_PT2_iSC_SC_, .Lfunc_end753-_Z38paged_attention_ll4mi_QKV_mfma4_kernelI14__hip_bfloat16S0_LN4vllm18Fp8KVCacheDataTypeE0ES0_Li32ELi128ELi256ELb0ELi4EEvPKT_PKT0_S8_ifPKiSA_SA_iPKfiiiPfSD_PS3_PT2_iSC_SC_
                                        ; -- End function
	.set _Z38paged_attention_ll4mi_QKV_mfma4_kernelI14__hip_bfloat16S0_LN4vllm18Fp8KVCacheDataTypeE0ES0_Li32ELi128ELi256ELb0ELi4EEvPKT_PKT0_S8_ifPKiSA_SA_iPKfiiiPfSD_PS3_PT2_iSC_SC_.num_vgpr, max(3, .L__assert_fail.num_vgpr)
	.set _Z38paged_attention_ll4mi_QKV_mfma4_kernelI14__hip_bfloat16S0_LN4vllm18Fp8KVCacheDataTypeE0ES0_Li32ELi128ELi256ELb0ELi4EEvPKT_PKT0_S8_ifPKiSA_SA_iPKfiiiPfSD_PS3_PT2_iSC_SC_.num_agpr, max(0, .L__assert_fail.num_agpr)
	.set _Z38paged_attention_ll4mi_QKV_mfma4_kernelI14__hip_bfloat16S0_LN4vllm18Fp8KVCacheDataTypeE0ES0_Li32ELi128ELi256ELb0ELi4EEvPKT_PKT0_S8_ifPKiSA_SA_iPKfiiiPfSD_PS3_PT2_iSC_SC_.numbered_sgpr, max(33, .L__assert_fail.numbered_sgpr)
	.set _Z38paged_attention_ll4mi_QKV_mfma4_kernelI14__hip_bfloat16S0_LN4vllm18Fp8KVCacheDataTypeE0ES0_Li32ELi128ELi256ELb0ELi4EEvPKT_PKT0_S8_ifPKiSA_SA_iPKfiiiPfSD_PS3_PT2_iSC_SC_.num_named_barrier, max(0, .L__assert_fail.num_named_barrier)
	.set _Z38paged_attention_ll4mi_QKV_mfma4_kernelI14__hip_bfloat16S0_LN4vllm18Fp8KVCacheDataTypeE0ES0_Li32ELi128ELi256ELb0ELi4EEvPKT_PKT0_S8_ifPKiSA_SA_iPKfiiiPfSD_PS3_PT2_iSC_SC_.private_seg_size, 0+max(.L__assert_fail.private_seg_size)
	.set _Z38paged_attention_ll4mi_QKV_mfma4_kernelI14__hip_bfloat16S0_LN4vllm18Fp8KVCacheDataTypeE0ES0_Li32ELi128ELi256ELb0ELi4EEvPKT_PKT0_S8_ifPKiSA_SA_iPKfiiiPfSD_PS3_PT2_iSC_SC_.uses_vcc, or(1, .L__assert_fail.uses_vcc)
	.set _Z38paged_attention_ll4mi_QKV_mfma4_kernelI14__hip_bfloat16S0_LN4vllm18Fp8KVCacheDataTypeE0ES0_Li32ELi128ELi256ELb0ELi4EEvPKT_PKT0_S8_ifPKiSA_SA_iPKfiiiPfSD_PS3_PT2_iSC_SC_.uses_flat_scratch, or(0, .L__assert_fail.uses_flat_scratch)
	.set _Z38paged_attention_ll4mi_QKV_mfma4_kernelI14__hip_bfloat16S0_LN4vllm18Fp8KVCacheDataTypeE0ES0_Li32ELi128ELi256ELb0ELi4EEvPKT_PKT0_S8_ifPKiSA_SA_iPKfiiiPfSD_PS3_PT2_iSC_SC_.has_dyn_sized_stack, or(0, .L__assert_fail.has_dyn_sized_stack)
	.set _Z38paged_attention_ll4mi_QKV_mfma4_kernelI14__hip_bfloat16S0_LN4vllm18Fp8KVCacheDataTypeE0ES0_Li32ELi128ELi256ELb0ELi4EEvPKT_PKT0_S8_ifPKiSA_SA_iPKfiiiPfSD_PS3_PT2_iSC_SC_.has_recursion, or(0, .L__assert_fail.has_recursion)
	.set _Z38paged_attention_ll4mi_QKV_mfma4_kernelI14__hip_bfloat16S0_LN4vllm18Fp8KVCacheDataTypeE0ES0_Li32ELi128ELi256ELb0ELi4EEvPKT_PKT0_S8_ifPKiSA_SA_iPKfiiiPfSD_PS3_PT2_iSC_SC_.has_indirect_call, or(0, .L__assert_fail.has_indirect_call)
	.section	.AMDGPU.csdata,"",@progbits
; Kernel info:
; codeLenInByte = 68
; TotalNumSgprs: 36
; NumVgprs: 51
; ScratchSize: 64
; MemoryBound: 0
; FloatMode: 240
; IeeeMode: 1
; LDSByteSize: 0 bytes/workgroup (compile time only)
; SGPRBlocks: 0
; VGPRBlocks: 3
; NumSGPRsForWavesPerEU: 36
; NumVGPRsForWavesPerEU: 51
; NamedBarCnt: 0
; Occupancy: 16
; WaveLimiterHint : 1
; COMPUTE_PGM_RSRC2:SCRATCH_EN: 1
; COMPUTE_PGM_RSRC2:USER_SGPR: 2
; COMPUTE_PGM_RSRC2:TRAP_HANDLER: 0
; COMPUTE_PGM_RSRC2:TGID_X_EN: 1
; COMPUTE_PGM_RSRC2:TGID_Y_EN: 0
; COMPUTE_PGM_RSRC2:TGID_Z_EN: 0
; COMPUTE_PGM_RSRC2:TIDIG_COMP_CNT: 0
	.section	.text._Z39paged_attention_ll4mi_QKV_mfma16_kernelI14__hip_bfloat16S0_LN4vllm18Fp8KVCacheDataTypeE0ES0_Li32ELi128ELi256ELb0ELi5EEvPKT_PKT0_S8_ifPKiSA_SA_iPKfiiiPfSD_PS3_PT2_iSC_SC_,"axG",@progbits,_Z39paged_attention_ll4mi_QKV_mfma16_kernelI14__hip_bfloat16S0_LN4vllm18Fp8KVCacheDataTypeE0ES0_Li32ELi128ELi256ELb0ELi5EEvPKT_PKT0_S8_ifPKiSA_SA_iPKfiiiPfSD_PS3_PT2_iSC_SC_,comdat
	.protected	_Z39paged_attention_ll4mi_QKV_mfma16_kernelI14__hip_bfloat16S0_LN4vllm18Fp8KVCacheDataTypeE0ES0_Li32ELi128ELi256ELb0ELi5EEvPKT_PKT0_S8_ifPKiSA_SA_iPKfiiiPfSD_PS3_PT2_iSC_SC_ ; -- Begin function _Z39paged_attention_ll4mi_QKV_mfma16_kernelI14__hip_bfloat16S0_LN4vllm18Fp8KVCacheDataTypeE0ES0_Li32ELi128ELi256ELb0ELi5EEvPKT_PKT0_S8_ifPKiSA_SA_iPKfiiiPfSD_PS3_PT2_iSC_SC_
	.globl	_Z39paged_attention_ll4mi_QKV_mfma16_kernelI14__hip_bfloat16S0_LN4vllm18Fp8KVCacheDataTypeE0ES0_Li32ELi128ELi256ELb0ELi5EEvPKT_PKT0_S8_ifPKiSA_SA_iPKfiiiPfSD_PS3_PT2_iSC_SC_
	.p2align	8
	.type	_Z39paged_attention_ll4mi_QKV_mfma16_kernelI14__hip_bfloat16S0_LN4vllm18Fp8KVCacheDataTypeE0ES0_Li32ELi128ELi256ELb0ELi5EEvPKT_PKT0_S8_ifPKiSA_SA_iPKfiiiPfSD_PS3_PT2_iSC_SC_,@function
_Z39paged_attention_ll4mi_QKV_mfma16_kernelI14__hip_bfloat16S0_LN4vllm18Fp8KVCacheDataTypeE0ES0_Li32ELi128ELi256ELb0ELi5EEvPKT_PKT0_S8_ifPKiSA_SA_iPKfiiiPfSD_PS3_PT2_iSC_SC_: ; @_Z39paged_attention_ll4mi_QKV_mfma16_kernelI14__hip_bfloat16S0_LN4vllm18Fp8KVCacheDataTypeE0ES0_Li32ELi128ELi256ELb0ELi5EEvPKT_PKT0_S8_ifPKiSA_SA_iPKfiiiPfSD_PS3_PT2_iSC_SC_
; %bb.0:
	s_get_pc_i64 s[2:3]
	s_add_nc_u64 s[2:3], s[2:3], __PRETTY_FUNCTION__._Z39paged_attention_ll4mi_QKV_mfma16_kernelI14__hip_bfloat16S0_LN4vllm18Fp8KVCacheDataTypeE0ES0_Li32ELi128ELi256ELb0ELi5EEvPKT_PKT0_S8_ifPKiSA_SA_iPKfiiiPfSD_PS3_PT2_iSC_SC_@rel64+4
	s_delay_alu instid0(SALU_CYCLE_1)
	v_dual_mov_b32 v0, 0xbb3 :: v_dual_mov_b32 v1, s2
	v_mov_b32_e32 v2, s3
	s_add_nc_u64 s[8:9], s[0:1], 0x90
	s_get_pc_i64 s[0:1]
	s_add_nc_u64 s[0:1], s[0:1], __assert_fail@rel64+4
	s_mov_b32 s32, 0
	s_swap_pc_i64 s[30:31], s[0:1]
	.section	.rodata,"a",@progbits
	.p2align	6, 0x0
	.amdhsa_kernel _Z39paged_attention_ll4mi_QKV_mfma16_kernelI14__hip_bfloat16S0_LN4vllm18Fp8KVCacheDataTypeE0ES0_Li32ELi128ELi256ELb0ELi5EEvPKT_PKT0_S8_ifPKiSA_SA_iPKfiiiPfSD_PS3_PT2_iSC_SC_
		.amdhsa_group_segment_fixed_size 0
		.amdhsa_private_segment_fixed_size 64
		.amdhsa_kernarg_size 400
		.amdhsa_user_sgpr_count 2
		.amdhsa_user_sgpr_dispatch_ptr 0
		.amdhsa_user_sgpr_queue_ptr 0
		.amdhsa_user_sgpr_kernarg_segment_ptr 1
		.amdhsa_user_sgpr_dispatch_id 0
		.amdhsa_user_sgpr_kernarg_preload_length 0
		.amdhsa_user_sgpr_kernarg_preload_offset 0
		.amdhsa_user_sgpr_private_segment_size 0
		.amdhsa_wavefront_size32 1
		.amdhsa_uses_dynamic_stack 0
		.amdhsa_enable_private_segment 1
		.amdhsa_system_sgpr_workgroup_id_x 1
		.amdhsa_system_sgpr_workgroup_id_y 0
		.amdhsa_system_sgpr_workgroup_id_z 0
		.amdhsa_system_sgpr_workgroup_info 0
		.amdhsa_system_vgpr_workitem_id 0
		.amdhsa_next_free_vgpr 51
		.amdhsa_next_free_sgpr 34
		.amdhsa_named_barrier_count 0
		.amdhsa_reserve_vcc 1
		.amdhsa_float_round_mode_32 0
		.amdhsa_float_round_mode_16_64 0
		.amdhsa_float_denorm_mode_32 3
		.amdhsa_float_denorm_mode_16_64 3
		.amdhsa_fp16_overflow 0
		.amdhsa_memory_ordered 1
		.amdhsa_forward_progress 1
		.amdhsa_inst_pref_size 1
		.amdhsa_round_robin_scheduling 0
		.amdhsa_exception_fp_ieee_invalid_op 0
		.amdhsa_exception_fp_denorm_src 0
		.amdhsa_exception_fp_ieee_div_zero 0
		.amdhsa_exception_fp_ieee_overflow 0
		.amdhsa_exception_fp_ieee_underflow 0
		.amdhsa_exception_fp_ieee_inexact 0
		.amdhsa_exception_int_div_zero 0
	.end_amdhsa_kernel
	.section	.text._Z39paged_attention_ll4mi_QKV_mfma16_kernelI14__hip_bfloat16S0_LN4vllm18Fp8KVCacheDataTypeE0ES0_Li32ELi128ELi256ELb0ELi5EEvPKT_PKT0_S8_ifPKiSA_SA_iPKfiiiPfSD_PS3_PT2_iSC_SC_,"axG",@progbits,_Z39paged_attention_ll4mi_QKV_mfma16_kernelI14__hip_bfloat16S0_LN4vllm18Fp8KVCacheDataTypeE0ES0_Li32ELi128ELi256ELb0ELi5EEvPKT_PKT0_S8_ifPKiSA_SA_iPKfiiiPfSD_PS3_PT2_iSC_SC_,comdat
.Lfunc_end754:
	.size	_Z39paged_attention_ll4mi_QKV_mfma16_kernelI14__hip_bfloat16S0_LN4vllm18Fp8KVCacheDataTypeE0ES0_Li32ELi128ELi256ELb0ELi5EEvPKT_PKT0_S8_ifPKiSA_SA_iPKfiiiPfSD_PS3_PT2_iSC_SC_, .Lfunc_end754-_Z39paged_attention_ll4mi_QKV_mfma16_kernelI14__hip_bfloat16S0_LN4vllm18Fp8KVCacheDataTypeE0ES0_Li32ELi128ELi256ELb0ELi5EEvPKT_PKT0_S8_ifPKiSA_SA_iPKfiiiPfSD_PS3_PT2_iSC_SC_
                                        ; -- End function
	.set _Z39paged_attention_ll4mi_QKV_mfma16_kernelI14__hip_bfloat16S0_LN4vllm18Fp8KVCacheDataTypeE0ES0_Li32ELi128ELi256ELb0ELi5EEvPKT_PKT0_S8_ifPKiSA_SA_iPKfiiiPfSD_PS3_PT2_iSC_SC_.num_vgpr, max(3, .L__assert_fail.num_vgpr)
	.set _Z39paged_attention_ll4mi_QKV_mfma16_kernelI14__hip_bfloat16S0_LN4vllm18Fp8KVCacheDataTypeE0ES0_Li32ELi128ELi256ELb0ELi5EEvPKT_PKT0_S8_ifPKiSA_SA_iPKfiiiPfSD_PS3_PT2_iSC_SC_.num_agpr, max(0, .L__assert_fail.num_agpr)
	.set _Z39paged_attention_ll4mi_QKV_mfma16_kernelI14__hip_bfloat16S0_LN4vllm18Fp8KVCacheDataTypeE0ES0_Li32ELi128ELi256ELb0ELi5EEvPKT_PKT0_S8_ifPKiSA_SA_iPKfiiiPfSD_PS3_PT2_iSC_SC_.numbered_sgpr, max(33, .L__assert_fail.numbered_sgpr)
	.set _Z39paged_attention_ll4mi_QKV_mfma16_kernelI14__hip_bfloat16S0_LN4vllm18Fp8KVCacheDataTypeE0ES0_Li32ELi128ELi256ELb0ELi5EEvPKT_PKT0_S8_ifPKiSA_SA_iPKfiiiPfSD_PS3_PT2_iSC_SC_.num_named_barrier, max(0, .L__assert_fail.num_named_barrier)
	.set _Z39paged_attention_ll4mi_QKV_mfma16_kernelI14__hip_bfloat16S0_LN4vllm18Fp8KVCacheDataTypeE0ES0_Li32ELi128ELi256ELb0ELi5EEvPKT_PKT0_S8_ifPKiSA_SA_iPKfiiiPfSD_PS3_PT2_iSC_SC_.private_seg_size, 0+max(.L__assert_fail.private_seg_size)
	.set _Z39paged_attention_ll4mi_QKV_mfma16_kernelI14__hip_bfloat16S0_LN4vllm18Fp8KVCacheDataTypeE0ES0_Li32ELi128ELi256ELb0ELi5EEvPKT_PKT0_S8_ifPKiSA_SA_iPKfiiiPfSD_PS3_PT2_iSC_SC_.uses_vcc, or(1, .L__assert_fail.uses_vcc)
	.set _Z39paged_attention_ll4mi_QKV_mfma16_kernelI14__hip_bfloat16S0_LN4vllm18Fp8KVCacheDataTypeE0ES0_Li32ELi128ELi256ELb0ELi5EEvPKT_PKT0_S8_ifPKiSA_SA_iPKfiiiPfSD_PS3_PT2_iSC_SC_.uses_flat_scratch, or(0, .L__assert_fail.uses_flat_scratch)
	.set _Z39paged_attention_ll4mi_QKV_mfma16_kernelI14__hip_bfloat16S0_LN4vllm18Fp8KVCacheDataTypeE0ES0_Li32ELi128ELi256ELb0ELi5EEvPKT_PKT0_S8_ifPKiSA_SA_iPKfiiiPfSD_PS3_PT2_iSC_SC_.has_dyn_sized_stack, or(0, .L__assert_fail.has_dyn_sized_stack)
	.set _Z39paged_attention_ll4mi_QKV_mfma16_kernelI14__hip_bfloat16S0_LN4vllm18Fp8KVCacheDataTypeE0ES0_Li32ELi128ELi256ELb0ELi5EEvPKT_PKT0_S8_ifPKiSA_SA_iPKfiiiPfSD_PS3_PT2_iSC_SC_.has_recursion, or(0, .L__assert_fail.has_recursion)
	.set _Z39paged_attention_ll4mi_QKV_mfma16_kernelI14__hip_bfloat16S0_LN4vllm18Fp8KVCacheDataTypeE0ES0_Li32ELi128ELi256ELb0ELi5EEvPKT_PKT0_S8_ifPKiSA_SA_iPKfiiiPfSD_PS3_PT2_iSC_SC_.has_indirect_call, or(0, .L__assert_fail.has_indirect_call)
	.section	.AMDGPU.csdata,"",@progbits
; Kernel info:
; codeLenInByte = 68
; TotalNumSgprs: 36
; NumVgprs: 51
; ScratchSize: 64
; MemoryBound: 0
; FloatMode: 240
; IeeeMode: 1
; LDSByteSize: 0 bytes/workgroup (compile time only)
; SGPRBlocks: 0
; VGPRBlocks: 3
; NumSGPRsForWavesPerEU: 36
; NumVGPRsForWavesPerEU: 51
; NamedBarCnt: 0
; Occupancy: 16
; WaveLimiterHint : 1
; COMPUTE_PGM_RSRC2:SCRATCH_EN: 1
; COMPUTE_PGM_RSRC2:USER_SGPR: 2
; COMPUTE_PGM_RSRC2:TRAP_HANDLER: 0
; COMPUTE_PGM_RSRC2:TGID_X_EN: 1
; COMPUTE_PGM_RSRC2:TGID_Y_EN: 0
; COMPUTE_PGM_RSRC2:TGID_Z_EN: 0
; COMPUTE_PGM_RSRC2:TIDIG_COMP_CNT: 0
	.section	.text._Z39paged_attention_ll4mi_QKV_mfma16_kernelI14__hip_bfloat16S0_LN4vllm18Fp8KVCacheDataTypeE0ES0_Li32ELi128ELi256ELb0ELi6EEvPKT_PKT0_S8_ifPKiSA_SA_iPKfiiiPfSD_PS3_PT2_iSC_SC_,"axG",@progbits,_Z39paged_attention_ll4mi_QKV_mfma16_kernelI14__hip_bfloat16S0_LN4vllm18Fp8KVCacheDataTypeE0ES0_Li32ELi128ELi256ELb0ELi6EEvPKT_PKT0_S8_ifPKiSA_SA_iPKfiiiPfSD_PS3_PT2_iSC_SC_,comdat
	.protected	_Z39paged_attention_ll4mi_QKV_mfma16_kernelI14__hip_bfloat16S0_LN4vllm18Fp8KVCacheDataTypeE0ES0_Li32ELi128ELi256ELb0ELi6EEvPKT_PKT0_S8_ifPKiSA_SA_iPKfiiiPfSD_PS3_PT2_iSC_SC_ ; -- Begin function _Z39paged_attention_ll4mi_QKV_mfma16_kernelI14__hip_bfloat16S0_LN4vllm18Fp8KVCacheDataTypeE0ES0_Li32ELi128ELi256ELb0ELi6EEvPKT_PKT0_S8_ifPKiSA_SA_iPKfiiiPfSD_PS3_PT2_iSC_SC_
	.globl	_Z39paged_attention_ll4mi_QKV_mfma16_kernelI14__hip_bfloat16S0_LN4vllm18Fp8KVCacheDataTypeE0ES0_Li32ELi128ELi256ELb0ELi6EEvPKT_PKT0_S8_ifPKiSA_SA_iPKfiiiPfSD_PS3_PT2_iSC_SC_
	.p2align	8
	.type	_Z39paged_attention_ll4mi_QKV_mfma16_kernelI14__hip_bfloat16S0_LN4vllm18Fp8KVCacheDataTypeE0ES0_Li32ELi128ELi256ELb0ELi6EEvPKT_PKT0_S8_ifPKiSA_SA_iPKfiiiPfSD_PS3_PT2_iSC_SC_,@function
_Z39paged_attention_ll4mi_QKV_mfma16_kernelI14__hip_bfloat16S0_LN4vllm18Fp8KVCacheDataTypeE0ES0_Li32ELi128ELi256ELb0ELi6EEvPKT_PKT0_S8_ifPKiSA_SA_iPKfiiiPfSD_PS3_PT2_iSC_SC_: ; @_Z39paged_attention_ll4mi_QKV_mfma16_kernelI14__hip_bfloat16S0_LN4vllm18Fp8KVCacheDataTypeE0ES0_Li32ELi128ELi256ELb0ELi6EEvPKT_PKT0_S8_ifPKiSA_SA_iPKfiiiPfSD_PS3_PT2_iSC_SC_
; %bb.0:
	s_get_pc_i64 s[2:3]
	s_add_nc_u64 s[2:3], s[2:3], __PRETTY_FUNCTION__._Z39paged_attention_ll4mi_QKV_mfma16_kernelI14__hip_bfloat16S0_LN4vllm18Fp8KVCacheDataTypeE0ES0_Li32ELi128ELi256ELb0ELi6EEvPKT_PKT0_S8_ifPKiSA_SA_iPKfiiiPfSD_PS3_PT2_iSC_SC_@rel64+4
	s_delay_alu instid0(SALU_CYCLE_1)
	v_dual_mov_b32 v0, 0xbb3 :: v_dual_mov_b32 v1, s2
	v_mov_b32_e32 v2, s3
	s_add_nc_u64 s[8:9], s[0:1], 0x90
	s_get_pc_i64 s[0:1]
	s_add_nc_u64 s[0:1], s[0:1], __assert_fail@rel64+4
	s_mov_b32 s32, 0
	s_swap_pc_i64 s[30:31], s[0:1]
	.section	.rodata,"a",@progbits
	.p2align	6, 0x0
	.amdhsa_kernel _Z39paged_attention_ll4mi_QKV_mfma16_kernelI14__hip_bfloat16S0_LN4vllm18Fp8KVCacheDataTypeE0ES0_Li32ELi128ELi256ELb0ELi6EEvPKT_PKT0_S8_ifPKiSA_SA_iPKfiiiPfSD_PS3_PT2_iSC_SC_
		.amdhsa_group_segment_fixed_size 0
		.amdhsa_private_segment_fixed_size 64
		.amdhsa_kernarg_size 400
		.amdhsa_user_sgpr_count 2
		.amdhsa_user_sgpr_dispatch_ptr 0
		.amdhsa_user_sgpr_queue_ptr 0
		.amdhsa_user_sgpr_kernarg_segment_ptr 1
		.amdhsa_user_sgpr_dispatch_id 0
		.amdhsa_user_sgpr_kernarg_preload_length 0
		.amdhsa_user_sgpr_kernarg_preload_offset 0
		.amdhsa_user_sgpr_private_segment_size 0
		.amdhsa_wavefront_size32 1
		.amdhsa_uses_dynamic_stack 0
		.amdhsa_enable_private_segment 1
		.amdhsa_system_sgpr_workgroup_id_x 1
		.amdhsa_system_sgpr_workgroup_id_y 0
		.amdhsa_system_sgpr_workgroup_id_z 0
		.amdhsa_system_sgpr_workgroup_info 0
		.amdhsa_system_vgpr_workitem_id 0
		.amdhsa_next_free_vgpr 51
		.amdhsa_next_free_sgpr 34
		.amdhsa_named_barrier_count 0
		.amdhsa_reserve_vcc 1
		.amdhsa_float_round_mode_32 0
		.amdhsa_float_round_mode_16_64 0
		.amdhsa_float_denorm_mode_32 3
		.amdhsa_float_denorm_mode_16_64 3
		.amdhsa_fp16_overflow 0
		.amdhsa_memory_ordered 1
		.amdhsa_forward_progress 1
		.amdhsa_inst_pref_size 1
		.amdhsa_round_robin_scheduling 0
		.amdhsa_exception_fp_ieee_invalid_op 0
		.amdhsa_exception_fp_denorm_src 0
		.amdhsa_exception_fp_ieee_div_zero 0
		.amdhsa_exception_fp_ieee_overflow 0
		.amdhsa_exception_fp_ieee_underflow 0
		.amdhsa_exception_fp_ieee_inexact 0
		.amdhsa_exception_int_div_zero 0
	.end_amdhsa_kernel
	.section	.text._Z39paged_attention_ll4mi_QKV_mfma16_kernelI14__hip_bfloat16S0_LN4vllm18Fp8KVCacheDataTypeE0ES0_Li32ELi128ELi256ELb0ELi6EEvPKT_PKT0_S8_ifPKiSA_SA_iPKfiiiPfSD_PS3_PT2_iSC_SC_,"axG",@progbits,_Z39paged_attention_ll4mi_QKV_mfma16_kernelI14__hip_bfloat16S0_LN4vllm18Fp8KVCacheDataTypeE0ES0_Li32ELi128ELi256ELb0ELi6EEvPKT_PKT0_S8_ifPKiSA_SA_iPKfiiiPfSD_PS3_PT2_iSC_SC_,comdat
.Lfunc_end755:
	.size	_Z39paged_attention_ll4mi_QKV_mfma16_kernelI14__hip_bfloat16S0_LN4vllm18Fp8KVCacheDataTypeE0ES0_Li32ELi128ELi256ELb0ELi6EEvPKT_PKT0_S8_ifPKiSA_SA_iPKfiiiPfSD_PS3_PT2_iSC_SC_, .Lfunc_end755-_Z39paged_attention_ll4mi_QKV_mfma16_kernelI14__hip_bfloat16S0_LN4vllm18Fp8KVCacheDataTypeE0ES0_Li32ELi128ELi256ELb0ELi6EEvPKT_PKT0_S8_ifPKiSA_SA_iPKfiiiPfSD_PS3_PT2_iSC_SC_
                                        ; -- End function
	.set _Z39paged_attention_ll4mi_QKV_mfma16_kernelI14__hip_bfloat16S0_LN4vllm18Fp8KVCacheDataTypeE0ES0_Li32ELi128ELi256ELb0ELi6EEvPKT_PKT0_S8_ifPKiSA_SA_iPKfiiiPfSD_PS3_PT2_iSC_SC_.num_vgpr, max(3, .L__assert_fail.num_vgpr)
	.set _Z39paged_attention_ll4mi_QKV_mfma16_kernelI14__hip_bfloat16S0_LN4vllm18Fp8KVCacheDataTypeE0ES0_Li32ELi128ELi256ELb0ELi6EEvPKT_PKT0_S8_ifPKiSA_SA_iPKfiiiPfSD_PS3_PT2_iSC_SC_.num_agpr, max(0, .L__assert_fail.num_agpr)
	.set _Z39paged_attention_ll4mi_QKV_mfma16_kernelI14__hip_bfloat16S0_LN4vllm18Fp8KVCacheDataTypeE0ES0_Li32ELi128ELi256ELb0ELi6EEvPKT_PKT0_S8_ifPKiSA_SA_iPKfiiiPfSD_PS3_PT2_iSC_SC_.numbered_sgpr, max(33, .L__assert_fail.numbered_sgpr)
	.set _Z39paged_attention_ll4mi_QKV_mfma16_kernelI14__hip_bfloat16S0_LN4vllm18Fp8KVCacheDataTypeE0ES0_Li32ELi128ELi256ELb0ELi6EEvPKT_PKT0_S8_ifPKiSA_SA_iPKfiiiPfSD_PS3_PT2_iSC_SC_.num_named_barrier, max(0, .L__assert_fail.num_named_barrier)
	.set _Z39paged_attention_ll4mi_QKV_mfma16_kernelI14__hip_bfloat16S0_LN4vllm18Fp8KVCacheDataTypeE0ES0_Li32ELi128ELi256ELb0ELi6EEvPKT_PKT0_S8_ifPKiSA_SA_iPKfiiiPfSD_PS3_PT2_iSC_SC_.private_seg_size, 0+max(.L__assert_fail.private_seg_size)
	.set _Z39paged_attention_ll4mi_QKV_mfma16_kernelI14__hip_bfloat16S0_LN4vllm18Fp8KVCacheDataTypeE0ES0_Li32ELi128ELi256ELb0ELi6EEvPKT_PKT0_S8_ifPKiSA_SA_iPKfiiiPfSD_PS3_PT2_iSC_SC_.uses_vcc, or(1, .L__assert_fail.uses_vcc)
	.set _Z39paged_attention_ll4mi_QKV_mfma16_kernelI14__hip_bfloat16S0_LN4vllm18Fp8KVCacheDataTypeE0ES0_Li32ELi128ELi256ELb0ELi6EEvPKT_PKT0_S8_ifPKiSA_SA_iPKfiiiPfSD_PS3_PT2_iSC_SC_.uses_flat_scratch, or(0, .L__assert_fail.uses_flat_scratch)
	.set _Z39paged_attention_ll4mi_QKV_mfma16_kernelI14__hip_bfloat16S0_LN4vllm18Fp8KVCacheDataTypeE0ES0_Li32ELi128ELi256ELb0ELi6EEvPKT_PKT0_S8_ifPKiSA_SA_iPKfiiiPfSD_PS3_PT2_iSC_SC_.has_dyn_sized_stack, or(0, .L__assert_fail.has_dyn_sized_stack)
	.set _Z39paged_attention_ll4mi_QKV_mfma16_kernelI14__hip_bfloat16S0_LN4vllm18Fp8KVCacheDataTypeE0ES0_Li32ELi128ELi256ELb0ELi6EEvPKT_PKT0_S8_ifPKiSA_SA_iPKfiiiPfSD_PS3_PT2_iSC_SC_.has_recursion, or(0, .L__assert_fail.has_recursion)
	.set _Z39paged_attention_ll4mi_QKV_mfma16_kernelI14__hip_bfloat16S0_LN4vllm18Fp8KVCacheDataTypeE0ES0_Li32ELi128ELi256ELb0ELi6EEvPKT_PKT0_S8_ifPKiSA_SA_iPKfiiiPfSD_PS3_PT2_iSC_SC_.has_indirect_call, or(0, .L__assert_fail.has_indirect_call)
	.section	.AMDGPU.csdata,"",@progbits
; Kernel info:
; codeLenInByte = 68
; TotalNumSgprs: 36
; NumVgprs: 51
; ScratchSize: 64
; MemoryBound: 0
; FloatMode: 240
; IeeeMode: 1
; LDSByteSize: 0 bytes/workgroup (compile time only)
; SGPRBlocks: 0
; VGPRBlocks: 3
; NumSGPRsForWavesPerEU: 36
; NumVGPRsForWavesPerEU: 51
; NamedBarCnt: 0
; Occupancy: 16
; WaveLimiterHint : 1
; COMPUTE_PGM_RSRC2:SCRATCH_EN: 1
; COMPUTE_PGM_RSRC2:USER_SGPR: 2
; COMPUTE_PGM_RSRC2:TRAP_HANDLER: 0
; COMPUTE_PGM_RSRC2:TGID_X_EN: 1
; COMPUTE_PGM_RSRC2:TGID_Y_EN: 0
; COMPUTE_PGM_RSRC2:TGID_Z_EN: 0
; COMPUTE_PGM_RSRC2:TIDIG_COMP_CNT: 0
	.section	.text._Z39paged_attention_ll4mi_QKV_mfma16_kernelI14__hip_bfloat16S0_LN4vllm18Fp8KVCacheDataTypeE0ES0_Li32ELi128ELi256ELb0ELi7EEvPKT_PKT0_S8_ifPKiSA_SA_iPKfiiiPfSD_PS3_PT2_iSC_SC_,"axG",@progbits,_Z39paged_attention_ll4mi_QKV_mfma16_kernelI14__hip_bfloat16S0_LN4vllm18Fp8KVCacheDataTypeE0ES0_Li32ELi128ELi256ELb0ELi7EEvPKT_PKT0_S8_ifPKiSA_SA_iPKfiiiPfSD_PS3_PT2_iSC_SC_,comdat
	.protected	_Z39paged_attention_ll4mi_QKV_mfma16_kernelI14__hip_bfloat16S0_LN4vllm18Fp8KVCacheDataTypeE0ES0_Li32ELi128ELi256ELb0ELi7EEvPKT_PKT0_S8_ifPKiSA_SA_iPKfiiiPfSD_PS3_PT2_iSC_SC_ ; -- Begin function _Z39paged_attention_ll4mi_QKV_mfma16_kernelI14__hip_bfloat16S0_LN4vllm18Fp8KVCacheDataTypeE0ES0_Li32ELi128ELi256ELb0ELi7EEvPKT_PKT0_S8_ifPKiSA_SA_iPKfiiiPfSD_PS3_PT2_iSC_SC_
	.globl	_Z39paged_attention_ll4mi_QKV_mfma16_kernelI14__hip_bfloat16S0_LN4vllm18Fp8KVCacheDataTypeE0ES0_Li32ELi128ELi256ELb0ELi7EEvPKT_PKT0_S8_ifPKiSA_SA_iPKfiiiPfSD_PS3_PT2_iSC_SC_
	.p2align	8
	.type	_Z39paged_attention_ll4mi_QKV_mfma16_kernelI14__hip_bfloat16S0_LN4vllm18Fp8KVCacheDataTypeE0ES0_Li32ELi128ELi256ELb0ELi7EEvPKT_PKT0_S8_ifPKiSA_SA_iPKfiiiPfSD_PS3_PT2_iSC_SC_,@function
_Z39paged_attention_ll4mi_QKV_mfma16_kernelI14__hip_bfloat16S0_LN4vllm18Fp8KVCacheDataTypeE0ES0_Li32ELi128ELi256ELb0ELi7EEvPKT_PKT0_S8_ifPKiSA_SA_iPKfiiiPfSD_PS3_PT2_iSC_SC_: ; @_Z39paged_attention_ll4mi_QKV_mfma16_kernelI14__hip_bfloat16S0_LN4vllm18Fp8KVCacheDataTypeE0ES0_Li32ELi128ELi256ELb0ELi7EEvPKT_PKT0_S8_ifPKiSA_SA_iPKfiiiPfSD_PS3_PT2_iSC_SC_
; %bb.0:
	s_get_pc_i64 s[2:3]
	s_add_nc_u64 s[2:3], s[2:3], __PRETTY_FUNCTION__._Z39paged_attention_ll4mi_QKV_mfma16_kernelI14__hip_bfloat16S0_LN4vllm18Fp8KVCacheDataTypeE0ES0_Li32ELi128ELi256ELb0ELi7EEvPKT_PKT0_S8_ifPKiSA_SA_iPKfiiiPfSD_PS3_PT2_iSC_SC_@rel64+4
	s_delay_alu instid0(SALU_CYCLE_1)
	v_dual_mov_b32 v0, 0xbb3 :: v_dual_mov_b32 v1, s2
	v_mov_b32_e32 v2, s3
	s_add_nc_u64 s[8:9], s[0:1], 0x90
	s_get_pc_i64 s[0:1]
	s_add_nc_u64 s[0:1], s[0:1], __assert_fail@rel64+4
	s_mov_b32 s32, 0
	s_swap_pc_i64 s[30:31], s[0:1]
	.section	.rodata,"a",@progbits
	.p2align	6, 0x0
	.amdhsa_kernel _Z39paged_attention_ll4mi_QKV_mfma16_kernelI14__hip_bfloat16S0_LN4vllm18Fp8KVCacheDataTypeE0ES0_Li32ELi128ELi256ELb0ELi7EEvPKT_PKT0_S8_ifPKiSA_SA_iPKfiiiPfSD_PS3_PT2_iSC_SC_
		.amdhsa_group_segment_fixed_size 0
		.amdhsa_private_segment_fixed_size 64
		.amdhsa_kernarg_size 400
		.amdhsa_user_sgpr_count 2
		.amdhsa_user_sgpr_dispatch_ptr 0
		.amdhsa_user_sgpr_queue_ptr 0
		.amdhsa_user_sgpr_kernarg_segment_ptr 1
		.amdhsa_user_sgpr_dispatch_id 0
		.amdhsa_user_sgpr_kernarg_preload_length 0
		.amdhsa_user_sgpr_kernarg_preload_offset 0
		.amdhsa_user_sgpr_private_segment_size 0
		.amdhsa_wavefront_size32 1
		.amdhsa_uses_dynamic_stack 0
		.amdhsa_enable_private_segment 1
		.amdhsa_system_sgpr_workgroup_id_x 1
		.amdhsa_system_sgpr_workgroup_id_y 0
		.amdhsa_system_sgpr_workgroup_id_z 0
		.amdhsa_system_sgpr_workgroup_info 0
		.amdhsa_system_vgpr_workitem_id 0
		.amdhsa_next_free_vgpr 51
		.amdhsa_next_free_sgpr 34
		.amdhsa_named_barrier_count 0
		.amdhsa_reserve_vcc 1
		.amdhsa_float_round_mode_32 0
		.amdhsa_float_round_mode_16_64 0
		.amdhsa_float_denorm_mode_32 3
		.amdhsa_float_denorm_mode_16_64 3
		.amdhsa_fp16_overflow 0
		.amdhsa_memory_ordered 1
		.amdhsa_forward_progress 1
		.amdhsa_inst_pref_size 1
		.amdhsa_round_robin_scheduling 0
		.amdhsa_exception_fp_ieee_invalid_op 0
		.amdhsa_exception_fp_denorm_src 0
		.amdhsa_exception_fp_ieee_div_zero 0
		.amdhsa_exception_fp_ieee_overflow 0
		.amdhsa_exception_fp_ieee_underflow 0
		.amdhsa_exception_fp_ieee_inexact 0
		.amdhsa_exception_int_div_zero 0
	.end_amdhsa_kernel
	.section	.text._Z39paged_attention_ll4mi_QKV_mfma16_kernelI14__hip_bfloat16S0_LN4vllm18Fp8KVCacheDataTypeE0ES0_Li32ELi128ELi256ELb0ELi7EEvPKT_PKT0_S8_ifPKiSA_SA_iPKfiiiPfSD_PS3_PT2_iSC_SC_,"axG",@progbits,_Z39paged_attention_ll4mi_QKV_mfma16_kernelI14__hip_bfloat16S0_LN4vllm18Fp8KVCacheDataTypeE0ES0_Li32ELi128ELi256ELb0ELi7EEvPKT_PKT0_S8_ifPKiSA_SA_iPKfiiiPfSD_PS3_PT2_iSC_SC_,comdat
.Lfunc_end756:
	.size	_Z39paged_attention_ll4mi_QKV_mfma16_kernelI14__hip_bfloat16S0_LN4vllm18Fp8KVCacheDataTypeE0ES0_Li32ELi128ELi256ELb0ELi7EEvPKT_PKT0_S8_ifPKiSA_SA_iPKfiiiPfSD_PS3_PT2_iSC_SC_, .Lfunc_end756-_Z39paged_attention_ll4mi_QKV_mfma16_kernelI14__hip_bfloat16S0_LN4vllm18Fp8KVCacheDataTypeE0ES0_Li32ELi128ELi256ELb0ELi7EEvPKT_PKT0_S8_ifPKiSA_SA_iPKfiiiPfSD_PS3_PT2_iSC_SC_
                                        ; -- End function
	.set _Z39paged_attention_ll4mi_QKV_mfma16_kernelI14__hip_bfloat16S0_LN4vllm18Fp8KVCacheDataTypeE0ES0_Li32ELi128ELi256ELb0ELi7EEvPKT_PKT0_S8_ifPKiSA_SA_iPKfiiiPfSD_PS3_PT2_iSC_SC_.num_vgpr, max(3, .L__assert_fail.num_vgpr)
	.set _Z39paged_attention_ll4mi_QKV_mfma16_kernelI14__hip_bfloat16S0_LN4vllm18Fp8KVCacheDataTypeE0ES0_Li32ELi128ELi256ELb0ELi7EEvPKT_PKT0_S8_ifPKiSA_SA_iPKfiiiPfSD_PS3_PT2_iSC_SC_.num_agpr, max(0, .L__assert_fail.num_agpr)
	.set _Z39paged_attention_ll4mi_QKV_mfma16_kernelI14__hip_bfloat16S0_LN4vllm18Fp8KVCacheDataTypeE0ES0_Li32ELi128ELi256ELb0ELi7EEvPKT_PKT0_S8_ifPKiSA_SA_iPKfiiiPfSD_PS3_PT2_iSC_SC_.numbered_sgpr, max(33, .L__assert_fail.numbered_sgpr)
	.set _Z39paged_attention_ll4mi_QKV_mfma16_kernelI14__hip_bfloat16S0_LN4vllm18Fp8KVCacheDataTypeE0ES0_Li32ELi128ELi256ELb0ELi7EEvPKT_PKT0_S8_ifPKiSA_SA_iPKfiiiPfSD_PS3_PT2_iSC_SC_.num_named_barrier, max(0, .L__assert_fail.num_named_barrier)
	.set _Z39paged_attention_ll4mi_QKV_mfma16_kernelI14__hip_bfloat16S0_LN4vllm18Fp8KVCacheDataTypeE0ES0_Li32ELi128ELi256ELb0ELi7EEvPKT_PKT0_S8_ifPKiSA_SA_iPKfiiiPfSD_PS3_PT2_iSC_SC_.private_seg_size, 0+max(.L__assert_fail.private_seg_size)
	.set _Z39paged_attention_ll4mi_QKV_mfma16_kernelI14__hip_bfloat16S0_LN4vllm18Fp8KVCacheDataTypeE0ES0_Li32ELi128ELi256ELb0ELi7EEvPKT_PKT0_S8_ifPKiSA_SA_iPKfiiiPfSD_PS3_PT2_iSC_SC_.uses_vcc, or(1, .L__assert_fail.uses_vcc)
	.set _Z39paged_attention_ll4mi_QKV_mfma16_kernelI14__hip_bfloat16S0_LN4vllm18Fp8KVCacheDataTypeE0ES0_Li32ELi128ELi256ELb0ELi7EEvPKT_PKT0_S8_ifPKiSA_SA_iPKfiiiPfSD_PS3_PT2_iSC_SC_.uses_flat_scratch, or(0, .L__assert_fail.uses_flat_scratch)
	.set _Z39paged_attention_ll4mi_QKV_mfma16_kernelI14__hip_bfloat16S0_LN4vllm18Fp8KVCacheDataTypeE0ES0_Li32ELi128ELi256ELb0ELi7EEvPKT_PKT0_S8_ifPKiSA_SA_iPKfiiiPfSD_PS3_PT2_iSC_SC_.has_dyn_sized_stack, or(0, .L__assert_fail.has_dyn_sized_stack)
	.set _Z39paged_attention_ll4mi_QKV_mfma16_kernelI14__hip_bfloat16S0_LN4vllm18Fp8KVCacheDataTypeE0ES0_Li32ELi128ELi256ELb0ELi7EEvPKT_PKT0_S8_ifPKiSA_SA_iPKfiiiPfSD_PS3_PT2_iSC_SC_.has_recursion, or(0, .L__assert_fail.has_recursion)
	.set _Z39paged_attention_ll4mi_QKV_mfma16_kernelI14__hip_bfloat16S0_LN4vllm18Fp8KVCacheDataTypeE0ES0_Li32ELi128ELi256ELb0ELi7EEvPKT_PKT0_S8_ifPKiSA_SA_iPKfiiiPfSD_PS3_PT2_iSC_SC_.has_indirect_call, or(0, .L__assert_fail.has_indirect_call)
	.section	.AMDGPU.csdata,"",@progbits
; Kernel info:
; codeLenInByte = 68
; TotalNumSgprs: 36
; NumVgprs: 51
; ScratchSize: 64
; MemoryBound: 0
; FloatMode: 240
; IeeeMode: 1
; LDSByteSize: 0 bytes/workgroup (compile time only)
; SGPRBlocks: 0
; VGPRBlocks: 3
; NumSGPRsForWavesPerEU: 36
; NumVGPRsForWavesPerEU: 51
; NamedBarCnt: 0
; Occupancy: 16
; WaveLimiterHint : 1
; COMPUTE_PGM_RSRC2:SCRATCH_EN: 1
; COMPUTE_PGM_RSRC2:USER_SGPR: 2
; COMPUTE_PGM_RSRC2:TRAP_HANDLER: 0
; COMPUTE_PGM_RSRC2:TGID_X_EN: 1
; COMPUTE_PGM_RSRC2:TGID_Y_EN: 0
; COMPUTE_PGM_RSRC2:TGID_Z_EN: 0
; COMPUTE_PGM_RSRC2:TIDIG_COMP_CNT: 0
	.section	.text._Z39paged_attention_ll4mi_QKV_mfma16_kernelI14__hip_bfloat16S0_LN4vllm18Fp8KVCacheDataTypeE0ES0_Li32ELi128ELi256ELb0ELi8EEvPKT_PKT0_S8_ifPKiSA_SA_iPKfiiiPfSD_PS3_PT2_iSC_SC_,"axG",@progbits,_Z39paged_attention_ll4mi_QKV_mfma16_kernelI14__hip_bfloat16S0_LN4vllm18Fp8KVCacheDataTypeE0ES0_Li32ELi128ELi256ELb0ELi8EEvPKT_PKT0_S8_ifPKiSA_SA_iPKfiiiPfSD_PS3_PT2_iSC_SC_,comdat
	.protected	_Z39paged_attention_ll4mi_QKV_mfma16_kernelI14__hip_bfloat16S0_LN4vllm18Fp8KVCacheDataTypeE0ES0_Li32ELi128ELi256ELb0ELi8EEvPKT_PKT0_S8_ifPKiSA_SA_iPKfiiiPfSD_PS3_PT2_iSC_SC_ ; -- Begin function _Z39paged_attention_ll4mi_QKV_mfma16_kernelI14__hip_bfloat16S0_LN4vllm18Fp8KVCacheDataTypeE0ES0_Li32ELi128ELi256ELb0ELi8EEvPKT_PKT0_S8_ifPKiSA_SA_iPKfiiiPfSD_PS3_PT2_iSC_SC_
	.globl	_Z39paged_attention_ll4mi_QKV_mfma16_kernelI14__hip_bfloat16S0_LN4vllm18Fp8KVCacheDataTypeE0ES0_Li32ELi128ELi256ELb0ELi8EEvPKT_PKT0_S8_ifPKiSA_SA_iPKfiiiPfSD_PS3_PT2_iSC_SC_
	.p2align	8
	.type	_Z39paged_attention_ll4mi_QKV_mfma16_kernelI14__hip_bfloat16S0_LN4vllm18Fp8KVCacheDataTypeE0ES0_Li32ELi128ELi256ELb0ELi8EEvPKT_PKT0_S8_ifPKiSA_SA_iPKfiiiPfSD_PS3_PT2_iSC_SC_,@function
_Z39paged_attention_ll4mi_QKV_mfma16_kernelI14__hip_bfloat16S0_LN4vllm18Fp8KVCacheDataTypeE0ES0_Li32ELi128ELi256ELb0ELi8EEvPKT_PKT0_S8_ifPKiSA_SA_iPKfiiiPfSD_PS3_PT2_iSC_SC_: ; @_Z39paged_attention_ll4mi_QKV_mfma16_kernelI14__hip_bfloat16S0_LN4vllm18Fp8KVCacheDataTypeE0ES0_Li32ELi128ELi256ELb0ELi8EEvPKT_PKT0_S8_ifPKiSA_SA_iPKfiiiPfSD_PS3_PT2_iSC_SC_
; %bb.0:
	s_get_pc_i64 s[2:3]
	s_add_nc_u64 s[2:3], s[2:3], __PRETTY_FUNCTION__._Z39paged_attention_ll4mi_QKV_mfma16_kernelI14__hip_bfloat16S0_LN4vllm18Fp8KVCacheDataTypeE0ES0_Li32ELi128ELi256ELb0ELi8EEvPKT_PKT0_S8_ifPKiSA_SA_iPKfiiiPfSD_PS3_PT2_iSC_SC_@rel64+4
	s_delay_alu instid0(SALU_CYCLE_1)
	v_dual_mov_b32 v0, 0xbb3 :: v_dual_mov_b32 v1, s2
	v_mov_b32_e32 v2, s3
	s_add_nc_u64 s[8:9], s[0:1], 0x90
	s_get_pc_i64 s[0:1]
	s_add_nc_u64 s[0:1], s[0:1], __assert_fail@rel64+4
	s_mov_b32 s32, 0
	s_swap_pc_i64 s[30:31], s[0:1]
	.section	.rodata,"a",@progbits
	.p2align	6, 0x0
	.amdhsa_kernel _Z39paged_attention_ll4mi_QKV_mfma16_kernelI14__hip_bfloat16S0_LN4vllm18Fp8KVCacheDataTypeE0ES0_Li32ELi128ELi256ELb0ELi8EEvPKT_PKT0_S8_ifPKiSA_SA_iPKfiiiPfSD_PS3_PT2_iSC_SC_
		.amdhsa_group_segment_fixed_size 0
		.amdhsa_private_segment_fixed_size 64
		.amdhsa_kernarg_size 400
		.amdhsa_user_sgpr_count 2
		.amdhsa_user_sgpr_dispatch_ptr 0
		.amdhsa_user_sgpr_queue_ptr 0
		.amdhsa_user_sgpr_kernarg_segment_ptr 1
		.amdhsa_user_sgpr_dispatch_id 0
		.amdhsa_user_sgpr_kernarg_preload_length 0
		.amdhsa_user_sgpr_kernarg_preload_offset 0
		.amdhsa_user_sgpr_private_segment_size 0
		.amdhsa_wavefront_size32 1
		.amdhsa_uses_dynamic_stack 0
		.amdhsa_enable_private_segment 1
		.amdhsa_system_sgpr_workgroup_id_x 1
		.amdhsa_system_sgpr_workgroup_id_y 0
		.amdhsa_system_sgpr_workgroup_id_z 0
		.amdhsa_system_sgpr_workgroup_info 0
		.amdhsa_system_vgpr_workitem_id 0
		.amdhsa_next_free_vgpr 51
		.amdhsa_next_free_sgpr 34
		.amdhsa_named_barrier_count 0
		.amdhsa_reserve_vcc 1
		.amdhsa_float_round_mode_32 0
		.amdhsa_float_round_mode_16_64 0
		.amdhsa_float_denorm_mode_32 3
		.amdhsa_float_denorm_mode_16_64 3
		.amdhsa_fp16_overflow 0
		.amdhsa_memory_ordered 1
		.amdhsa_forward_progress 1
		.amdhsa_inst_pref_size 1
		.amdhsa_round_robin_scheduling 0
		.amdhsa_exception_fp_ieee_invalid_op 0
		.amdhsa_exception_fp_denorm_src 0
		.amdhsa_exception_fp_ieee_div_zero 0
		.amdhsa_exception_fp_ieee_overflow 0
		.amdhsa_exception_fp_ieee_underflow 0
		.amdhsa_exception_fp_ieee_inexact 0
		.amdhsa_exception_int_div_zero 0
	.end_amdhsa_kernel
	.section	.text._Z39paged_attention_ll4mi_QKV_mfma16_kernelI14__hip_bfloat16S0_LN4vllm18Fp8KVCacheDataTypeE0ES0_Li32ELi128ELi256ELb0ELi8EEvPKT_PKT0_S8_ifPKiSA_SA_iPKfiiiPfSD_PS3_PT2_iSC_SC_,"axG",@progbits,_Z39paged_attention_ll4mi_QKV_mfma16_kernelI14__hip_bfloat16S0_LN4vllm18Fp8KVCacheDataTypeE0ES0_Li32ELi128ELi256ELb0ELi8EEvPKT_PKT0_S8_ifPKiSA_SA_iPKfiiiPfSD_PS3_PT2_iSC_SC_,comdat
.Lfunc_end757:
	.size	_Z39paged_attention_ll4mi_QKV_mfma16_kernelI14__hip_bfloat16S0_LN4vllm18Fp8KVCacheDataTypeE0ES0_Li32ELi128ELi256ELb0ELi8EEvPKT_PKT0_S8_ifPKiSA_SA_iPKfiiiPfSD_PS3_PT2_iSC_SC_, .Lfunc_end757-_Z39paged_attention_ll4mi_QKV_mfma16_kernelI14__hip_bfloat16S0_LN4vllm18Fp8KVCacheDataTypeE0ES0_Li32ELi128ELi256ELb0ELi8EEvPKT_PKT0_S8_ifPKiSA_SA_iPKfiiiPfSD_PS3_PT2_iSC_SC_
                                        ; -- End function
	.set _Z39paged_attention_ll4mi_QKV_mfma16_kernelI14__hip_bfloat16S0_LN4vllm18Fp8KVCacheDataTypeE0ES0_Li32ELi128ELi256ELb0ELi8EEvPKT_PKT0_S8_ifPKiSA_SA_iPKfiiiPfSD_PS3_PT2_iSC_SC_.num_vgpr, max(3, .L__assert_fail.num_vgpr)
	.set _Z39paged_attention_ll4mi_QKV_mfma16_kernelI14__hip_bfloat16S0_LN4vllm18Fp8KVCacheDataTypeE0ES0_Li32ELi128ELi256ELb0ELi8EEvPKT_PKT0_S8_ifPKiSA_SA_iPKfiiiPfSD_PS3_PT2_iSC_SC_.num_agpr, max(0, .L__assert_fail.num_agpr)
	.set _Z39paged_attention_ll4mi_QKV_mfma16_kernelI14__hip_bfloat16S0_LN4vllm18Fp8KVCacheDataTypeE0ES0_Li32ELi128ELi256ELb0ELi8EEvPKT_PKT0_S8_ifPKiSA_SA_iPKfiiiPfSD_PS3_PT2_iSC_SC_.numbered_sgpr, max(33, .L__assert_fail.numbered_sgpr)
	.set _Z39paged_attention_ll4mi_QKV_mfma16_kernelI14__hip_bfloat16S0_LN4vllm18Fp8KVCacheDataTypeE0ES0_Li32ELi128ELi256ELb0ELi8EEvPKT_PKT0_S8_ifPKiSA_SA_iPKfiiiPfSD_PS3_PT2_iSC_SC_.num_named_barrier, max(0, .L__assert_fail.num_named_barrier)
	.set _Z39paged_attention_ll4mi_QKV_mfma16_kernelI14__hip_bfloat16S0_LN4vllm18Fp8KVCacheDataTypeE0ES0_Li32ELi128ELi256ELb0ELi8EEvPKT_PKT0_S8_ifPKiSA_SA_iPKfiiiPfSD_PS3_PT2_iSC_SC_.private_seg_size, 0+max(.L__assert_fail.private_seg_size)
	.set _Z39paged_attention_ll4mi_QKV_mfma16_kernelI14__hip_bfloat16S0_LN4vllm18Fp8KVCacheDataTypeE0ES0_Li32ELi128ELi256ELb0ELi8EEvPKT_PKT0_S8_ifPKiSA_SA_iPKfiiiPfSD_PS3_PT2_iSC_SC_.uses_vcc, or(1, .L__assert_fail.uses_vcc)
	.set _Z39paged_attention_ll4mi_QKV_mfma16_kernelI14__hip_bfloat16S0_LN4vllm18Fp8KVCacheDataTypeE0ES0_Li32ELi128ELi256ELb0ELi8EEvPKT_PKT0_S8_ifPKiSA_SA_iPKfiiiPfSD_PS3_PT2_iSC_SC_.uses_flat_scratch, or(0, .L__assert_fail.uses_flat_scratch)
	.set _Z39paged_attention_ll4mi_QKV_mfma16_kernelI14__hip_bfloat16S0_LN4vllm18Fp8KVCacheDataTypeE0ES0_Li32ELi128ELi256ELb0ELi8EEvPKT_PKT0_S8_ifPKiSA_SA_iPKfiiiPfSD_PS3_PT2_iSC_SC_.has_dyn_sized_stack, or(0, .L__assert_fail.has_dyn_sized_stack)
	.set _Z39paged_attention_ll4mi_QKV_mfma16_kernelI14__hip_bfloat16S0_LN4vllm18Fp8KVCacheDataTypeE0ES0_Li32ELi128ELi256ELb0ELi8EEvPKT_PKT0_S8_ifPKiSA_SA_iPKfiiiPfSD_PS3_PT2_iSC_SC_.has_recursion, or(0, .L__assert_fail.has_recursion)
	.set _Z39paged_attention_ll4mi_QKV_mfma16_kernelI14__hip_bfloat16S0_LN4vllm18Fp8KVCacheDataTypeE0ES0_Li32ELi128ELi256ELb0ELi8EEvPKT_PKT0_S8_ifPKiSA_SA_iPKfiiiPfSD_PS3_PT2_iSC_SC_.has_indirect_call, or(0, .L__assert_fail.has_indirect_call)
	.section	.AMDGPU.csdata,"",@progbits
; Kernel info:
; codeLenInByte = 68
; TotalNumSgprs: 36
; NumVgprs: 51
; ScratchSize: 64
; MemoryBound: 0
; FloatMode: 240
; IeeeMode: 1
; LDSByteSize: 0 bytes/workgroup (compile time only)
; SGPRBlocks: 0
; VGPRBlocks: 3
; NumSGPRsForWavesPerEU: 36
; NumVGPRsForWavesPerEU: 51
; NamedBarCnt: 0
; Occupancy: 16
; WaveLimiterHint : 1
; COMPUTE_PGM_RSRC2:SCRATCH_EN: 1
; COMPUTE_PGM_RSRC2:USER_SGPR: 2
; COMPUTE_PGM_RSRC2:TRAP_HANDLER: 0
; COMPUTE_PGM_RSRC2:TGID_X_EN: 1
; COMPUTE_PGM_RSRC2:TGID_Y_EN: 0
; COMPUTE_PGM_RSRC2:TGID_Z_EN: 0
; COMPUTE_PGM_RSRC2:TIDIG_COMP_CNT: 0
	.section	.text._Z39paged_attention_ll4mi_QKV_mfma16_kernelI14__hip_bfloat16S0_LN4vllm18Fp8KVCacheDataTypeE0ES0_Li32ELi128ELi256ELb0ELi9EEvPKT_PKT0_S8_ifPKiSA_SA_iPKfiiiPfSD_PS3_PT2_iSC_SC_,"axG",@progbits,_Z39paged_attention_ll4mi_QKV_mfma16_kernelI14__hip_bfloat16S0_LN4vllm18Fp8KVCacheDataTypeE0ES0_Li32ELi128ELi256ELb0ELi9EEvPKT_PKT0_S8_ifPKiSA_SA_iPKfiiiPfSD_PS3_PT2_iSC_SC_,comdat
	.protected	_Z39paged_attention_ll4mi_QKV_mfma16_kernelI14__hip_bfloat16S0_LN4vllm18Fp8KVCacheDataTypeE0ES0_Li32ELi128ELi256ELb0ELi9EEvPKT_PKT0_S8_ifPKiSA_SA_iPKfiiiPfSD_PS3_PT2_iSC_SC_ ; -- Begin function _Z39paged_attention_ll4mi_QKV_mfma16_kernelI14__hip_bfloat16S0_LN4vllm18Fp8KVCacheDataTypeE0ES0_Li32ELi128ELi256ELb0ELi9EEvPKT_PKT0_S8_ifPKiSA_SA_iPKfiiiPfSD_PS3_PT2_iSC_SC_
	.globl	_Z39paged_attention_ll4mi_QKV_mfma16_kernelI14__hip_bfloat16S0_LN4vllm18Fp8KVCacheDataTypeE0ES0_Li32ELi128ELi256ELb0ELi9EEvPKT_PKT0_S8_ifPKiSA_SA_iPKfiiiPfSD_PS3_PT2_iSC_SC_
	.p2align	8
	.type	_Z39paged_attention_ll4mi_QKV_mfma16_kernelI14__hip_bfloat16S0_LN4vllm18Fp8KVCacheDataTypeE0ES0_Li32ELi128ELi256ELb0ELi9EEvPKT_PKT0_S8_ifPKiSA_SA_iPKfiiiPfSD_PS3_PT2_iSC_SC_,@function
_Z39paged_attention_ll4mi_QKV_mfma16_kernelI14__hip_bfloat16S0_LN4vllm18Fp8KVCacheDataTypeE0ES0_Li32ELi128ELi256ELb0ELi9EEvPKT_PKT0_S8_ifPKiSA_SA_iPKfiiiPfSD_PS3_PT2_iSC_SC_: ; @_Z39paged_attention_ll4mi_QKV_mfma16_kernelI14__hip_bfloat16S0_LN4vllm18Fp8KVCacheDataTypeE0ES0_Li32ELi128ELi256ELb0ELi9EEvPKT_PKT0_S8_ifPKiSA_SA_iPKfiiiPfSD_PS3_PT2_iSC_SC_
; %bb.0:
	s_get_pc_i64 s[2:3]
	s_add_nc_u64 s[2:3], s[2:3], __PRETTY_FUNCTION__._Z39paged_attention_ll4mi_QKV_mfma16_kernelI14__hip_bfloat16S0_LN4vllm18Fp8KVCacheDataTypeE0ES0_Li32ELi128ELi256ELb0ELi9EEvPKT_PKT0_S8_ifPKiSA_SA_iPKfiiiPfSD_PS3_PT2_iSC_SC_@rel64+4
	s_delay_alu instid0(SALU_CYCLE_1)
	v_dual_mov_b32 v0, 0xbb3 :: v_dual_mov_b32 v1, s2
	v_mov_b32_e32 v2, s3
	s_add_nc_u64 s[8:9], s[0:1], 0x90
	s_get_pc_i64 s[0:1]
	s_add_nc_u64 s[0:1], s[0:1], __assert_fail@rel64+4
	s_mov_b32 s32, 0
	s_swap_pc_i64 s[30:31], s[0:1]
	.section	.rodata,"a",@progbits
	.p2align	6, 0x0
	.amdhsa_kernel _Z39paged_attention_ll4mi_QKV_mfma16_kernelI14__hip_bfloat16S0_LN4vllm18Fp8KVCacheDataTypeE0ES0_Li32ELi128ELi256ELb0ELi9EEvPKT_PKT0_S8_ifPKiSA_SA_iPKfiiiPfSD_PS3_PT2_iSC_SC_
		.amdhsa_group_segment_fixed_size 0
		.amdhsa_private_segment_fixed_size 64
		.amdhsa_kernarg_size 400
		.amdhsa_user_sgpr_count 2
		.amdhsa_user_sgpr_dispatch_ptr 0
		.amdhsa_user_sgpr_queue_ptr 0
		.amdhsa_user_sgpr_kernarg_segment_ptr 1
		.amdhsa_user_sgpr_dispatch_id 0
		.amdhsa_user_sgpr_kernarg_preload_length 0
		.amdhsa_user_sgpr_kernarg_preload_offset 0
		.amdhsa_user_sgpr_private_segment_size 0
		.amdhsa_wavefront_size32 1
		.amdhsa_uses_dynamic_stack 0
		.amdhsa_enable_private_segment 1
		.amdhsa_system_sgpr_workgroup_id_x 1
		.amdhsa_system_sgpr_workgroup_id_y 0
		.amdhsa_system_sgpr_workgroup_id_z 0
		.amdhsa_system_sgpr_workgroup_info 0
		.amdhsa_system_vgpr_workitem_id 0
		.amdhsa_next_free_vgpr 51
		.amdhsa_next_free_sgpr 34
		.amdhsa_named_barrier_count 0
		.amdhsa_reserve_vcc 1
		.amdhsa_float_round_mode_32 0
		.amdhsa_float_round_mode_16_64 0
		.amdhsa_float_denorm_mode_32 3
		.amdhsa_float_denorm_mode_16_64 3
		.amdhsa_fp16_overflow 0
		.amdhsa_memory_ordered 1
		.amdhsa_forward_progress 1
		.amdhsa_inst_pref_size 1
		.amdhsa_round_robin_scheduling 0
		.amdhsa_exception_fp_ieee_invalid_op 0
		.amdhsa_exception_fp_denorm_src 0
		.amdhsa_exception_fp_ieee_div_zero 0
		.amdhsa_exception_fp_ieee_overflow 0
		.amdhsa_exception_fp_ieee_underflow 0
		.amdhsa_exception_fp_ieee_inexact 0
		.amdhsa_exception_int_div_zero 0
	.end_amdhsa_kernel
	.section	.text._Z39paged_attention_ll4mi_QKV_mfma16_kernelI14__hip_bfloat16S0_LN4vllm18Fp8KVCacheDataTypeE0ES0_Li32ELi128ELi256ELb0ELi9EEvPKT_PKT0_S8_ifPKiSA_SA_iPKfiiiPfSD_PS3_PT2_iSC_SC_,"axG",@progbits,_Z39paged_attention_ll4mi_QKV_mfma16_kernelI14__hip_bfloat16S0_LN4vllm18Fp8KVCacheDataTypeE0ES0_Li32ELi128ELi256ELb0ELi9EEvPKT_PKT0_S8_ifPKiSA_SA_iPKfiiiPfSD_PS3_PT2_iSC_SC_,comdat
.Lfunc_end758:
	.size	_Z39paged_attention_ll4mi_QKV_mfma16_kernelI14__hip_bfloat16S0_LN4vllm18Fp8KVCacheDataTypeE0ES0_Li32ELi128ELi256ELb0ELi9EEvPKT_PKT0_S8_ifPKiSA_SA_iPKfiiiPfSD_PS3_PT2_iSC_SC_, .Lfunc_end758-_Z39paged_attention_ll4mi_QKV_mfma16_kernelI14__hip_bfloat16S0_LN4vllm18Fp8KVCacheDataTypeE0ES0_Li32ELi128ELi256ELb0ELi9EEvPKT_PKT0_S8_ifPKiSA_SA_iPKfiiiPfSD_PS3_PT2_iSC_SC_
                                        ; -- End function
	.set _Z39paged_attention_ll4mi_QKV_mfma16_kernelI14__hip_bfloat16S0_LN4vllm18Fp8KVCacheDataTypeE0ES0_Li32ELi128ELi256ELb0ELi9EEvPKT_PKT0_S8_ifPKiSA_SA_iPKfiiiPfSD_PS3_PT2_iSC_SC_.num_vgpr, max(3, .L__assert_fail.num_vgpr)
	.set _Z39paged_attention_ll4mi_QKV_mfma16_kernelI14__hip_bfloat16S0_LN4vllm18Fp8KVCacheDataTypeE0ES0_Li32ELi128ELi256ELb0ELi9EEvPKT_PKT0_S8_ifPKiSA_SA_iPKfiiiPfSD_PS3_PT2_iSC_SC_.num_agpr, max(0, .L__assert_fail.num_agpr)
	.set _Z39paged_attention_ll4mi_QKV_mfma16_kernelI14__hip_bfloat16S0_LN4vllm18Fp8KVCacheDataTypeE0ES0_Li32ELi128ELi256ELb0ELi9EEvPKT_PKT0_S8_ifPKiSA_SA_iPKfiiiPfSD_PS3_PT2_iSC_SC_.numbered_sgpr, max(33, .L__assert_fail.numbered_sgpr)
	.set _Z39paged_attention_ll4mi_QKV_mfma16_kernelI14__hip_bfloat16S0_LN4vllm18Fp8KVCacheDataTypeE0ES0_Li32ELi128ELi256ELb0ELi9EEvPKT_PKT0_S8_ifPKiSA_SA_iPKfiiiPfSD_PS3_PT2_iSC_SC_.num_named_barrier, max(0, .L__assert_fail.num_named_barrier)
	.set _Z39paged_attention_ll4mi_QKV_mfma16_kernelI14__hip_bfloat16S0_LN4vllm18Fp8KVCacheDataTypeE0ES0_Li32ELi128ELi256ELb0ELi9EEvPKT_PKT0_S8_ifPKiSA_SA_iPKfiiiPfSD_PS3_PT2_iSC_SC_.private_seg_size, 0+max(.L__assert_fail.private_seg_size)
	.set _Z39paged_attention_ll4mi_QKV_mfma16_kernelI14__hip_bfloat16S0_LN4vllm18Fp8KVCacheDataTypeE0ES0_Li32ELi128ELi256ELb0ELi9EEvPKT_PKT0_S8_ifPKiSA_SA_iPKfiiiPfSD_PS3_PT2_iSC_SC_.uses_vcc, or(1, .L__assert_fail.uses_vcc)
	.set _Z39paged_attention_ll4mi_QKV_mfma16_kernelI14__hip_bfloat16S0_LN4vllm18Fp8KVCacheDataTypeE0ES0_Li32ELi128ELi256ELb0ELi9EEvPKT_PKT0_S8_ifPKiSA_SA_iPKfiiiPfSD_PS3_PT2_iSC_SC_.uses_flat_scratch, or(0, .L__assert_fail.uses_flat_scratch)
	.set _Z39paged_attention_ll4mi_QKV_mfma16_kernelI14__hip_bfloat16S0_LN4vllm18Fp8KVCacheDataTypeE0ES0_Li32ELi128ELi256ELb0ELi9EEvPKT_PKT0_S8_ifPKiSA_SA_iPKfiiiPfSD_PS3_PT2_iSC_SC_.has_dyn_sized_stack, or(0, .L__assert_fail.has_dyn_sized_stack)
	.set _Z39paged_attention_ll4mi_QKV_mfma16_kernelI14__hip_bfloat16S0_LN4vllm18Fp8KVCacheDataTypeE0ES0_Li32ELi128ELi256ELb0ELi9EEvPKT_PKT0_S8_ifPKiSA_SA_iPKfiiiPfSD_PS3_PT2_iSC_SC_.has_recursion, or(0, .L__assert_fail.has_recursion)
	.set _Z39paged_attention_ll4mi_QKV_mfma16_kernelI14__hip_bfloat16S0_LN4vllm18Fp8KVCacheDataTypeE0ES0_Li32ELi128ELi256ELb0ELi9EEvPKT_PKT0_S8_ifPKiSA_SA_iPKfiiiPfSD_PS3_PT2_iSC_SC_.has_indirect_call, or(0, .L__assert_fail.has_indirect_call)
	.section	.AMDGPU.csdata,"",@progbits
; Kernel info:
; codeLenInByte = 68
; TotalNumSgprs: 36
; NumVgprs: 51
; ScratchSize: 64
; MemoryBound: 0
; FloatMode: 240
; IeeeMode: 1
; LDSByteSize: 0 bytes/workgroup (compile time only)
; SGPRBlocks: 0
; VGPRBlocks: 3
; NumSGPRsForWavesPerEU: 36
; NumVGPRsForWavesPerEU: 51
; NamedBarCnt: 0
; Occupancy: 16
; WaveLimiterHint : 1
; COMPUTE_PGM_RSRC2:SCRATCH_EN: 1
; COMPUTE_PGM_RSRC2:USER_SGPR: 2
; COMPUTE_PGM_RSRC2:TRAP_HANDLER: 0
; COMPUTE_PGM_RSRC2:TGID_X_EN: 1
; COMPUTE_PGM_RSRC2:TGID_Y_EN: 0
; COMPUTE_PGM_RSRC2:TGID_Z_EN: 0
; COMPUTE_PGM_RSRC2:TIDIG_COMP_CNT: 0
	.section	.text._Z39paged_attention_ll4mi_QKV_mfma16_kernelI14__hip_bfloat16S0_LN4vllm18Fp8KVCacheDataTypeE0ES0_Li32ELi128ELi256ELb0ELi10EEvPKT_PKT0_S8_ifPKiSA_SA_iPKfiiiPfSD_PS3_PT2_iSC_SC_,"axG",@progbits,_Z39paged_attention_ll4mi_QKV_mfma16_kernelI14__hip_bfloat16S0_LN4vllm18Fp8KVCacheDataTypeE0ES0_Li32ELi128ELi256ELb0ELi10EEvPKT_PKT0_S8_ifPKiSA_SA_iPKfiiiPfSD_PS3_PT2_iSC_SC_,comdat
	.protected	_Z39paged_attention_ll4mi_QKV_mfma16_kernelI14__hip_bfloat16S0_LN4vllm18Fp8KVCacheDataTypeE0ES0_Li32ELi128ELi256ELb0ELi10EEvPKT_PKT0_S8_ifPKiSA_SA_iPKfiiiPfSD_PS3_PT2_iSC_SC_ ; -- Begin function _Z39paged_attention_ll4mi_QKV_mfma16_kernelI14__hip_bfloat16S0_LN4vllm18Fp8KVCacheDataTypeE0ES0_Li32ELi128ELi256ELb0ELi10EEvPKT_PKT0_S8_ifPKiSA_SA_iPKfiiiPfSD_PS3_PT2_iSC_SC_
	.globl	_Z39paged_attention_ll4mi_QKV_mfma16_kernelI14__hip_bfloat16S0_LN4vllm18Fp8KVCacheDataTypeE0ES0_Li32ELi128ELi256ELb0ELi10EEvPKT_PKT0_S8_ifPKiSA_SA_iPKfiiiPfSD_PS3_PT2_iSC_SC_
	.p2align	8
	.type	_Z39paged_attention_ll4mi_QKV_mfma16_kernelI14__hip_bfloat16S0_LN4vllm18Fp8KVCacheDataTypeE0ES0_Li32ELi128ELi256ELb0ELi10EEvPKT_PKT0_S8_ifPKiSA_SA_iPKfiiiPfSD_PS3_PT2_iSC_SC_,@function
_Z39paged_attention_ll4mi_QKV_mfma16_kernelI14__hip_bfloat16S0_LN4vllm18Fp8KVCacheDataTypeE0ES0_Li32ELi128ELi256ELb0ELi10EEvPKT_PKT0_S8_ifPKiSA_SA_iPKfiiiPfSD_PS3_PT2_iSC_SC_: ; @_Z39paged_attention_ll4mi_QKV_mfma16_kernelI14__hip_bfloat16S0_LN4vllm18Fp8KVCacheDataTypeE0ES0_Li32ELi128ELi256ELb0ELi10EEvPKT_PKT0_S8_ifPKiSA_SA_iPKfiiiPfSD_PS3_PT2_iSC_SC_
; %bb.0:
	s_get_pc_i64 s[2:3]
	s_add_nc_u64 s[2:3], s[2:3], __PRETTY_FUNCTION__._Z39paged_attention_ll4mi_QKV_mfma16_kernelI14__hip_bfloat16S0_LN4vllm18Fp8KVCacheDataTypeE0ES0_Li32ELi128ELi256ELb0ELi10EEvPKT_PKT0_S8_ifPKiSA_SA_iPKfiiiPfSD_PS3_PT2_iSC_SC_@rel64+4
	s_delay_alu instid0(SALU_CYCLE_1)
	v_dual_mov_b32 v0, 0xbb3 :: v_dual_mov_b32 v1, s2
	v_mov_b32_e32 v2, s3
	s_add_nc_u64 s[8:9], s[0:1], 0x90
	s_get_pc_i64 s[0:1]
	s_add_nc_u64 s[0:1], s[0:1], __assert_fail@rel64+4
	s_mov_b32 s32, 0
	s_swap_pc_i64 s[30:31], s[0:1]
	.section	.rodata,"a",@progbits
	.p2align	6, 0x0
	.amdhsa_kernel _Z39paged_attention_ll4mi_QKV_mfma16_kernelI14__hip_bfloat16S0_LN4vllm18Fp8KVCacheDataTypeE0ES0_Li32ELi128ELi256ELb0ELi10EEvPKT_PKT0_S8_ifPKiSA_SA_iPKfiiiPfSD_PS3_PT2_iSC_SC_
		.amdhsa_group_segment_fixed_size 0
		.amdhsa_private_segment_fixed_size 64
		.amdhsa_kernarg_size 400
		.amdhsa_user_sgpr_count 2
		.amdhsa_user_sgpr_dispatch_ptr 0
		.amdhsa_user_sgpr_queue_ptr 0
		.amdhsa_user_sgpr_kernarg_segment_ptr 1
		.amdhsa_user_sgpr_dispatch_id 0
		.amdhsa_user_sgpr_kernarg_preload_length 0
		.amdhsa_user_sgpr_kernarg_preload_offset 0
		.amdhsa_user_sgpr_private_segment_size 0
		.amdhsa_wavefront_size32 1
		.amdhsa_uses_dynamic_stack 0
		.amdhsa_enable_private_segment 1
		.amdhsa_system_sgpr_workgroup_id_x 1
		.amdhsa_system_sgpr_workgroup_id_y 0
		.amdhsa_system_sgpr_workgroup_id_z 0
		.amdhsa_system_sgpr_workgroup_info 0
		.amdhsa_system_vgpr_workitem_id 0
		.amdhsa_next_free_vgpr 51
		.amdhsa_next_free_sgpr 34
		.amdhsa_named_barrier_count 0
		.amdhsa_reserve_vcc 1
		.amdhsa_float_round_mode_32 0
		.amdhsa_float_round_mode_16_64 0
		.amdhsa_float_denorm_mode_32 3
		.amdhsa_float_denorm_mode_16_64 3
		.amdhsa_fp16_overflow 0
		.amdhsa_memory_ordered 1
		.amdhsa_forward_progress 1
		.amdhsa_inst_pref_size 1
		.amdhsa_round_robin_scheduling 0
		.amdhsa_exception_fp_ieee_invalid_op 0
		.amdhsa_exception_fp_denorm_src 0
		.amdhsa_exception_fp_ieee_div_zero 0
		.amdhsa_exception_fp_ieee_overflow 0
		.amdhsa_exception_fp_ieee_underflow 0
		.amdhsa_exception_fp_ieee_inexact 0
		.amdhsa_exception_int_div_zero 0
	.end_amdhsa_kernel
	.section	.text._Z39paged_attention_ll4mi_QKV_mfma16_kernelI14__hip_bfloat16S0_LN4vllm18Fp8KVCacheDataTypeE0ES0_Li32ELi128ELi256ELb0ELi10EEvPKT_PKT0_S8_ifPKiSA_SA_iPKfiiiPfSD_PS3_PT2_iSC_SC_,"axG",@progbits,_Z39paged_attention_ll4mi_QKV_mfma16_kernelI14__hip_bfloat16S0_LN4vllm18Fp8KVCacheDataTypeE0ES0_Li32ELi128ELi256ELb0ELi10EEvPKT_PKT0_S8_ifPKiSA_SA_iPKfiiiPfSD_PS3_PT2_iSC_SC_,comdat
.Lfunc_end759:
	.size	_Z39paged_attention_ll4mi_QKV_mfma16_kernelI14__hip_bfloat16S0_LN4vllm18Fp8KVCacheDataTypeE0ES0_Li32ELi128ELi256ELb0ELi10EEvPKT_PKT0_S8_ifPKiSA_SA_iPKfiiiPfSD_PS3_PT2_iSC_SC_, .Lfunc_end759-_Z39paged_attention_ll4mi_QKV_mfma16_kernelI14__hip_bfloat16S0_LN4vllm18Fp8KVCacheDataTypeE0ES0_Li32ELi128ELi256ELb0ELi10EEvPKT_PKT0_S8_ifPKiSA_SA_iPKfiiiPfSD_PS3_PT2_iSC_SC_
                                        ; -- End function
	.set _Z39paged_attention_ll4mi_QKV_mfma16_kernelI14__hip_bfloat16S0_LN4vllm18Fp8KVCacheDataTypeE0ES0_Li32ELi128ELi256ELb0ELi10EEvPKT_PKT0_S8_ifPKiSA_SA_iPKfiiiPfSD_PS3_PT2_iSC_SC_.num_vgpr, max(3, .L__assert_fail.num_vgpr)
	.set _Z39paged_attention_ll4mi_QKV_mfma16_kernelI14__hip_bfloat16S0_LN4vllm18Fp8KVCacheDataTypeE0ES0_Li32ELi128ELi256ELb0ELi10EEvPKT_PKT0_S8_ifPKiSA_SA_iPKfiiiPfSD_PS3_PT2_iSC_SC_.num_agpr, max(0, .L__assert_fail.num_agpr)
	.set _Z39paged_attention_ll4mi_QKV_mfma16_kernelI14__hip_bfloat16S0_LN4vllm18Fp8KVCacheDataTypeE0ES0_Li32ELi128ELi256ELb0ELi10EEvPKT_PKT0_S8_ifPKiSA_SA_iPKfiiiPfSD_PS3_PT2_iSC_SC_.numbered_sgpr, max(33, .L__assert_fail.numbered_sgpr)
	.set _Z39paged_attention_ll4mi_QKV_mfma16_kernelI14__hip_bfloat16S0_LN4vllm18Fp8KVCacheDataTypeE0ES0_Li32ELi128ELi256ELb0ELi10EEvPKT_PKT0_S8_ifPKiSA_SA_iPKfiiiPfSD_PS3_PT2_iSC_SC_.num_named_barrier, max(0, .L__assert_fail.num_named_barrier)
	.set _Z39paged_attention_ll4mi_QKV_mfma16_kernelI14__hip_bfloat16S0_LN4vllm18Fp8KVCacheDataTypeE0ES0_Li32ELi128ELi256ELb0ELi10EEvPKT_PKT0_S8_ifPKiSA_SA_iPKfiiiPfSD_PS3_PT2_iSC_SC_.private_seg_size, 0+max(.L__assert_fail.private_seg_size)
	.set _Z39paged_attention_ll4mi_QKV_mfma16_kernelI14__hip_bfloat16S0_LN4vllm18Fp8KVCacheDataTypeE0ES0_Li32ELi128ELi256ELb0ELi10EEvPKT_PKT0_S8_ifPKiSA_SA_iPKfiiiPfSD_PS3_PT2_iSC_SC_.uses_vcc, or(1, .L__assert_fail.uses_vcc)
	.set _Z39paged_attention_ll4mi_QKV_mfma16_kernelI14__hip_bfloat16S0_LN4vllm18Fp8KVCacheDataTypeE0ES0_Li32ELi128ELi256ELb0ELi10EEvPKT_PKT0_S8_ifPKiSA_SA_iPKfiiiPfSD_PS3_PT2_iSC_SC_.uses_flat_scratch, or(0, .L__assert_fail.uses_flat_scratch)
	.set _Z39paged_attention_ll4mi_QKV_mfma16_kernelI14__hip_bfloat16S0_LN4vllm18Fp8KVCacheDataTypeE0ES0_Li32ELi128ELi256ELb0ELi10EEvPKT_PKT0_S8_ifPKiSA_SA_iPKfiiiPfSD_PS3_PT2_iSC_SC_.has_dyn_sized_stack, or(0, .L__assert_fail.has_dyn_sized_stack)
	.set _Z39paged_attention_ll4mi_QKV_mfma16_kernelI14__hip_bfloat16S0_LN4vllm18Fp8KVCacheDataTypeE0ES0_Li32ELi128ELi256ELb0ELi10EEvPKT_PKT0_S8_ifPKiSA_SA_iPKfiiiPfSD_PS3_PT2_iSC_SC_.has_recursion, or(0, .L__assert_fail.has_recursion)
	.set _Z39paged_attention_ll4mi_QKV_mfma16_kernelI14__hip_bfloat16S0_LN4vllm18Fp8KVCacheDataTypeE0ES0_Li32ELi128ELi256ELb0ELi10EEvPKT_PKT0_S8_ifPKiSA_SA_iPKfiiiPfSD_PS3_PT2_iSC_SC_.has_indirect_call, or(0, .L__assert_fail.has_indirect_call)
	.section	.AMDGPU.csdata,"",@progbits
; Kernel info:
; codeLenInByte = 68
; TotalNumSgprs: 36
; NumVgprs: 51
; ScratchSize: 64
; MemoryBound: 0
; FloatMode: 240
; IeeeMode: 1
; LDSByteSize: 0 bytes/workgroup (compile time only)
; SGPRBlocks: 0
; VGPRBlocks: 3
; NumSGPRsForWavesPerEU: 36
; NumVGPRsForWavesPerEU: 51
; NamedBarCnt: 0
; Occupancy: 16
; WaveLimiterHint : 1
; COMPUTE_PGM_RSRC2:SCRATCH_EN: 1
; COMPUTE_PGM_RSRC2:USER_SGPR: 2
; COMPUTE_PGM_RSRC2:TRAP_HANDLER: 0
; COMPUTE_PGM_RSRC2:TGID_X_EN: 1
; COMPUTE_PGM_RSRC2:TGID_Y_EN: 0
; COMPUTE_PGM_RSRC2:TGID_Z_EN: 0
; COMPUTE_PGM_RSRC2:TIDIG_COMP_CNT: 0
	.section	.text._Z39paged_attention_ll4mi_QKV_mfma16_kernelI14__hip_bfloat16S0_LN4vllm18Fp8KVCacheDataTypeE0ES0_Li32ELi128ELi256ELb0ELi11EEvPKT_PKT0_S8_ifPKiSA_SA_iPKfiiiPfSD_PS3_PT2_iSC_SC_,"axG",@progbits,_Z39paged_attention_ll4mi_QKV_mfma16_kernelI14__hip_bfloat16S0_LN4vllm18Fp8KVCacheDataTypeE0ES0_Li32ELi128ELi256ELb0ELi11EEvPKT_PKT0_S8_ifPKiSA_SA_iPKfiiiPfSD_PS3_PT2_iSC_SC_,comdat
	.protected	_Z39paged_attention_ll4mi_QKV_mfma16_kernelI14__hip_bfloat16S0_LN4vllm18Fp8KVCacheDataTypeE0ES0_Li32ELi128ELi256ELb0ELi11EEvPKT_PKT0_S8_ifPKiSA_SA_iPKfiiiPfSD_PS3_PT2_iSC_SC_ ; -- Begin function _Z39paged_attention_ll4mi_QKV_mfma16_kernelI14__hip_bfloat16S0_LN4vllm18Fp8KVCacheDataTypeE0ES0_Li32ELi128ELi256ELb0ELi11EEvPKT_PKT0_S8_ifPKiSA_SA_iPKfiiiPfSD_PS3_PT2_iSC_SC_
	.globl	_Z39paged_attention_ll4mi_QKV_mfma16_kernelI14__hip_bfloat16S0_LN4vllm18Fp8KVCacheDataTypeE0ES0_Li32ELi128ELi256ELb0ELi11EEvPKT_PKT0_S8_ifPKiSA_SA_iPKfiiiPfSD_PS3_PT2_iSC_SC_
	.p2align	8
	.type	_Z39paged_attention_ll4mi_QKV_mfma16_kernelI14__hip_bfloat16S0_LN4vllm18Fp8KVCacheDataTypeE0ES0_Li32ELi128ELi256ELb0ELi11EEvPKT_PKT0_S8_ifPKiSA_SA_iPKfiiiPfSD_PS3_PT2_iSC_SC_,@function
_Z39paged_attention_ll4mi_QKV_mfma16_kernelI14__hip_bfloat16S0_LN4vllm18Fp8KVCacheDataTypeE0ES0_Li32ELi128ELi256ELb0ELi11EEvPKT_PKT0_S8_ifPKiSA_SA_iPKfiiiPfSD_PS3_PT2_iSC_SC_: ; @_Z39paged_attention_ll4mi_QKV_mfma16_kernelI14__hip_bfloat16S0_LN4vllm18Fp8KVCacheDataTypeE0ES0_Li32ELi128ELi256ELb0ELi11EEvPKT_PKT0_S8_ifPKiSA_SA_iPKfiiiPfSD_PS3_PT2_iSC_SC_
; %bb.0:
	s_get_pc_i64 s[2:3]
	s_add_nc_u64 s[2:3], s[2:3], __PRETTY_FUNCTION__._Z39paged_attention_ll4mi_QKV_mfma16_kernelI14__hip_bfloat16S0_LN4vllm18Fp8KVCacheDataTypeE0ES0_Li32ELi128ELi256ELb0ELi11EEvPKT_PKT0_S8_ifPKiSA_SA_iPKfiiiPfSD_PS3_PT2_iSC_SC_@rel64+4
	s_delay_alu instid0(SALU_CYCLE_1)
	v_dual_mov_b32 v0, 0xbb3 :: v_dual_mov_b32 v1, s2
	v_mov_b32_e32 v2, s3
	s_add_nc_u64 s[8:9], s[0:1], 0x90
	s_get_pc_i64 s[0:1]
	s_add_nc_u64 s[0:1], s[0:1], __assert_fail@rel64+4
	s_mov_b32 s32, 0
	s_swap_pc_i64 s[30:31], s[0:1]
	.section	.rodata,"a",@progbits
	.p2align	6, 0x0
	.amdhsa_kernel _Z39paged_attention_ll4mi_QKV_mfma16_kernelI14__hip_bfloat16S0_LN4vllm18Fp8KVCacheDataTypeE0ES0_Li32ELi128ELi256ELb0ELi11EEvPKT_PKT0_S8_ifPKiSA_SA_iPKfiiiPfSD_PS3_PT2_iSC_SC_
		.amdhsa_group_segment_fixed_size 0
		.amdhsa_private_segment_fixed_size 64
		.amdhsa_kernarg_size 400
		.amdhsa_user_sgpr_count 2
		.amdhsa_user_sgpr_dispatch_ptr 0
		.amdhsa_user_sgpr_queue_ptr 0
		.amdhsa_user_sgpr_kernarg_segment_ptr 1
		.amdhsa_user_sgpr_dispatch_id 0
		.amdhsa_user_sgpr_kernarg_preload_length 0
		.amdhsa_user_sgpr_kernarg_preload_offset 0
		.amdhsa_user_sgpr_private_segment_size 0
		.amdhsa_wavefront_size32 1
		.amdhsa_uses_dynamic_stack 0
		.amdhsa_enable_private_segment 1
		.amdhsa_system_sgpr_workgroup_id_x 1
		.amdhsa_system_sgpr_workgroup_id_y 0
		.amdhsa_system_sgpr_workgroup_id_z 0
		.amdhsa_system_sgpr_workgroup_info 0
		.amdhsa_system_vgpr_workitem_id 0
		.amdhsa_next_free_vgpr 51
		.amdhsa_next_free_sgpr 34
		.amdhsa_named_barrier_count 0
		.amdhsa_reserve_vcc 1
		.amdhsa_float_round_mode_32 0
		.amdhsa_float_round_mode_16_64 0
		.amdhsa_float_denorm_mode_32 3
		.amdhsa_float_denorm_mode_16_64 3
		.amdhsa_fp16_overflow 0
		.amdhsa_memory_ordered 1
		.amdhsa_forward_progress 1
		.amdhsa_inst_pref_size 1
		.amdhsa_round_robin_scheduling 0
		.amdhsa_exception_fp_ieee_invalid_op 0
		.amdhsa_exception_fp_denorm_src 0
		.amdhsa_exception_fp_ieee_div_zero 0
		.amdhsa_exception_fp_ieee_overflow 0
		.amdhsa_exception_fp_ieee_underflow 0
		.amdhsa_exception_fp_ieee_inexact 0
		.amdhsa_exception_int_div_zero 0
	.end_amdhsa_kernel
	.section	.text._Z39paged_attention_ll4mi_QKV_mfma16_kernelI14__hip_bfloat16S0_LN4vllm18Fp8KVCacheDataTypeE0ES0_Li32ELi128ELi256ELb0ELi11EEvPKT_PKT0_S8_ifPKiSA_SA_iPKfiiiPfSD_PS3_PT2_iSC_SC_,"axG",@progbits,_Z39paged_attention_ll4mi_QKV_mfma16_kernelI14__hip_bfloat16S0_LN4vllm18Fp8KVCacheDataTypeE0ES0_Li32ELi128ELi256ELb0ELi11EEvPKT_PKT0_S8_ifPKiSA_SA_iPKfiiiPfSD_PS3_PT2_iSC_SC_,comdat
.Lfunc_end760:
	.size	_Z39paged_attention_ll4mi_QKV_mfma16_kernelI14__hip_bfloat16S0_LN4vllm18Fp8KVCacheDataTypeE0ES0_Li32ELi128ELi256ELb0ELi11EEvPKT_PKT0_S8_ifPKiSA_SA_iPKfiiiPfSD_PS3_PT2_iSC_SC_, .Lfunc_end760-_Z39paged_attention_ll4mi_QKV_mfma16_kernelI14__hip_bfloat16S0_LN4vllm18Fp8KVCacheDataTypeE0ES0_Li32ELi128ELi256ELb0ELi11EEvPKT_PKT0_S8_ifPKiSA_SA_iPKfiiiPfSD_PS3_PT2_iSC_SC_
                                        ; -- End function
	.set _Z39paged_attention_ll4mi_QKV_mfma16_kernelI14__hip_bfloat16S0_LN4vllm18Fp8KVCacheDataTypeE0ES0_Li32ELi128ELi256ELb0ELi11EEvPKT_PKT0_S8_ifPKiSA_SA_iPKfiiiPfSD_PS3_PT2_iSC_SC_.num_vgpr, max(3, .L__assert_fail.num_vgpr)
	.set _Z39paged_attention_ll4mi_QKV_mfma16_kernelI14__hip_bfloat16S0_LN4vllm18Fp8KVCacheDataTypeE0ES0_Li32ELi128ELi256ELb0ELi11EEvPKT_PKT0_S8_ifPKiSA_SA_iPKfiiiPfSD_PS3_PT2_iSC_SC_.num_agpr, max(0, .L__assert_fail.num_agpr)
	.set _Z39paged_attention_ll4mi_QKV_mfma16_kernelI14__hip_bfloat16S0_LN4vllm18Fp8KVCacheDataTypeE0ES0_Li32ELi128ELi256ELb0ELi11EEvPKT_PKT0_S8_ifPKiSA_SA_iPKfiiiPfSD_PS3_PT2_iSC_SC_.numbered_sgpr, max(33, .L__assert_fail.numbered_sgpr)
	.set _Z39paged_attention_ll4mi_QKV_mfma16_kernelI14__hip_bfloat16S0_LN4vllm18Fp8KVCacheDataTypeE0ES0_Li32ELi128ELi256ELb0ELi11EEvPKT_PKT0_S8_ifPKiSA_SA_iPKfiiiPfSD_PS3_PT2_iSC_SC_.num_named_barrier, max(0, .L__assert_fail.num_named_barrier)
	.set _Z39paged_attention_ll4mi_QKV_mfma16_kernelI14__hip_bfloat16S0_LN4vllm18Fp8KVCacheDataTypeE0ES0_Li32ELi128ELi256ELb0ELi11EEvPKT_PKT0_S8_ifPKiSA_SA_iPKfiiiPfSD_PS3_PT2_iSC_SC_.private_seg_size, 0+max(.L__assert_fail.private_seg_size)
	.set _Z39paged_attention_ll4mi_QKV_mfma16_kernelI14__hip_bfloat16S0_LN4vllm18Fp8KVCacheDataTypeE0ES0_Li32ELi128ELi256ELb0ELi11EEvPKT_PKT0_S8_ifPKiSA_SA_iPKfiiiPfSD_PS3_PT2_iSC_SC_.uses_vcc, or(1, .L__assert_fail.uses_vcc)
	.set _Z39paged_attention_ll4mi_QKV_mfma16_kernelI14__hip_bfloat16S0_LN4vllm18Fp8KVCacheDataTypeE0ES0_Li32ELi128ELi256ELb0ELi11EEvPKT_PKT0_S8_ifPKiSA_SA_iPKfiiiPfSD_PS3_PT2_iSC_SC_.uses_flat_scratch, or(0, .L__assert_fail.uses_flat_scratch)
	.set _Z39paged_attention_ll4mi_QKV_mfma16_kernelI14__hip_bfloat16S0_LN4vllm18Fp8KVCacheDataTypeE0ES0_Li32ELi128ELi256ELb0ELi11EEvPKT_PKT0_S8_ifPKiSA_SA_iPKfiiiPfSD_PS3_PT2_iSC_SC_.has_dyn_sized_stack, or(0, .L__assert_fail.has_dyn_sized_stack)
	.set _Z39paged_attention_ll4mi_QKV_mfma16_kernelI14__hip_bfloat16S0_LN4vllm18Fp8KVCacheDataTypeE0ES0_Li32ELi128ELi256ELb0ELi11EEvPKT_PKT0_S8_ifPKiSA_SA_iPKfiiiPfSD_PS3_PT2_iSC_SC_.has_recursion, or(0, .L__assert_fail.has_recursion)
	.set _Z39paged_attention_ll4mi_QKV_mfma16_kernelI14__hip_bfloat16S0_LN4vllm18Fp8KVCacheDataTypeE0ES0_Li32ELi128ELi256ELb0ELi11EEvPKT_PKT0_S8_ifPKiSA_SA_iPKfiiiPfSD_PS3_PT2_iSC_SC_.has_indirect_call, or(0, .L__assert_fail.has_indirect_call)
	.section	.AMDGPU.csdata,"",@progbits
; Kernel info:
; codeLenInByte = 68
; TotalNumSgprs: 36
; NumVgprs: 51
; ScratchSize: 64
; MemoryBound: 0
; FloatMode: 240
; IeeeMode: 1
; LDSByteSize: 0 bytes/workgroup (compile time only)
; SGPRBlocks: 0
; VGPRBlocks: 3
; NumSGPRsForWavesPerEU: 36
; NumVGPRsForWavesPerEU: 51
; NamedBarCnt: 0
; Occupancy: 16
; WaveLimiterHint : 1
; COMPUTE_PGM_RSRC2:SCRATCH_EN: 1
; COMPUTE_PGM_RSRC2:USER_SGPR: 2
; COMPUTE_PGM_RSRC2:TRAP_HANDLER: 0
; COMPUTE_PGM_RSRC2:TGID_X_EN: 1
; COMPUTE_PGM_RSRC2:TGID_Y_EN: 0
; COMPUTE_PGM_RSRC2:TGID_Z_EN: 0
; COMPUTE_PGM_RSRC2:TIDIG_COMP_CNT: 0
	.section	.text._Z39paged_attention_ll4mi_QKV_mfma16_kernelI14__hip_bfloat16S0_LN4vllm18Fp8KVCacheDataTypeE0ES0_Li32ELi128ELi256ELb0ELi12EEvPKT_PKT0_S8_ifPKiSA_SA_iPKfiiiPfSD_PS3_PT2_iSC_SC_,"axG",@progbits,_Z39paged_attention_ll4mi_QKV_mfma16_kernelI14__hip_bfloat16S0_LN4vllm18Fp8KVCacheDataTypeE0ES0_Li32ELi128ELi256ELb0ELi12EEvPKT_PKT0_S8_ifPKiSA_SA_iPKfiiiPfSD_PS3_PT2_iSC_SC_,comdat
	.protected	_Z39paged_attention_ll4mi_QKV_mfma16_kernelI14__hip_bfloat16S0_LN4vllm18Fp8KVCacheDataTypeE0ES0_Li32ELi128ELi256ELb0ELi12EEvPKT_PKT0_S8_ifPKiSA_SA_iPKfiiiPfSD_PS3_PT2_iSC_SC_ ; -- Begin function _Z39paged_attention_ll4mi_QKV_mfma16_kernelI14__hip_bfloat16S0_LN4vllm18Fp8KVCacheDataTypeE0ES0_Li32ELi128ELi256ELb0ELi12EEvPKT_PKT0_S8_ifPKiSA_SA_iPKfiiiPfSD_PS3_PT2_iSC_SC_
	.globl	_Z39paged_attention_ll4mi_QKV_mfma16_kernelI14__hip_bfloat16S0_LN4vllm18Fp8KVCacheDataTypeE0ES0_Li32ELi128ELi256ELb0ELi12EEvPKT_PKT0_S8_ifPKiSA_SA_iPKfiiiPfSD_PS3_PT2_iSC_SC_
	.p2align	8
	.type	_Z39paged_attention_ll4mi_QKV_mfma16_kernelI14__hip_bfloat16S0_LN4vllm18Fp8KVCacheDataTypeE0ES0_Li32ELi128ELi256ELb0ELi12EEvPKT_PKT0_S8_ifPKiSA_SA_iPKfiiiPfSD_PS3_PT2_iSC_SC_,@function
_Z39paged_attention_ll4mi_QKV_mfma16_kernelI14__hip_bfloat16S0_LN4vllm18Fp8KVCacheDataTypeE0ES0_Li32ELi128ELi256ELb0ELi12EEvPKT_PKT0_S8_ifPKiSA_SA_iPKfiiiPfSD_PS3_PT2_iSC_SC_: ; @_Z39paged_attention_ll4mi_QKV_mfma16_kernelI14__hip_bfloat16S0_LN4vllm18Fp8KVCacheDataTypeE0ES0_Li32ELi128ELi256ELb0ELi12EEvPKT_PKT0_S8_ifPKiSA_SA_iPKfiiiPfSD_PS3_PT2_iSC_SC_
; %bb.0:
	s_get_pc_i64 s[2:3]
	s_add_nc_u64 s[2:3], s[2:3], __PRETTY_FUNCTION__._Z39paged_attention_ll4mi_QKV_mfma16_kernelI14__hip_bfloat16S0_LN4vllm18Fp8KVCacheDataTypeE0ES0_Li32ELi128ELi256ELb0ELi12EEvPKT_PKT0_S8_ifPKiSA_SA_iPKfiiiPfSD_PS3_PT2_iSC_SC_@rel64+4
	s_delay_alu instid0(SALU_CYCLE_1)
	v_dual_mov_b32 v0, 0xbb3 :: v_dual_mov_b32 v1, s2
	v_mov_b32_e32 v2, s3
	s_add_nc_u64 s[8:9], s[0:1], 0x90
	s_get_pc_i64 s[0:1]
	s_add_nc_u64 s[0:1], s[0:1], __assert_fail@rel64+4
	s_mov_b32 s32, 0
	s_swap_pc_i64 s[30:31], s[0:1]
	.section	.rodata,"a",@progbits
	.p2align	6, 0x0
	.amdhsa_kernel _Z39paged_attention_ll4mi_QKV_mfma16_kernelI14__hip_bfloat16S0_LN4vllm18Fp8KVCacheDataTypeE0ES0_Li32ELi128ELi256ELb0ELi12EEvPKT_PKT0_S8_ifPKiSA_SA_iPKfiiiPfSD_PS3_PT2_iSC_SC_
		.amdhsa_group_segment_fixed_size 0
		.amdhsa_private_segment_fixed_size 64
		.amdhsa_kernarg_size 400
		.amdhsa_user_sgpr_count 2
		.amdhsa_user_sgpr_dispatch_ptr 0
		.amdhsa_user_sgpr_queue_ptr 0
		.amdhsa_user_sgpr_kernarg_segment_ptr 1
		.amdhsa_user_sgpr_dispatch_id 0
		.amdhsa_user_sgpr_kernarg_preload_length 0
		.amdhsa_user_sgpr_kernarg_preload_offset 0
		.amdhsa_user_sgpr_private_segment_size 0
		.amdhsa_wavefront_size32 1
		.amdhsa_uses_dynamic_stack 0
		.amdhsa_enable_private_segment 1
		.amdhsa_system_sgpr_workgroup_id_x 1
		.amdhsa_system_sgpr_workgroup_id_y 0
		.amdhsa_system_sgpr_workgroup_id_z 0
		.amdhsa_system_sgpr_workgroup_info 0
		.amdhsa_system_vgpr_workitem_id 0
		.amdhsa_next_free_vgpr 51
		.amdhsa_next_free_sgpr 34
		.amdhsa_named_barrier_count 0
		.amdhsa_reserve_vcc 1
		.amdhsa_float_round_mode_32 0
		.amdhsa_float_round_mode_16_64 0
		.amdhsa_float_denorm_mode_32 3
		.amdhsa_float_denorm_mode_16_64 3
		.amdhsa_fp16_overflow 0
		.amdhsa_memory_ordered 1
		.amdhsa_forward_progress 1
		.amdhsa_inst_pref_size 1
		.amdhsa_round_robin_scheduling 0
		.amdhsa_exception_fp_ieee_invalid_op 0
		.amdhsa_exception_fp_denorm_src 0
		.amdhsa_exception_fp_ieee_div_zero 0
		.amdhsa_exception_fp_ieee_overflow 0
		.amdhsa_exception_fp_ieee_underflow 0
		.amdhsa_exception_fp_ieee_inexact 0
		.amdhsa_exception_int_div_zero 0
	.end_amdhsa_kernel
	.section	.text._Z39paged_attention_ll4mi_QKV_mfma16_kernelI14__hip_bfloat16S0_LN4vllm18Fp8KVCacheDataTypeE0ES0_Li32ELi128ELi256ELb0ELi12EEvPKT_PKT0_S8_ifPKiSA_SA_iPKfiiiPfSD_PS3_PT2_iSC_SC_,"axG",@progbits,_Z39paged_attention_ll4mi_QKV_mfma16_kernelI14__hip_bfloat16S0_LN4vllm18Fp8KVCacheDataTypeE0ES0_Li32ELi128ELi256ELb0ELi12EEvPKT_PKT0_S8_ifPKiSA_SA_iPKfiiiPfSD_PS3_PT2_iSC_SC_,comdat
.Lfunc_end761:
	.size	_Z39paged_attention_ll4mi_QKV_mfma16_kernelI14__hip_bfloat16S0_LN4vllm18Fp8KVCacheDataTypeE0ES0_Li32ELi128ELi256ELb0ELi12EEvPKT_PKT0_S8_ifPKiSA_SA_iPKfiiiPfSD_PS3_PT2_iSC_SC_, .Lfunc_end761-_Z39paged_attention_ll4mi_QKV_mfma16_kernelI14__hip_bfloat16S0_LN4vllm18Fp8KVCacheDataTypeE0ES0_Li32ELi128ELi256ELb0ELi12EEvPKT_PKT0_S8_ifPKiSA_SA_iPKfiiiPfSD_PS3_PT2_iSC_SC_
                                        ; -- End function
	.set _Z39paged_attention_ll4mi_QKV_mfma16_kernelI14__hip_bfloat16S0_LN4vllm18Fp8KVCacheDataTypeE0ES0_Li32ELi128ELi256ELb0ELi12EEvPKT_PKT0_S8_ifPKiSA_SA_iPKfiiiPfSD_PS3_PT2_iSC_SC_.num_vgpr, max(3, .L__assert_fail.num_vgpr)
	.set _Z39paged_attention_ll4mi_QKV_mfma16_kernelI14__hip_bfloat16S0_LN4vllm18Fp8KVCacheDataTypeE0ES0_Li32ELi128ELi256ELb0ELi12EEvPKT_PKT0_S8_ifPKiSA_SA_iPKfiiiPfSD_PS3_PT2_iSC_SC_.num_agpr, max(0, .L__assert_fail.num_agpr)
	.set _Z39paged_attention_ll4mi_QKV_mfma16_kernelI14__hip_bfloat16S0_LN4vllm18Fp8KVCacheDataTypeE0ES0_Li32ELi128ELi256ELb0ELi12EEvPKT_PKT0_S8_ifPKiSA_SA_iPKfiiiPfSD_PS3_PT2_iSC_SC_.numbered_sgpr, max(33, .L__assert_fail.numbered_sgpr)
	.set _Z39paged_attention_ll4mi_QKV_mfma16_kernelI14__hip_bfloat16S0_LN4vllm18Fp8KVCacheDataTypeE0ES0_Li32ELi128ELi256ELb0ELi12EEvPKT_PKT0_S8_ifPKiSA_SA_iPKfiiiPfSD_PS3_PT2_iSC_SC_.num_named_barrier, max(0, .L__assert_fail.num_named_barrier)
	.set _Z39paged_attention_ll4mi_QKV_mfma16_kernelI14__hip_bfloat16S0_LN4vllm18Fp8KVCacheDataTypeE0ES0_Li32ELi128ELi256ELb0ELi12EEvPKT_PKT0_S8_ifPKiSA_SA_iPKfiiiPfSD_PS3_PT2_iSC_SC_.private_seg_size, 0+max(.L__assert_fail.private_seg_size)
	.set _Z39paged_attention_ll4mi_QKV_mfma16_kernelI14__hip_bfloat16S0_LN4vllm18Fp8KVCacheDataTypeE0ES0_Li32ELi128ELi256ELb0ELi12EEvPKT_PKT0_S8_ifPKiSA_SA_iPKfiiiPfSD_PS3_PT2_iSC_SC_.uses_vcc, or(1, .L__assert_fail.uses_vcc)
	.set _Z39paged_attention_ll4mi_QKV_mfma16_kernelI14__hip_bfloat16S0_LN4vllm18Fp8KVCacheDataTypeE0ES0_Li32ELi128ELi256ELb0ELi12EEvPKT_PKT0_S8_ifPKiSA_SA_iPKfiiiPfSD_PS3_PT2_iSC_SC_.uses_flat_scratch, or(0, .L__assert_fail.uses_flat_scratch)
	.set _Z39paged_attention_ll4mi_QKV_mfma16_kernelI14__hip_bfloat16S0_LN4vllm18Fp8KVCacheDataTypeE0ES0_Li32ELi128ELi256ELb0ELi12EEvPKT_PKT0_S8_ifPKiSA_SA_iPKfiiiPfSD_PS3_PT2_iSC_SC_.has_dyn_sized_stack, or(0, .L__assert_fail.has_dyn_sized_stack)
	.set _Z39paged_attention_ll4mi_QKV_mfma16_kernelI14__hip_bfloat16S0_LN4vllm18Fp8KVCacheDataTypeE0ES0_Li32ELi128ELi256ELb0ELi12EEvPKT_PKT0_S8_ifPKiSA_SA_iPKfiiiPfSD_PS3_PT2_iSC_SC_.has_recursion, or(0, .L__assert_fail.has_recursion)
	.set _Z39paged_attention_ll4mi_QKV_mfma16_kernelI14__hip_bfloat16S0_LN4vllm18Fp8KVCacheDataTypeE0ES0_Li32ELi128ELi256ELb0ELi12EEvPKT_PKT0_S8_ifPKiSA_SA_iPKfiiiPfSD_PS3_PT2_iSC_SC_.has_indirect_call, or(0, .L__assert_fail.has_indirect_call)
	.section	.AMDGPU.csdata,"",@progbits
; Kernel info:
; codeLenInByte = 68
; TotalNumSgprs: 36
; NumVgprs: 51
; ScratchSize: 64
; MemoryBound: 0
; FloatMode: 240
; IeeeMode: 1
; LDSByteSize: 0 bytes/workgroup (compile time only)
; SGPRBlocks: 0
; VGPRBlocks: 3
; NumSGPRsForWavesPerEU: 36
; NumVGPRsForWavesPerEU: 51
; NamedBarCnt: 0
; Occupancy: 16
; WaveLimiterHint : 1
; COMPUTE_PGM_RSRC2:SCRATCH_EN: 1
; COMPUTE_PGM_RSRC2:USER_SGPR: 2
; COMPUTE_PGM_RSRC2:TRAP_HANDLER: 0
; COMPUTE_PGM_RSRC2:TGID_X_EN: 1
; COMPUTE_PGM_RSRC2:TGID_Y_EN: 0
; COMPUTE_PGM_RSRC2:TGID_Z_EN: 0
; COMPUTE_PGM_RSRC2:TIDIG_COMP_CNT: 0
	.section	.text._Z39paged_attention_ll4mi_QKV_mfma16_kernelI14__hip_bfloat16S0_LN4vllm18Fp8KVCacheDataTypeE0ES0_Li32ELi128ELi256ELb0ELi13EEvPKT_PKT0_S8_ifPKiSA_SA_iPKfiiiPfSD_PS3_PT2_iSC_SC_,"axG",@progbits,_Z39paged_attention_ll4mi_QKV_mfma16_kernelI14__hip_bfloat16S0_LN4vllm18Fp8KVCacheDataTypeE0ES0_Li32ELi128ELi256ELb0ELi13EEvPKT_PKT0_S8_ifPKiSA_SA_iPKfiiiPfSD_PS3_PT2_iSC_SC_,comdat
	.protected	_Z39paged_attention_ll4mi_QKV_mfma16_kernelI14__hip_bfloat16S0_LN4vllm18Fp8KVCacheDataTypeE0ES0_Li32ELi128ELi256ELb0ELi13EEvPKT_PKT0_S8_ifPKiSA_SA_iPKfiiiPfSD_PS3_PT2_iSC_SC_ ; -- Begin function _Z39paged_attention_ll4mi_QKV_mfma16_kernelI14__hip_bfloat16S0_LN4vllm18Fp8KVCacheDataTypeE0ES0_Li32ELi128ELi256ELb0ELi13EEvPKT_PKT0_S8_ifPKiSA_SA_iPKfiiiPfSD_PS3_PT2_iSC_SC_
	.globl	_Z39paged_attention_ll4mi_QKV_mfma16_kernelI14__hip_bfloat16S0_LN4vllm18Fp8KVCacheDataTypeE0ES0_Li32ELi128ELi256ELb0ELi13EEvPKT_PKT0_S8_ifPKiSA_SA_iPKfiiiPfSD_PS3_PT2_iSC_SC_
	.p2align	8
	.type	_Z39paged_attention_ll4mi_QKV_mfma16_kernelI14__hip_bfloat16S0_LN4vllm18Fp8KVCacheDataTypeE0ES0_Li32ELi128ELi256ELb0ELi13EEvPKT_PKT0_S8_ifPKiSA_SA_iPKfiiiPfSD_PS3_PT2_iSC_SC_,@function
_Z39paged_attention_ll4mi_QKV_mfma16_kernelI14__hip_bfloat16S0_LN4vllm18Fp8KVCacheDataTypeE0ES0_Li32ELi128ELi256ELb0ELi13EEvPKT_PKT0_S8_ifPKiSA_SA_iPKfiiiPfSD_PS3_PT2_iSC_SC_: ; @_Z39paged_attention_ll4mi_QKV_mfma16_kernelI14__hip_bfloat16S0_LN4vllm18Fp8KVCacheDataTypeE0ES0_Li32ELi128ELi256ELb0ELi13EEvPKT_PKT0_S8_ifPKiSA_SA_iPKfiiiPfSD_PS3_PT2_iSC_SC_
; %bb.0:
	s_get_pc_i64 s[2:3]
	s_add_nc_u64 s[2:3], s[2:3], __PRETTY_FUNCTION__._Z39paged_attention_ll4mi_QKV_mfma16_kernelI14__hip_bfloat16S0_LN4vllm18Fp8KVCacheDataTypeE0ES0_Li32ELi128ELi256ELb0ELi13EEvPKT_PKT0_S8_ifPKiSA_SA_iPKfiiiPfSD_PS3_PT2_iSC_SC_@rel64+4
	s_delay_alu instid0(SALU_CYCLE_1)
	v_dual_mov_b32 v0, 0xbb3 :: v_dual_mov_b32 v1, s2
	v_mov_b32_e32 v2, s3
	s_add_nc_u64 s[8:9], s[0:1], 0x90
	s_get_pc_i64 s[0:1]
	s_add_nc_u64 s[0:1], s[0:1], __assert_fail@rel64+4
	s_mov_b32 s32, 0
	s_swap_pc_i64 s[30:31], s[0:1]
	.section	.rodata,"a",@progbits
	.p2align	6, 0x0
	.amdhsa_kernel _Z39paged_attention_ll4mi_QKV_mfma16_kernelI14__hip_bfloat16S0_LN4vllm18Fp8KVCacheDataTypeE0ES0_Li32ELi128ELi256ELb0ELi13EEvPKT_PKT0_S8_ifPKiSA_SA_iPKfiiiPfSD_PS3_PT2_iSC_SC_
		.amdhsa_group_segment_fixed_size 0
		.amdhsa_private_segment_fixed_size 64
		.amdhsa_kernarg_size 400
		.amdhsa_user_sgpr_count 2
		.amdhsa_user_sgpr_dispatch_ptr 0
		.amdhsa_user_sgpr_queue_ptr 0
		.amdhsa_user_sgpr_kernarg_segment_ptr 1
		.amdhsa_user_sgpr_dispatch_id 0
		.amdhsa_user_sgpr_kernarg_preload_length 0
		.amdhsa_user_sgpr_kernarg_preload_offset 0
		.amdhsa_user_sgpr_private_segment_size 0
		.amdhsa_wavefront_size32 1
		.amdhsa_uses_dynamic_stack 0
		.amdhsa_enable_private_segment 1
		.amdhsa_system_sgpr_workgroup_id_x 1
		.amdhsa_system_sgpr_workgroup_id_y 0
		.amdhsa_system_sgpr_workgroup_id_z 0
		.amdhsa_system_sgpr_workgroup_info 0
		.amdhsa_system_vgpr_workitem_id 0
		.amdhsa_next_free_vgpr 51
		.amdhsa_next_free_sgpr 34
		.amdhsa_named_barrier_count 0
		.amdhsa_reserve_vcc 1
		.amdhsa_float_round_mode_32 0
		.amdhsa_float_round_mode_16_64 0
		.amdhsa_float_denorm_mode_32 3
		.amdhsa_float_denorm_mode_16_64 3
		.amdhsa_fp16_overflow 0
		.amdhsa_memory_ordered 1
		.amdhsa_forward_progress 1
		.amdhsa_inst_pref_size 1
		.amdhsa_round_robin_scheduling 0
		.amdhsa_exception_fp_ieee_invalid_op 0
		.amdhsa_exception_fp_denorm_src 0
		.amdhsa_exception_fp_ieee_div_zero 0
		.amdhsa_exception_fp_ieee_overflow 0
		.amdhsa_exception_fp_ieee_underflow 0
		.amdhsa_exception_fp_ieee_inexact 0
		.amdhsa_exception_int_div_zero 0
	.end_amdhsa_kernel
	.section	.text._Z39paged_attention_ll4mi_QKV_mfma16_kernelI14__hip_bfloat16S0_LN4vllm18Fp8KVCacheDataTypeE0ES0_Li32ELi128ELi256ELb0ELi13EEvPKT_PKT0_S8_ifPKiSA_SA_iPKfiiiPfSD_PS3_PT2_iSC_SC_,"axG",@progbits,_Z39paged_attention_ll4mi_QKV_mfma16_kernelI14__hip_bfloat16S0_LN4vllm18Fp8KVCacheDataTypeE0ES0_Li32ELi128ELi256ELb0ELi13EEvPKT_PKT0_S8_ifPKiSA_SA_iPKfiiiPfSD_PS3_PT2_iSC_SC_,comdat
.Lfunc_end762:
	.size	_Z39paged_attention_ll4mi_QKV_mfma16_kernelI14__hip_bfloat16S0_LN4vllm18Fp8KVCacheDataTypeE0ES0_Li32ELi128ELi256ELb0ELi13EEvPKT_PKT0_S8_ifPKiSA_SA_iPKfiiiPfSD_PS3_PT2_iSC_SC_, .Lfunc_end762-_Z39paged_attention_ll4mi_QKV_mfma16_kernelI14__hip_bfloat16S0_LN4vllm18Fp8KVCacheDataTypeE0ES0_Li32ELi128ELi256ELb0ELi13EEvPKT_PKT0_S8_ifPKiSA_SA_iPKfiiiPfSD_PS3_PT2_iSC_SC_
                                        ; -- End function
	.set _Z39paged_attention_ll4mi_QKV_mfma16_kernelI14__hip_bfloat16S0_LN4vllm18Fp8KVCacheDataTypeE0ES0_Li32ELi128ELi256ELb0ELi13EEvPKT_PKT0_S8_ifPKiSA_SA_iPKfiiiPfSD_PS3_PT2_iSC_SC_.num_vgpr, max(3, .L__assert_fail.num_vgpr)
	.set _Z39paged_attention_ll4mi_QKV_mfma16_kernelI14__hip_bfloat16S0_LN4vllm18Fp8KVCacheDataTypeE0ES0_Li32ELi128ELi256ELb0ELi13EEvPKT_PKT0_S8_ifPKiSA_SA_iPKfiiiPfSD_PS3_PT2_iSC_SC_.num_agpr, max(0, .L__assert_fail.num_agpr)
	.set _Z39paged_attention_ll4mi_QKV_mfma16_kernelI14__hip_bfloat16S0_LN4vllm18Fp8KVCacheDataTypeE0ES0_Li32ELi128ELi256ELb0ELi13EEvPKT_PKT0_S8_ifPKiSA_SA_iPKfiiiPfSD_PS3_PT2_iSC_SC_.numbered_sgpr, max(33, .L__assert_fail.numbered_sgpr)
	.set _Z39paged_attention_ll4mi_QKV_mfma16_kernelI14__hip_bfloat16S0_LN4vllm18Fp8KVCacheDataTypeE0ES0_Li32ELi128ELi256ELb0ELi13EEvPKT_PKT0_S8_ifPKiSA_SA_iPKfiiiPfSD_PS3_PT2_iSC_SC_.num_named_barrier, max(0, .L__assert_fail.num_named_barrier)
	.set _Z39paged_attention_ll4mi_QKV_mfma16_kernelI14__hip_bfloat16S0_LN4vllm18Fp8KVCacheDataTypeE0ES0_Li32ELi128ELi256ELb0ELi13EEvPKT_PKT0_S8_ifPKiSA_SA_iPKfiiiPfSD_PS3_PT2_iSC_SC_.private_seg_size, 0+max(.L__assert_fail.private_seg_size)
	.set _Z39paged_attention_ll4mi_QKV_mfma16_kernelI14__hip_bfloat16S0_LN4vllm18Fp8KVCacheDataTypeE0ES0_Li32ELi128ELi256ELb0ELi13EEvPKT_PKT0_S8_ifPKiSA_SA_iPKfiiiPfSD_PS3_PT2_iSC_SC_.uses_vcc, or(1, .L__assert_fail.uses_vcc)
	.set _Z39paged_attention_ll4mi_QKV_mfma16_kernelI14__hip_bfloat16S0_LN4vllm18Fp8KVCacheDataTypeE0ES0_Li32ELi128ELi256ELb0ELi13EEvPKT_PKT0_S8_ifPKiSA_SA_iPKfiiiPfSD_PS3_PT2_iSC_SC_.uses_flat_scratch, or(0, .L__assert_fail.uses_flat_scratch)
	.set _Z39paged_attention_ll4mi_QKV_mfma16_kernelI14__hip_bfloat16S0_LN4vllm18Fp8KVCacheDataTypeE0ES0_Li32ELi128ELi256ELb0ELi13EEvPKT_PKT0_S8_ifPKiSA_SA_iPKfiiiPfSD_PS3_PT2_iSC_SC_.has_dyn_sized_stack, or(0, .L__assert_fail.has_dyn_sized_stack)
	.set _Z39paged_attention_ll4mi_QKV_mfma16_kernelI14__hip_bfloat16S0_LN4vllm18Fp8KVCacheDataTypeE0ES0_Li32ELi128ELi256ELb0ELi13EEvPKT_PKT0_S8_ifPKiSA_SA_iPKfiiiPfSD_PS3_PT2_iSC_SC_.has_recursion, or(0, .L__assert_fail.has_recursion)
	.set _Z39paged_attention_ll4mi_QKV_mfma16_kernelI14__hip_bfloat16S0_LN4vllm18Fp8KVCacheDataTypeE0ES0_Li32ELi128ELi256ELb0ELi13EEvPKT_PKT0_S8_ifPKiSA_SA_iPKfiiiPfSD_PS3_PT2_iSC_SC_.has_indirect_call, or(0, .L__assert_fail.has_indirect_call)
	.section	.AMDGPU.csdata,"",@progbits
; Kernel info:
; codeLenInByte = 68
; TotalNumSgprs: 36
; NumVgprs: 51
; ScratchSize: 64
; MemoryBound: 0
; FloatMode: 240
; IeeeMode: 1
; LDSByteSize: 0 bytes/workgroup (compile time only)
; SGPRBlocks: 0
; VGPRBlocks: 3
; NumSGPRsForWavesPerEU: 36
; NumVGPRsForWavesPerEU: 51
; NamedBarCnt: 0
; Occupancy: 16
; WaveLimiterHint : 1
; COMPUTE_PGM_RSRC2:SCRATCH_EN: 1
; COMPUTE_PGM_RSRC2:USER_SGPR: 2
; COMPUTE_PGM_RSRC2:TRAP_HANDLER: 0
; COMPUTE_PGM_RSRC2:TGID_X_EN: 1
; COMPUTE_PGM_RSRC2:TGID_Y_EN: 0
; COMPUTE_PGM_RSRC2:TGID_Z_EN: 0
; COMPUTE_PGM_RSRC2:TIDIG_COMP_CNT: 0
	.section	.text._Z39paged_attention_ll4mi_QKV_mfma16_kernelI14__hip_bfloat16S0_LN4vllm18Fp8KVCacheDataTypeE0ES0_Li32ELi128ELi256ELb0ELi14EEvPKT_PKT0_S8_ifPKiSA_SA_iPKfiiiPfSD_PS3_PT2_iSC_SC_,"axG",@progbits,_Z39paged_attention_ll4mi_QKV_mfma16_kernelI14__hip_bfloat16S0_LN4vllm18Fp8KVCacheDataTypeE0ES0_Li32ELi128ELi256ELb0ELi14EEvPKT_PKT0_S8_ifPKiSA_SA_iPKfiiiPfSD_PS3_PT2_iSC_SC_,comdat
	.protected	_Z39paged_attention_ll4mi_QKV_mfma16_kernelI14__hip_bfloat16S0_LN4vllm18Fp8KVCacheDataTypeE0ES0_Li32ELi128ELi256ELb0ELi14EEvPKT_PKT0_S8_ifPKiSA_SA_iPKfiiiPfSD_PS3_PT2_iSC_SC_ ; -- Begin function _Z39paged_attention_ll4mi_QKV_mfma16_kernelI14__hip_bfloat16S0_LN4vllm18Fp8KVCacheDataTypeE0ES0_Li32ELi128ELi256ELb0ELi14EEvPKT_PKT0_S8_ifPKiSA_SA_iPKfiiiPfSD_PS3_PT2_iSC_SC_
	.globl	_Z39paged_attention_ll4mi_QKV_mfma16_kernelI14__hip_bfloat16S0_LN4vllm18Fp8KVCacheDataTypeE0ES0_Li32ELi128ELi256ELb0ELi14EEvPKT_PKT0_S8_ifPKiSA_SA_iPKfiiiPfSD_PS3_PT2_iSC_SC_
	.p2align	8
	.type	_Z39paged_attention_ll4mi_QKV_mfma16_kernelI14__hip_bfloat16S0_LN4vllm18Fp8KVCacheDataTypeE0ES0_Li32ELi128ELi256ELb0ELi14EEvPKT_PKT0_S8_ifPKiSA_SA_iPKfiiiPfSD_PS3_PT2_iSC_SC_,@function
_Z39paged_attention_ll4mi_QKV_mfma16_kernelI14__hip_bfloat16S0_LN4vllm18Fp8KVCacheDataTypeE0ES0_Li32ELi128ELi256ELb0ELi14EEvPKT_PKT0_S8_ifPKiSA_SA_iPKfiiiPfSD_PS3_PT2_iSC_SC_: ; @_Z39paged_attention_ll4mi_QKV_mfma16_kernelI14__hip_bfloat16S0_LN4vllm18Fp8KVCacheDataTypeE0ES0_Li32ELi128ELi256ELb0ELi14EEvPKT_PKT0_S8_ifPKiSA_SA_iPKfiiiPfSD_PS3_PT2_iSC_SC_
; %bb.0:
	s_get_pc_i64 s[2:3]
	s_add_nc_u64 s[2:3], s[2:3], __PRETTY_FUNCTION__._Z39paged_attention_ll4mi_QKV_mfma16_kernelI14__hip_bfloat16S0_LN4vllm18Fp8KVCacheDataTypeE0ES0_Li32ELi128ELi256ELb0ELi14EEvPKT_PKT0_S8_ifPKiSA_SA_iPKfiiiPfSD_PS3_PT2_iSC_SC_@rel64+4
	s_delay_alu instid0(SALU_CYCLE_1)
	v_dual_mov_b32 v0, 0xbb3 :: v_dual_mov_b32 v1, s2
	v_mov_b32_e32 v2, s3
	s_add_nc_u64 s[8:9], s[0:1], 0x90
	s_get_pc_i64 s[0:1]
	s_add_nc_u64 s[0:1], s[0:1], __assert_fail@rel64+4
	s_mov_b32 s32, 0
	s_swap_pc_i64 s[30:31], s[0:1]
	.section	.rodata,"a",@progbits
	.p2align	6, 0x0
	.amdhsa_kernel _Z39paged_attention_ll4mi_QKV_mfma16_kernelI14__hip_bfloat16S0_LN4vllm18Fp8KVCacheDataTypeE0ES0_Li32ELi128ELi256ELb0ELi14EEvPKT_PKT0_S8_ifPKiSA_SA_iPKfiiiPfSD_PS3_PT2_iSC_SC_
		.amdhsa_group_segment_fixed_size 0
		.amdhsa_private_segment_fixed_size 64
		.amdhsa_kernarg_size 400
		.amdhsa_user_sgpr_count 2
		.amdhsa_user_sgpr_dispatch_ptr 0
		.amdhsa_user_sgpr_queue_ptr 0
		.amdhsa_user_sgpr_kernarg_segment_ptr 1
		.amdhsa_user_sgpr_dispatch_id 0
		.amdhsa_user_sgpr_kernarg_preload_length 0
		.amdhsa_user_sgpr_kernarg_preload_offset 0
		.amdhsa_user_sgpr_private_segment_size 0
		.amdhsa_wavefront_size32 1
		.amdhsa_uses_dynamic_stack 0
		.amdhsa_enable_private_segment 1
		.amdhsa_system_sgpr_workgroup_id_x 1
		.amdhsa_system_sgpr_workgroup_id_y 0
		.amdhsa_system_sgpr_workgroup_id_z 0
		.amdhsa_system_sgpr_workgroup_info 0
		.amdhsa_system_vgpr_workitem_id 0
		.amdhsa_next_free_vgpr 51
		.amdhsa_next_free_sgpr 34
		.amdhsa_named_barrier_count 0
		.amdhsa_reserve_vcc 1
		.amdhsa_float_round_mode_32 0
		.amdhsa_float_round_mode_16_64 0
		.amdhsa_float_denorm_mode_32 3
		.amdhsa_float_denorm_mode_16_64 3
		.amdhsa_fp16_overflow 0
		.amdhsa_memory_ordered 1
		.amdhsa_forward_progress 1
		.amdhsa_inst_pref_size 1
		.amdhsa_round_robin_scheduling 0
		.amdhsa_exception_fp_ieee_invalid_op 0
		.amdhsa_exception_fp_denorm_src 0
		.amdhsa_exception_fp_ieee_div_zero 0
		.amdhsa_exception_fp_ieee_overflow 0
		.amdhsa_exception_fp_ieee_underflow 0
		.amdhsa_exception_fp_ieee_inexact 0
		.amdhsa_exception_int_div_zero 0
	.end_amdhsa_kernel
	.section	.text._Z39paged_attention_ll4mi_QKV_mfma16_kernelI14__hip_bfloat16S0_LN4vllm18Fp8KVCacheDataTypeE0ES0_Li32ELi128ELi256ELb0ELi14EEvPKT_PKT0_S8_ifPKiSA_SA_iPKfiiiPfSD_PS3_PT2_iSC_SC_,"axG",@progbits,_Z39paged_attention_ll4mi_QKV_mfma16_kernelI14__hip_bfloat16S0_LN4vllm18Fp8KVCacheDataTypeE0ES0_Li32ELi128ELi256ELb0ELi14EEvPKT_PKT0_S8_ifPKiSA_SA_iPKfiiiPfSD_PS3_PT2_iSC_SC_,comdat
.Lfunc_end763:
	.size	_Z39paged_attention_ll4mi_QKV_mfma16_kernelI14__hip_bfloat16S0_LN4vllm18Fp8KVCacheDataTypeE0ES0_Li32ELi128ELi256ELb0ELi14EEvPKT_PKT0_S8_ifPKiSA_SA_iPKfiiiPfSD_PS3_PT2_iSC_SC_, .Lfunc_end763-_Z39paged_attention_ll4mi_QKV_mfma16_kernelI14__hip_bfloat16S0_LN4vllm18Fp8KVCacheDataTypeE0ES0_Li32ELi128ELi256ELb0ELi14EEvPKT_PKT0_S8_ifPKiSA_SA_iPKfiiiPfSD_PS3_PT2_iSC_SC_
                                        ; -- End function
	.set _Z39paged_attention_ll4mi_QKV_mfma16_kernelI14__hip_bfloat16S0_LN4vllm18Fp8KVCacheDataTypeE0ES0_Li32ELi128ELi256ELb0ELi14EEvPKT_PKT0_S8_ifPKiSA_SA_iPKfiiiPfSD_PS3_PT2_iSC_SC_.num_vgpr, max(3, .L__assert_fail.num_vgpr)
	.set _Z39paged_attention_ll4mi_QKV_mfma16_kernelI14__hip_bfloat16S0_LN4vllm18Fp8KVCacheDataTypeE0ES0_Li32ELi128ELi256ELb0ELi14EEvPKT_PKT0_S8_ifPKiSA_SA_iPKfiiiPfSD_PS3_PT2_iSC_SC_.num_agpr, max(0, .L__assert_fail.num_agpr)
	.set _Z39paged_attention_ll4mi_QKV_mfma16_kernelI14__hip_bfloat16S0_LN4vllm18Fp8KVCacheDataTypeE0ES0_Li32ELi128ELi256ELb0ELi14EEvPKT_PKT0_S8_ifPKiSA_SA_iPKfiiiPfSD_PS3_PT2_iSC_SC_.numbered_sgpr, max(33, .L__assert_fail.numbered_sgpr)
	.set _Z39paged_attention_ll4mi_QKV_mfma16_kernelI14__hip_bfloat16S0_LN4vllm18Fp8KVCacheDataTypeE0ES0_Li32ELi128ELi256ELb0ELi14EEvPKT_PKT0_S8_ifPKiSA_SA_iPKfiiiPfSD_PS3_PT2_iSC_SC_.num_named_barrier, max(0, .L__assert_fail.num_named_barrier)
	.set _Z39paged_attention_ll4mi_QKV_mfma16_kernelI14__hip_bfloat16S0_LN4vllm18Fp8KVCacheDataTypeE0ES0_Li32ELi128ELi256ELb0ELi14EEvPKT_PKT0_S8_ifPKiSA_SA_iPKfiiiPfSD_PS3_PT2_iSC_SC_.private_seg_size, 0+max(.L__assert_fail.private_seg_size)
	.set _Z39paged_attention_ll4mi_QKV_mfma16_kernelI14__hip_bfloat16S0_LN4vllm18Fp8KVCacheDataTypeE0ES0_Li32ELi128ELi256ELb0ELi14EEvPKT_PKT0_S8_ifPKiSA_SA_iPKfiiiPfSD_PS3_PT2_iSC_SC_.uses_vcc, or(1, .L__assert_fail.uses_vcc)
	.set _Z39paged_attention_ll4mi_QKV_mfma16_kernelI14__hip_bfloat16S0_LN4vllm18Fp8KVCacheDataTypeE0ES0_Li32ELi128ELi256ELb0ELi14EEvPKT_PKT0_S8_ifPKiSA_SA_iPKfiiiPfSD_PS3_PT2_iSC_SC_.uses_flat_scratch, or(0, .L__assert_fail.uses_flat_scratch)
	.set _Z39paged_attention_ll4mi_QKV_mfma16_kernelI14__hip_bfloat16S0_LN4vllm18Fp8KVCacheDataTypeE0ES0_Li32ELi128ELi256ELb0ELi14EEvPKT_PKT0_S8_ifPKiSA_SA_iPKfiiiPfSD_PS3_PT2_iSC_SC_.has_dyn_sized_stack, or(0, .L__assert_fail.has_dyn_sized_stack)
	.set _Z39paged_attention_ll4mi_QKV_mfma16_kernelI14__hip_bfloat16S0_LN4vllm18Fp8KVCacheDataTypeE0ES0_Li32ELi128ELi256ELb0ELi14EEvPKT_PKT0_S8_ifPKiSA_SA_iPKfiiiPfSD_PS3_PT2_iSC_SC_.has_recursion, or(0, .L__assert_fail.has_recursion)
	.set _Z39paged_attention_ll4mi_QKV_mfma16_kernelI14__hip_bfloat16S0_LN4vllm18Fp8KVCacheDataTypeE0ES0_Li32ELi128ELi256ELb0ELi14EEvPKT_PKT0_S8_ifPKiSA_SA_iPKfiiiPfSD_PS3_PT2_iSC_SC_.has_indirect_call, or(0, .L__assert_fail.has_indirect_call)
	.section	.AMDGPU.csdata,"",@progbits
; Kernel info:
; codeLenInByte = 68
; TotalNumSgprs: 36
; NumVgprs: 51
; ScratchSize: 64
; MemoryBound: 0
; FloatMode: 240
; IeeeMode: 1
; LDSByteSize: 0 bytes/workgroup (compile time only)
; SGPRBlocks: 0
; VGPRBlocks: 3
; NumSGPRsForWavesPerEU: 36
; NumVGPRsForWavesPerEU: 51
; NamedBarCnt: 0
; Occupancy: 16
; WaveLimiterHint : 1
; COMPUTE_PGM_RSRC2:SCRATCH_EN: 1
; COMPUTE_PGM_RSRC2:USER_SGPR: 2
; COMPUTE_PGM_RSRC2:TRAP_HANDLER: 0
; COMPUTE_PGM_RSRC2:TGID_X_EN: 1
; COMPUTE_PGM_RSRC2:TGID_Y_EN: 0
; COMPUTE_PGM_RSRC2:TGID_Z_EN: 0
; COMPUTE_PGM_RSRC2:TIDIG_COMP_CNT: 0
	.section	.text._Z39paged_attention_ll4mi_QKV_mfma16_kernelI14__hip_bfloat16S0_LN4vllm18Fp8KVCacheDataTypeE0ES0_Li32ELi128ELi256ELb0ELi15EEvPKT_PKT0_S8_ifPKiSA_SA_iPKfiiiPfSD_PS3_PT2_iSC_SC_,"axG",@progbits,_Z39paged_attention_ll4mi_QKV_mfma16_kernelI14__hip_bfloat16S0_LN4vllm18Fp8KVCacheDataTypeE0ES0_Li32ELi128ELi256ELb0ELi15EEvPKT_PKT0_S8_ifPKiSA_SA_iPKfiiiPfSD_PS3_PT2_iSC_SC_,comdat
	.protected	_Z39paged_attention_ll4mi_QKV_mfma16_kernelI14__hip_bfloat16S0_LN4vllm18Fp8KVCacheDataTypeE0ES0_Li32ELi128ELi256ELb0ELi15EEvPKT_PKT0_S8_ifPKiSA_SA_iPKfiiiPfSD_PS3_PT2_iSC_SC_ ; -- Begin function _Z39paged_attention_ll4mi_QKV_mfma16_kernelI14__hip_bfloat16S0_LN4vllm18Fp8KVCacheDataTypeE0ES0_Li32ELi128ELi256ELb0ELi15EEvPKT_PKT0_S8_ifPKiSA_SA_iPKfiiiPfSD_PS3_PT2_iSC_SC_
	.globl	_Z39paged_attention_ll4mi_QKV_mfma16_kernelI14__hip_bfloat16S0_LN4vllm18Fp8KVCacheDataTypeE0ES0_Li32ELi128ELi256ELb0ELi15EEvPKT_PKT0_S8_ifPKiSA_SA_iPKfiiiPfSD_PS3_PT2_iSC_SC_
	.p2align	8
	.type	_Z39paged_attention_ll4mi_QKV_mfma16_kernelI14__hip_bfloat16S0_LN4vllm18Fp8KVCacheDataTypeE0ES0_Li32ELi128ELi256ELb0ELi15EEvPKT_PKT0_S8_ifPKiSA_SA_iPKfiiiPfSD_PS3_PT2_iSC_SC_,@function
_Z39paged_attention_ll4mi_QKV_mfma16_kernelI14__hip_bfloat16S0_LN4vllm18Fp8KVCacheDataTypeE0ES0_Li32ELi128ELi256ELb0ELi15EEvPKT_PKT0_S8_ifPKiSA_SA_iPKfiiiPfSD_PS3_PT2_iSC_SC_: ; @_Z39paged_attention_ll4mi_QKV_mfma16_kernelI14__hip_bfloat16S0_LN4vllm18Fp8KVCacheDataTypeE0ES0_Li32ELi128ELi256ELb0ELi15EEvPKT_PKT0_S8_ifPKiSA_SA_iPKfiiiPfSD_PS3_PT2_iSC_SC_
; %bb.0:
	s_get_pc_i64 s[2:3]
	s_add_nc_u64 s[2:3], s[2:3], __PRETTY_FUNCTION__._Z39paged_attention_ll4mi_QKV_mfma16_kernelI14__hip_bfloat16S0_LN4vllm18Fp8KVCacheDataTypeE0ES0_Li32ELi128ELi256ELb0ELi15EEvPKT_PKT0_S8_ifPKiSA_SA_iPKfiiiPfSD_PS3_PT2_iSC_SC_@rel64+4
	s_delay_alu instid0(SALU_CYCLE_1)
	v_dual_mov_b32 v0, 0xbb3 :: v_dual_mov_b32 v1, s2
	v_mov_b32_e32 v2, s3
	s_add_nc_u64 s[8:9], s[0:1], 0x90
	s_get_pc_i64 s[0:1]
	s_add_nc_u64 s[0:1], s[0:1], __assert_fail@rel64+4
	s_mov_b32 s32, 0
	s_swap_pc_i64 s[30:31], s[0:1]
	.section	.rodata,"a",@progbits
	.p2align	6, 0x0
	.amdhsa_kernel _Z39paged_attention_ll4mi_QKV_mfma16_kernelI14__hip_bfloat16S0_LN4vllm18Fp8KVCacheDataTypeE0ES0_Li32ELi128ELi256ELb0ELi15EEvPKT_PKT0_S8_ifPKiSA_SA_iPKfiiiPfSD_PS3_PT2_iSC_SC_
		.amdhsa_group_segment_fixed_size 0
		.amdhsa_private_segment_fixed_size 64
		.amdhsa_kernarg_size 400
		.amdhsa_user_sgpr_count 2
		.amdhsa_user_sgpr_dispatch_ptr 0
		.amdhsa_user_sgpr_queue_ptr 0
		.amdhsa_user_sgpr_kernarg_segment_ptr 1
		.amdhsa_user_sgpr_dispatch_id 0
		.amdhsa_user_sgpr_kernarg_preload_length 0
		.amdhsa_user_sgpr_kernarg_preload_offset 0
		.amdhsa_user_sgpr_private_segment_size 0
		.amdhsa_wavefront_size32 1
		.amdhsa_uses_dynamic_stack 0
		.amdhsa_enable_private_segment 1
		.amdhsa_system_sgpr_workgroup_id_x 1
		.amdhsa_system_sgpr_workgroup_id_y 0
		.amdhsa_system_sgpr_workgroup_id_z 0
		.amdhsa_system_sgpr_workgroup_info 0
		.amdhsa_system_vgpr_workitem_id 0
		.amdhsa_next_free_vgpr 51
		.amdhsa_next_free_sgpr 34
		.amdhsa_named_barrier_count 0
		.amdhsa_reserve_vcc 1
		.amdhsa_float_round_mode_32 0
		.amdhsa_float_round_mode_16_64 0
		.amdhsa_float_denorm_mode_32 3
		.amdhsa_float_denorm_mode_16_64 3
		.amdhsa_fp16_overflow 0
		.amdhsa_memory_ordered 1
		.amdhsa_forward_progress 1
		.amdhsa_inst_pref_size 1
		.amdhsa_round_robin_scheduling 0
		.amdhsa_exception_fp_ieee_invalid_op 0
		.amdhsa_exception_fp_denorm_src 0
		.amdhsa_exception_fp_ieee_div_zero 0
		.amdhsa_exception_fp_ieee_overflow 0
		.amdhsa_exception_fp_ieee_underflow 0
		.amdhsa_exception_fp_ieee_inexact 0
		.amdhsa_exception_int_div_zero 0
	.end_amdhsa_kernel
	.section	.text._Z39paged_attention_ll4mi_QKV_mfma16_kernelI14__hip_bfloat16S0_LN4vllm18Fp8KVCacheDataTypeE0ES0_Li32ELi128ELi256ELb0ELi15EEvPKT_PKT0_S8_ifPKiSA_SA_iPKfiiiPfSD_PS3_PT2_iSC_SC_,"axG",@progbits,_Z39paged_attention_ll4mi_QKV_mfma16_kernelI14__hip_bfloat16S0_LN4vllm18Fp8KVCacheDataTypeE0ES0_Li32ELi128ELi256ELb0ELi15EEvPKT_PKT0_S8_ifPKiSA_SA_iPKfiiiPfSD_PS3_PT2_iSC_SC_,comdat
.Lfunc_end764:
	.size	_Z39paged_attention_ll4mi_QKV_mfma16_kernelI14__hip_bfloat16S0_LN4vllm18Fp8KVCacheDataTypeE0ES0_Li32ELi128ELi256ELb0ELi15EEvPKT_PKT0_S8_ifPKiSA_SA_iPKfiiiPfSD_PS3_PT2_iSC_SC_, .Lfunc_end764-_Z39paged_attention_ll4mi_QKV_mfma16_kernelI14__hip_bfloat16S0_LN4vllm18Fp8KVCacheDataTypeE0ES0_Li32ELi128ELi256ELb0ELi15EEvPKT_PKT0_S8_ifPKiSA_SA_iPKfiiiPfSD_PS3_PT2_iSC_SC_
                                        ; -- End function
	.set _Z39paged_attention_ll4mi_QKV_mfma16_kernelI14__hip_bfloat16S0_LN4vllm18Fp8KVCacheDataTypeE0ES0_Li32ELi128ELi256ELb0ELi15EEvPKT_PKT0_S8_ifPKiSA_SA_iPKfiiiPfSD_PS3_PT2_iSC_SC_.num_vgpr, max(3, .L__assert_fail.num_vgpr)
	.set _Z39paged_attention_ll4mi_QKV_mfma16_kernelI14__hip_bfloat16S0_LN4vllm18Fp8KVCacheDataTypeE0ES0_Li32ELi128ELi256ELb0ELi15EEvPKT_PKT0_S8_ifPKiSA_SA_iPKfiiiPfSD_PS3_PT2_iSC_SC_.num_agpr, max(0, .L__assert_fail.num_agpr)
	.set _Z39paged_attention_ll4mi_QKV_mfma16_kernelI14__hip_bfloat16S0_LN4vllm18Fp8KVCacheDataTypeE0ES0_Li32ELi128ELi256ELb0ELi15EEvPKT_PKT0_S8_ifPKiSA_SA_iPKfiiiPfSD_PS3_PT2_iSC_SC_.numbered_sgpr, max(33, .L__assert_fail.numbered_sgpr)
	.set _Z39paged_attention_ll4mi_QKV_mfma16_kernelI14__hip_bfloat16S0_LN4vllm18Fp8KVCacheDataTypeE0ES0_Li32ELi128ELi256ELb0ELi15EEvPKT_PKT0_S8_ifPKiSA_SA_iPKfiiiPfSD_PS3_PT2_iSC_SC_.num_named_barrier, max(0, .L__assert_fail.num_named_barrier)
	.set _Z39paged_attention_ll4mi_QKV_mfma16_kernelI14__hip_bfloat16S0_LN4vllm18Fp8KVCacheDataTypeE0ES0_Li32ELi128ELi256ELb0ELi15EEvPKT_PKT0_S8_ifPKiSA_SA_iPKfiiiPfSD_PS3_PT2_iSC_SC_.private_seg_size, 0+max(.L__assert_fail.private_seg_size)
	.set _Z39paged_attention_ll4mi_QKV_mfma16_kernelI14__hip_bfloat16S0_LN4vllm18Fp8KVCacheDataTypeE0ES0_Li32ELi128ELi256ELb0ELi15EEvPKT_PKT0_S8_ifPKiSA_SA_iPKfiiiPfSD_PS3_PT2_iSC_SC_.uses_vcc, or(1, .L__assert_fail.uses_vcc)
	.set _Z39paged_attention_ll4mi_QKV_mfma16_kernelI14__hip_bfloat16S0_LN4vllm18Fp8KVCacheDataTypeE0ES0_Li32ELi128ELi256ELb0ELi15EEvPKT_PKT0_S8_ifPKiSA_SA_iPKfiiiPfSD_PS3_PT2_iSC_SC_.uses_flat_scratch, or(0, .L__assert_fail.uses_flat_scratch)
	.set _Z39paged_attention_ll4mi_QKV_mfma16_kernelI14__hip_bfloat16S0_LN4vllm18Fp8KVCacheDataTypeE0ES0_Li32ELi128ELi256ELb0ELi15EEvPKT_PKT0_S8_ifPKiSA_SA_iPKfiiiPfSD_PS3_PT2_iSC_SC_.has_dyn_sized_stack, or(0, .L__assert_fail.has_dyn_sized_stack)
	.set _Z39paged_attention_ll4mi_QKV_mfma16_kernelI14__hip_bfloat16S0_LN4vllm18Fp8KVCacheDataTypeE0ES0_Li32ELi128ELi256ELb0ELi15EEvPKT_PKT0_S8_ifPKiSA_SA_iPKfiiiPfSD_PS3_PT2_iSC_SC_.has_recursion, or(0, .L__assert_fail.has_recursion)
	.set _Z39paged_attention_ll4mi_QKV_mfma16_kernelI14__hip_bfloat16S0_LN4vllm18Fp8KVCacheDataTypeE0ES0_Li32ELi128ELi256ELb0ELi15EEvPKT_PKT0_S8_ifPKiSA_SA_iPKfiiiPfSD_PS3_PT2_iSC_SC_.has_indirect_call, or(0, .L__assert_fail.has_indirect_call)
	.section	.AMDGPU.csdata,"",@progbits
; Kernel info:
; codeLenInByte = 68
; TotalNumSgprs: 36
; NumVgprs: 51
; ScratchSize: 64
; MemoryBound: 0
; FloatMode: 240
; IeeeMode: 1
; LDSByteSize: 0 bytes/workgroup (compile time only)
; SGPRBlocks: 0
; VGPRBlocks: 3
; NumSGPRsForWavesPerEU: 36
; NumVGPRsForWavesPerEU: 51
; NamedBarCnt: 0
; Occupancy: 16
; WaveLimiterHint : 1
; COMPUTE_PGM_RSRC2:SCRATCH_EN: 1
; COMPUTE_PGM_RSRC2:USER_SGPR: 2
; COMPUTE_PGM_RSRC2:TRAP_HANDLER: 0
; COMPUTE_PGM_RSRC2:TGID_X_EN: 1
; COMPUTE_PGM_RSRC2:TGID_Y_EN: 0
; COMPUTE_PGM_RSRC2:TGID_Z_EN: 0
; COMPUTE_PGM_RSRC2:TIDIG_COMP_CNT: 0
	.section	.text._Z39paged_attention_ll4mi_QKV_mfma16_kernelI14__hip_bfloat16S0_LN4vllm18Fp8KVCacheDataTypeE0ES0_Li32ELi128ELi256ELb0ELi16EEvPKT_PKT0_S8_ifPKiSA_SA_iPKfiiiPfSD_PS3_PT2_iSC_SC_,"axG",@progbits,_Z39paged_attention_ll4mi_QKV_mfma16_kernelI14__hip_bfloat16S0_LN4vllm18Fp8KVCacheDataTypeE0ES0_Li32ELi128ELi256ELb0ELi16EEvPKT_PKT0_S8_ifPKiSA_SA_iPKfiiiPfSD_PS3_PT2_iSC_SC_,comdat
	.protected	_Z39paged_attention_ll4mi_QKV_mfma16_kernelI14__hip_bfloat16S0_LN4vllm18Fp8KVCacheDataTypeE0ES0_Li32ELi128ELi256ELb0ELi16EEvPKT_PKT0_S8_ifPKiSA_SA_iPKfiiiPfSD_PS3_PT2_iSC_SC_ ; -- Begin function _Z39paged_attention_ll4mi_QKV_mfma16_kernelI14__hip_bfloat16S0_LN4vllm18Fp8KVCacheDataTypeE0ES0_Li32ELi128ELi256ELb0ELi16EEvPKT_PKT0_S8_ifPKiSA_SA_iPKfiiiPfSD_PS3_PT2_iSC_SC_
	.globl	_Z39paged_attention_ll4mi_QKV_mfma16_kernelI14__hip_bfloat16S0_LN4vllm18Fp8KVCacheDataTypeE0ES0_Li32ELi128ELi256ELb0ELi16EEvPKT_PKT0_S8_ifPKiSA_SA_iPKfiiiPfSD_PS3_PT2_iSC_SC_
	.p2align	8
	.type	_Z39paged_attention_ll4mi_QKV_mfma16_kernelI14__hip_bfloat16S0_LN4vllm18Fp8KVCacheDataTypeE0ES0_Li32ELi128ELi256ELb0ELi16EEvPKT_PKT0_S8_ifPKiSA_SA_iPKfiiiPfSD_PS3_PT2_iSC_SC_,@function
_Z39paged_attention_ll4mi_QKV_mfma16_kernelI14__hip_bfloat16S0_LN4vllm18Fp8KVCacheDataTypeE0ES0_Li32ELi128ELi256ELb0ELi16EEvPKT_PKT0_S8_ifPKiSA_SA_iPKfiiiPfSD_PS3_PT2_iSC_SC_: ; @_Z39paged_attention_ll4mi_QKV_mfma16_kernelI14__hip_bfloat16S0_LN4vllm18Fp8KVCacheDataTypeE0ES0_Li32ELi128ELi256ELb0ELi16EEvPKT_PKT0_S8_ifPKiSA_SA_iPKfiiiPfSD_PS3_PT2_iSC_SC_
; %bb.0:
	s_get_pc_i64 s[2:3]
	s_add_nc_u64 s[2:3], s[2:3], __PRETTY_FUNCTION__._Z39paged_attention_ll4mi_QKV_mfma16_kernelI14__hip_bfloat16S0_LN4vllm18Fp8KVCacheDataTypeE0ES0_Li32ELi128ELi256ELb0ELi16EEvPKT_PKT0_S8_ifPKiSA_SA_iPKfiiiPfSD_PS3_PT2_iSC_SC_@rel64+4
	s_delay_alu instid0(SALU_CYCLE_1)
	v_dual_mov_b32 v0, 0xbb3 :: v_dual_mov_b32 v1, s2
	v_mov_b32_e32 v2, s3
	s_add_nc_u64 s[8:9], s[0:1], 0x90
	s_get_pc_i64 s[0:1]
	s_add_nc_u64 s[0:1], s[0:1], __assert_fail@rel64+4
	s_mov_b32 s32, 0
	s_swap_pc_i64 s[30:31], s[0:1]
	.section	.rodata,"a",@progbits
	.p2align	6, 0x0
	.amdhsa_kernel _Z39paged_attention_ll4mi_QKV_mfma16_kernelI14__hip_bfloat16S0_LN4vllm18Fp8KVCacheDataTypeE0ES0_Li32ELi128ELi256ELb0ELi16EEvPKT_PKT0_S8_ifPKiSA_SA_iPKfiiiPfSD_PS3_PT2_iSC_SC_
		.amdhsa_group_segment_fixed_size 0
		.amdhsa_private_segment_fixed_size 64
		.amdhsa_kernarg_size 400
		.amdhsa_user_sgpr_count 2
		.amdhsa_user_sgpr_dispatch_ptr 0
		.amdhsa_user_sgpr_queue_ptr 0
		.amdhsa_user_sgpr_kernarg_segment_ptr 1
		.amdhsa_user_sgpr_dispatch_id 0
		.amdhsa_user_sgpr_kernarg_preload_length 0
		.amdhsa_user_sgpr_kernarg_preload_offset 0
		.amdhsa_user_sgpr_private_segment_size 0
		.amdhsa_wavefront_size32 1
		.amdhsa_uses_dynamic_stack 0
		.amdhsa_enable_private_segment 1
		.amdhsa_system_sgpr_workgroup_id_x 1
		.amdhsa_system_sgpr_workgroup_id_y 0
		.amdhsa_system_sgpr_workgroup_id_z 0
		.amdhsa_system_sgpr_workgroup_info 0
		.amdhsa_system_vgpr_workitem_id 0
		.amdhsa_next_free_vgpr 51
		.amdhsa_next_free_sgpr 34
		.amdhsa_named_barrier_count 0
		.amdhsa_reserve_vcc 1
		.amdhsa_float_round_mode_32 0
		.amdhsa_float_round_mode_16_64 0
		.amdhsa_float_denorm_mode_32 3
		.amdhsa_float_denorm_mode_16_64 3
		.amdhsa_fp16_overflow 0
		.amdhsa_memory_ordered 1
		.amdhsa_forward_progress 1
		.amdhsa_inst_pref_size 1
		.amdhsa_round_robin_scheduling 0
		.amdhsa_exception_fp_ieee_invalid_op 0
		.amdhsa_exception_fp_denorm_src 0
		.amdhsa_exception_fp_ieee_div_zero 0
		.amdhsa_exception_fp_ieee_overflow 0
		.amdhsa_exception_fp_ieee_underflow 0
		.amdhsa_exception_fp_ieee_inexact 0
		.amdhsa_exception_int_div_zero 0
	.end_amdhsa_kernel
	.section	.text._Z39paged_attention_ll4mi_QKV_mfma16_kernelI14__hip_bfloat16S0_LN4vllm18Fp8KVCacheDataTypeE0ES0_Li32ELi128ELi256ELb0ELi16EEvPKT_PKT0_S8_ifPKiSA_SA_iPKfiiiPfSD_PS3_PT2_iSC_SC_,"axG",@progbits,_Z39paged_attention_ll4mi_QKV_mfma16_kernelI14__hip_bfloat16S0_LN4vllm18Fp8KVCacheDataTypeE0ES0_Li32ELi128ELi256ELb0ELi16EEvPKT_PKT0_S8_ifPKiSA_SA_iPKfiiiPfSD_PS3_PT2_iSC_SC_,comdat
.Lfunc_end765:
	.size	_Z39paged_attention_ll4mi_QKV_mfma16_kernelI14__hip_bfloat16S0_LN4vllm18Fp8KVCacheDataTypeE0ES0_Li32ELi128ELi256ELb0ELi16EEvPKT_PKT0_S8_ifPKiSA_SA_iPKfiiiPfSD_PS3_PT2_iSC_SC_, .Lfunc_end765-_Z39paged_attention_ll4mi_QKV_mfma16_kernelI14__hip_bfloat16S0_LN4vllm18Fp8KVCacheDataTypeE0ES0_Li32ELi128ELi256ELb0ELi16EEvPKT_PKT0_S8_ifPKiSA_SA_iPKfiiiPfSD_PS3_PT2_iSC_SC_
                                        ; -- End function
	.set _Z39paged_attention_ll4mi_QKV_mfma16_kernelI14__hip_bfloat16S0_LN4vllm18Fp8KVCacheDataTypeE0ES0_Li32ELi128ELi256ELb0ELi16EEvPKT_PKT0_S8_ifPKiSA_SA_iPKfiiiPfSD_PS3_PT2_iSC_SC_.num_vgpr, max(3, .L__assert_fail.num_vgpr)
	.set _Z39paged_attention_ll4mi_QKV_mfma16_kernelI14__hip_bfloat16S0_LN4vllm18Fp8KVCacheDataTypeE0ES0_Li32ELi128ELi256ELb0ELi16EEvPKT_PKT0_S8_ifPKiSA_SA_iPKfiiiPfSD_PS3_PT2_iSC_SC_.num_agpr, max(0, .L__assert_fail.num_agpr)
	.set _Z39paged_attention_ll4mi_QKV_mfma16_kernelI14__hip_bfloat16S0_LN4vllm18Fp8KVCacheDataTypeE0ES0_Li32ELi128ELi256ELb0ELi16EEvPKT_PKT0_S8_ifPKiSA_SA_iPKfiiiPfSD_PS3_PT2_iSC_SC_.numbered_sgpr, max(33, .L__assert_fail.numbered_sgpr)
	.set _Z39paged_attention_ll4mi_QKV_mfma16_kernelI14__hip_bfloat16S0_LN4vllm18Fp8KVCacheDataTypeE0ES0_Li32ELi128ELi256ELb0ELi16EEvPKT_PKT0_S8_ifPKiSA_SA_iPKfiiiPfSD_PS3_PT2_iSC_SC_.num_named_barrier, max(0, .L__assert_fail.num_named_barrier)
	.set _Z39paged_attention_ll4mi_QKV_mfma16_kernelI14__hip_bfloat16S0_LN4vllm18Fp8KVCacheDataTypeE0ES0_Li32ELi128ELi256ELb0ELi16EEvPKT_PKT0_S8_ifPKiSA_SA_iPKfiiiPfSD_PS3_PT2_iSC_SC_.private_seg_size, 0+max(.L__assert_fail.private_seg_size)
	.set _Z39paged_attention_ll4mi_QKV_mfma16_kernelI14__hip_bfloat16S0_LN4vllm18Fp8KVCacheDataTypeE0ES0_Li32ELi128ELi256ELb0ELi16EEvPKT_PKT0_S8_ifPKiSA_SA_iPKfiiiPfSD_PS3_PT2_iSC_SC_.uses_vcc, or(1, .L__assert_fail.uses_vcc)
	.set _Z39paged_attention_ll4mi_QKV_mfma16_kernelI14__hip_bfloat16S0_LN4vllm18Fp8KVCacheDataTypeE0ES0_Li32ELi128ELi256ELb0ELi16EEvPKT_PKT0_S8_ifPKiSA_SA_iPKfiiiPfSD_PS3_PT2_iSC_SC_.uses_flat_scratch, or(0, .L__assert_fail.uses_flat_scratch)
	.set _Z39paged_attention_ll4mi_QKV_mfma16_kernelI14__hip_bfloat16S0_LN4vllm18Fp8KVCacheDataTypeE0ES0_Li32ELi128ELi256ELb0ELi16EEvPKT_PKT0_S8_ifPKiSA_SA_iPKfiiiPfSD_PS3_PT2_iSC_SC_.has_dyn_sized_stack, or(0, .L__assert_fail.has_dyn_sized_stack)
	.set _Z39paged_attention_ll4mi_QKV_mfma16_kernelI14__hip_bfloat16S0_LN4vllm18Fp8KVCacheDataTypeE0ES0_Li32ELi128ELi256ELb0ELi16EEvPKT_PKT0_S8_ifPKiSA_SA_iPKfiiiPfSD_PS3_PT2_iSC_SC_.has_recursion, or(0, .L__assert_fail.has_recursion)
	.set _Z39paged_attention_ll4mi_QKV_mfma16_kernelI14__hip_bfloat16S0_LN4vllm18Fp8KVCacheDataTypeE0ES0_Li32ELi128ELi256ELb0ELi16EEvPKT_PKT0_S8_ifPKiSA_SA_iPKfiiiPfSD_PS3_PT2_iSC_SC_.has_indirect_call, or(0, .L__assert_fail.has_indirect_call)
	.section	.AMDGPU.csdata,"",@progbits
; Kernel info:
; codeLenInByte = 68
; TotalNumSgprs: 36
; NumVgprs: 51
; ScratchSize: 64
; MemoryBound: 0
; FloatMode: 240
; IeeeMode: 1
; LDSByteSize: 0 bytes/workgroup (compile time only)
; SGPRBlocks: 0
; VGPRBlocks: 3
; NumSGPRsForWavesPerEU: 36
; NumVGPRsForWavesPerEU: 51
; NamedBarCnt: 0
; Occupancy: 16
; WaveLimiterHint : 1
; COMPUTE_PGM_RSRC2:SCRATCH_EN: 1
; COMPUTE_PGM_RSRC2:USER_SGPR: 2
; COMPUTE_PGM_RSRC2:TRAP_HANDLER: 0
; COMPUTE_PGM_RSRC2:TGID_X_EN: 1
; COMPUTE_PGM_RSRC2:TGID_Y_EN: 0
; COMPUTE_PGM_RSRC2:TGID_Z_EN: 0
; COMPUTE_PGM_RSRC2:TIDIG_COMP_CNT: 0
	.section	.text._Z39paged_attention_ll4mi_QKV_mfma16_kernelI14__hip_bfloat16S0_LN4vllm18Fp8KVCacheDataTypeE0ES0_Li32ELi128ELi256ELb0ELi1EEvPKT_PKT0_S8_ifPKiSA_SA_iPKfiiiPfSD_PS3_PT2_iSC_SC_,"axG",@progbits,_Z39paged_attention_ll4mi_QKV_mfma16_kernelI14__hip_bfloat16S0_LN4vllm18Fp8KVCacheDataTypeE0ES0_Li32ELi128ELi256ELb0ELi1EEvPKT_PKT0_S8_ifPKiSA_SA_iPKfiiiPfSD_PS3_PT2_iSC_SC_,comdat
	.protected	_Z39paged_attention_ll4mi_QKV_mfma16_kernelI14__hip_bfloat16S0_LN4vllm18Fp8KVCacheDataTypeE0ES0_Li32ELi128ELi256ELb0ELi1EEvPKT_PKT0_S8_ifPKiSA_SA_iPKfiiiPfSD_PS3_PT2_iSC_SC_ ; -- Begin function _Z39paged_attention_ll4mi_QKV_mfma16_kernelI14__hip_bfloat16S0_LN4vllm18Fp8KVCacheDataTypeE0ES0_Li32ELi128ELi256ELb0ELi1EEvPKT_PKT0_S8_ifPKiSA_SA_iPKfiiiPfSD_PS3_PT2_iSC_SC_
	.globl	_Z39paged_attention_ll4mi_QKV_mfma16_kernelI14__hip_bfloat16S0_LN4vllm18Fp8KVCacheDataTypeE0ES0_Li32ELi128ELi256ELb0ELi1EEvPKT_PKT0_S8_ifPKiSA_SA_iPKfiiiPfSD_PS3_PT2_iSC_SC_
	.p2align	8
	.type	_Z39paged_attention_ll4mi_QKV_mfma16_kernelI14__hip_bfloat16S0_LN4vllm18Fp8KVCacheDataTypeE0ES0_Li32ELi128ELi256ELb0ELi1EEvPKT_PKT0_S8_ifPKiSA_SA_iPKfiiiPfSD_PS3_PT2_iSC_SC_,@function
_Z39paged_attention_ll4mi_QKV_mfma16_kernelI14__hip_bfloat16S0_LN4vllm18Fp8KVCacheDataTypeE0ES0_Li32ELi128ELi256ELb0ELi1EEvPKT_PKT0_S8_ifPKiSA_SA_iPKfiiiPfSD_PS3_PT2_iSC_SC_: ; @_Z39paged_attention_ll4mi_QKV_mfma16_kernelI14__hip_bfloat16S0_LN4vllm18Fp8KVCacheDataTypeE0ES0_Li32ELi128ELi256ELb0ELi1EEvPKT_PKT0_S8_ifPKiSA_SA_iPKfiiiPfSD_PS3_PT2_iSC_SC_
; %bb.0:
	s_get_pc_i64 s[2:3]
	s_add_nc_u64 s[2:3], s[2:3], __PRETTY_FUNCTION__._Z39paged_attention_ll4mi_QKV_mfma16_kernelI14__hip_bfloat16S0_LN4vllm18Fp8KVCacheDataTypeE0ES0_Li32ELi128ELi256ELb0ELi1EEvPKT_PKT0_S8_ifPKiSA_SA_iPKfiiiPfSD_PS3_PT2_iSC_SC_@rel64+4
	s_delay_alu instid0(SALU_CYCLE_1)
	v_dual_mov_b32 v0, 0xbb3 :: v_dual_mov_b32 v1, s2
	v_mov_b32_e32 v2, s3
	s_add_nc_u64 s[8:9], s[0:1], 0x90
	s_get_pc_i64 s[0:1]
	s_add_nc_u64 s[0:1], s[0:1], __assert_fail@rel64+4
	s_mov_b32 s32, 0
	s_swap_pc_i64 s[30:31], s[0:1]
	.section	.rodata,"a",@progbits
	.p2align	6, 0x0
	.amdhsa_kernel _Z39paged_attention_ll4mi_QKV_mfma16_kernelI14__hip_bfloat16S0_LN4vllm18Fp8KVCacheDataTypeE0ES0_Li32ELi128ELi256ELb0ELi1EEvPKT_PKT0_S8_ifPKiSA_SA_iPKfiiiPfSD_PS3_PT2_iSC_SC_
		.amdhsa_group_segment_fixed_size 0
		.amdhsa_private_segment_fixed_size 64
		.amdhsa_kernarg_size 400
		.amdhsa_user_sgpr_count 2
		.amdhsa_user_sgpr_dispatch_ptr 0
		.amdhsa_user_sgpr_queue_ptr 0
		.amdhsa_user_sgpr_kernarg_segment_ptr 1
		.amdhsa_user_sgpr_dispatch_id 0
		.amdhsa_user_sgpr_kernarg_preload_length 0
		.amdhsa_user_sgpr_kernarg_preload_offset 0
		.amdhsa_user_sgpr_private_segment_size 0
		.amdhsa_wavefront_size32 1
		.amdhsa_uses_dynamic_stack 0
		.amdhsa_enable_private_segment 1
		.amdhsa_system_sgpr_workgroup_id_x 1
		.amdhsa_system_sgpr_workgroup_id_y 0
		.amdhsa_system_sgpr_workgroup_id_z 0
		.amdhsa_system_sgpr_workgroup_info 0
		.amdhsa_system_vgpr_workitem_id 0
		.amdhsa_next_free_vgpr 51
		.amdhsa_next_free_sgpr 34
		.amdhsa_named_barrier_count 0
		.amdhsa_reserve_vcc 1
		.amdhsa_float_round_mode_32 0
		.amdhsa_float_round_mode_16_64 0
		.amdhsa_float_denorm_mode_32 3
		.amdhsa_float_denorm_mode_16_64 3
		.amdhsa_fp16_overflow 0
		.amdhsa_memory_ordered 1
		.amdhsa_forward_progress 1
		.amdhsa_inst_pref_size 1
		.amdhsa_round_robin_scheduling 0
		.amdhsa_exception_fp_ieee_invalid_op 0
		.amdhsa_exception_fp_denorm_src 0
		.amdhsa_exception_fp_ieee_div_zero 0
		.amdhsa_exception_fp_ieee_overflow 0
		.amdhsa_exception_fp_ieee_underflow 0
		.amdhsa_exception_fp_ieee_inexact 0
		.amdhsa_exception_int_div_zero 0
	.end_amdhsa_kernel
	.section	.text._Z39paged_attention_ll4mi_QKV_mfma16_kernelI14__hip_bfloat16S0_LN4vllm18Fp8KVCacheDataTypeE0ES0_Li32ELi128ELi256ELb0ELi1EEvPKT_PKT0_S8_ifPKiSA_SA_iPKfiiiPfSD_PS3_PT2_iSC_SC_,"axG",@progbits,_Z39paged_attention_ll4mi_QKV_mfma16_kernelI14__hip_bfloat16S0_LN4vllm18Fp8KVCacheDataTypeE0ES0_Li32ELi128ELi256ELb0ELi1EEvPKT_PKT0_S8_ifPKiSA_SA_iPKfiiiPfSD_PS3_PT2_iSC_SC_,comdat
.Lfunc_end766:
	.size	_Z39paged_attention_ll4mi_QKV_mfma16_kernelI14__hip_bfloat16S0_LN4vllm18Fp8KVCacheDataTypeE0ES0_Li32ELi128ELi256ELb0ELi1EEvPKT_PKT0_S8_ifPKiSA_SA_iPKfiiiPfSD_PS3_PT2_iSC_SC_, .Lfunc_end766-_Z39paged_attention_ll4mi_QKV_mfma16_kernelI14__hip_bfloat16S0_LN4vllm18Fp8KVCacheDataTypeE0ES0_Li32ELi128ELi256ELb0ELi1EEvPKT_PKT0_S8_ifPKiSA_SA_iPKfiiiPfSD_PS3_PT2_iSC_SC_
                                        ; -- End function
	.set _Z39paged_attention_ll4mi_QKV_mfma16_kernelI14__hip_bfloat16S0_LN4vllm18Fp8KVCacheDataTypeE0ES0_Li32ELi128ELi256ELb0ELi1EEvPKT_PKT0_S8_ifPKiSA_SA_iPKfiiiPfSD_PS3_PT2_iSC_SC_.num_vgpr, max(3, .L__assert_fail.num_vgpr)
	.set _Z39paged_attention_ll4mi_QKV_mfma16_kernelI14__hip_bfloat16S0_LN4vllm18Fp8KVCacheDataTypeE0ES0_Li32ELi128ELi256ELb0ELi1EEvPKT_PKT0_S8_ifPKiSA_SA_iPKfiiiPfSD_PS3_PT2_iSC_SC_.num_agpr, max(0, .L__assert_fail.num_agpr)
	.set _Z39paged_attention_ll4mi_QKV_mfma16_kernelI14__hip_bfloat16S0_LN4vllm18Fp8KVCacheDataTypeE0ES0_Li32ELi128ELi256ELb0ELi1EEvPKT_PKT0_S8_ifPKiSA_SA_iPKfiiiPfSD_PS3_PT2_iSC_SC_.numbered_sgpr, max(33, .L__assert_fail.numbered_sgpr)
	.set _Z39paged_attention_ll4mi_QKV_mfma16_kernelI14__hip_bfloat16S0_LN4vllm18Fp8KVCacheDataTypeE0ES0_Li32ELi128ELi256ELb0ELi1EEvPKT_PKT0_S8_ifPKiSA_SA_iPKfiiiPfSD_PS3_PT2_iSC_SC_.num_named_barrier, max(0, .L__assert_fail.num_named_barrier)
	.set _Z39paged_attention_ll4mi_QKV_mfma16_kernelI14__hip_bfloat16S0_LN4vllm18Fp8KVCacheDataTypeE0ES0_Li32ELi128ELi256ELb0ELi1EEvPKT_PKT0_S8_ifPKiSA_SA_iPKfiiiPfSD_PS3_PT2_iSC_SC_.private_seg_size, 0+max(.L__assert_fail.private_seg_size)
	.set _Z39paged_attention_ll4mi_QKV_mfma16_kernelI14__hip_bfloat16S0_LN4vllm18Fp8KVCacheDataTypeE0ES0_Li32ELi128ELi256ELb0ELi1EEvPKT_PKT0_S8_ifPKiSA_SA_iPKfiiiPfSD_PS3_PT2_iSC_SC_.uses_vcc, or(1, .L__assert_fail.uses_vcc)
	.set _Z39paged_attention_ll4mi_QKV_mfma16_kernelI14__hip_bfloat16S0_LN4vllm18Fp8KVCacheDataTypeE0ES0_Li32ELi128ELi256ELb0ELi1EEvPKT_PKT0_S8_ifPKiSA_SA_iPKfiiiPfSD_PS3_PT2_iSC_SC_.uses_flat_scratch, or(0, .L__assert_fail.uses_flat_scratch)
	.set _Z39paged_attention_ll4mi_QKV_mfma16_kernelI14__hip_bfloat16S0_LN4vllm18Fp8KVCacheDataTypeE0ES0_Li32ELi128ELi256ELb0ELi1EEvPKT_PKT0_S8_ifPKiSA_SA_iPKfiiiPfSD_PS3_PT2_iSC_SC_.has_dyn_sized_stack, or(0, .L__assert_fail.has_dyn_sized_stack)
	.set _Z39paged_attention_ll4mi_QKV_mfma16_kernelI14__hip_bfloat16S0_LN4vllm18Fp8KVCacheDataTypeE0ES0_Li32ELi128ELi256ELb0ELi1EEvPKT_PKT0_S8_ifPKiSA_SA_iPKfiiiPfSD_PS3_PT2_iSC_SC_.has_recursion, or(0, .L__assert_fail.has_recursion)
	.set _Z39paged_attention_ll4mi_QKV_mfma16_kernelI14__hip_bfloat16S0_LN4vllm18Fp8KVCacheDataTypeE0ES0_Li32ELi128ELi256ELb0ELi1EEvPKT_PKT0_S8_ifPKiSA_SA_iPKfiiiPfSD_PS3_PT2_iSC_SC_.has_indirect_call, or(0, .L__assert_fail.has_indirect_call)
	.section	.AMDGPU.csdata,"",@progbits
; Kernel info:
; codeLenInByte = 68
; TotalNumSgprs: 36
; NumVgprs: 51
; ScratchSize: 64
; MemoryBound: 0
; FloatMode: 240
; IeeeMode: 1
; LDSByteSize: 0 bytes/workgroup (compile time only)
; SGPRBlocks: 0
; VGPRBlocks: 3
; NumSGPRsForWavesPerEU: 36
; NumVGPRsForWavesPerEU: 51
; NamedBarCnt: 0
; Occupancy: 16
; WaveLimiterHint : 1
; COMPUTE_PGM_RSRC2:SCRATCH_EN: 1
; COMPUTE_PGM_RSRC2:USER_SGPR: 2
; COMPUTE_PGM_RSRC2:TRAP_HANDLER: 0
; COMPUTE_PGM_RSRC2:TGID_X_EN: 1
; COMPUTE_PGM_RSRC2:TGID_Y_EN: 0
; COMPUTE_PGM_RSRC2:TGID_Z_EN: 0
; COMPUTE_PGM_RSRC2:TIDIG_COMP_CNT: 0
	.section	.text._Z39paged_attention_ll4mi_QKV_mfma16_kernelI14__hip_bfloat16S0_LN4vllm18Fp8KVCacheDataTypeE0ES0_Li32ELi128ELi256ELb0ELi2EEvPKT_PKT0_S8_ifPKiSA_SA_iPKfiiiPfSD_PS3_PT2_iSC_SC_,"axG",@progbits,_Z39paged_attention_ll4mi_QKV_mfma16_kernelI14__hip_bfloat16S0_LN4vllm18Fp8KVCacheDataTypeE0ES0_Li32ELi128ELi256ELb0ELi2EEvPKT_PKT0_S8_ifPKiSA_SA_iPKfiiiPfSD_PS3_PT2_iSC_SC_,comdat
	.protected	_Z39paged_attention_ll4mi_QKV_mfma16_kernelI14__hip_bfloat16S0_LN4vllm18Fp8KVCacheDataTypeE0ES0_Li32ELi128ELi256ELb0ELi2EEvPKT_PKT0_S8_ifPKiSA_SA_iPKfiiiPfSD_PS3_PT2_iSC_SC_ ; -- Begin function _Z39paged_attention_ll4mi_QKV_mfma16_kernelI14__hip_bfloat16S0_LN4vllm18Fp8KVCacheDataTypeE0ES0_Li32ELi128ELi256ELb0ELi2EEvPKT_PKT0_S8_ifPKiSA_SA_iPKfiiiPfSD_PS3_PT2_iSC_SC_
	.globl	_Z39paged_attention_ll4mi_QKV_mfma16_kernelI14__hip_bfloat16S0_LN4vllm18Fp8KVCacheDataTypeE0ES0_Li32ELi128ELi256ELb0ELi2EEvPKT_PKT0_S8_ifPKiSA_SA_iPKfiiiPfSD_PS3_PT2_iSC_SC_
	.p2align	8
	.type	_Z39paged_attention_ll4mi_QKV_mfma16_kernelI14__hip_bfloat16S0_LN4vllm18Fp8KVCacheDataTypeE0ES0_Li32ELi128ELi256ELb0ELi2EEvPKT_PKT0_S8_ifPKiSA_SA_iPKfiiiPfSD_PS3_PT2_iSC_SC_,@function
_Z39paged_attention_ll4mi_QKV_mfma16_kernelI14__hip_bfloat16S0_LN4vllm18Fp8KVCacheDataTypeE0ES0_Li32ELi128ELi256ELb0ELi2EEvPKT_PKT0_S8_ifPKiSA_SA_iPKfiiiPfSD_PS3_PT2_iSC_SC_: ; @_Z39paged_attention_ll4mi_QKV_mfma16_kernelI14__hip_bfloat16S0_LN4vllm18Fp8KVCacheDataTypeE0ES0_Li32ELi128ELi256ELb0ELi2EEvPKT_PKT0_S8_ifPKiSA_SA_iPKfiiiPfSD_PS3_PT2_iSC_SC_
; %bb.0:
	s_get_pc_i64 s[2:3]
	s_add_nc_u64 s[2:3], s[2:3], __PRETTY_FUNCTION__._Z39paged_attention_ll4mi_QKV_mfma16_kernelI14__hip_bfloat16S0_LN4vllm18Fp8KVCacheDataTypeE0ES0_Li32ELi128ELi256ELb0ELi2EEvPKT_PKT0_S8_ifPKiSA_SA_iPKfiiiPfSD_PS3_PT2_iSC_SC_@rel64+4
	s_delay_alu instid0(SALU_CYCLE_1)
	v_dual_mov_b32 v0, 0xbb3 :: v_dual_mov_b32 v1, s2
	v_mov_b32_e32 v2, s3
	s_add_nc_u64 s[8:9], s[0:1], 0x90
	s_get_pc_i64 s[0:1]
	s_add_nc_u64 s[0:1], s[0:1], __assert_fail@rel64+4
	s_mov_b32 s32, 0
	s_swap_pc_i64 s[30:31], s[0:1]
	.section	.rodata,"a",@progbits
	.p2align	6, 0x0
	.amdhsa_kernel _Z39paged_attention_ll4mi_QKV_mfma16_kernelI14__hip_bfloat16S0_LN4vllm18Fp8KVCacheDataTypeE0ES0_Li32ELi128ELi256ELb0ELi2EEvPKT_PKT0_S8_ifPKiSA_SA_iPKfiiiPfSD_PS3_PT2_iSC_SC_
		.amdhsa_group_segment_fixed_size 0
		.amdhsa_private_segment_fixed_size 64
		.amdhsa_kernarg_size 400
		.amdhsa_user_sgpr_count 2
		.amdhsa_user_sgpr_dispatch_ptr 0
		.amdhsa_user_sgpr_queue_ptr 0
		.amdhsa_user_sgpr_kernarg_segment_ptr 1
		.amdhsa_user_sgpr_dispatch_id 0
		.amdhsa_user_sgpr_kernarg_preload_length 0
		.amdhsa_user_sgpr_kernarg_preload_offset 0
		.amdhsa_user_sgpr_private_segment_size 0
		.amdhsa_wavefront_size32 1
		.amdhsa_uses_dynamic_stack 0
		.amdhsa_enable_private_segment 1
		.amdhsa_system_sgpr_workgroup_id_x 1
		.amdhsa_system_sgpr_workgroup_id_y 0
		.amdhsa_system_sgpr_workgroup_id_z 0
		.amdhsa_system_sgpr_workgroup_info 0
		.amdhsa_system_vgpr_workitem_id 0
		.amdhsa_next_free_vgpr 51
		.amdhsa_next_free_sgpr 34
		.amdhsa_named_barrier_count 0
		.amdhsa_reserve_vcc 1
		.amdhsa_float_round_mode_32 0
		.amdhsa_float_round_mode_16_64 0
		.amdhsa_float_denorm_mode_32 3
		.amdhsa_float_denorm_mode_16_64 3
		.amdhsa_fp16_overflow 0
		.amdhsa_memory_ordered 1
		.amdhsa_forward_progress 1
		.amdhsa_inst_pref_size 1
		.amdhsa_round_robin_scheduling 0
		.amdhsa_exception_fp_ieee_invalid_op 0
		.amdhsa_exception_fp_denorm_src 0
		.amdhsa_exception_fp_ieee_div_zero 0
		.amdhsa_exception_fp_ieee_overflow 0
		.amdhsa_exception_fp_ieee_underflow 0
		.amdhsa_exception_fp_ieee_inexact 0
		.amdhsa_exception_int_div_zero 0
	.end_amdhsa_kernel
	.section	.text._Z39paged_attention_ll4mi_QKV_mfma16_kernelI14__hip_bfloat16S0_LN4vllm18Fp8KVCacheDataTypeE0ES0_Li32ELi128ELi256ELb0ELi2EEvPKT_PKT0_S8_ifPKiSA_SA_iPKfiiiPfSD_PS3_PT2_iSC_SC_,"axG",@progbits,_Z39paged_attention_ll4mi_QKV_mfma16_kernelI14__hip_bfloat16S0_LN4vllm18Fp8KVCacheDataTypeE0ES0_Li32ELi128ELi256ELb0ELi2EEvPKT_PKT0_S8_ifPKiSA_SA_iPKfiiiPfSD_PS3_PT2_iSC_SC_,comdat
.Lfunc_end767:
	.size	_Z39paged_attention_ll4mi_QKV_mfma16_kernelI14__hip_bfloat16S0_LN4vllm18Fp8KVCacheDataTypeE0ES0_Li32ELi128ELi256ELb0ELi2EEvPKT_PKT0_S8_ifPKiSA_SA_iPKfiiiPfSD_PS3_PT2_iSC_SC_, .Lfunc_end767-_Z39paged_attention_ll4mi_QKV_mfma16_kernelI14__hip_bfloat16S0_LN4vllm18Fp8KVCacheDataTypeE0ES0_Li32ELi128ELi256ELb0ELi2EEvPKT_PKT0_S8_ifPKiSA_SA_iPKfiiiPfSD_PS3_PT2_iSC_SC_
                                        ; -- End function
	.set _Z39paged_attention_ll4mi_QKV_mfma16_kernelI14__hip_bfloat16S0_LN4vllm18Fp8KVCacheDataTypeE0ES0_Li32ELi128ELi256ELb0ELi2EEvPKT_PKT0_S8_ifPKiSA_SA_iPKfiiiPfSD_PS3_PT2_iSC_SC_.num_vgpr, max(3, .L__assert_fail.num_vgpr)
	.set _Z39paged_attention_ll4mi_QKV_mfma16_kernelI14__hip_bfloat16S0_LN4vllm18Fp8KVCacheDataTypeE0ES0_Li32ELi128ELi256ELb0ELi2EEvPKT_PKT0_S8_ifPKiSA_SA_iPKfiiiPfSD_PS3_PT2_iSC_SC_.num_agpr, max(0, .L__assert_fail.num_agpr)
	.set _Z39paged_attention_ll4mi_QKV_mfma16_kernelI14__hip_bfloat16S0_LN4vllm18Fp8KVCacheDataTypeE0ES0_Li32ELi128ELi256ELb0ELi2EEvPKT_PKT0_S8_ifPKiSA_SA_iPKfiiiPfSD_PS3_PT2_iSC_SC_.numbered_sgpr, max(33, .L__assert_fail.numbered_sgpr)
	.set _Z39paged_attention_ll4mi_QKV_mfma16_kernelI14__hip_bfloat16S0_LN4vllm18Fp8KVCacheDataTypeE0ES0_Li32ELi128ELi256ELb0ELi2EEvPKT_PKT0_S8_ifPKiSA_SA_iPKfiiiPfSD_PS3_PT2_iSC_SC_.num_named_barrier, max(0, .L__assert_fail.num_named_barrier)
	.set _Z39paged_attention_ll4mi_QKV_mfma16_kernelI14__hip_bfloat16S0_LN4vllm18Fp8KVCacheDataTypeE0ES0_Li32ELi128ELi256ELb0ELi2EEvPKT_PKT0_S8_ifPKiSA_SA_iPKfiiiPfSD_PS3_PT2_iSC_SC_.private_seg_size, 0+max(.L__assert_fail.private_seg_size)
	.set _Z39paged_attention_ll4mi_QKV_mfma16_kernelI14__hip_bfloat16S0_LN4vllm18Fp8KVCacheDataTypeE0ES0_Li32ELi128ELi256ELb0ELi2EEvPKT_PKT0_S8_ifPKiSA_SA_iPKfiiiPfSD_PS3_PT2_iSC_SC_.uses_vcc, or(1, .L__assert_fail.uses_vcc)
	.set _Z39paged_attention_ll4mi_QKV_mfma16_kernelI14__hip_bfloat16S0_LN4vllm18Fp8KVCacheDataTypeE0ES0_Li32ELi128ELi256ELb0ELi2EEvPKT_PKT0_S8_ifPKiSA_SA_iPKfiiiPfSD_PS3_PT2_iSC_SC_.uses_flat_scratch, or(0, .L__assert_fail.uses_flat_scratch)
	.set _Z39paged_attention_ll4mi_QKV_mfma16_kernelI14__hip_bfloat16S0_LN4vllm18Fp8KVCacheDataTypeE0ES0_Li32ELi128ELi256ELb0ELi2EEvPKT_PKT0_S8_ifPKiSA_SA_iPKfiiiPfSD_PS3_PT2_iSC_SC_.has_dyn_sized_stack, or(0, .L__assert_fail.has_dyn_sized_stack)
	.set _Z39paged_attention_ll4mi_QKV_mfma16_kernelI14__hip_bfloat16S0_LN4vllm18Fp8KVCacheDataTypeE0ES0_Li32ELi128ELi256ELb0ELi2EEvPKT_PKT0_S8_ifPKiSA_SA_iPKfiiiPfSD_PS3_PT2_iSC_SC_.has_recursion, or(0, .L__assert_fail.has_recursion)
	.set _Z39paged_attention_ll4mi_QKV_mfma16_kernelI14__hip_bfloat16S0_LN4vllm18Fp8KVCacheDataTypeE0ES0_Li32ELi128ELi256ELb0ELi2EEvPKT_PKT0_S8_ifPKiSA_SA_iPKfiiiPfSD_PS3_PT2_iSC_SC_.has_indirect_call, or(0, .L__assert_fail.has_indirect_call)
	.section	.AMDGPU.csdata,"",@progbits
; Kernel info:
; codeLenInByte = 68
; TotalNumSgprs: 36
; NumVgprs: 51
; ScratchSize: 64
; MemoryBound: 0
; FloatMode: 240
; IeeeMode: 1
; LDSByteSize: 0 bytes/workgroup (compile time only)
; SGPRBlocks: 0
; VGPRBlocks: 3
; NumSGPRsForWavesPerEU: 36
; NumVGPRsForWavesPerEU: 51
; NamedBarCnt: 0
; Occupancy: 16
; WaveLimiterHint : 1
; COMPUTE_PGM_RSRC2:SCRATCH_EN: 1
; COMPUTE_PGM_RSRC2:USER_SGPR: 2
; COMPUTE_PGM_RSRC2:TRAP_HANDLER: 0
; COMPUTE_PGM_RSRC2:TGID_X_EN: 1
; COMPUTE_PGM_RSRC2:TGID_Y_EN: 0
; COMPUTE_PGM_RSRC2:TGID_Z_EN: 0
; COMPUTE_PGM_RSRC2:TIDIG_COMP_CNT: 0
	.section	.text._Z39paged_attention_ll4mi_QKV_mfma16_kernelI14__hip_bfloat16S0_LN4vllm18Fp8KVCacheDataTypeE0ES0_Li32ELi128ELi256ELb0ELi3EEvPKT_PKT0_S8_ifPKiSA_SA_iPKfiiiPfSD_PS3_PT2_iSC_SC_,"axG",@progbits,_Z39paged_attention_ll4mi_QKV_mfma16_kernelI14__hip_bfloat16S0_LN4vllm18Fp8KVCacheDataTypeE0ES0_Li32ELi128ELi256ELb0ELi3EEvPKT_PKT0_S8_ifPKiSA_SA_iPKfiiiPfSD_PS3_PT2_iSC_SC_,comdat
	.protected	_Z39paged_attention_ll4mi_QKV_mfma16_kernelI14__hip_bfloat16S0_LN4vllm18Fp8KVCacheDataTypeE0ES0_Li32ELi128ELi256ELb0ELi3EEvPKT_PKT0_S8_ifPKiSA_SA_iPKfiiiPfSD_PS3_PT2_iSC_SC_ ; -- Begin function _Z39paged_attention_ll4mi_QKV_mfma16_kernelI14__hip_bfloat16S0_LN4vllm18Fp8KVCacheDataTypeE0ES0_Li32ELi128ELi256ELb0ELi3EEvPKT_PKT0_S8_ifPKiSA_SA_iPKfiiiPfSD_PS3_PT2_iSC_SC_
	.globl	_Z39paged_attention_ll4mi_QKV_mfma16_kernelI14__hip_bfloat16S0_LN4vllm18Fp8KVCacheDataTypeE0ES0_Li32ELi128ELi256ELb0ELi3EEvPKT_PKT0_S8_ifPKiSA_SA_iPKfiiiPfSD_PS3_PT2_iSC_SC_
	.p2align	8
	.type	_Z39paged_attention_ll4mi_QKV_mfma16_kernelI14__hip_bfloat16S0_LN4vllm18Fp8KVCacheDataTypeE0ES0_Li32ELi128ELi256ELb0ELi3EEvPKT_PKT0_S8_ifPKiSA_SA_iPKfiiiPfSD_PS3_PT2_iSC_SC_,@function
_Z39paged_attention_ll4mi_QKV_mfma16_kernelI14__hip_bfloat16S0_LN4vllm18Fp8KVCacheDataTypeE0ES0_Li32ELi128ELi256ELb0ELi3EEvPKT_PKT0_S8_ifPKiSA_SA_iPKfiiiPfSD_PS3_PT2_iSC_SC_: ; @_Z39paged_attention_ll4mi_QKV_mfma16_kernelI14__hip_bfloat16S0_LN4vllm18Fp8KVCacheDataTypeE0ES0_Li32ELi128ELi256ELb0ELi3EEvPKT_PKT0_S8_ifPKiSA_SA_iPKfiiiPfSD_PS3_PT2_iSC_SC_
; %bb.0:
	s_get_pc_i64 s[2:3]
	s_add_nc_u64 s[2:3], s[2:3], __PRETTY_FUNCTION__._Z39paged_attention_ll4mi_QKV_mfma16_kernelI14__hip_bfloat16S0_LN4vllm18Fp8KVCacheDataTypeE0ES0_Li32ELi128ELi256ELb0ELi3EEvPKT_PKT0_S8_ifPKiSA_SA_iPKfiiiPfSD_PS3_PT2_iSC_SC_@rel64+4
	s_delay_alu instid0(SALU_CYCLE_1)
	v_dual_mov_b32 v0, 0xbb3 :: v_dual_mov_b32 v1, s2
	v_mov_b32_e32 v2, s3
	s_add_nc_u64 s[8:9], s[0:1], 0x90
	s_get_pc_i64 s[0:1]
	s_add_nc_u64 s[0:1], s[0:1], __assert_fail@rel64+4
	s_mov_b32 s32, 0
	s_swap_pc_i64 s[30:31], s[0:1]
	.section	.rodata,"a",@progbits
	.p2align	6, 0x0
	.amdhsa_kernel _Z39paged_attention_ll4mi_QKV_mfma16_kernelI14__hip_bfloat16S0_LN4vllm18Fp8KVCacheDataTypeE0ES0_Li32ELi128ELi256ELb0ELi3EEvPKT_PKT0_S8_ifPKiSA_SA_iPKfiiiPfSD_PS3_PT2_iSC_SC_
		.amdhsa_group_segment_fixed_size 0
		.amdhsa_private_segment_fixed_size 64
		.amdhsa_kernarg_size 400
		.amdhsa_user_sgpr_count 2
		.amdhsa_user_sgpr_dispatch_ptr 0
		.amdhsa_user_sgpr_queue_ptr 0
		.amdhsa_user_sgpr_kernarg_segment_ptr 1
		.amdhsa_user_sgpr_dispatch_id 0
		.amdhsa_user_sgpr_kernarg_preload_length 0
		.amdhsa_user_sgpr_kernarg_preload_offset 0
		.amdhsa_user_sgpr_private_segment_size 0
		.amdhsa_wavefront_size32 1
		.amdhsa_uses_dynamic_stack 0
		.amdhsa_enable_private_segment 1
		.amdhsa_system_sgpr_workgroup_id_x 1
		.amdhsa_system_sgpr_workgroup_id_y 0
		.amdhsa_system_sgpr_workgroup_id_z 0
		.amdhsa_system_sgpr_workgroup_info 0
		.amdhsa_system_vgpr_workitem_id 0
		.amdhsa_next_free_vgpr 51
		.amdhsa_next_free_sgpr 34
		.amdhsa_named_barrier_count 0
		.amdhsa_reserve_vcc 1
		.amdhsa_float_round_mode_32 0
		.amdhsa_float_round_mode_16_64 0
		.amdhsa_float_denorm_mode_32 3
		.amdhsa_float_denorm_mode_16_64 3
		.amdhsa_fp16_overflow 0
		.amdhsa_memory_ordered 1
		.amdhsa_forward_progress 1
		.amdhsa_inst_pref_size 1
		.amdhsa_round_robin_scheduling 0
		.amdhsa_exception_fp_ieee_invalid_op 0
		.amdhsa_exception_fp_denorm_src 0
		.amdhsa_exception_fp_ieee_div_zero 0
		.amdhsa_exception_fp_ieee_overflow 0
		.amdhsa_exception_fp_ieee_underflow 0
		.amdhsa_exception_fp_ieee_inexact 0
		.amdhsa_exception_int_div_zero 0
	.end_amdhsa_kernel
	.section	.text._Z39paged_attention_ll4mi_QKV_mfma16_kernelI14__hip_bfloat16S0_LN4vllm18Fp8KVCacheDataTypeE0ES0_Li32ELi128ELi256ELb0ELi3EEvPKT_PKT0_S8_ifPKiSA_SA_iPKfiiiPfSD_PS3_PT2_iSC_SC_,"axG",@progbits,_Z39paged_attention_ll4mi_QKV_mfma16_kernelI14__hip_bfloat16S0_LN4vllm18Fp8KVCacheDataTypeE0ES0_Li32ELi128ELi256ELb0ELi3EEvPKT_PKT0_S8_ifPKiSA_SA_iPKfiiiPfSD_PS3_PT2_iSC_SC_,comdat
.Lfunc_end768:
	.size	_Z39paged_attention_ll4mi_QKV_mfma16_kernelI14__hip_bfloat16S0_LN4vllm18Fp8KVCacheDataTypeE0ES0_Li32ELi128ELi256ELb0ELi3EEvPKT_PKT0_S8_ifPKiSA_SA_iPKfiiiPfSD_PS3_PT2_iSC_SC_, .Lfunc_end768-_Z39paged_attention_ll4mi_QKV_mfma16_kernelI14__hip_bfloat16S0_LN4vllm18Fp8KVCacheDataTypeE0ES0_Li32ELi128ELi256ELb0ELi3EEvPKT_PKT0_S8_ifPKiSA_SA_iPKfiiiPfSD_PS3_PT2_iSC_SC_
                                        ; -- End function
	.set _Z39paged_attention_ll4mi_QKV_mfma16_kernelI14__hip_bfloat16S0_LN4vllm18Fp8KVCacheDataTypeE0ES0_Li32ELi128ELi256ELb0ELi3EEvPKT_PKT0_S8_ifPKiSA_SA_iPKfiiiPfSD_PS3_PT2_iSC_SC_.num_vgpr, max(3, .L__assert_fail.num_vgpr)
	.set _Z39paged_attention_ll4mi_QKV_mfma16_kernelI14__hip_bfloat16S0_LN4vllm18Fp8KVCacheDataTypeE0ES0_Li32ELi128ELi256ELb0ELi3EEvPKT_PKT0_S8_ifPKiSA_SA_iPKfiiiPfSD_PS3_PT2_iSC_SC_.num_agpr, max(0, .L__assert_fail.num_agpr)
	.set _Z39paged_attention_ll4mi_QKV_mfma16_kernelI14__hip_bfloat16S0_LN4vllm18Fp8KVCacheDataTypeE0ES0_Li32ELi128ELi256ELb0ELi3EEvPKT_PKT0_S8_ifPKiSA_SA_iPKfiiiPfSD_PS3_PT2_iSC_SC_.numbered_sgpr, max(33, .L__assert_fail.numbered_sgpr)
	.set _Z39paged_attention_ll4mi_QKV_mfma16_kernelI14__hip_bfloat16S0_LN4vllm18Fp8KVCacheDataTypeE0ES0_Li32ELi128ELi256ELb0ELi3EEvPKT_PKT0_S8_ifPKiSA_SA_iPKfiiiPfSD_PS3_PT2_iSC_SC_.num_named_barrier, max(0, .L__assert_fail.num_named_barrier)
	.set _Z39paged_attention_ll4mi_QKV_mfma16_kernelI14__hip_bfloat16S0_LN4vllm18Fp8KVCacheDataTypeE0ES0_Li32ELi128ELi256ELb0ELi3EEvPKT_PKT0_S8_ifPKiSA_SA_iPKfiiiPfSD_PS3_PT2_iSC_SC_.private_seg_size, 0+max(.L__assert_fail.private_seg_size)
	.set _Z39paged_attention_ll4mi_QKV_mfma16_kernelI14__hip_bfloat16S0_LN4vllm18Fp8KVCacheDataTypeE0ES0_Li32ELi128ELi256ELb0ELi3EEvPKT_PKT0_S8_ifPKiSA_SA_iPKfiiiPfSD_PS3_PT2_iSC_SC_.uses_vcc, or(1, .L__assert_fail.uses_vcc)
	.set _Z39paged_attention_ll4mi_QKV_mfma16_kernelI14__hip_bfloat16S0_LN4vllm18Fp8KVCacheDataTypeE0ES0_Li32ELi128ELi256ELb0ELi3EEvPKT_PKT0_S8_ifPKiSA_SA_iPKfiiiPfSD_PS3_PT2_iSC_SC_.uses_flat_scratch, or(0, .L__assert_fail.uses_flat_scratch)
	.set _Z39paged_attention_ll4mi_QKV_mfma16_kernelI14__hip_bfloat16S0_LN4vllm18Fp8KVCacheDataTypeE0ES0_Li32ELi128ELi256ELb0ELi3EEvPKT_PKT0_S8_ifPKiSA_SA_iPKfiiiPfSD_PS3_PT2_iSC_SC_.has_dyn_sized_stack, or(0, .L__assert_fail.has_dyn_sized_stack)
	.set _Z39paged_attention_ll4mi_QKV_mfma16_kernelI14__hip_bfloat16S0_LN4vllm18Fp8KVCacheDataTypeE0ES0_Li32ELi128ELi256ELb0ELi3EEvPKT_PKT0_S8_ifPKiSA_SA_iPKfiiiPfSD_PS3_PT2_iSC_SC_.has_recursion, or(0, .L__assert_fail.has_recursion)
	.set _Z39paged_attention_ll4mi_QKV_mfma16_kernelI14__hip_bfloat16S0_LN4vllm18Fp8KVCacheDataTypeE0ES0_Li32ELi128ELi256ELb0ELi3EEvPKT_PKT0_S8_ifPKiSA_SA_iPKfiiiPfSD_PS3_PT2_iSC_SC_.has_indirect_call, or(0, .L__assert_fail.has_indirect_call)
	.section	.AMDGPU.csdata,"",@progbits
; Kernel info:
; codeLenInByte = 68
; TotalNumSgprs: 36
; NumVgprs: 51
; ScratchSize: 64
; MemoryBound: 0
; FloatMode: 240
; IeeeMode: 1
; LDSByteSize: 0 bytes/workgroup (compile time only)
; SGPRBlocks: 0
; VGPRBlocks: 3
; NumSGPRsForWavesPerEU: 36
; NumVGPRsForWavesPerEU: 51
; NamedBarCnt: 0
; Occupancy: 16
; WaveLimiterHint : 1
; COMPUTE_PGM_RSRC2:SCRATCH_EN: 1
; COMPUTE_PGM_RSRC2:USER_SGPR: 2
; COMPUTE_PGM_RSRC2:TRAP_HANDLER: 0
; COMPUTE_PGM_RSRC2:TGID_X_EN: 1
; COMPUTE_PGM_RSRC2:TGID_Y_EN: 0
; COMPUTE_PGM_RSRC2:TGID_Z_EN: 0
; COMPUTE_PGM_RSRC2:TIDIG_COMP_CNT: 0
	.section	.text._Z39paged_attention_ll4mi_QKV_mfma16_kernelI14__hip_bfloat16S0_LN4vllm18Fp8KVCacheDataTypeE0ES0_Li32ELi128ELi256ELb0ELi4EEvPKT_PKT0_S8_ifPKiSA_SA_iPKfiiiPfSD_PS3_PT2_iSC_SC_,"axG",@progbits,_Z39paged_attention_ll4mi_QKV_mfma16_kernelI14__hip_bfloat16S0_LN4vllm18Fp8KVCacheDataTypeE0ES0_Li32ELi128ELi256ELb0ELi4EEvPKT_PKT0_S8_ifPKiSA_SA_iPKfiiiPfSD_PS3_PT2_iSC_SC_,comdat
	.protected	_Z39paged_attention_ll4mi_QKV_mfma16_kernelI14__hip_bfloat16S0_LN4vllm18Fp8KVCacheDataTypeE0ES0_Li32ELi128ELi256ELb0ELi4EEvPKT_PKT0_S8_ifPKiSA_SA_iPKfiiiPfSD_PS3_PT2_iSC_SC_ ; -- Begin function _Z39paged_attention_ll4mi_QKV_mfma16_kernelI14__hip_bfloat16S0_LN4vllm18Fp8KVCacheDataTypeE0ES0_Li32ELi128ELi256ELb0ELi4EEvPKT_PKT0_S8_ifPKiSA_SA_iPKfiiiPfSD_PS3_PT2_iSC_SC_
	.globl	_Z39paged_attention_ll4mi_QKV_mfma16_kernelI14__hip_bfloat16S0_LN4vllm18Fp8KVCacheDataTypeE0ES0_Li32ELi128ELi256ELb0ELi4EEvPKT_PKT0_S8_ifPKiSA_SA_iPKfiiiPfSD_PS3_PT2_iSC_SC_
	.p2align	8
	.type	_Z39paged_attention_ll4mi_QKV_mfma16_kernelI14__hip_bfloat16S0_LN4vllm18Fp8KVCacheDataTypeE0ES0_Li32ELi128ELi256ELb0ELi4EEvPKT_PKT0_S8_ifPKiSA_SA_iPKfiiiPfSD_PS3_PT2_iSC_SC_,@function
_Z39paged_attention_ll4mi_QKV_mfma16_kernelI14__hip_bfloat16S0_LN4vllm18Fp8KVCacheDataTypeE0ES0_Li32ELi128ELi256ELb0ELi4EEvPKT_PKT0_S8_ifPKiSA_SA_iPKfiiiPfSD_PS3_PT2_iSC_SC_: ; @_Z39paged_attention_ll4mi_QKV_mfma16_kernelI14__hip_bfloat16S0_LN4vllm18Fp8KVCacheDataTypeE0ES0_Li32ELi128ELi256ELb0ELi4EEvPKT_PKT0_S8_ifPKiSA_SA_iPKfiiiPfSD_PS3_PT2_iSC_SC_
; %bb.0:
	s_get_pc_i64 s[2:3]
	s_add_nc_u64 s[2:3], s[2:3], __PRETTY_FUNCTION__._Z39paged_attention_ll4mi_QKV_mfma16_kernelI14__hip_bfloat16S0_LN4vllm18Fp8KVCacheDataTypeE0ES0_Li32ELi128ELi256ELb0ELi4EEvPKT_PKT0_S8_ifPKiSA_SA_iPKfiiiPfSD_PS3_PT2_iSC_SC_@rel64+4
	s_delay_alu instid0(SALU_CYCLE_1)
	v_dual_mov_b32 v0, 0xbb3 :: v_dual_mov_b32 v1, s2
	v_mov_b32_e32 v2, s3
	s_add_nc_u64 s[8:9], s[0:1], 0x90
	s_get_pc_i64 s[0:1]
	s_add_nc_u64 s[0:1], s[0:1], __assert_fail@rel64+4
	s_mov_b32 s32, 0
	s_swap_pc_i64 s[30:31], s[0:1]
	.section	.rodata,"a",@progbits
	.p2align	6, 0x0
	.amdhsa_kernel _Z39paged_attention_ll4mi_QKV_mfma16_kernelI14__hip_bfloat16S0_LN4vllm18Fp8KVCacheDataTypeE0ES0_Li32ELi128ELi256ELb0ELi4EEvPKT_PKT0_S8_ifPKiSA_SA_iPKfiiiPfSD_PS3_PT2_iSC_SC_
		.amdhsa_group_segment_fixed_size 0
		.amdhsa_private_segment_fixed_size 64
		.amdhsa_kernarg_size 400
		.amdhsa_user_sgpr_count 2
		.amdhsa_user_sgpr_dispatch_ptr 0
		.amdhsa_user_sgpr_queue_ptr 0
		.amdhsa_user_sgpr_kernarg_segment_ptr 1
		.amdhsa_user_sgpr_dispatch_id 0
		.amdhsa_user_sgpr_kernarg_preload_length 0
		.amdhsa_user_sgpr_kernarg_preload_offset 0
		.amdhsa_user_sgpr_private_segment_size 0
		.amdhsa_wavefront_size32 1
		.amdhsa_uses_dynamic_stack 0
		.amdhsa_enable_private_segment 1
		.amdhsa_system_sgpr_workgroup_id_x 1
		.amdhsa_system_sgpr_workgroup_id_y 0
		.amdhsa_system_sgpr_workgroup_id_z 0
		.amdhsa_system_sgpr_workgroup_info 0
		.amdhsa_system_vgpr_workitem_id 0
		.amdhsa_next_free_vgpr 51
		.amdhsa_next_free_sgpr 34
		.amdhsa_named_barrier_count 0
		.amdhsa_reserve_vcc 1
		.amdhsa_float_round_mode_32 0
		.amdhsa_float_round_mode_16_64 0
		.amdhsa_float_denorm_mode_32 3
		.amdhsa_float_denorm_mode_16_64 3
		.amdhsa_fp16_overflow 0
		.amdhsa_memory_ordered 1
		.amdhsa_forward_progress 1
		.amdhsa_inst_pref_size 1
		.amdhsa_round_robin_scheduling 0
		.amdhsa_exception_fp_ieee_invalid_op 0
		.amdhsa_exception_fp_denorm_src 0
		.amdhsa_exception_fp_ieee_div_zero 0
		.amdhsa_exception_fp_ieee_overflow 0
		.amdhsa_exception_fp_ieee_underflow 0
		.amdhsa_exception_fp_ieee_inexact 0
		.amdhsa_exception_int_div_zero 0
	.end_amdhsa_kernel
	.section	.text._Z39paged_attention_ll4mi_QKV_mfma16_kernelI14__hip_bfloat16S0_LN4vllm18Fp8KVCacheDataTypeE0ES0_Li32ELi128ELi256ELb0ELi4EEvPKT_PKT0_S8_ifPKiSA_SA_iPKfiiiPfSD_PS3_PT2_iSC_SC_,"axG",@progbits,_Z39paged_attention_ll4mi_QKV_mfma16_kernelI14__hip_bfloat16S0_LN4vllm18Fp8KVCacheDataTypeE0ES0_Li32ELi128ELi256ELb0ELi4EEvPKT_PKT0_S8_ifPKiSA_SA_iPKfiiiPfSD_PS3_PT2_iSC_SC_,comdat
.Lfunc_end769:
	.size	_Z39paged_attention_ll4mi_QKV_mfma16_kernelI14__hip_bfloat16S0_LN4vllm18Fp8KVCacheDataTypeE0ES0_Li32ELi128ELi256ELb0ELi4EEvPKT_PKT0_S8_ifPKiSA_SA_iPKfiiiPfSD_PS3_PT2_iSC_SC_, .Lfunc_end769-_Z39paged_attention_ll4mi_QKV_mfma16_kernelI14__hip_bfloat16S0_LN4vllm18Fp8KVCacheDataTypeE0ES0_Li32ELi128ELi256ELb0ELi4EEvPKT_PKT0_S8_ifPKiSA_SA_iPKfiiiPfSD_PS3_PT2_iSC_SC_
                                        ; -- End function
	.set _Z39paged_attention_ll4mi_QKV_mfma16_kernelI14__hip_bfloat16S0_LN4vllm18Fp8KVCacheDataTypeE0ES0_Li32ELi128ELi256ELb0ELi4EEvPKT_PKT0_S8_ifPKiSA_SA_iPKfiiiPfSD_PS3_PT2_iSC_SC_.num_vgpr, max(3, .L__assert_fail.num_vgpr)
	.set _Z39paged_attention_ll4mi_QKV_mfma16_kernelI14__hip_bfloat16S0_LN4vllm18Fp8KVCacheDataTypeE0ES0_Li32ELi128ELi256ELb0ELi4EEvPKT_PKT0_S8_ifPKiSA_SA_iPKfiiiPfSD_PS3_PT2_iSC_SC_.num_agpr, max(0, .L__assert_fail.num_agpr)
	.set _Z39paged_attention_ll4mi_QKV_mfma16_kernelI14__hip_bfloat16S0_LN4vllm18Fp8KVCacheDataTypeE0ES0_Li32ELi128ELi256ELb0ELi4EEvPKT_PKT0_S8_ifPKiSA_SA_iPKfiiiPfSD_PS3_PT2_iSC_SC_.numbered_sgpr, max(33, .L__assert_fail.numbered_sgpr)
	.set _Z39paged_attention_ll4mi_QKV_mfma16_kernelI14__hip_bfloat16S0_LN4vllm18Fp8KVCacheDataTypeE0ES0_Li32ELi128ELi256ELb0ELi4EEvPKT_PKT0_S8_ifPKiSA_SA_iPKfiiiPfSD_PS3_PT2_iSC_SC_.num_named_barrier, max(0, .L__assert_fail.num_named_barrier)
	.set _Z39paged_attention_ll4mi_QKV_mfma16_kernelI14__hip_bfloat16S0_LN4vllm18Fp8KVCacheDataTypeE0ES0_Li32ELi128ELi256ELb0ELi4EEvPKT_PKT0_S8_ifPKiSA_SA_iPKfiiiPfSD_PS3_PT2_iSC_SC_.private_seg_size, 0+max(.L__assert_fail.private_seg_size)
	.set _Z39paged_attention_ll4mi_QKV_mfma16_kernelI14__hip_bfloat16S0_LN4vllm18Fp8KVCacheDataTypeE0ES0_Li32ELi128ELi256ELb0ELi4EEvPKT_PKT0_S8_ifPKiSA_SA_iPKfiiiPfSD_PS3_PT2_iSC_SC_.uses_vcc, or(1, .L__assert_fail.uses_vcc)
	.set _Z39paged_attention_ll4mi_QKV_mfma16_kernelI14__hip_bfloat16S0_LN4vllm18Fp8KVCacheDataTypeE0ES0_Li32ELi128ELi256ELb0ELi4EEvPKT_PKT0_S8_ifPKiSA_SA_iPKfiiiPfSD_PS3_PT2_iSC_SC_.uses_flat_scratch, or(0, .L__assert_fail.uses_flat_scratch)
	.set _Z39paged_attention_ll4mi_QKV_mfma16_kernelI14__hip_bfloat16S0_LN4vllm18Fp8KVCacheDataTypeE0ES0_Li32ELi128ELi256ELb0ELi4EEvPKT_PKT0_S8_ifPKiSA_SA_iPKfiiiPfSD_PS3_PT2_iSC_SC_.has_dyn_sized_stack, or(0, .L__assert_fail.has_dyn_sized_stack)
	.set _Z39paged_attention_ll4mi_QKV_mfma16_kernelI14__hip_bfloat16S0_LN4vllm18Fp8KVCacheDataTypeE0ES0_Li32ELi128ELi256ELb0ELi4EEvPKT_PKT0_S8_ifPKiSA_SA_iPKfiiiPfSD_PS3_PT2_iSC_SC_.has_recursion, or(0, .L__assert_fail.has_recursion)
	.set _Z39paged_attention_ll4mi_QKV_mfma16_kernelI14__hip_bfloat16S0_LN4vllm18Fp8KVCacheDataTypeE0ES0_Li32ELi128ELi256ELb0ELi4EEvPKT_PKT0_S8_ifPKiSA_SA_iPKfiiiPfSD_PS3_PT2_iSC_SC_.has_indirect_call, or(0, .L__assert_fail.has_indirect_call)
	.section	.AMDGPU.csdata,"",@progbits
; Kernel info:
; codeLenInByte = 68
; TotalNumSgprs: 36
; NumVgprs: 51
; ScratchSize: 64
; MemoryBound: 0
; FloatMode: 240
; IeeeMode: 1
; LDSByteSize: 0 bytes/workgroup (compile time only)
; SGPRBlocks: 0
; VGPRBlocks: 3
; NumSGPRsForWavesPerEU: 36
; NumVGPRsForWavesPerEU: 51
; NamedBarCnt: 0
; Occupancy: 16
; WaveLimiterHint : 1
; COMPUTE_PGM_RSRC2:SCRATCH_EN: 1
; COMPUTE_PGM_RSRC2:USER_SGPR: 2
; COMPUTE_PGM_RSRC2:TRAP_HANDLER: 0
; COMPUTE_PGM_RSRC2:TGID_X_EN: 1
; COMPUTE_PGM_RSRC2:TGID_Y_EN: 0
; COMPUTE_PGM_RSRC2:TGID_Z_EN: 0
; COMPUTE_PGM_RSRC2:TIDIG_COMP_CNT: 0
	.section	.text._Z38paged_attention_ll4mi_QKV_mfma4_kernelIDF16_hLN4vllm18Fp8KVCacheDataTypeE1EhLi16ELi64ELi256ELb1ELi1EEvPKT_PKT0_S7_ifPKiS9_S9_iPKfiiiPfSC_PS2_PT2_iSB_SB_,"axG",@progbits,_Z38paged_attention_ll4mi_QKV_mfma4_kernelIDF16_hLN4vllm18Fp8KVCacheDataTypeE1EhLi16ELi64ELi256ELb1ELi1EEvPKT_PKT0_S7_ifPKiS9_S9_iPKfiiiPfSC_PS2_PT2_iSB_SB_,comdat
	.protected	_Z38paged_attention_ll4mi_QKV_mfma4_kernelIDF16_hLN4vllm18Fp8KVCacheDataTypeE1EhLi16ELi64ELi256ELb1ELi1EEvPKT_PKT0_S7_ifPKiS9_S9_iPKfiiiPfSC_PS2_PT2_iSB_SB_ ; -- Begin function _Z38paged_attention_ll4mi_QKV_mfma4_kernelIDF16_hLN4vllm18Fp8KVCacheDataTypeE1EhLi16ELi64ELi256ELb1ELi1EEvPKT_PKT0_S7_ifPKiS9_S9_iPKfiiiPfSC_PS2_PT2_iSB_SB_
	.globl	_Z38paged_attention_ll4mi_QKV_mfma4_kernelIDF16_hLN4vllm18Fp8KVCacheDataTypeE1EhLi16ELi64ELi256ELb1ELi1EEvPKT_PKT0_S7_ifPKiS9_S9_iPKfiiiPfSC_PS2_PT2_iSB_SB_
	.p2align	8
	.type	_Z38paged_attention_ll4mi_QKV_mfma4_kernelIDF16_hLN4vllm18Fp8KVCacheDataTypeE1EhLi16ELi64ELi256ELb1ELi1EEvPKT_PKT0_S7_ifPKiS9_S9_iPKfiiiPfSC_PS2_PT2_iSB_SB_,@function
_Z38paged_attention_ll4mi_QKV_mfma4_kernelIDF16_hLN4vllm18Fp8KVCacheDataTypeE1EhLi16ELi64ELi256ELb1ELi1EEvPKT_PKT0_S7_ifPKiS9_S9_iPKfiiiPfSC_PS2_PT2_iSB_SB_: ; @_Z38paged_attention_ll4mi_QKV_mfma4_kernelIDF16_hLN4vllm18Fp8KVCacheDataTypeE1EhLi16ELi64ELi256ELb1ELi1EEvPKT_PKT0_S7_ifPKiS9_S9_iPKfiiiPfSC_PS2_PT2_iSB_SB_
; %bb.0:
	s_get_pc_i64 s[2:3]
	s_add_nc_u64 s[2:3], s[2:3], __PRETTY_FUNCTION__._Z38paged_attention_ll4mi_QKV_mfma4_kernelIDF16_hLN4vllm18Fp8KVCacheDataTypeE1EhLi16ELi64ELi256ELb1ELi1EEvPKT_PKT0_S7_ifPKiS9_S9_iPKfiiiPfSC_PS2_PT2_iSB_SB_@rel64+4
	s_delay_alu instid0(SALU_CYCLE_1)
	v_dual_mov_b32 v0, 0xbce :: v_dual_mov_b32 v1, s2
	v_mov_b32_e32 v2, s3
	s_add_nc_u64 s[8:9], s[0:1], 0x90
	s_get_pc_i64 s[0:1]
	s_add_nc_u64 s[0:1], s[0:1], __assert_fail@rel64+4
	s_mov_b32 s32, 0
	s_swap_pc_i64 s[30:31], s[0:1]
	.section	.rodata,"a",@progbits
	.p2align	6, 0x0
	.amdhsa_kernel _Z38paged_attention_ll4mi_QKV_mfma4_kernelIDF16_hLN4vllm18Fp8KVCacheDataTypeE1EhLi16ELi64ELi256ELb1ELi1EEvPKT_PKT0_S7_ifPKiS9_S9_iPKfiiiPfSC_PS2_PT2_iSB_SB_
		.amdhsa_group_segment_fixed_size 0
		.amdhsa_private_segment_fixed_size 64
		.amdhsa_kernarg_size 400
		.amdhsa_user_sgpr_count 2
		.amdhsa_user_sgpr_dispatch_ptr 0
		.amdhsa_user_sgpr_queue_ptr 0
		.amdhsa_user_sgpr_kernarg_segment_ptr 1
		.amdhsa_user_sgpr_dispatch_id 0
		.amdhsa_user_sgpr_kernarg_preload_length 0
		.amdhsa_user_sgpr_kernarg_preload_offset 0
		.amdhsa_user_sgpr_private_segment_size 0
		.amdhsa_wavefront_size32 1
		.amdhsa_uses_dynamic_stack 0
		.amdhsa_enable_private_segment 1
		.amdhsa_system_sgpr_workgroup_id_x 1
		.amdhsa_system_sgpr_workgroup_id_y 0
		.amdhsa_system_sgpr_workgroup_id_z 0
		.amdhsa_system_sgpr_workgroup_info 0
		.amdhsa_system_vgpr_workitem_id 0
		.amdhsa_next_free_vgpr 51
		.amdhsa_next_free_sgpr 34
		.amdhsa_named_barrier_count 0
		.amdhsa_reserve_vcc 1
		.amdhsa_float_round_mode_32 0
		.amdhsa_float_round_mode_16_64 0
		.amdhsa_float_denorm_mode_32 3
		.amdhsa_float_denorm_mode_16_64 3
		.amdhsa_fp16_overflow 0
		.amdhsa_memory_ordered 1
		.amdhsa_forward_progress 1
		.amdhsa_inst_pref_size 1
		.amdhsa_round_robin_scheduling 0
		.amdhsa_exception_fp_ieee_invalid_op 0
		.amdhsa_exception_fp_denorm_src 0
		.amdhsa_exception_fp_ieee_div_zero 0
		.amdhsa_exception_fp_ieee_overflow 0
		.amdhsa_exception_fp_ieee_underflow 0
		.amdhsa_exception_fp_ieee_inexact 0
		.amdhsa_exception_int_div_zero 0
	.end_amdhsa_kernel
	.section	.text._Z38paged_attention_ll4mi_QKV_mfma4_kernelIDF16_hLN4vllm18Fp8KVCacheDataTypeE1EhLi16ELi64ELi256ELb1ELi1EEvPKT_PKT0_S7_ifPKiS9_S9_iPKfiiiPfSC_PS2_PT2_iSB_SB_,"axG",@progbits,_Z38paged_attention_ll4mi_QKV_mfma4_kernelIDF16_hLN4vllm18Fp8KVCacheDataTypeE1EhLi16ELi64ELi256ELb1ELi1EEvPKT_PKT0_S7_ifPKiS9_S9_iPKfiiiPfSC_PS2_PT2_iSB_SB_,comdat
.Lfunc_end770:
	.size	_Z38paged_attention_ll4mi_QKV_mfma4_kernelIDF16_hLN4vllm18Fp8KVCacheDataTypeE1EhLi16ELi64ELi256ELb1ELi1EEvPKT_PKT0_S7_ifPKiS9_S9_iPKfiiiPfSC_PS2_PT2_iSB_SB_, .Lfunc_end770-_Z38paged_attention_ll4mi_QKV_mfma4_kernelIDF16_hLN4vllm18Fp8KVCacheDataTypeE1EhLi16ELi64ELi256ELb1ELi1EEvPKT_PKT0_S7_ifPKiS9_S9_iPKfiiiPfSC_PS2_PT2_iSB_SB_
                                        ; -- End function
	.set _Z38paged_attention_ll4mi_QKV_mfma4_kernelIDF16_hLN4vllm18Fp8KVCacheDataTypeE1EhLi16ELi64ELi256ELb1ELi1EEvPKT_PKT0_S7_ifPKiS9_S9_iPKfiiiPfSC_PS2_PT2_iSB_SB_.num_vgpr, max(3, .L__assert_fail.num_vgpr)
	.set _Z38paged_attention_ll4mi_QKV_mfma4_kernelIDF16_hLN4vllm18Fp8KVCacheDataTypeE1EhLi16ELi64ELi256ELb1ELi1EEvPKT_PKT0_S7_ifPKiS9_S9_iPKfiiiPfSC_PS2_PT2_iSB_SB_.num_agpr, max(0, .L__assert_fail.num_agpr)
	.set _Z38paged_attention_ll4mi_QKV_mfma4_kernelIDF16_hLN4vllm18Fp8KVCacheDataTypeE1EhLi16ELi64ELi256ELb1ELi1EEvPKT_PKT0_S7_ifPKiS9_S9_iPKfiiiPfSC_PS2_PT2_iSB_SB_.numbered_sgpr, max(33, .L__assert_fail.numbered_sgpr)
	.set _Z38paged_attention_ll4mi_QKV_mfma4_kernelIDF16_hLN4vllm18Fp8KVCacheDataTypeE1EhLi16ELi64ELi256ELb1ELi1EEvPKT_PKT0_S7_ifPKiS9_S9_iPKfiiiPfSC_PS2_PT2_iSB_SB_.num_named_barrier, max(0, .L__assert_fail.num_named_barrier)
	.set _Z38paged_attention_ll4mi_QKV_mfma4_kernelIDF16_hLN4vllm18Fp8KVCacheDataTypeE1EhLi16ELi64ELi256ELb1ELi1EEvPKT_PKT0_S7_ifPKiS9_S9_iPKfiiiPfSC_PS2_PT2_iSB_SB_.private_seg_size, 0+max(.L__assert_fail.private_seg_size)
	.set _Z38paged_attention_ll4mi_QKV_mfma4_kernelIDF16_hLN4vllm18Fp8KVCacheDataTypeE1EhLi16ELi64ELi256ELb1ELi1EEvPKT_PKT0_S7_ifPKiS9_S9_iPKfiiiPfSC_PS2_PT2_iSB_SB_.uses_vcc, or(1, .L__assert_fail.uses_vcc)
	.set _Z38paged_attention_ll4mi_QKV_mfma4_kernelIDF16_hLN4vllm18Fp8KVCacheDataTypeE1EhLi16ELi64ELi256ELb1ELi1EEvPKT_PKT0_S7_ifPKiS9_S9_iPKfiiiPfSC_PS2_PT2_iSB_SB_.uses_flat_scratch, or(0, .L__assert_fail.uses_flat_scratch)
	.set _Z38paged_attention_ll4mi_QKV_mfma4_kernelIDF16_hLN4vllm18Fp8KVCacheDataTypeE1EhLi16ELi64ELi256ELb1ELi1EEvPKT_PKT0_S7_ifPKiS9_S9_iPKfiiiPfSC_PS2_PT2_iSB_SB_.has_dyn_sized_stack, or(0, .L__assert_fail.has_dyn_sized_stack)
	.set _Z38paged_attention_ll4mi_QKV_mfma4_kernelIDF16_hLN4vllm18Fp8KVCacheDataTypeE1EhLi16ELi64ELi256ELb1ELi1EEvPKT_PKT0_S7_ifPKiS9_S9_iPKfiiiPfSC_PS2_PT2_iSB_SB_.has_recursion, or(0, .L__assert_fail.has_recursion)
	.set _Z38paged_attention_ll4mi_QKV_mfma4_kernelIDF16_hLN4vllm18Fp8KVCacheDataTypeE1EhLi16ELi64ELi256ELb1ELi1EEvPKT_PKT0_S7_ifPKiS9_S9_iPKfiiiPfSC_PS2_PT2_iSB_SB_.has_indirect_call, or(0, .L__assert_fail.has_indirect_call)
	.section	.AMDGPU.csdata,"",@progbits
; Kernel info:
; codeLenInByte = 68
; TotalNumSgprs: 36
; NumVgprs: 51
; ScratchSize: 64
; MemoryBound: 0
; FloatMode: 240
; IeeeMode: 1
; LDSByteSize: 0 bytes/workgroup (compile time only)
; SGPRBlocks: 0
; VGPRBlocks: 3
; NumSGPRsForWavesPerEU: 36
; NumVGPRsForWavesPerEU: 51
; NamedBarCnt: 0
; Occupancy: 16
; WaveLimiterHint : 1
; COMPUTE_PGM_RSRC2:SCRATCH_EN: 1
; COMPUTE_PGM_RSRC2:USER_SGPR: 2
; COMPUTE_PGM_RSRC2:TRAP_HANDLER: 0
; COMPUTE_PGM_RSRC2:TGID_X_EN: 1
; COMPUTE_PGM_RSRC2:TGID_Y_EN: 0
; COMPUTE_PGM_RSRC2:TGID_Z_EN: 0
; COMPUTE_PGM_RSRC2:TIDIG_COMP_CNT: 0
	.section	.text._Z38paged_attention_ll4mi_QKV_mfma4_kernelIDF16_hLN4vllm18Fp8KVCacheDataTypeE1EhLi16ELi64ELi256ELb1ELi2EEvPKT_PKT0_S7_ifPKiS9_S9_iPKfiiiPfSC_PS2_PT2_iSB_SB_,"axG",@progbits,_Z38paged_attention_ll4mi_QKV_mfma4_kernelIDF16_hLN4vllm18Fp8KVCacheDataTypeE1EhLi16ELi64ELi256ELb1ELi2EEvPKT_PKT0_S7_ifPKiS9_S9_iPKfiiiPfSC_PS2_PT2_iSB_SB_,comdat
	.protected	_Z38paged_attention_ll4mi_QKV_mfma4_kernelIDF16_hLN4vllm18Fp8KVCacheDataTypeE1EhLi16ELi64ELi256ELb1ELi2EEvPKT_PKT0_S7_ifPKiS9_S9_iPKfiiiPfSC_PS2_PT2_iSB_SB_ ; -- Begin function _Z38paged_attention_ll4mi_QKV_mfma4_kernelIDF16_hLN4vllm18Fp8KVCacheDataTypeE1EhLi16ELi64ELi256ELb1ELi2EEvPKT_PKT0_S7_ifPKiS9_S9_iPKfiiiPfSC_PS2_PT2_iSB_SB_
	.globl	_Z38paged_attention_ll4mi_QKV_mfma4_kernelIDF16_hLN4vllm18Fp8KVCacheDataTypeE1EhLi16ELi64ELi256ELb1ELi2EEvPKT_PKT0_S7_ifPKiS9_S9_iPKfiiiPfSC_PS2_PT2_iSB_SB_
	.p2align	8
	.type	_Z38paged_attention_ll4mi_QKV_mfma4_kernelIDF16_hLN4vllm18Fp8KVCacheDataTypeE1EhLi16ELi64ELi256ELb1ELi2EEvPKT_PKT0_S7_ifPKiS9_S9_iPKfiiiPfSC_PS2_PT2_iSB_SB_,@function
_Z38paged_attention_ll4mi_QKV_mfma4_kernelIDF16_hLN4vllm18Fp8KVCacheDataTypeE1EhLi16ELi64ELi256ELb1ELi2EEvPKT_PKT0_S7_ifPKiS9_S9_iPKfiiiPfSC_PS2_PT2_iSB_SB_: ; @_Z38paged_attention_ll4mi_QKV_mfma4_kernelIDF16_hLN4vllm18Fp8KVCacheDataTypeE1EhLi16ELi64ELi256ELb1ELi2EEvPKT_PKT0_S7_ifPKiS9_S9_iPKfiiiPfSC_PS2_PT2_iSB_SB_
; %bb.0:
	s_get_pc_i64 s[2:3]
	s_add_nc_u64 s[2:3], s[2:3], __PRETTY_FUNCTION__._Z38paged_attention_ll4mi_QKV_mfma4_kernelIDF16_hLN4vllm18Fp8KVCacheDataTypeE1EhLi16ELi64ELi256ELb1ELi2EEvPKT_PKT0_S7_ifPKiS9_S9_iPKfiiiPfSC_PS2_PT2_iSB_SB_@rel64+4
	s_delay_alu instid0(SALU_CYCLE_1)
	v_dual_mov_b32 v0, 0xbce :: v_dual_mov_b32 v1, s2
	v_mov_b32_e32 v2, s3
	s_add_nc_u64 s[8:9], s[0:1], 0x90
	s_get_pc_i64 s[0:1]
	s_add_nc_u64 s[0:1], s[0:1], __assert_fail@rel64+4
	s_mov_b32 s32, 0
	s_swap_pc_i64 s[30:31], s[0:1]
	.section	.rodata,"a",@progbits
	.p2align	6, 0x0
	.amdhsa_kernel _Z38paged_attention_ll4mi_QKV_mfma4_kernelIDF16_hLN4vllm18Fp8KVCacheDataTypeE1EhLi16ELi64ELi256ELb1ELi2EEvPKT_PKT0_S7_ifPKiS9_S9_iPKfiiiPfSC_PS2_PT2_iSB_SB_
		.amdhsa_group_segment_fixed_size 0
		.amdhsa_private_segment_fixed_size 64
		.amdhsa_kernarg_size 400
		.amdhsa_user_sgpr_count 2
		.amdhsa_user_sgpr_dispatch_ptr 0
		.amdhsa_user_sgpr_queue_ptr 0
		.amdhsa_user_sgpr_kernarg_segment_ptr 1
		.amdhsa_user_sgpr_dispatch_id 0
		.amdhsa_user_sgpr_kernarg_preload_length 0
		.amdhsa_user_sgpr_kernarg_preload_offset 0
		.amdhsa_user_sgpr_private_segment_size 0
		.amdhsa_wavefront_size32 1
		.amdhsa_uses_dynamic_stack 0
		.amdhsa_enable_private_segment 1
		.amdhsa_system_sgpr_workgroup_id_x 1
		.amdhsa_system_sgpr_workgroup_id_y 0
		.amdhsa_system_sgpr_workgroup_id_z 0
		.amdhsa_system_sgpr_workgroup_info 0
		.amdhsa_system_vgpr_workitem_id 0
		.amdhsa_next_free_vgpr 51
		.amdhsa_next_free_sgpr 34
		.amdhsa_named_barrier_count 0
		.amdhsa_reserve_vcc 1
		.amdhsa_float_round_mode_32 0
		.amdhsa_float_round_mode_16_64 0
		.amdhsa_float_denorm_mode_32 3
		.amdhsa_float_denorm_mode_16_64 3
		.amdhsa_fp16_overflow 0
		.amdhsa_memory_ordered 1
		.amdhsa_forward_progress 1
		.amdhsa_inst_pref_size 1
		.amdhsa_round_robin_scheduling 0
		.amdhsa_exception_fp_ieee_invalid_op 0
		.amdhsa_exception_fp_denorm_src 0
		.amdhsa_exception_fp_ieee_div_zero 0
		.amdhsa_exception_fp_ieee_overflow 0
		.amdhsa_exception_fp_ieee_underflow 0
		.amdhsa_exception_fp_ieee_inexact 0
		.amdhsa_exception_int_div_zero 0
	.end_amdhsa_kernel
	.section	.text._Z38paged_attention_ll4mi_QKV_mfma4_kernelIDF16_hLN4vllm18Fp8KVCacheDataTypeE1EhLi16ELi64ELi256ELb1ELi2EEvPKT_PKT0_S7_ifPKiS9_S9_iPKfiiiPfSC_PS2_PT2_iSB_SB_,"axG",@progbits,_Z38paged_attention_ll4mi_QKV_mfma4_kernelIDF16_hLN4vllm18Fp8KVCacheDataTypeE1EhLi16ELi64ELi256ELb1ELi2EEvPKT_PKT0_S7_ifPKiS9_S9_iPKfiiiPfSC_PS2_PT2_iSB_SB_,comdat
.Lfunc_end771:
	.size	_Z38paged_attention_ll4mi_QKV_mfma4_kernelIDF16_hLN4vllm18Fp8KVCacheDataTypeE1EhLi16ELi64ELi256ELb1ELi2EEvPKT_PKT0_S7_ifPKiS9_S9_iPKfiiiPfSC_PS2_PT2_iSB_SB_, .Lfunc_end771-_Z38paged_attention_ll4mi_QKV_mfma4_kernelIDF16_hLN4vllm18Fp8KVCacheDataTypeE1EhLi16ELi64ELi256ELb1ELi2EEvPKT_PKT0_S7_ifPKiS9_S9_iPKfiiiPfSC_PS2_PT2_iSB_SB_
                                        ; -- End function
	.set _Z38paged_attention_ll4mi_QKV_mfma4_kernelIDF16_hLN4vllm18Fp8KVCacheDataTypeE1EhLi16ELi64ELi256ELb1ELi2EEvPKT_PKT0_S7_ifPKiS9_S9_iPKfiiiPfSC_PS2_PT2_iSB_SB_.num_vgpr, max(3, .L__assert_fail.num_vgpr)
	.set _Z38paged_attention_ll4mi_QKV_mfma4_kernelIDF16_hLN4vllm18Fp8KVCacheDataTypeE1EhLi16ELi64ELi256ELb1ELi2EEvPKT_PKT0_S7_ifPKiS9_S9_iPKfiiiPfSC_PS2_PT2_iSB_SB_.num_agpr, max(0, .L__assert_fail.num_agpr)
	.set _Z38paged_attention_ll4mi_QKV_mfma4_kernelIDF16_hLN4vllm18Fp8KVCacheDataTypeE1EhLi16ELi64ELi256ELb1ELi2EEvPKT_PKT0_S7_ifPKiS9_S9_iPKfiiiPfSC_PS2_PT2_iSB_SB_.numbered_sgpr, max(33, .L__assert_fail.numbered_sgpr)
	.set _Z38paged_attention_ll4mi_QKV_mfma4_kernelIDF16_hLN4vllm18Fp8KVCacheDataTypeE1EhLi16ELi64ELi256ELb1ELi2EEvPKT_PKT0_S7_ifPKiS9_S9_iPKfiiiPfSC_PS2_PT2_iSB_SB_.num_named_barrier, max(0, .L__assert_fail.num_named_barrier)
	.set _Z38paged_attention_ll4mi_QKV_mfma4_kernelIDF16_hLN4vllm18Fp8KVCacheDataTypeE1EhLi16ELi64ELi256ELb1ELi2EEvPKT_PKT0_S7_ifPKiS9_S9_iPKfiiiPfSC_PS2_PT2_iSB_SB_.private_seg_size, 0+max(.L__assert_fail.private_seg_size)
	.set _Z38paged_attention_ll4mi_QKV_mfma4_kernelIDF16_hLN4vllm18Fp8KVCacheDataTypeE1EhLi16ELi64ELi256ELb1ELi2EEvPKT_PKT0_S7_ifPKiS9_S9_iPKfiiiPfSC_PS2_PT2_iSB_SB_.uses_vcc, or(1, .L__assert_fail.uses_vcc)
	.set _Z38paged_attention_ll4mi_QKV_mfma4_kernelIDF16_hLN4vllm18Fp8KVCacheDataTypeE1EhLi16ELi64ELi256ELb1ELi2EEvPKT_PKT0_S7_ifPKiS9_S9_iPKfiiiPfSC_PS2_PT2_iSB_SB_.uses_flat_scratch, or(0, .L__assert_fail.uses_flat_scratch)
	.set _Z38paged_attention_ll4mi_QKV_mfma4_kernelIDF16_hLN4vllm18Fp8KVCacheDataTypeE1EhLi16ELi64ELi256ELb1ELi2EEvPKT_PKT0_S7_ifPKiS9_S9_iPKfiiiPfSC_PS2_PT2_iSB_SB_.has_dyn_sized_stack, or(0, .L__assert_fail.has_dyn_sized_stack)
	.set _Z38paged_attention_ll4mi_QKV_mfma4_kernelIDF16_hLN4vllm18Fp8KVCacheDataTypeE1EhLi16ELi64ELi256ELb1ELi2EEvPKT_PKT0_S7_ifPKiS9_S9_iPKfiiiPfSC_PS2_PT2_iSB_SB_.has_recursion, or(0, .L__assert_fail.has_recursion)
	.set _Z38paged_attention_ll4mi_QKV_mfma4_kernelIDF16_hLN4vllm18Fp8KVCacheDataTypeE1EhLi16ELi64ELi256ELb1ELi2EEvPKT_PKT0_S7_ifPKiS9_S9_iPKfiiiPfSC_PS2_PT2_iSB_SB_.has_indirect_call, or(0, .L__assert_fail.has_indirect_call)
	.section	.AMDGPU.csdata,"",@progbits
; Kernel info:
; codeLenInByte = 68
; TotalNumSgprs: 36
; NumVgprs: 51
; ScratchSize: 64
; MemoryBound: 0
; FloatMode: 240
; IeeeMode: 1
; LDSByteSize: 0 bytes/workgroup (compile time only)
; SGPRBlocks: 0
; VGPRBlocks: 3
; NumSGPRsForWavesPerEU: 36
; NumVGPRsForWavesPerEU: 51
; NamedBarCnt: 0
; Occupancy: 16
; WaveLimiterHint : 1
; COMPUTE_PGM_RSRC2:SCRATCH_EN: 1
; COMPUTE_PGM_RSRC2:USER_SGPR: 2
; COMPUTE_PGM_RSRC2:TRAP_HANDLER: 0
; COMPUTE_PGM_RSRC2:TGID_X_EN: 1
; COMPUTE_PGM_RSRC2:TGID_Y_EN: 0
; COMPUTE_PGM_RSRC2:TGID_Z_EN: 0
; COMPUTE_PGM_RSRC2:TIDIG_COMP_CNT: 0
	.section	.text._Z38paged_attention_ll4mi_QKV_mfma4_kernelIDF16_hLN4vllm18Fp8KVCacheDataTypeE1EhLi16ELi64ELi256ELb1ELi3EEvPKT_PKT0_S7_ifPKiS9_S9_iPKfiiiPfSC_PS2_PT2_iSB_SB_,"axG",@progbits,_Z38paged_attention_ll4mi_QKV_mfma4_kernelIDF16_hLN4vllm18Fp8KVCacheDataTypeE1EhLi16ELi64ELi256ELb1ELi3EEvPKT_PKT0_S7_ifPKiS9_S9_iPKfiiiPfSC_PS2_PT2_iSB_SB_,comdat
	.protected	_Z38paged_attention_ll4mi_QKV_mfma4_kernelIDF16_hLN4vllm18Fp8KVCacheDataTypeE1EhLi16ELi64ELi256ELb1ELi3EEvPKT_PKT0_S7_ifPKiS9_S9_iPKfiiiPfSC_PS2_PT2_iSB_SB_ ; -- Begin function _Z38paged_attention_ll4mi_QKV_mfma4_kernelIDF16_hLN4vllm18Fp8KVCacheDataTypeE1EhLi16ELi64ELi256ELb1ELi3EEvPKT_PKT0_S7_ifPKiS9_S9_iPKfiiiPfSC_PS2_PT2_iSB_SB_
	.globl	_Z38paged_attention_ll4mi_QKV_mfma4_kernelIDF16_hLN4vllm18Fp8KVCacheDataTypeE1EhLi16ELi64ELi256ELb1ELi3EEvPKT_PKT0_S7_ifPKiS9_S9_iPKfiiiPfSC_PS2_PT2_iSB_SB_
	.p2align	8
	.type	_Z38paged_attention_ll4mi_QKV_mfma4_kernelIDF16_hLN4vllm18Fp8KVCacheDataTypeE1EhLi16ELi64ELi256ELb1ELi3EEvPKT_PKT0_S7_ifPKiS9_S9_iPKfiiiPfSC_PS2_PT2_iSB_SB_,@function
_Z38paged_attention_ll4mi_QKV_mfma4_kernelIDF16_hLN4vllm18Fp8KVCacheDataTypeE1EhLi16ELi64ELi256ELb1ELi3EEvPKT_PKT0_S7_ifPKiS9_S9_iPKfiiiPfSC_PS2_PT2_iSB_SB_: ; @_Z38paged_attention_ll4mi_QKV_mfma4_kernelIDF16_hLN4vllm18Fp8KVCacheDataTypeE1EhLi16ELi64ELi256ELb1ELi3EEvPKT_PKT0_S7_ifPKiS9_S9_iPKfiiiPfSC_PS2_PT2_iSB_SB_
; %bb.0:
	s_get_pc_i64 s[2:3]
	s_add_nc_u64 s[2:3], s[2:3], __PRETTY_FUNCTION__._Z38paged_attention_ll4mi_QKV_mfma4_kernelIDF16_hLN4vllm18Fp8KVCacheDataTypeE1EhLi16ELi64ELi256ELb1ELi3EEvPKT_PKT0_S7_ifPKiS9_S9_iPKfiiiPfSC_PS2_PT2_iSB_SB_@rel64+4
	s_delay_alu instid0(SALU_CYCLE_1)
	v_dual_mov_b32 v0, 0xbce :: v_dual_mov_b32 v1, s2
	v_mov_b32_e32 v2, s3
	s_add_nc_u64 s[8:9], s[0:1], 0x90
	s_get_pc_i64 s[0:1]
	s_add_nc_u64 s[0:1], s[0:1], __assert_fail@rel64+4
	s_mov_b32 s32, 0
	s_swap_pc_i64 s[30:31], s[0:1]
	.section	.rodata,"a",@progbits
	.p2align	6, 0x0
	.amdhsa_kernel _Z38paged_attention_ll4mi_QKV_mfma4_kernelIDF16_hLN4vllm18Fp8KVCacheDataTypeE1EhLi16ELi64ELi256ELb1ELi3EEvPKT_PKT0_S7_ifPKiS9_S9_iPKfiiiPfSC_PS2_PT2_iSB_SB_
		.amdhsa_group_segment_fixed_size 0
		.amdhsa_private_segment_fixed_size 64
		.amdhsa_kernarg_size 400
		.amdhsa_user_sgpr_count 2
		.amdhsa_user_sgpr_dispatch_ptr 0
		.amdhsa_user_sgpr_queue_ptr 0
		.amdhsa_user_sgpr_kernarg_segment_ptr 1
		.amdhsa_user_sgpr_dispatch_id 0
		.amdhsa_user_sgpr_kernarg_preload_length 0
		.amdhsa_user_sgpr_kernarg_preload_offset 0
		.amdhsa_user_sgpr_private_segment_size 0
		.amdhsa_wavefront_size32 1
		.amdhsa_uses_dynamic_stack 0
		.amdhsa_enable_private_segment 1
		.amdhsa_system_sgpr_workgroup_id_x 1
		.amdhsa_system_sgpr_workgroup_id_y 0
		.amdhsa_system_sgpr_workgroup_id_z 0
		.amdhsa_system_sgpr_workgroup_info 0
		.amdhsa_system_vgpr_workitem_id 0
		.amdhsa_next_free_vgpr 51
		.amdhsa_next_free_sgpr 34
		.amdhsa_named_barrier_count 0
		.amdhsa_reserve_vcc 1
		.amdhsa_float_round_mode_32 0
		.amdhsa_float_round_mode_16_64 0
		.amdhsa_float_denorm_mode_32 3
		.amdhsa_float_denorm_mode_16_64 3
		.amdhsa_fp16_overflow 0
		.amdhsa_memory_ordered 1
		.amdhsa_forward_progress 1
		.amdhsa_inst_pref_size 1
		.amdhsa_round_robin_scheduling 0
		.amdhsa_exception_fp_ieee_invalid_op 0
		.amdhsa_exception_fp_denorm_src 0
		.amdhsa_exception_fp_ieee_div_zero 0
		.amdhsa_exception_fp_ieee_overflow 0
		.amdhsa_exception_fp_ieee_underflow 0
		.amdhsa_exception_fp_ieee_inexact 0
		.amdhsa_exception_int_div_zero 0
	.end_amdhsa_kernel
	.section	.text._Z38paged_attention_ll4mi_QKV_mfma4_kernelIDF16_hLN4vllm18Fp8KVCacheDataTypeE1EhLi16ELi64ELi256ELb1ELi3EEvPKT_PKT0_S7_ifPKiS9_S9_iPKfiiiPfSC_PS2_PT2_iSB_SB_,"axG",@progbits,_Z38paged_attention_ll4mi_QKV_mfma4_kernelIDF16_hLN4vllm18Fp8KVCacheDataTypeE1EhLi16ELi64ELi256ELb1ELi3EEvPKT_PKT0_S7_ifPKiS9_S9_iPKfiiiPfSC_PS2_PT2_iSB_SB_,comdat
.Lfunc_end772:
	.size	_Z38paged_attention_ll4mi_QKV_mfma4_kernelIDF16_hLN4vllm18Fp8KVCacheDataTypeE1EhLi16ELi64ELi256ELb1ELi3EEvPKT_PKT0_S7_ifPKiS9_S9_iPKfiiiPfSC_PS2_PT2_iSB_SB_, .Lfunc_end772-_Z38paged_attention_ll4mi_QKV_mfma4_kernelIDF16_hLN4vllm18Fp8KVCacheDataTypeE1EhLi16ELi64ELi256ELb1ELi3EEvPKT_PKT0_S7_ifPKiS9_S9_iPKfiiiPfSC_PS2_PT2_iSB_SB_
                                        ; -- End function
	.set _Z38paged_attention_ll4mi_QKV_mfma4_kernelIDF16_hLN4vllm18Fp8KVCacheDataTypeE1EhLi16ELi64ELi256ELb1ELi3EEvPKT_PKT0_S7_ifPKiS9_S9_iPKfiiiPfSC_PS2_PT2_iSB_SB_.num_vgpr, max(3, .L__assert_fail.num_vgpr)
	.set _Z38paged_attention_ll4mi_QKV_mfma4_kernelIDF16_hLN4vllm18Fp8KVCacheDataTypeE1EhLi16ELi64ELi256ELb1ELi3EEvPKT_PKT0_S7_ifPKiS9_S9_iPKfiiiPfSC_PS2_PT2_iSB_SB_.num_agpr, max(0, .L__assert_fail.num_agpr)
	.set _Z38paged_attention_ll4mi_QKV_mfma4_kernelIDF16_hLN4vllm18Fp8KVCacheDataTypeE1EhLi16ELi64ELi256ELb1ELi3EEvPKT_PKT0_S7_ifPKiS9_S9_iPKfiiiPfSC_PS2_PT2_iSB_SB_.numbered_sgpr, max(33, .L__assert_fail.numbered_sgpr)
	.set _Z38paged_attention_ll4mi_QKV_mfma4_kernelIDF16_hLN4vllm18Fp8KVCacheDataTypeE1EhLi16ELi64ELi256ELb1ELi3EEvPKT_PKT0_S7_ifPKiS9_S9_iPKfiiiPfSC_PS2_PT2_iSB_SB_.num_named_barrier, max(0, .L__assert_fail.num_named_barrier)
	.set _Z38paged_attention_ll4mi_QKV_mfma4_kernelIDF16_hLN4vllm18Fp8KVCacheDataTypeE1EhLi16ELi64ELi256ELb1ELi3EEvPKT_PKT0_S7_ifPKiS9_S9_iPKfiiiPfSC_PS2_PT2_iSB_SB_.private_seg_size, 0+max(.L__assert_fail.private_seg_size)
	.set _Z38paged_attention_ll4mi_QKV_mfma4_kernelIDF16_hLN4vllm18Fp8KVCacheDataTypeE1EhLi16ELi64ELi256ELb1ELi3EEvPKT_PKT0_S7_ifPKiS9_S9_iPKfiiiPfSC_PS2_PT2_iSB_SB_.uses_vcc, or(1, .L__assert_fail.uses_vcc)
	.set _Z38paged_attention_ll4mi_QKV_mfma4_kernelIDF16_hLN4vllm18Fp8KVCacheDataTypeE1EhLi16ELi64ELi256ELb1ELi3EEvPKT_PKT0_S7_ifPKiS9_S9_iPKfiiiPfSC_PS2_PT2_iSB_SB_.uses_flat_scratch, or(0, .L__assert_fail.uses_flat_scratch)
	.set _Z38paged_attention_ll4mi_QKV_mfma4_kernelIDF16_hLN4vllm18Fp8KVCacheDataTypeE1EhLi16ELi64ELi256ELb1ELi3EEvPKT_PKT0_S7_ifPKiS9_S9_iPKfiiiPfSC_PS2_PT2_iSB_SB_.has_dyn_sized_stack, or(0, .L__assert_fail.has_dyn_sized_stack)
	.set _Z38paged_attention_ll4mi_QKV_mfma4_kernelIDF16_hLN4vllm18Fp8KVCacheDataTypeE1EhLi16ELi64ELi256ELb1ELi3EEvPKT_PKT0_S7_ifPKiS9_S9_iPKfiiiPfSC_PS2_PT2_iSB_SB_.has_recursion, or(0, .L__assert_fail.has_recursion)
	.set _Z38paged_attention_ll4mi_QKV_mfma4_kernelIDF16_hLN4vllm18Fp8KVCacheDataTypeE1EhLi16ELi64ELi256ELb1ELi3EEvPKT_PKT0_S7_ifPKiS9_S9_iPKfiiiPfSC_PS2_PT2_iSB_SB_.has_indirect_call, or(0, .L__assert_fail.has_indirect_call)
	.section	.AMDGPU.csdata,"",@progbits
; Kernel info:
; codeLenInByte = 68
; TotalNumSgprs: 36
; NumVgprs: 51
; ScratchSize: 64
; MemoryBound: 0
; FloatMode: 240
; IeeeMode: 1
; LDSByteSize: 0 bytes/workgroup (compile time only)
; SGPRBlocks: 0
; VGPRBlocks: 3
; NumSGPRsForWavesPerEU: 36
; NumVGPRsForWavesPerEU: 51
; NamedBarCnt: 0
; Occupancy: 16
; WaveLimiterHint : 1
; COMPUTE_PGM_RSRC2:SCRATCH_EN: 1
; COMPUTE_PGM_RSRC2:USER_SGPR: 2
; COMPUTE_PGM_RSRC2:TRAP_HANDLER: 0
; COMPUTE_PGM_RSRC2:TGID_X_EN: 1
; COMPUTE_PGM_RSRC2:TGID_Y_EN: 0
; COMPUTE_PGM_RSRC2:TGID_Z_EN: 0
; COMPUTE_PGM_RSRC2:TIDIG_COMP_CNT: 0
	.section	.text._Z38paged_attention_ll4mi_QKV_mfma4_kernelIDF16_hLN4vllm18Fp8KVCacheDataTypeE1EhLi16ELi64ELi256ELb1ELi4EEvPKT_PKT0_S7_ifPKiS9_S9_iPKfiiiPfSC_PS2_PT2_iSB_SB_,"axG",@progbits,_Z38paged_attention_ll4mi_QKV_mfma4_kernelIDF16_hLN4vllm18Fp8KVCacheDataTypeE1EhLi16ELi64ELi256ELb1ELi4EEvPKT_PKT0_S7_ifPKiS9_S9_iPKfiiiPfSC_PS2_PT2_iSB_SB_,comdat
	.protected	_Z38paged_attention_ll4mi_QKV_mfma4_kernelIDF16_hLN4vllm18Fp8KVCacheDataTypeE1EhLi16ELi64ELi256ELb1ELi4EEvPKT_PKT0_S7_ifPKiS9_S9_iPKfiiiPfSC_PS2_PT2_iSB_SB_ ; -- Begin function _Z38paged_attention_ll4mi_QKV_mfma4_kernelIDF16_hLN4vllm18Fp8KVCacheDataTypeE1EhLi16ELi64ELi256ELb1ELi4EEvPKT_PKT0_S7_ifPKiS9_S9_iPKfiiiPfSC_PS2_PT2_iSB_SB_
	.globl	_Z38paged_attention_ll4mi_QKV_mfma4_kernelIDF16_hLN4vllm18Fp8KVCacheDataTypeE1EhLi16ELi64ELi256ELb1ELi4EEvPKT_PKT0_S7_ifPKiS9_S9_iPKfiiiPfSC_PS2_PT2_iSB_SB_
	.p2align	8
	.type	_Z38paged_attention_ll4mi_QKV_mfma4_kernelIDF16_hLN4vllm18Fp8KVCacheDataTypeE1EhLi16ELi64ELi256ELb1ELi4EEvPKT_PKT0_S7_ifPKiS9_S9_iPKfiiiPfSC_PS2_PT2_iSB_SB_,@function
_Z38paged_attention_ll4mi_QKV_mfma4_kernelIDF16_hLN4vllm18Fp8KVCacheDataTypeE1EhLi16ELi64ELi256ELb1ELi4EEvPKT_PKT0_S7_ifPKiS9_S9_iPKfiiiPfSC_PS2_PT2_iSB_SB_: ; @_Z38paged_attention_ll4mi_QKV_mfma4_kernelIDF16_hLN4vllm18Fp8KVCacheDataTypeE1EhLi16ELi64ELi256ELb1ELi4EEvPKT_PKT0_S7_ifPKiS9_S9_iPKfiiiPfSC_PS2_PT2_iSB_SB_
; %bb.0:
	s_get_pc_i64 s[2:3]
	s_add_nc_u64 s[2:3], s[2:3], __PRETTY_FUNCTION__._Z38paged_attention_ll4mi_QKV_mfma4_kernelIDF16_hLN4vllm18Fp8KVCacheDataTypeE1EhLi16ELi64ELi256ELb1ELi4EEvPKT_PKT0_S7_ifPKiS9_S9_iPKfiiiPfSC_PS2_PT2_iSB_SB_@rel64+4
	s_delay_alu instid0(SALU_CYCLE_1)
	v_dual_mov_b32 v0, 0xbce :: v_dual_mov_b32 v1, s2
	v_mov_b32_e32 v2, s3
	s_add_nc_u64 s[8:9], s[0:1], 0x90
	s_get_pc_i64 s[0:1]
	s_add_nc_u64 s[0:1], s[0:1], __assert_fail@rel64+4
	s_mov_b32 s32, 0
	s_swap_pc_i64 s[30:31], s[0:1]
	.section	.rodata,"a",@progbits
	.p2align	6, 0x0
	.amdhsa_kernel _Z38paged_attention_ll4mi_QKV_mfma4_kernelIDF16_hLN4vllm18Fp8KVCacheDataTypeE1EhLi16ELi64ELi256ELb1ELi4EEvPKT_PKT0_S7_ifPKiS9_S9_iPKfiiiPfSC_PS2_PT2_iSB_SB_
		.amdhsa_group_segment_fixed_size 0
		.amdhsa_private_segment_fixed_size 64
		.amdhsa_kernarg_size 400
		.amdhsa_user_sgpr_count 2
		.amdhsa_user_sgpr_dispatch_ptr 0
		.amdhsa_user_sgpr_queue_ptr 0
		.amdhsa_user_sgpr_kernarg_segment_ptr 1
		.amdhsa_user_sgpr_dispatch_id 0
		.amdhsa_user_sgpr_kernarg_preload_length 0
		.amdhsa_user_sgpr_kernarg_preload_offset 0
		.amdhsa_user_sgpr_private_segment_size 0
		.amdhsa_wavefront_size32 1
		.amdhsa_uses_dynamic_stack 0
		.amdhsa_enable_private_segment 1
		.amdhsa_system_sgpr_workgroup_id_x 1
		.amdhsa_system_sgpr_workgroup_id_y 0
		.amdhsa_system_sgpr_workgroup_id_z 0
		.amdhsa_system_sgpr_workgroup_info 0
		.amdhsa_system_vgpr_workitem_id 0
		.amdhsa_next_free_vgpr 51
		.amdhsa_next_free_sgpr 34
		.amdhsa_named_barrier_count 0
		.amdhsa_reserve_vcc 1
		.amdhsa_float_round_mode_32 0
		.amdhsa_float_round_mode_16_64 0
		.amdhsa_float_denorm_mode_32 3
		.amdhsa_float_denorm_mode_16_64 3
		.amdhsa_fp16_overflow 0
		.amdhsa_memory_ordered 1
		.amdhsa_forward_progress 1
		.amdhsa_inst_pref_size 1
		.amdhsa_round_robin_scheduling 0
		.amdhsa_exception_fp_ieee_invalid_op 0
		.amdhsa_exception_fp_denorm_src 0
		.amdhsa_exception_fp_ieee_div_zero 0
		.amdhsa_exception_fp_ieee_overflow 0
		.amdhsa_exception_fp_ieee_underflow 0
		.amdhsa_exception_fp_ieee_inexact 0
		.amdhsa_exception_int_div_zero 0
	.end_amdhsa_kernel
	.section	.text._Z38paged_attention_ll4mi_QKV_mfma4_kernelIDF16_hLN4vllm18Fp8KVCacheDataTypeE1EhLi16ELi64ELi256ELb1ELi4EEvPKT_PKT0_S7_ifPKiS9_S9_iPKfiiiPfSC_PS2_PT2_iSB_SB_,"axG",@progbits,_Z38paged_attention_ll4mi_QKV_mfma4_kernelIDF16_hLN4vllm18Fp8KVCacheDataTypeE1EhLi16ELi64ELi256ELb1ELi4EEvPKT_PKT0_S7_ifPKiS9_S9_iPKfiiiPfSC_PS2_PT2_iSB_SB_,comdat
.Lfunc_end773:
	.size	_Z38paged_attention_ll4mi_QKV_mfma4_kernelIDF16_hLN4vllm18Fp8KVCacheDataTypeE1EhLi16ELi64ELi256ELb1ELi4EEvPKT_PKT0_S7_ifPKiS9_S9_iPKfiiiPfSC_PS2_PT2_iSB_SB_, .Lfunc_end773-_Z38paged_attention_ll4mi_QKV_mfma4_kernelIDF16_hLN4vllm18Fp8KVCacheDataTypeE1EhLi16ELi64ELi256ELb1ELi4EEvPKT_PKT0_S7_ifPKiS9_S9_iPKfiiiPfSC_PS2_PT2_iSB_SB_
                                        ; -- End function
	.set _Z38paged_attention_ll4mi_QKV_mfma4_kernelIDF16_hLN4vllm18Fp8KVCacheDataTypeE1EhLi16ELi64ELi256ELb1ELi4EEvPKT_PKT0_S7_ifPKiS9_S9_iPKfiiiPfSC_PS2_PT2_iSB_SB_.num_vgpr, max(3, .L__assert_fail.num_vgpr)
	.set _Z38paged_attention_ll4mi_QKV_mfma4_kernelIDF16_hLN4vllm18Fp8KVCacheDataTypeE1EhLi16ELi64ELi256ELb1ELi4EEvPKT_PKT0_S7_ifPKiS9_S9_iPKfiiiPfSC_PS2_PT2_iSB_SB_.num_agpr, max(0, .L__assert_fail.num_agpr)
	.set _Z38paged_attention_ll4mi_QKV_mfma4_kernelIDF16_hLN4vllm18Fp8KVCacheDataTypeE1EhLi16ELi64ELi256ELb1ELi4EEvPKT_PKT0_S7_ifPKiS9_S9_iPKfiiiPfSC_PS2_PT2_iSB_SB_.numbered_sgpr, max(33, .L__assert_fail.numbered_sgpr)
	.set _Z38paged_attention_ll4mi_QKV_mfma4_kernelIDF16_hLN4vllm18Fp8KVCacheDataTypeE1EhLi16ELi64ELi256ELb1ELi4EEvPKT_PKT0_S7_ifPKiS9_S9_iPKfiiiPfSC_PS2_PT2_iSB_SB_.num_named_barrier, max(0, .L__assert_fail.num_named_barrier)
	.set _Z38paged_attention_ll4mi_QKV_mfma4_kernelIDF16_hLN4vllm18Fp8KVCacheDataTypeE1EhLi16ELi64ELi256ELb1ELi4EEvPKT_PKT0_S7_ifPKiS9_S9_iPKfiiiPfSC_PS2_PT2_iSB_SB_.private_seg_size, 0+max(.L__assert_fail.private_seg_size)
	.set _Z38paged_attention_ll4mi_QKV_mfma4_kernelIDF16_hLN4vllm18Fp8KVCacheDataTypeE1EhLi16ELi64ELi256ELb1ELi4EEvPKT_PKT0_S7_ifPKiS9_S9_iPKfiiiPfSC_PS2_PT2_iSB_SB_.uses_vcc, or(1, .L__assert_fail.uses_vcc)
	.set _Z38paged_attention_ll4mi_QKV_mfma4_kernelIDF16_hLN4vllm18Fp8KVCacheDataTypeE1EhLi16ELi64ELi256ELb1ELi4EEvPKT_PKT0_S7_ifPKiS9_S9_iPKfiiiPfSC_PS2_PT2_iSB_SB_.uses_flat_scratch, or(0, .L__assert_fail.uses_flat_scratch)
	.set _Z38paged_attention_ll4mi_QKV_mfma4_kernelIDF16_hLN4vllm18Fp8KVCacheDataTypeE1EhLi16ELi64ELi256ELb1ELi4EEvPKT_PKT0_S7_ifPKiS9_S9_iPKfiiiPfSC_PS2_PT2_iSB_SB_.has_dyn_sized_stack, or(0, .L__assert_fail.has_dyn_sized_stack)
	.set _Z38paged_attention_ll4mi_QKV_mfma4_kernelIDF16_hLN4vllm18Fp8KVCacheDataTypeE1EhLi16ELi64ELi256ELb1ELi4EEvPKT_PKT0_S7_ifPKiS9_S9_iPKfiiiPfSC_PS2_PT2_iSB_SB_.has_recursion, or(0, .L__assert_fail.has_recursion)
	.set _Z38paged_attention_ll4mi_QKV_mfma4_kernelIDF16_hLN4vllm18Fp8KVCacheDataTypeE1EhLi16ELi64ELi256ELb1ELi4EEvPKT_PKT0_S7_ifPKiS9_S9_iPKfiiiPfSC_PS2_PT2_iSB_SB_.has_indirect_call, or(0, .L__assert_fail.has_indirect_call)
	.section	.AMDGPU.csdata,"",@progbits
; Kernel info:
; codeLenInByte = 68
; TotalNumSgprs: 36
; NumVgprs: 51
; ScratchSize: 64
; MemoryBound: 0
; FloatMode: 240
; IeeeMode: 1
; LDSByteSize: 0 bytes/workgroup (compile time only)
; SGPRBlocks: 0
; VGPRBlocks: 3
; NumSGPRsForWavesPerEU: 36
; NumVGPRsForWavesPerEU: 51
; NamedBarCnt: 0
; Occupancy: 16
; WaveLimiterHint : 1
; COMPUTE_PGM_RSRC2:SCRATCH_EN: 1
; COMPUTE_PGM_RSRC2:USER_SGPR: 2
; COMPUTE_PGM_RSRC2:TRAP_HANDLER: 0
; COMPUTE_PGM_RSRC2:TGID_X_EN: 1
; COMPUTE_PGM_RSRC2:TGID_Y_EN: 0
; COMPUTE_PGM_RSRC2:TGID_Z_EN: 0
; COMPUTE_PGM_RSRC2:TIDIG_COMP_CNT: 0
	.section	.text._Z39paged_attention_ll4mi_QKV_mfma16_kernelIDF16_hLN4vllm18Fp8KVCacheDataTypeE1EhLi16ELi64ELi256ELb1ELi5EEvPKT_PKT0_S7_ifPKiS9_S9_iPKfiiiPfSC_PS2_PT2_iSB_SB_,"axG",@progbits,_Z39paged_attention_ll4mi_QKV_mfma16_kernelIDF16_hLN4vllm18Fp8KVCacheDataTypeE1EhLi16ELi64ELi256ELb1ELi5EEvPKT_PKT0_S7_ifPKiS9_S9_iPKfiiiPfSC_PS2_PT2_iSB_SB_,comdat
	.protected	_Z39paged_attention_ll4mi_QKV_mfma16_kernelIDF16_hLN4vllm18Fp8KVCacheDataTypeE1EhLi16ELi64ELi256ELb1ELi5EEvPKT_PKT0_S7_ifPKiS9_S9_iPKfiiiPfSC_PS2_PT2_iSB_SB_ ; -- Begin function _Z39paged_attention_ll4mi_QKV_mfma16_kernelIDF16_hLN4vllm18Fp8KVCacheDataTypeE1EhLi16ELi64ELi256ELb1ELi5EEvPKT_PKT0_S7_ifPKiS9_S9_iPKfiiiPfSC_PS2_PT2_iSB_SB_
	.globl	_Z39paged_attention_ll4mi_QKV_mfma16_kernelIDF16_hLN4vllm18Fp8KVCacheDataTypeE1EhLi16ELi64ELi256ELb1ELi5EEvPKT_PKT0_S7_ifPKiS9_S9_iPKfiiiPfSC_PS2_PT2_iSB_SB_
	.p2align	8
	.type	_Z39paged_attention_ll4mi_QKV_mfma16_kernelIDF16_hLN4vllm18Fp8KVCacheDataTypeE1EhLi16ELi64ELi256ELb1ELi5EEvPKT_PKT0_S7_ifPKiS9_S9_iPKfiiiPfSC_PS2_PT2_iSB_SB_,@function
_Z39paged_attention_ll4mi_QKV_mfma16_kernelIDF16_hLN4vllm18Fp8KVCacheDataTypeE1EhLi16ELi64ELi256ELb1ELi5EEvPKT_PKT0_S7_ifPKiS9_S9_iPKfiiiPfSC_PS2_PT2_iSB_SB_: ; @_Z39paged_attention_ll4mi_QKV_mfma16_kernelIDF16_hLN4vllm18Fp8KVCacheDataTypeE1EhLi16ELi64ELi256ELb1ELi5EEvPKT_PKT0_S7_ifPKiS9_S9_iPKfiiiPfSC_PS2_PT2_iSB_SB_
; %bb.0:
	s_get_pc_i64 s[2:3]
	s_add_nc_u64 s[2:3], s[2:3], __PRETTY_FUNCTION__._Z39paged_attention_ll4mi_QKV_mfma16_kernelIDF16_hLN4vllm18Fp8KVCacheDataTypeE1EhLi16ELi64ELi256ELb1ELi5EEvPKT_PKT0_S7_ifPKiS9_S9_iPKfiiiPfSC_PS2_PT2_iSB_SB_@rel64+4
	s_delay_alu instid0(SALU_CYCLE_1)
	v_dual_mov_b32 v0, 0xbb3 :: v_dual_mov_b32 v1, s2
	v_mov_b32_e32 v2, s3
	s_add_nc_u64 s[8:9], s[0:1], 0x90
	s_get_pc_i64 s[0:1]
	s_add_nc_u64 s[0:1], s[0:1], __assert_fail@rel64+4
	s_mov_b32 s32, 0
	s_swap_pc_i64 s[30:31], s[0:1]
	.section	.rodata,"a",@progbits
	.p2align	6, 0x0
	.amdhsa_kernel _Z39paged_attention_ll4mi_QKV_mfma16_kernelIDF16_hLN4vllm18Fp8KVCacheDataTypeE1EhLi16ELi64ELi256ELb1ELi5EEvPKT_PKT0_S7_ifPKiS9_S9_iPKfiiiPfSC_PS2_PT2_iSB_SB_
		.amdhsa_group_segment_fixed_size 0
		.amdhsa_private_segment_fixed_size 64
		.amdhsa_kernarg_size 400
		.amdhsa_user_sgpr_count 2
		.amdhsa_user_sgpr_dispatch_ptr 0
		.amdhsa_user_sgpr_queue_ptr 0
		.amdhsa_user_sgpr_kernarg_segment_ptr 1
		.amdhsa_user_sgpr_dispatch_id 0
		.amdhsa_user_sgpr_kernarg_preload_length 0
		.amdhsa_user_sgpr_kernarg_preload_offset 0
		.amdhsa_user_sgpr_private_segment_size 0
		.amdhsa_wavefront_size32 1
		.amdhsa_uses_dynamic_stack 0
		.amdhsa_enable_private_segment 1
		.amdhsa_system_sgpr_workgroup_id_x 1
		.amdhsa_system_sgpr_workgroup_id_y 0
		.amdhsa_system_sgpr_workgroup_id_z 0
		.amdhsa_system_sgpr_workgroup_info 0
		.amdhsa_system_vgpr_workitem_id 0
		.amdhsa_next_free_vgpr 51
		.amdhsa_next_free_sgpr 34
		.amdhsa_named_barrier_count 0
		.amdhsa_reserve_vcc 1
		.amdhsa_float_round_mode_32 0
		.amdhsa_float_round_mode_16_64 0
		.amdhsa_float_denorm_mode_32 3
		.amdhsa_float_denorm_mode_16_64 3
		.amdhsa_fp16_overflow 0
		.amdhsa_memory_ordered 1
		.amdhsa_forward_progress 1
		.amdhsa_inst_pref_size 1
		.amdhsa_round_robin_scheduling 0
		.amdhsa_exception_fp_ieee_invalid_op 0
		.amdhsa_exception_fp_denorm_src 0
		.amdhsa_exception_fp_ieee_div_zero 0
		.amdhsa_exception_fp_ieee_overflow 0
		.amdhsa_exception_fp_ieee_underflow 0
		.amdhsa_exception_fp_ieee_inexact 0
		.amdhsa_exception_int_div_zero 0
	.end_amdhsa_kernel
	.section	.text._Z39paged_attention_ll4mi_QKV_mfma16_kernelIDF16_hLN4vllm18Fp8KVCacheDataTypeE1EhLi16ELi64ELi256ELb1ELi5EEvPKT_PKT0_S7_ifPKiS9_S9_iPKfiiiPfSC_PS2_PT2_iSB_SB_,"axG",@progbits,_Z39paged_attention_ll4mi_QKV_mfma16_kernelIDF16_hLN4vllm18Fp8KVCacheDataTypeE1EhLi16ELi64ELi256ELb1ELi5EEvPKT_PKT0_S7_ifPKiS9_S9_iPKfiiiPfSC_PS2_PT2_iSB_SB_,comdat
.Lfunc_end774:
	.size	_Z39paged_attention_ll4mi_QKV_mfma16_kernelIDF16_hLN4vllm18Fp8KVCacheDataTypeE1EhLi16ELi64ELi256ELb1ELi5EEvPKT_PKT0_S7_ifPKiS9_S9_iPKfiiiPfSC_PS2_PT2_iSB_SB_, .Lfunc_end774-_Z39paged_attention_ll4mi_QKV_mfma16_kernelIDF16_hLN4vllm18Fp8KVCacheDataTypeE1EhLi16ELi64ELi256ELb1ELi5EEvPKT_PKT0_S7_ifPKiS9_S9_iPKfiiiPfSC_PS2_PT2_iSB_SB_
                                        ; -- End function
	.set _Z39paged_attention_ll4mi_QKV_mfma16_kernelIDF16_hLN4vllm18Fp8KVCacheDataTypeE1EhLi16ELi64ELi256ELb1ELi5EEvPKT_PKT0_S7_ifPKiS9_S9_iPKfiiiPfSC_PS2_PT2_iSB_SB_.num_vgpr, max(3, .L__assert_fail.num_vgpr)
	.set _Z39paged_attention_ll4mi_QKV_mfma16_kernelIDF16_hLN4vllm18Fp8KVCacheDataTypeE1EhLi16ELi64ELi256ELb1ELi5EEvPKT_PKT0_S7_ifPKiS9_S9_iPKfiiiPfSC_PS2_PT2_iSB_SB_.num_agpr, max(0, .L__assert_fail.num_agpr)
	.set _Z39paged_attention_ll4mi_QKV_mfma16_kernelIDF16_hLN4vllm18Fp8KVCacheDataTypeE1EhLi16ELi64ELi256ELb1ELi5EEvPKT_PKT0_S7_ifPKiS9_S9_iPKfiiiPfSC_PS2_PT2_iSB_SB_.numbered_sgpr, max(33, .L__assert_fail.numbered_sgpr)
	.set _Z39paged_attention_ll4mi_QKV_mfma16_kernelIDF16_hLN4vllm18Fp8KVCacheDataTypeE1EhLi16ELi64ELi256ELb1ELi5EEvPKT_PKT0_S7_ifPKiS9_S9_iPKfiiiPfSC_PS2_PT2_iSB_SB_.num_named_barrier, max(0, .L__assert_fail.num_named_barrier)
	.set _Z39paged_attention_ll4mi_QKV_mfma16_kernelIDF16_hLN4vllm18Fp8KVCacheDataTypeE1EhLi16ELi64ELi256ELb1ELi5EEvPKT_PKT0_S7_ifPKiS9_S9_iPKfiiiPfSC_PS2_PT2_iSB_SB_.private_seg_size, 0+max(.L__assert_fail.private_seg_size)
	.set _Z39paged_attention_ll4mi_QKV_mfma16_kernelIDF16_hLN4vllm18Fp8KVCacheDataTypeE1EhLi16ELi64ELi256ELb1ELi5EEvPKT_PKT0_S7_ifPKiS9_S9_iPKfiiiPfSC_PS2_PT2_iSB_SB_.uses_vcc, or(1, .L__assert_fail.uses_vcc)
	.set _Z39paged_attention_ll4mi_QKV_mfma16_kernelIDF16_hLN4vllm18Fp8KVCacheDataTypeE1EhLi16ELi64ELi256ELb1ELi5EEvPKT_PKT0_S7_ifPKiS9_S9_iPKfiiiPfSC_PS2_PT2_iSB_SB_.uses_flat_scratch, or(0, .L__assert_fail.uses_flat_scratch)
	.set _Z39paged_attention_ll4mi_QKV_mfma16_kernelIDF16_hLN4vllm18Fp8KVCacheDataTypeE1EhLi16ELi64ELi256ELb1ELi5EEvPKT_PKT0_S7_ifPKiS9_S9_iPKfiiiPfSC_PS2_PT2_iSB_SB_.has_dyn_sized_stack, or(0, .L__assert_fail.has_dyn_sized_stack)
	.set _Z39paged_attention_ll4mi_QKV_mfma16_kernelIDF16_hLN4vllm18Fp8KVCacheDataTypeE1EhLi16ELi64ELi256ELb1ELi5EEvPKT_PKT0_S7_ifPKiS9_S9_iPKfiiiPfSC_PS2_PT2_iSB_SB_.has_recursion, or(0, .L__assert_fail.has_recursion)
	.set _Z39paged_attention_ll4mi_QKV_mfma16_kernelIDF16_hLN4vllm18Fp8KVCacheDataTypeE1EhLi16ELi64ELi256ELb1ELi5EEvPKT_PKT0_S7_ifPKiS9_S9_iPKfiiiPfSC_PS2_PT2_iSB_SB_.has_indirect_call, or(0, .L__assert_fail.has_indirect_call)
	.section	.AMDGPU.csdata,"",@progbits
; Kernel info:
; codeLenInByte = 68
; TotalNumSgprs: 36
; NumVgprs: 51
; ScratchSize: 64
; MemoryBound: 0
; FloatMode: 240
; IeeeMode: 1
; LDSByteSize: 0 bytes/workgroup (compile time only)
; SGPRBlocks: 0
; VGPRBlocks: 3
; NumSGPRsForWavesPerEU: 36
; NumVGPRsForWavesPerEU: 51
; NamedBarCnt: 0
; Occupancy: 16
; WaveLimiterHint : 1
; COMPUTE_PGM_RSRC2:SCRATCH_EN: 1
; COMPUTE_PGM_RSRC2:USER_SGPR: 2
; COMPUTE_PGM_RSRC2:TRAP_HANDLER: 0
; COMPUTE_PGM_RSRC2:TGID_X_EN: 1
; COMPUTE_PGM_RSRC2:TGID_Y_EN: 0
; COMPUTE_PGM_RSRC2:TGID_Z_EN: 0
; COMPUTE_PGM_RSRC2:TIDIG_COMP_CNT: 0
	.section	.text._Z39paged_attention_ll4mi_QKV_mfma16_kernelIDF16_hLN4vllm18Fp8KVCacheDataTypeE1EhLi16ELi64ELi256ELb1ELi6EEvPKT_PKT0_S7_ifPKiS9_S9_iPKfiiiPfSC_PS2_PT2_iSB_SB_,"axG",@progbits,_Z39paged_attention_ll4mi_QKV_mfma16_kernelIDF16_hLN4vllm18Fp8KVCacheDataTypeE1EhLi16ELi64ELi256ELb1ELi6EEvPKT_PKT0_S7_ifPKiS9_S9_iPKfiiiPfSC_PS2_PT2_iSB_SB_,comdat
	.protected	_Z39paged_attention_ll4mi_QKV_mfma16_kernelIDF16_hLN4vllm18Fp8KVCacheDataTypeE1EhLi16ELi64ELi256ELb1ELi6EEvPKT_PKT0_S7_ifPKiS9_S9_iPKfiiiPfSC_PS2_PT2_iSB_SB_ ; -- Begin function _Z39paged_attention_ll4mi_QKV_mfma16_kernelIDF16_hLN4vllm18Fp8KVCacheDataTypeE1EhLi16ELi64ELi256ELb1ELi6EEvPKT_PKT0_S7_ifPKiS9_S9_iPKfiiiPfSC_PS2_PT2_iSB_SB_
	.globl	_Z39paged_attention_ll4mi_QKV_mfma16_kernelIDF16_hLN4vllm18Fp8KVCacheDataTypeE1EhLi16ELi64ELi256ELb1ELi6EEvPKT_PKT0_S7_ifPKiS9_S9_iPKfiiiPfSC_PS2_PT2_iSB_SB_
	.p2align	8
	.type	_Z39paged_attention_ll4mi_QKV_mfma16_kernelIDF16_hLN4vllm18Fp8KVCacheDataTypeE1EhLi16ELi64ELi256ELb1ELi6EEvPKT_PKT0_S7_ifPKiS9_S9_iPKfiiiPfSC_PS2_PT2_iSB_SB_,@function
_Z39paged_attention_ll4mi_QKV_mfma16_kernelIDF16_hLN4vllm18Fp8KVCacheDataTypeE1EhLi16ELi64ELi256ELb1ELi6EEvPKT_PKT0_S7_ifPKiS9_S9_iPKfiiiPfSC_PS2_PT2_iSB_SB_: ; @_Z39paged_attention_ll4mi_QKV_mfma16_kernelIDF16_hLN4vllm18Fp8KVCacheDataTypeE1EhLi16ELi64ELi256ELb1ELi6EEvPKT_PKT0_S7_ifPKiS9_S9_iPKfiiiPfSC_PS2_PT2_iSB_SB_
; %bb.0:
	s_get_pc_i64 s[2:3]
	s_add_nc_u64 s[2:3], s[2:3], __PRETTY_FUNCTION__._Z39paged_attention_ll4mi_QKV_mfma16_kernelIDF16_hLN4vllm18Fp8KVCacheDataTypeE1EhLi16ELi64ELi256ELb1ELi6EEvPKT_PKT0_S7_ifPKiS9_S9_iPKfiiiPfSC_PS2_PT2_iSB_SB_@rel64+4
	s_delay_alu instid0(SALU_CYCLE_1)
	v_dual_mov_b32 v0, 0xbb3 :: v_dual_mov_b32 v1, s2
	v_mov_b32_e32 v2, s3
	s_add_nc_u64 s[8:9], s[0:1], 0x90
	s_get_pc_i64 s[0:1]
	s_add_nc_u64 s[0:1], s[0:1], __assert_fail@rel64+4
	s_mov_b32 s32, 0
	s_swap_pc_i64 s[30:31], s[0:1]
	.section	.rodata,"a",@progbits
	.p2align	6, 0x0
	.amdhsa_kernel _Z39paged_attention_ll4mi_QKV_mfma16_kernelIDF16_hLN4vllm18Fp8KVCacheDataTypeE1EhLi16ELi64ELi256ELb1ELi6EEvPKT_PKT0_S7_ifPKiS9_S9_iPKfiiiPfSC_PS2_PT2_iSB_SB_
		.amdhsa_group_segment_fixed_size 0
		.amdhsa_private_segment_fixed_size 64
		.amdhsa_kernarg_size 400
		.amdhsa_user_sgpr_count 2
		.amdhsa_user_sgpr_dispatch_ptr 0
		.amdhsa_user_sgpr_queue_ptr 0
		.amdhsa_user_sgpr_kernarg_segment_ptr 1
		.amdhsa_user_sgpr_dispatch_id 0
		.amdhsa_user_sgpr_kernarg_preload_length 0
		.amdhsa_user_sgpr_kernarg_preload_offset 0
		.amdhsa_user_sgpr_private_segment_size 0
		.amdhsa_wavefront_size32 1
		.amdhsa_uses_dynamic_stack 0
		.amdhsa_enable_private_segment 1
		.amdhsa_system_sgpr_workgroup_id_x 1
		.amdhsa_system_sgpr_workgroup_id_y 0
		.amdhsa_system_sgpr_workgroup_id_z 0
		.amdhsa_system_sgpr_workgroup_info 0
		.amdhsa_system_vgpr_workitem_id 0
		.amdhsa_next_free_vgpr 51
		.amdhsa_next_free_sgpr 34
		.amdhsa_named_barrier_count 0
		.amdhsa_reserve_vcc 1
		.amdhsa_float_round_mode_32 0
		.amdhsa_float_round_mode_16_64 0
		.amdhsa_float_denorm_mode_32 3
		.amdhsa_float_denorm_mode_16_64 3
		.amdhsa_fp16_overflow 0
		.amdhsa_memory_ordered 1
		.amdhsa_forward_progress 1
		.amdhsa_inst_pref_size 1
		.amdhsa_round_robin_scheduling 0
		.amdhsa_exception_fp_ieee_invalid_op 0
		.amdhsa_exception_fp_denorm_src 0
		.amdhsa_exception_fp_ieee_div_zero 0
		.amdhsa_exception_fp_ieee_overflow 0
		.amdhsa_exception_fp_ieee_underflow 0
		.amdhsa_exception_fp_ieee_inexact 0
		.amdhsa_exception_int_div_zero 0
	.end_amdhsa_kernel
	.section	.text._Z39paged_attention_ll4mi_QKV_mfma16_kernelIDF16_hLN4vllm18Fp8KVCacheDataTypeE1EhLi16ELi64ELi256ELb1ELi6EEvPKT_PKT0_S7_ifPKiS9_S9_iPKfiiiPfSC_PS2_PT2_iSB_SB_,"axG",@progbits,_Z39paged_attention_ll4mi_QKV_mfma16_kernelIDF16_hLN4vllm18Fp8KVCacheDataTypeE1EhLi16ELi64ELi256ELb1ELi6EEvPKT_PKT0_S7_ifPKiS9_S9_iPKfiiiPfSC_PS2_PT2_iSB_SB_,comdat
.Lfunc_end775:
	.size	_Z39paged_attention_ll4mi_QKV_mfma16_kernelIDF16_hLN4vllm18Fp8KVCacheDataTypeE1EhLi16ELi64ELi256ELb1ELi6EEvPKT_PKT0_S7_ifPKiS9_S9_iPKfiiiPfSC_PS2_PT2_iSB_SB_, .Lfunc_end775-_Z39paged_attention_ll4mi_QKV_mfma16_kernelIDF16_hLN4vllm18Fp8KVCacheDataTypeE1EhLi16ELi64ELi256ELb1ELi6EEvPKT_PKT0_S7_ifPKiS9_S9_iPKfiiiPfSC_PS2_PT2_iSB_SB_
                                        ; -- End function
	.set _Z39paged_attention_ll4mi_QKV_mfma16_kernelIDF16_hLN4vllm18Fp8KVCacheDataTypeE1EhLi16ELi64ELi256ELb1ELi6EEvPKT_PKT0_S7_ifPKiS9_S9_iPKfiiiPfSC_PS2_PT2_iSB_SB_.num_vgpr, max(3, .L__assert_fail.num_vgpr)
	.set _Z39paged_attention_ll4mi_QKV_mfma16_kernelIDF16_hLN4vllm18Fp8KVCacheDataTypeE1EhLi16ELi64ELi256ELb1ELi6EEvPKT_PKT0_S7_ifPKiS9_S9_iPKfiiiPfSC_PS2_PT2_iSB_SB_.num_agpr, max(0, .L__assert_fail.num_agpr)
	.set _Z39paged_attention_ll4mi_QKV_mfma16_kernelIDF16_hLN4vllm18Fp8KVCacheDataTypeE1EhLi16ELi64ELi256ELb1ELi6EEvPKT_PKT0_S7_ifPKiS9_S9_iPKfiiiPfSC_PS2_PT2_iSB_SB_.numbered_sgpr, max(33, .L__assert_fail.numbered_sgpr)
	.set _Z39paged_attention_ll4mi_QKV_mfma16_kernelIDF16_hLN4vllm18Fp8KVCacheDataTypeE1EhLi16ELi64ELi256ELb1ELi6EEvPKT_PKT0_S7_ifPKiS9_S9_iPKfiiiPfSC_PS2_PT2_iSB_SB_.num_named_barrier, max(0, .L__assert_fail.num_named_barrier)
	.set _Z39paged_attention_ll4mi_QKV_mfma16_kernelIDF16_hLN4vllm18Fp8KVCacheDataTypeE1EhLi16ELi64ELi256ELb1ELi6EEvPKT_PKT0_S7_ifPKiS9_S9_iPKfiiiPfSC_PS2_PT2_iSB_SB_.private_seg_size, 0+max(.L__assert_fail.private_seg_size)
	.set _Z39paged_attention_ll4mi_QKV_mfma16_kernelIDF16_hLN4vllm18Fp8KVCacheDataTypeE1EhLi16ELi64ELi256ELb1ELi6EEvPKT_PKT0_S7_ifPKiS9_S9_iPKfiiiPfSC_PS2_PT2_iSB_SB_.uses_vcc, or(1, .L__assert_fail.uses_vcc)
	.set _Z39paged_attention_ll4mi_QKV_mfma16_kernelIDF16_hLN4vllm18Fp8KVCacheDataTypeE1EhLi16ELi64ELi256ELb1ELi6EEvPKT_PKT0_S7_ifPKiS9_S9_iPKfiiiPfSC_PS2_PT2_iSB_SB_.uses_flat_scratch, or(0, .L__assert_fail.uses_flat_scratch)
	.set _Z39paged_attention_ll4mi_QKV_mfma16_kernelIDF16_hLN4vllm18Fp8KVCacheDataTypeE1EhLi16ELi64ELi256ELb1ELi6EEvPKT_PKT0_S7_ifPKiS9_S9_iPKfiiiPfSC_PS2_PT2_iSB_SB_.has_dyn_sized_stack, or(0, .L__assert_fail.has_dyn_sized_stack)
	.set _Z39paged_attention_ll4mi_QKV_mfma16_kernelIDF16_hLN4vllm18Fp8KVCacheDataTypeE1EhLi16ELi64ELi256ELb1ELi6EEvPKT_PKT0_S7_ifPKiS9_S9_iPKfiiiPfSC_PS2_PT2_iSB_SB_.has_recursion, or(0, .L__assert_fail.has_recursion)
	.set _Z39paged_attention_ll4mi_QKV_mfma16_kernelIDF16_hLN4vllm18Fp8KVCacheDataTypeE1EhLi16ELi64ELi256ELb1ELi6EEvPKT_PKT0_S7_ifPKiS9_S9_iPKfiiiPfSC_PS2_PT2_iSB_SB_.has_indirect_call, or(0, .L__assert_fail.has_indirect_call)
	.section	.AMDGPU.csdata,"",@progbits
; Kernel info:
; codeLenInByte = 68
; TotalNumSgprs: 36
; NumVgprs: 51
; ScratchSize: 64
; MemoryBound: 0
; FloatMode: 240
; IeeeMode: 1
; LDSByteSize: 0 bytes/workgroup (compile time only)
; SGPRBlocks: 0
; VGPRBlocks: 3
; NumSGPRsForWavesPerEU: 36
; NumVGPRsForWavesPerEU: 51
; NamedBarCnt: 0
; Occupancy: 16
; WaveLimiterHint : 1
; COMPUTE_PGM_RSRC2:SCRATCH_EN: 1
; COMPUTE_PGM_RSRC2:USER_SGPR: 2
; COMPUTE_PGM_RSRC2:TRAP_HANDLER: 0
; COMPUTE_PGM_RSRC2:TGID_X_EN: 1
; COMPUTE_PGM_RSRC2:TGID_Y_EN: 0
; COMPUTE_PGM_RSRC2:TGID_Z_EN: 0
; COMPUTE_PGM_RSRC2:TIDIG_COMP_CNT: 0
	.section	.text._Z39paged_attention_ll4mi_QKV_mfma16_kernelIDF16_hLN4vllm18Fp8KVCacheDataTypeE1EhLi16ELi64ELi256ELb1ELi7EEvPKT_PKT0_S7_ifPKiS9_S9_iPKfiiiPfSC_PS2_PT2_iSB_SB_,"axG",@progbits,_Z39paged_attention_ll4mi_QKV_mfma16_kernelIDF16_hLN4vllm18Fp8KVCacheDataTypeE1EhLi16ELi64ELi256ELb1ELi7EEvPKT_PKT0_S7_ifPKiS9_S9_iPKfiiiPfSC_PS2_PT2_iSB_SB_,comdat
	.protected	_Z39paged_attention_ll4mi_QKV_mfma16_kernelIDF16_hLN4vllm18Fp8KVCacheDataTypeE1EhLi16ELi64ELi256ELb1ELi7EEvPKT_PKT0_S7_ifPKiS9_S9_iPKfiiiPfSC_PS2_PT2_iSB_SB_ ; -- Begin function _Z39paged_attention_ll4mi_QKV_mfma16_kernelIDF16_hLN4vllm18Fp8KVCacheDataTypeE1EhLi16ELi64ELi256ELb1ELi7EEvPKT_PKT0_S7_ifPKiS9_S9_iPKfiiiPfSC_PS2_PT2_iSB_SB_
	.globl	_Z39paged_attention_ll4mi_QKV_mfma16_kernelIDF16_hLN4vllm18Fp8KVCacheDataTypeE1EhLi16ELi64ELi256ELb1ELi7EEvPKT_PKT0_S7_ifPKiS9_S9_iPKfiiiPfSC_PS2_PT2_iSB_SB_
	.p2align	8
	.type	_Z39paged_attention_ll4mi_QKV_mfma16_kernelIDF16_hLN4vllm18Fp8KVCacheDataTypeE1EhLi16ELi64ELi256ELb1ELi7EEvPKT_PKT0_S7_ifPKiS9_S9_iPKfiiiPfSC_PS2_PT2_iSB_SB_,@function
_Z39paged_attention_ll4mi_QKV_mfma16_kernelIDF16_hLN4vllm18Fp8KVCacheDataTypeE1EhLi16ELi64ELi256ELb1ELi7EEvPKT_PKT0_S7_ifPKiS9_S9_iPKfiiiPfSC_PS2_PT2_iSB_SB_: ; @_Z39paged_attention_ll4mi_QKV_mfma16_kernelIDF16_hLN4vllm18Fp8KVCacheDataTypeE1EhLi16ELi64ELi256ELb1ELi7EEvPKT_PKT0_S7_ifPKiS9_S9_iPKfiiiPfSC_PS2_PT2_iSB_SB_
; %bb.0:
	s_get_pc_i64 s[2:3]
	s_add_nc_u64 s[2:3], s[2:3], __PRETTY_FUNCTION__._Z39paged_attention_ll4mi_QKV_mfma16_kernelIDF16_hLN4vllm18Fp8KVCacheDataTypeE1EhLi16ELi64ELi256ELb1ELi7EEvPKT_PKT0_S7_ifPKiS9_S9_iPKfiiiPfSC_PS2_PT2_iSB_SB_@rel64+4
	s_delay_alu instid0(SALU_CYCLE_1)
	v_dual_mov_b32 v0, 0xbb3 :: v_dual_mov_b32 v1, s2
	v_mov_b32_e32 v2, s3
	s_add_nc_u64 s[8:9], s[0:1], 0x90
	s_get_pc_i64 s[0:1]
	s_add_nc_u64 s[0:1], s[0:1], __assert_fail@rel64+4
	s_mov_b32 s32, 0
	s_swap_pc_i64 s[30:31], s[0:1]
	.section	.rodata,"a",@progbits
	.p2align	6, 0x0
	.amdhsa_kernel _Z39paged_attention_ll4mi_QKV_mfma16_kernelIDF16_hLN4vllm18Fp8KVCacheDataTypeE1EhLi16ELi64ELi256ELb1ELi7EEvPKT_PKT0_S7_ifPKiS9_S9_iPKfiiiPfSC_PS2_PT2_iSB_SB_
		.amdhsa_group_segment_fixed_size 0
		.amdhsa_private_segment_fixed_size 64
		.amdhsa_kernarg_size 400
		.amdhsa_user_sgpr_count 2
		.amdhsa_user_sgpr_dispatch_ptr 0
		.amdhsa_user_sgpr_queue_ptr 0
		.amdhsa_user_sgpr_kernarg_segment_ptr 1
		.amdhsa_user_sgpr_dispatch_id 0
		.amdhsa_user_sgpr_kernarg_preload_length 0
		.amdhsa_user_sgpr_kernarg_preload_offset 0
		.amdhsa_user_sgpr_private_segment_size 0
		.amdhsa_wavefront_size32 1
		.amdhsa_uses_dynamic_stack 0
		.amdhsa_enable_private_segment 1
		.amdhsa_system_sgpr_workgroup_id_x 1
		.amdhsa_system_sgpr_workgroup_id_y 0
		.amdhsa_system_sgpr_workgroup_id_z 0
		.amdhsa_system_sgpr_workgroup_info 0
		.amdhsa_system_vgpr_workitem_id 0
		.amdhsa_next_free_vgpr 51
		.amdhsa_next_free_sgpr 34
		.amdhsa_named_barrier_count 0
		.amdhsa_reserve_vcc 1
		.amdhsa_float_round_mode_32 0
		.amdhsa_float_round_mode_16_64 0
		.amdhsa_float_denorm_mode_32 3
		.amdhsa_float_denorm_mode_16_64 3
		.amdhsa_fp16_overflow 0
		.amdhsa_memory_ordered 1
		.amdhsa_forward_progress 1
		.amdhsa_inst_pref_size 1
		.amdhsa_round_robin_scheduling 0
		.amdhsa_exception_fp_ieee_invalid_op 0
		.amdhsa_exception_fp_denorm_src 0
		.amdhsa_exception_fp_ieee_div_zero 0
		.amdhsa_exception_fp_ieee_overflow 0
		.amdhsa_exception_fp_ieee_underflow 0
		.amdhsa_exception_fp_ieee_inexact 0
		.amdhsa_exception_int_div_zero 0
	.end_amdhsa_kernel
	.section	.text._Z39paged_attention_ll4mi_QKV_mfma16_kernelIDF16_hLN4vllm18Fp8KVCacheDataTypeE1EhLi16ELi64ELi256ELb1ELi7EEvPKT_PKT0_S7_ifPKiS9_S9_iPKfiiiPfSC_PS2_PT2_iSB_SB_,"axG",@progbits,_Z39paged_attention_ll4mi_QKV_mfma16_kernelIDF16_hLN4vllm18Fp8KVCacheDataTypeE1EhLi16ELi64ELi256ELb1ELi7EEvPKT_PKT0_S7_ifPKiS9_S9_iPKfiiiPfSC_PS2_PT2_iSB_SB_,comdat
.Lfunc_end776:
	.size	_Z39paged_attention_ll4mi_QKV_mfma16_kernelIDF16_hLN4vllm18Fp8KVCacheDataTypeE1EhLi16ELi64ELi256ELb1ELi7EEvPKT_PKT0_S7_ifPKiS9_S9_iPKfiiiPfSC_PS2_PT2_iSB_SB_, .Lfunc_end776-_Z39paged_attention_ll4mi_QKV_mfma16_kernelIDF16_hLN4vllm18Fp8KVCacheDataTypeE1EhLi16ELi64ELi256ELb1ELi7EEvPKT_PKT0_S7_ifPKiS9_S9_iPKfiiiPfSC_PS2_PT2_iSB_SB_
                                        ; -- End function
	.set _Z39paged_attention_ll4mi_QKV_mfma16_kernelIDF16_hLN4vllm18Fp8KVCacheDataTypeE1EhLi16ELi64ELi256ELb1ELi7EEvPKT_PKT0_S7_ifPKiS9_S9_iPKfiiiPfSC_PS2_PT2_iSB_SB_.num_vgpr, max(3, .L__assert_fail.num_vgpr)
	.set _Z39paged_attention_ll4mi_QKV_mfma16_kernelIDF16_hLN4vllm18Fp8KVCacheDataTypeE1EhLi16ELi64ELi256ELb1ELi7EEvPKT_PKT0_S7_ifPKiS9_S9_iPKfiiiPfSC_PS2_PT2_iSB_SB_.num_agpr, max(0, .L__assert_fail.num_agpr)
	.set _Z39paged_attention_ll4mi_QKV_mfma16_kernelIDF16_hLN4vllm18Fp8KVCacheDataTypeE1EhLi16ELi64ELi256ELb1ELi7EEvPKT_PKT0_S7_ifPKiS9_S9_iPKfiiiPfSC_PS2_PT2_iSB_SB_.numbered_sgpr, max(33, .L__assert_fail.numbered_sgpr)
	.set _Z39paged_attention_ll4mi_QKV_mfma16_kernelIDF16_hLN4vllm18Fp8KVCacheDataTypeE1EhLi16ELi64ELi256ELb1ELi7EEvPKT_PKT0_S7_ifPKiS9_S9_iPKfiiiPfSC_PS2_PT2_iSB_SB_.num_named_barrier, max(0, .L__assert_fail.num_named_barrier)
	.set _Z39paged_attention_ll4mi_QKV_mfma16_kernelIDF16_hLN4vllm18Fp8KVCacheDataTypeE1EhLi16ELi64ELi256ELb1ELi7EEvPKT_PKT0_S7_ifPKiS9_S9_iPKfiiiPfSC_PS2_PT2_iSB_SB_.private_seg_size, 0+max(.L__assert_fail.private_seg_size)
	.set _Z39paged_attention_ll4mi_QKV_mfma16_kernelIDF16_hLN4vllm18Fp8KVCacheDataTypeE1EhLi16ELi64ELi256ELb1ELi7EEvPKT_PKT0_S7_ifPKiS9_S9_iPKfiiiPfSC_PS2_PT2_iSB_SB_.uses_vcc, or(1, .L__assert_fail.uses_vcc)
	.set _Z39paged_attention_ll4mi_QKV_mfma16_kernelIDF16_hLN4vllm18Fp8KVCacheDataTypeE1EhLi16ELi64ELi256ELb1ELi7EEvPKT_PKT0_S7_ifPKiS9_S9_iPKfiiiPfSC_PS2_PT2_iSB_SB_.uses_flat_scratch, or(0, .L__assert_fail.uses_flat_scratch)
	.set _Z39paged_attention_ll4mi_QKV_mfma16_kernelIDF16_hLN4vllm18Fp8KVCacheDataTypeE1EhLi16ELi64ELi256ELb1ELi7EEvPKT_PKT0_S7_ifPKiS9_S9_iPKfiiiPfSC_PS2_PT2_iSB_SB_.has_dyn_sized_stack, or(0, .L__assert_fail.has_dyn_sized_stack)
	.set _Z39paged_attention_ll4mi_QKV_mfma16_kernelIDF16_hLN4vllm18Fp8KVCacheDataTypeE1EhLi16ELi64ELi256ELb1ELi7EEvPKT_PKT0_S7_ifPKiS9_S9_iPKfiiiPfSC_PS2_PT2_iSB_SB_.has_recursion, or(0, .L__assert_fail.has_recursion)
	.set _Z39paged_attention_ll4mi_QKV_mfma16_kernelIDF16_hLN4vllm18Fp8KVCacheDataTypeE1EhLi16ELi64ELi256ELb1ELi7EEvPKT_PKT0_S7_ifPKiS9_S9_iPKfiiiPfSC_PS2_PT2_iSB_SB_.has_indirect_call, or(0, .L__assert_fail.has_indirect_call)
	.section	.AMDGPU.csdata,"",@progbits
; Kernel info:
; codeLenInByte = 68
; TotalNumSgprs: 36
; NumVgprs: 51
; ScratchSize: 64
; MemoryBound: 0
; FloatMode: 240
; IeeeMode: 1
; LDSByteSize: 0 bytes/workgroup (compile time only)
; SGPRBlocks: 0
; VGPRBlocks: 3
; NumSGPRsForWavesPerEU: 36
; NumVGPRsForWavesPerEU: 51
; NamedBarCnt: 0
; Occupancy: 16
; WaveLimiterHint : 1
; COMPUTE_PGM_RSRC2:SCRATCH_EN: 1
; COMPUTE_PGM_RSRC2:USER_SGPR: 2
; COMPUTE_PGM_RSRC2:TRAP_HANDLER: 0
; COMPUTE_PGM_RSRC2:TGID_X_EN: 1
; COMPUTE_PGM_RSRC2:TGID_Y_EN: 0
; COMPUTE_PGM_RSRC2:TGID_Z_EN: 0
; COMPUTE_PGM_RSRC2:TIDIG_COMP_CNT: 0
	.section	.text._Z39paged_attention_ll4mi_QKV_mfma16_kernelIDF16_hLN4vllm18Fp8KVCacheDataTypeE1EhLi16ELi64ELi256ELb1ELi8EEvPKT_PKT0_S7_ifPKiS9_S9_iPKfiiiPfSC_PS2_PT2_iSB_SB_,"axG",@progbits,_Z39paged_attention_ll4mi_QKV_mfma16_kernelIDF16_hLN4vllm18Fp8KVCacheDataTypeE1EhLi16ELi64ELi256ELb1ELi8EEvPKT_PKT0_S7_ifPKiS9_S9_iPKfiiiPfSC_PS2_PT2_iSB_SB_,comdat
	.protected	_Z39paged_attention_ll4mi_QKV_mfma16_kernelIDF16_hLN4vllm18Fp8KVCacheDataTypeE1EhLi16ELi64ELi256ELb1ELi8EEvPKT_PKT0_S7_ifPKiS9_S9_iPKfiiiPfSC_PS2_PT2_iSB_SB_ ; -- Begin function _Z39paged_attention_ll4mi_QKV_mfma16_kernelIDF16_hLN4vllm18Fp8KVCacheDataTypeE1EhLi16ELi64ELi256ELb1ELi8EEvPKT_PKT0_S7_ifPKiS9_S9_iPKfiiiPfSC_PS2_PT2_iSB_SB_
	.globl	_Z39paged_attention_ll4mi_QKV_mfma16_kernelIDF16_hLN4vllm18Fp8KVCacheDataTypeE1EhLi16ELi64ELi256ELb1ELi8EEvPKT_PKT0_S7_ifPKiS9_S9_iPKfiiiPfSC_PS2_PT2_iSB_SB_
	.p2align	8
	.type	_Z39paged_attention_ll4mi_QKV_mfma16_kernelIDF16_hLN4vllm18Fp8KVCacheDataTypeE1EhLi16ELi64ELi256ELb1ELi8EEvPKT_PKT0_S7_ifPKiS9_S9_iPKfiiiPfSC_PS2_PT2_iSB_SB_,@function
_Z39paged_attention_ll4mi_QKV_mfma16_kernelIDF16_hLN4vllm18Fp8KVCacheDataTypeE1EhLi16ELi64ELi256ELb1ELi8EEvPKT_PKT0_S7_ifPKiS9_S9_iPKfiiiPfSC_PS2_PT2_iSB_SB_: ; @_Z39paged_attention_ll4mi_QKV_mfma16_kernelIDF16_hLN4vllm18Fp8KVCacheDataTypeE1EhLi16ELi64ELi256ELb1ELi8EEvPKT_PKT0_S7_ifPKiS9_S9_iPKfiiiPfSC_PS2_PT2_iSB_SB_
; %bb.0:
	s_get_pc_i64 s[2:3]
	s_add_nc_u64 s[2:3], s[2:3], __PRETTY_FUNCTION__._Z39paged_attention_ll4mi_QKV_mfma16_kernelIDF16_hLN4vllm18Fp8KVCacheDataTypeE1EhLi16ELi64ELi256ELb1ELi8EEvPKT_PKT0_S7_ifPKiS9_S9_iPKfiiiPfSC_PS2_PT2_iSB_SB_@rel64+4
	s_delay_alu instid0(SALU_CYCLE_1)
	v_dual_mov_b32 v0, 0xbb3 :: v_dual_mov_b32 v1, s2
	v_mov_b32_e32 v2, s3
	s_add_nc_u64 s[8:9], s[0:1], 0x90
	s_get_pc_i64 s[0:1]
	s_add_nc_u64 s[0:1], s[0:1], __assert_fail@rel64+4
	s_mov_b32 s32, 0
	s_swap_pc_i64 s[30:31], s[0:1]
	.section	.rodata,"a",@progbits
	.p2align	6, 0x0
	.amdhsa_kernel _Z39paged_attention_ll4mi_QKV_mfma16_kernelIDF16_hLN4vllm18Fp8KVCacheDataTypeE1EhLi16ELi64ELi256ELb1ELi8EEvPKT_PKT0_S7_ifPKiS9_S9_iPKfiiiPfSC_PS2_PT2_iSB_SB_
		.amdhsa_group_segment_fixed_size 0
		.amdhsa_private_segment_fixed_size 64
		.amdhsa_kernarg_size 400
		.amdhsa_user_sgpr_count 2
		.amdhsa_user_sgpr_dispatch_ptr 0
		.amdhsa_user_sgpr_queue_ptr 0
		.amdhsa_user_sgpr_kernarg_segment_ptr 1
		.amdhsa_user_sgpr_dispatch_id 0
		.amdhsa_user_sgpr_kernarg_preload_length 0
		.amdhsa_user_sgpr_kernarg_preload_offset 0
		.amdhsa_user_sgpr_private_segment_size 0
		.amdhsa_wavefront_size32 1
		.amdhsa_uses_dynamic_stack 0
		.amdhsa_enable_private_segment 1
		.amdhsa_system_sgpr_workgroup_id_x 1
		.amdhsa_system_sgpr_workgroup_id_y 0
		.amdhsa_system_sgpr_workgroup_id_z 0
		.amdhsa_system_sgpr_workgroup_info 0
		.amdhsa_system_vgpr_workitem_id 0
		.amdhsa_next_free_vgpr 51
		.amdhsa_next_free_sgpr 34
		.amdhsa_named_barrier_count 0
		.amdhsa_reserve_vcc 1
		.amdhsa_float_round_mode_32 0
		.amdhsa_float_round_mode_16_64 0
		.amdhsa_float_denorm_mode_32 3
		.amdhsa_float_denorm_mode_16_64 3
		.amdhsa_fp16_overflow 0
		.amdhsa_memory_ordered 1
		.amdhsa_forward_progress 1
		.amdhsa_inst_pref_size 1
		.amdhsa_round_robin_scheduling 0
		.amdhsa_exception_fp_ieee_invalid_op 0
		.amdhsa_exception_fp_denorm_src 0
		.amdhsa_exception_fp_ieee_div_zero 0
		.amdhsa_exception_fp_ieee_overflow 0
		.amdhsa_exception_fp_ieee_underflow 0
		.amdhsa_exception_fp_ieee_inexact 0
		.amdhsa_exception_int_div_zero 0
	.end_amdhsa_kernel
	.section	.text._Z39paged_attention_ll4mi_QKV_mfma16_kernelIDF16_hLN4vllm18Fp8KVCacheDataTypeE1EhLi16ELi64ELi256ELb1ELi8EEvPKT_PKT0_S7_ifPKiS9_S9_iPKfiiiPfSC_PS2_PT2_iSB_SB_,"axG",@progbits,_Z39paged_attention_ll4mi_QKV_mfma16_kernelIDF16_hLN4vllm18Fp8KVCacheDataTypeE1EhLi16ELi64ELi256ELb1ELi8EEvPKT_PKT0_S7_ifPKiS9_S9_iPKfiiiPfSC_PS2_PT2_iSB_SB_,comdat
.Lfunc_end777:
	.size	_Z39paged_attention_ll4mi_QKV_mfma16_kernelIDF16_hLN4vllm18Fp8KVCacheDataTypeE1EhLi16ELi64ELi256ELb1ELi8EEvPKT_PKT0_S7_ifPKiS9_S9_iPKfiiiPfSC_PS2_PT2_iSB_SB_, .Lfunc_end777-_Z39paged_attention_ll4mi_QKV_mfma16_kernelIDF16_hLN4vllm18Fp8KVCacheDataTypeE1EhLi16ELi64ELi256ELb1ELi8EEvPKT_PKT0_S7_ifPKiS9_S9_iPKfiiiPfSC_PS2_PT2_iSB_SB_
                                        ; -- End function
	.set _Z39paged_attention_ll4mi_QKV_mfma16_kernelIDF16_hLN4vllm18Fp8KVCacheDataTypeE1EhLi16ELi64ELi256ELb1ELi8EEvPKT_PKT0_S7_ifPKiS9_S9_iPKfiiiPfSC_PS2_PT2_iSB_SB_.num_vgpr, max(3, .L__assert_fail.num_vgpr)
	.set _Z39paged_attention_ll4mi_QKV_mfma16_kernelIDF16_hLN4vllm18Fp8KVCacheDataTypeE1EhLi16ELi64ELi256ELb1ELi8EEvPKT_PKT0_S7_ifPKiS9_S9_iPKfiiiPfSC_PS2_PT2_iSB_SB_.num_agpr, max(0, .L__assert_fail.num_agpr)
	.set _Z39paged_attention_ll4mi_QKV_mfma16_kernelIDF16_hLN4vllm18Fp8KVCacheDataTypeE1EhLi16ELi64ELi256ELb1ELi8EEvPKT_PKT0_S7_ifPKiS9_S9_iPKfiiiPfSC_PS2_PT2_iSB_SB_.numbered_sgpr, max(33, .L__assert_fail.numbered_sgpr)
	.set _Z39paged_attention_ll4mi_QKV_mfma16_kernelIDF16_hLN4vllm18Fp8KVCacheDataTypeE1EhLi16ELi64ELi256ELb1ELi8EEvPKT_PKT0_S7_ifPKiS9_S9_iPKfiiiPfSC_PS2_PT2_iSB_SB_.num_named_barrier, max(0, .L__assert_fail.num_named_barrier)
	.set _Z39paged_attention_ll4mi_QKV_mfma16_kernelIDF16_hLN4vllm18Fp8KVCacheDataTypeE1EhLi16ELi64ELi256ELb1ELi8EEvPKT_PKT0_S7_ifPKiS9_S9_iPKfiiiPfSC_PS2_PT2_iSB_SB_.private_seg_size, 0+max(.L__assert_fail.private_seg_size)
	.set _Z39paged_attention_ll4mi_QKV_mfma16_kernelIDF16_hLN4vllm18Fp8KVCacheDataTypeE1EhLi16ELi64ELi256ELb1ELi8EEvPKT_PKT0_S7_ifPKiS9_S9_iPKfiiiPfSC_PS2_PT2_iSB_SB_.uses_vcc, or(1, .L__assert_fail.uses_vcc)
	.set _Z39paged_attention_ll4mi_QKV_mfma16_kernelIDF16_hLN4vllm18Fp8KVCacheDataTypeE1EhLi16ELi64ELi256ELb1ELi8EEvPKT_PKT0_S7_ifPKiS9_S9_iPKfiiiPfSC_PS2_PT2_iSB_SB_.uses_flat_scratch, or(0, .L__assert_fail.uses_flat_scratch)
	.set _Z39paged_attention_ll4mi_QKV_mfma16_kernelIDF16_hLN4vllm18Fp8KVCacheDataTypeE1EhLi16ELi64ELi256ELb1ELi8EEvPKT_PKT0_S7_ifPKiS9_S9_iPKfiiiPfSC_PS2_PT2_iSB_SB_.has_dyn_sized_stack, or(0, .L__assert_fail.has_dyn_sized_stack)
	.set _Z39paged_attention_ll4mi_QKV_mfma16_kernelIDF16_hLN4vllm18Fp8KVCacheDataTypeE1EhLi16ELi64ELi256ELb1ELi8EEvPKT_PKT0_S7_ifPKiS9_S9_iPKfiiiPfSC_PS2_PT2_iSB_SB_.has_recursion, or(0, .L__assert_fail.has_recursion)
	.set _Z39paged_attention_ll4mi_QKV_mfma16_kernelIDF16_hLN4vllm18Fp8KVCacheDataTypeE1EhLi16ELi64ELi256ELb1ELi8EEvPKT_PKT0_S7_ifPKiS9_S9_iPKfiiiPfSC_PS2_PT2_iSB_SB_.has_indirect_call, or(0, .L__assert_fail.has_indirect_call)
	.section	.AMDGPU.csdata,"",@progbits
; Kernel info:
; codeLenInByte = 68
; TotalNumSgprs: 36
; NumVgprs: 51
; ScratchSize: 64
; MemoryBound: 0
; FloatMode: 240
; IeeeMode: 1
; LDSByteSize: 0 bytes/workgroup (compile time only)
; SGPRBlocks: 0
; VGPRBlocks: 3
; NumSGPRsForWavesPerEU: 36
; NumVGPRsForWavesPerEU: 51
; NamedBarCnt: 0
; Occupancy: 16
; WaveLimiterHint : 1
; COMPUTE_PGM_RSRC2:SCRATCH_EN: 1
; COMPUTE_PGM_RSRC2:USER_SGPR: 2
; COMPUTE_PGM_RSRC2:TRAP_HANDLER: 0
; COMPUTE_PGM_RSRC2:TGID_X_EN: 1
; COMPUTE_PGM_RSRC2:TGID_Y_EN: 0
; COMPUTE_PGM_RSRC2:TGID_Z_EN: 0
; COMPUTE_PGM_RSRC2:TIDIG_COMP_CNT: 0
	.section	.text._Z39paged_attention_ll4mi_QKV_mfma16_kernelIDF16_hLN4vllm18Fp8KVCacheDataTypeE1EhLi16ELi64ELi256ELb1ELi9EEvPKT_PKT0_S7_ifPKiS9_S9_iPKfiiiPfSC_PS2_PT2_iSB_SB_,"axG",@progbits,_Z39paged_attention_ll4mi_QKV_mfma16_kernelIDF16_hLN4vllm18Fp8KVCacheDataTypeE1EhLi16ELi64ELi256ELb1ELi9EEvPKT_PKT0_S7_ifPKiS9_S9_iPKfiiiPfSC_PS2_PT2_iSB_SB_,comdat
	.protected	_Z39paged_attention_ll4mi_QKV_mfma16_kernelIDF16_hLN4vllm18Fp8KVCacheDataTypeE1EhLi16ELi64ELi256ELb1ELi9EEvPKT_PKT0_S7_ifPKiS9_S9_iPKfiiiPfSC_PS2_PT2_iSB_SB_ ; -- Begin function _Z39paged_attention_ll4mi_QKV_mfma16_kernelIDF16_hLN4vllm18Fp8KVCacheDataTypeE1EhLi16ELi64ELi256ELb1ELi9EEvPKT_PKT0_S7_ifPKiS9_S9_iPKfiiiPfSC_PS2_PT2_iSB_SB_
	.globl	_Z39paged_attention_ll4mi_QKV_mfma16_kernelIDF16_hLN4vllm18Fp8KVCacheDataTypeE1EhLi16ELi64ELi256ELb1ELi9EEvPKT_PKT0_S7_ifPKiS9_S9_iPKfiiiPfSC_PS2_PT2_iSB_SB_
	.p2align	8
	.type	_Z39paged_attention_ll4mi_QKV_mfma16_kernelIDF16_hLN4vllm18Fp8KVCacheDataTypeE1EhLi16ELi64ELi256ELb1ELi9EEvPKT_PKT0_S7_ifPKiS9_S9_iPKfiiiPfSC_PS2_PT2_iSB_SB_,@function
_Z39paged_attention_ll4mi_QKV_mfma16_kernelIDF16_hLN4vllm18Fp8KVCacheDataTypeE1EhLi16ELi64ELi256ELb1ELi9EEvPKT_PKT0_S7_ifPKiS9_S9_iPKfiiiPfSC_PS2_PT2_iSB_SB_: ; @_Z39paged_attention_ll4mi_QKV_mfma16_kernelIDF16_hLN4vllm18Fp8KVCacheDataTypeE1EhLi16ELi64ELi256ELb1ELi9EEvPKT_PKT0_S7_ifPKiS9_S9_iPKfiiiPfSC_PS2_PT2_iSB_SB_
; %bb.0:
	s_get_pc_i64 s[2:3]
	s_add_nc_u64 s[2:3], s[2:3], __PRETTY_FUNCTION__._Z39paged_attention_ll4mi_QKV_mfma16_kernelIDF16_hLN4vllm18Fp8KVCacheDataTypeE1EhLi16ELi64ELi256ELb1ELi9EEvPKT_PKT0_S7_ifPKiS9_S9_iPKfiiiPfSC_PS2_PT2_iSB_SB_@rel64+4
	s_delay_alu instid0(SALU_CYCLE_1)
	v_dual_mov_b32 v0, 0xbb3 :: v_dual_mov_b32 v1, s2
	v_mov_b32_e32 v2, s3
	s_add_nc_u64 s[8:9], s[0:1], 0x90
	s_get_pc_i64 s[0:1]
	s_add_nc_u64 s[0:1], s[0:1], __assert_fail@rel64+4
	s_mov_b32 s32, 0
	s_swap_pc_i64 s[30:31], s[0:1]
	.section	.rodata,"a",@progbits
	.p2align	6, 0x0
	.amdhsa_kernel _Z39paged_attention_ll4mi_QKV_mfma16_kernelIDF16_hLN4vllm18Fp8KVCacheDataTypeE1EhLi16ELi64ELi256ELb1ELi9EEvPKT_PKT0_S7_ifPKiS9_S9_iPKfiiiPfSC_PS2_PT2_iSB_SB_
		.amdhsa_group_segment_fixed_size 0
		.amdhsa_private_segment_fixed_size 64
		.amdhsa_kernarg_size 400
		.amdhsa_user_sgpr_count 2
		.amdhsa_user_sgpr_dispatch_ptr 0
		.amdhsa_user_sgpr_queue_ptr 0
		.amdhsa_user_sgpr_kernarg_segment_ptr 1
		.amdhsa_user_sgpr_dispatch_id 0
		.amdhsa_user_sgpr_kernarg_preload_length 0
		.amdhsa_user_sgpr_kernarg_preload_offset 0
		.amdhsa_user_sgpr_private_segment_size 0
		.amdhsa_wavefront_size32 1
		.amdhsa_uses_dynamic_stack 0
		.amdhsa_enable_private_segment 1
		.amdhsa_system_sgpr_workgroup_id_x 1
		.amdhsa_system_sgpr_workgroup_id_y 0
		.amdhsa_system_sgpr_workgroup_id_z 0
		.amdhsa_system_sgpr_workgroup_info 0
		.amdhsa_system_vgpr_workitem_id 0
		.amdhsa_next_free_vgpr 51
		.amdhsa_next_free_sgpr 34
		.amdhsa_named_barrier_count 0
		.amdhsa_reserve_vcc 1
		.amdhsa_float_round_mode_32 0
		.amdhsa_float_round_mode_16_64 0
		.amdhsa_float_denorm_mode_32 3
		.amdhsa_float_denorm_mode_16_64 3
		.amdhsa_fp16_overflow 0
		.amdhsa_memory_ordered 1
		.amdhsa_forward_progress 1
		.amdhsa_inst_pref_size 1
		.amdhsa_round_robin_scheduling 0
		.amdhsa_exception_fp_ieee_invalid_op 0
		.amdhsa_exception_fp_denorm_src 0
		.amdhsa_exception_fp_ieee_div_zero 0
		.amdhsa_exception_fp_ieee_overflow 0
		.amdhsa_exception_fp_ieee_underflow 0
		.amdhsa_exception_fp_ieee_inexact 0
		.amdhsa_exception_int_div_zero 0
	.end_amdhsa_kernel
	.section	.text._Z39paged_attention_ll4mi_QKV_mfma16_kernelIDF16_hLN4vllm18Fp8KVCacheDataTypeE1EhLi16ELi64ELi256ELb1ELi9EEvPKT_PKT0_S7_ifPKiS9_S9_iPKfiiiPfSC_PS2_PT2_iSB_SB_,"axG",@progbits,_Z39paged_attention_ll4mi_QKV_mfma16_kernelIDF16_hLN4vllm18Fp8KVCacheDataTypeE1EhLi16ELi64ELi256ELb1ELi9EEvPKT_PKT0_S7_ifPKiS9_S9_iPKfiiiPfSC_PS2_PT2_iSB_SB_,comdat
.Lfunc_end778:
	.size	_Z39paged_attention_ll4mi_QKV_mfma16_kernelIDF16_hLN4vllm18Fp8KVCacheDataTypeE1EhLi16ELi64ELi256ELb1ELi9EEvPKT_PKT0_S7_ifPKiS9_S9_iPKfiiiPfSC_PS2_PT2_iSB_SB_, .Lfunc_end778-_Z39paged_attention_ll4mi_QKV_mfma16_kernelIDF16_hLN4vllm18Fp8KVCacheDataTypeE1EhLi16ELi64ELi256ELb1ELi9EEvPKT_PKT0_S7_ifPKiS9_S9_iPKfiiiPfSC_PS2_PT2_iSB_SB_
                                        ; -- End function
	.set _Z39paged_attention_ll4mi_QKV_mfma16_kernelIDF16_hLN4vllm18Fp8KVCacheDataTypeE1EhLi16ELi64ELi256ELb1ELi9EEvPKT_PKT0_S7_ifPKiS9_S9_iPKfiiiPfSC_PS2_PT2_iSB_SB_.num_vgpr, max(3, .L__assert_fail.num_vgpr)
	.set _Z39paged_attention_ll4mi_QKV_mfma16_kernelIDF16_hLN4vllm18Fp8KVCacheDataTypeE1EhLi16ELi64ELi256ELb1ELi9EEvPKT_PKT0_S7_ifPKiS9_S9_iPKfiiiPfSC_PS2_PT2_iSB_SB_.num_agpr, max(0, .L__assert_fail.num_agpr)
	.set _Z39paged_attention_ll4mi_QKV_mfma16_kernelIDF16_hLN4vllm18Fp8KVCacheDataTypeE1EhLi16ELi64ELi256ELb1ELi9EEvPKT_PKT0_S7_ifPKiS9_S9_iPKfiiiPfSC_PS2_PT2_iSB_SB_.numbered_sgpr, max(33, .L__assert_fail.numbered_sgpr)
	.set _Z39paged_attention_ll4mi_QKV_mfma16_kernelIDF16_hLN4vllm18Fp8KVCacheDataTypeE1EhLi16ELi64ELi256ELb1ELi9EEvPKT_PKT0_S7_ifPKiS9_S9_iPKfiiiPfSC_PS2_PT2_iSB_SB_.num_named_barrier, max(0, .L__assert_fail.num_named_barrier)
	.set _Z39paged_attention_ll4mi_QKV_mfma16_kernelIDF16_hLN4vllm18Fp8KVCacheDataTypeE1EhLi16ELi64ELi256ELb1ELi9EEvPKT_PKT0_S7_ifPKiS9_S9_iPKfiiiPfSC_PS2_PT2_iSB_SB_.private_seg_size, 0+max(.L__assert_fail.private_seg_size)
	.set _Z39paged_attention_ll4mi_QKV_mfma16_kernelIDF16_hLN4vllm18Fp8KVCacheDataTypeE1EhLi16ELi64ELi256ELb1ELi9EEvPKT_PKT0_S7_ifPKiS9_S9_iPKfiiiPfSC_PS2_PT2_iSB_SB_.uses_vcc, or(1, .L__assert_fail.uses_vcc)
	.set _Z39paged_attention_ll4mi_QKV_mfma16_kernelIDF16_hLN4vllm18Fp8KVCacheDataTypeE1EhLi16ELi64ELi256ELb1ELi9EEvPKT_PKT0_S7_ifPKiS9_S9_iPKfiiiPfSC_PS2_PT2_iSB_SB_.uses_flat_scratch, or(0, .L__assert_fail.uses_flat_scratch)
	.set _Z39paged_attention_ll4mi_QKV_mfma16_kernelIDF16_hLN4vllm18Fp8KVCacheDataTypeE1EhLi16ELi64ELi256ELb1ELi9EEvPKT_PKT0_S7_ifPKiS9_S9_iPKfiiiPfSC_PS2_PT2_iSB_SB_.has_dyn_sized_stack, or(0, .L__assert_fail.has_dyn_sized_stack)
	.set _Z39paged_attention_ll4mi_QKV_mfma16_kernelIDF16_hLN4vllm18Fp8KVCacheDataTypeE1EhLi16ELi64ELi256ELb1ELi9EEvPKT_PKT0_S7_ifPKiS9_S9_iPKfiiiPfSC_PS2_PT2_iSB_SB_.has_recursion, or(0, .L__assert_fail.has_recursion)
	.set _Z39paged_attention_ll4mi_QKV_mfma16_kernelIDF16_hLN4vllm18Fp8KVCacheDataTypeE1EhLi16ELi64ELi256ELb1ELi9EEvPKT_PKT0_S7_ifPKiS9_S9_iPKfiiiPfSC_PS2_PT2_iSB_SB_.has_indirect_call, or(0, .L__assert_fail.has_indirect_call)
	.section	.AMDGPU.csdata,"",@progbits
; Kernel info:
; codeLenInByte = 68
; TotalNumSgprs: 36
; NumVgprs: 51
; ScratchSize: 64
; MemoryBound: 0
; FloatMode: 240
; IeeeMode: 1
; LDSByteSize: 0 bytes/workgroup (compile time only)
; SGPRBlocks: 0
; VGPRBlocks: 3
; NumSGPRsForWavesPerEU: 36
; NumVGPRsForWavesPerEU: 51
; NamedBarCnt: 0
; Occupancy: 16
; WaveLimiterHint : 1
; COMPUTE_PGM_RSRC2:SCRATCH_EN: 1
; COMPUTE_PGM_RSRC2:USER_SGPR: 2
; COMPUTE_PGM_RSRC2:TRAP_HANDLER: 0
; COMPUTE_PGM_RSRC2:TGID_X_EN: 1
; COMPUTE_PGM_RSRC2:TGID_Y_EN: 0
; COMPUTE_PGM_RSRC2:TGID_Z_EN: 0
; COMPUTE_PGM_RSRC2:TIDIG_COMP_CNT: 0
	.section	.text._Z39paged_attention_ll4mi_QKV_mfma16_kernelIDF16_hLN4vllm18Fp8KVCacheDataTypeE1EhLi16ELi64ELi256ELb1ELi10EEvPKT_PKT0_S7_ifPKiS9_S9_iPKfiiiPfSC_PS2_PT2_iSB_SB_,"axG",@progbits,_Z39paged_attention_ll4mi_QKV_mfma16_kernelIDF16_hLN4vllm18Fp8KVCacheDataTypeE1EhLi16ELi64ELi256ELb1ELi10EEvPKT_PKT0_S7_ifPKiS9_S9_iPKfiiiPfSC_PS2_PT2_iSB_SB_,comdat
	.protected	_Z39paged_attention_ll4mi_QKV_mfma16_kernelIDF16_hLN4vllm18Fp8KVCacheDataTypeE1EhLi16ELi64ELi256ELb1ELi10EEvPKT_PKT0_S7_ifPKiS9_S9_iPKfiiiPfSC_PS2_PT2_iSB_SB_ ; -- Begin function _Z39paged_attention_ll4mi_QKV_mfma16_kernelIDF16_hLN4vllm18Fp8KVCacheDataTypeE1EhLi16ELi64ELi256ELb1ELi10EEvPKT_PKT0_S7_ifPKiS9_S9_iPKfiiiPfSC_PS2_PT2_iSB_SB_
	.globl	_Z39paged_attention_ll4mi_QKV_mfma16_kernelIDF16_hLN4vllm18Fp8KVCacheDataTypeE1EhLi16ELi64ELi256ELb1ELi10EEvPKT_PKT0_S7_ifPKiS9_S9_iPKfiiiPfSC_PS2_PT2_iSB_SB_
	.p2align	8
	.type	_Z39paged_attention_ll4mi_QKV_mfma16_kernelIDF16_hLN4vllm18Fp8KVCacheDataTypeE1EhLi16ELi64ELi256ELb1ELi10EEvPKT_PKT0_S7_ifPKiS9_S9_iPKfiiiPfSC_PS2_PT2_iSB_SB_,@function
_Z39paged_attention_ll4mi_QKV_mfma16_kernelIDF16_hLN4vllm18Fp8KVCacheDataTypeE1EhLi16ELi64ELi256ELb1ELi10EEvPKT_PKT0_S7_ifPKiS9_S9_iPKfiiiPfSC_PS2_PT2_iSB_SB_: ; @_Z39paged_attention_ll4mi_QKV_mfma16_kernelIDF16_hLN4vllm18Fp8KVCacheDataTypeE1EhLi16ELi64ELi256ELb1ELi10EEvPKT_PKT0_S7_ifPKiS9_S9_iPKfiiiPfSC_PS2_PT2_iSB_SB_
; %bb.0:
	s_get_pc_i64 s[2:3]
	s_add_nc_u64 s[2:3], s[2:3], __PRETTY_FUNCTION__._Z39paged_attention_ll4mi_QKV_mfma16_kernelIDF16_hLN4vllm18Fp8KVCacheDataTypeE1EhLi16ELi64ELi256ELb1ELi10EEvPKT_PKT0_S7_ifPKiS9_S9_iPKfiiiPfSC_PS2_PT2_iSB_SB_@rel64+4
	s_delay_alu instid0(SALU_CYCLE_1)
	v_dual_mov_b32 v0, 0xbb3 :: v_dual_mov_b32 v1, s2
	v_mov_b32_e32 v2, s3
	s_add_nc_u64 s[8:9], s[0:1], 0x90
	s_get_pc_i64 s[0:1]
	s_add_nc_u64 s[0:1], s[0:1], __assert_fail@rel64+4
	s_mov_b32 s32, 0
	s_swap_pc_i64 s[30:31], s[0:1]
	.section	.rodata,"a",@progbits
	.p2align	6, 0x0
	.amdhsa_kernel _Z39paged_attention_ll4mi_QKV_mfma16_kernelIDF16_hLN4vllm18Fp8KVCacheDataTypeE1EhLi16ELi64ELi256ELb1ELi10EEvPKT_PKT0_S7_ifPKiS9_S9_iPKfiiiPfSC_PS2_PT2_iSB_SB_
		.amdhsa_group_segment_fixed_size 0
		.amdhsa_private_segment_fixed_size 64
		.amdhsa_kernarg_size 400
		.amdhsa_user_sgpr_count 2
		.amdhsa_user_sgpr_dispatch_ptr 0
		.amdhsa_user_sgpr_queue_ptr 0
		.amdhsa_user_sgpr_kernarg_segment_ptr 1
		.amdhsa_user_sgpr_dispatch_id 0
		.amdhsa_user_sgpr_kernarg_preload_length 0
		.amdhsa_user_sgpr_kernarg_preload_offset 0
		.amdhsa_user_sgpr_private_segment_size 0
		.amdhsa_wavefront_size32 1
		.amdhsa_uses_dynamic_stack 0
		.amdhsa_enable_private_segment 1
		.amdhsa_system_sgpr_workgroup_id_x 1
		.amdhsa_system_sgpr_workgroup_id_y 0
		.amdhsa_system_sgpr_workgroup_id_z 0
		.amdhsa_system_sgpr_workgroup_info 0
		.amdhsa_system_vgpr_workitem_id 0
		.amdhsa_next_free_vgpr 51
		.amdhsa_next_free_sgpr 34
		.amdhsa_named_barrier_count 0
		.amdhsa_reserve_vcc 1
		.amdhsa_float_round_mode_32 0
		.amdhsa_float_round_mode_16_64 0
		.amdhsa_float_denorm_mode_32 3
		.amdhsa_float_denorm_mode_16_64 3
		.amdhsa_fp16_overflow 0
		.amdhsa_memory_ordered 1
		.amdhsa_forward_progress 1
		.amdhsa_inst_pref_size 1
		.amdhsa_round_robin_scheduling 0
		.amdhsa_exception_fp_ieee_invalid_op 0
		.amdhsa_exception_fp_denorm_src 0
		.amdhsa_exception_fp_ieee_div_zero 0
		.amdhsa_exception_fp_ieee_overflow 0
		.amdhsa_exception_fp_ieee_underflow 0
		.amdhsa_exception_fp_ieee_inexact 0
		.amdhsa_exception_int_div_zero 0
	.end_amdhsa_kernel
	.section	.text._Z39paged_attention_ll4mi_QKV_mfma16_kernelIDF16_hLN4vllm18Fp8KVCacheDataTypeE1EhLi16ELi64ELi256ELb1ELi10EEvPKT_PKT0_S7_ifPKiS9_S9_iPKfiiiPfSC_PS2_PT2_iSB_SB_,"axG",@progbits,_Z39paged_attention_ll4mi_QKV_mfma16_kernelIDF16_hLN4vllm18Fp8KVCacheDataTypeE1EhLi16ELi64ELi256ELb1ELi10EEvPKT_PKT0_S7_ifPKiS9_S9_iPKfiiiPfSC_PS2_PT2_iSB_SB_,comdat
.Lfunc_end779:
	.size	_Z39paged_attention_ll4mi_QKV_mfma16_kernelIDF16_hLN4vllm18Fp8KVCacheDataTypeE1EhLi16ELi64ELi256ELb1ELi10EEvPKT_PKT0_S7_ifPKiS9_S9_iPKfiiiPfSC_PS2_PT2_iSB_SB_, .Lfunc_end779-_Z39paged_attention_ll4mi_QKV_mfma16_kernelIDF16_hLN4vllm18Fp8KVCacheDataTypeE1EhLi16ELi64ELi256ELb1ELi10EEvPKT_PKT0_S7_ifPKiS9_S9_iPKfiiiPfSC_PS2_PT2_iSB_SB_
                                        ; -- End function
	.set _Z39paged_attention_ll4mi_QKV_mfma16_kernelIDF16_hLN4vllm18Fp8KVCacheDataTypeE1EhLi16ELi64ELi256ELb1ELi10EEvPKT_PKT0_S7_ifPKiS9_S9_iPKfiiiPfSC_PS2_PT2_iSB_SB_.num_vgpr, max(3, .L__assert_fail.num_vgpr)
	.set _Z39paged_attention_ll4mi_QKV_mfma16_kernelIDF16_hLN4vllm18Fp8KVCacheDataTypeE1EhLi16ELi64ELi256ELb1ELi10EEvPKT_PKT0_S7_ifPKiS9_S9_iPKfiiiPfSC_PS2_PT2_iSB_SB_.num_agpr, max(0, .L__assert_fail.num_agpr)
	.set _Z39paged_attention_ll4mi_QKV_mfma16_kernelIDF16_hLN4vllm18Fp8KVCacheDataTypeE1EhLi16ELi64ELi256ELb1ELi10EEvPKT_PKT0_S7_ifPKiS9_S9_iPKfiiiPfSC_PS2_PT2_iSB_SB_.numbered_sgpr, max(33, .L__assert_fail.numbered_sgpr)
	.set _Z39paged_attention_ll4mi_QKV_mfma16_kernelIDF16_hLN4vllm18Fp8KVCacheDataTypeE1EhLi16ELi64ELi256ELb1ELi10EEvPKT_PKT0_S7_ifPKiS9_S9_iPKfiiiPfSC_PS2_PT2_iSB_SB_.num_named_barrier, max(0, .L__assert_fail.num_named_barrier)
	.set _Z39paged_attention_ll4mi_QKV_mfma16_kernelIDF16_hLN4vllm18Fp8KVCacheDataTypeE1EhLi16ELi64ELi256ELb1ELi10EEvPKT_PKT0_S7_ifPKiS9_S9_iPKfiiiPfSC_PS2_PT2_iSB_SB_.private_seg_size, 0+max(.L__assert_fail.private_seg_size)
	.set _Z39paged_attention_ll4mi_QKV_mfma16_kernelIDF16_hLN4vllm18Fp8KVCacheDataTypeE1EhLi16ELi64ELi256ELb1ELi10EEvPKT_PKT0_S7_ifPKiS9_S9_iPKfiiiPfSC_PS2_PT2_iSB_SB_.uses_vcc, or(1, .L__assert_fail.uses_vcc)
	.set _Z39paged_attention_ll4mi_QKV_mfma16_kernelIDF16_hLN4vllm18Fp8KVCacheDataTypeE1EhLi16ELi64ELi256ELb1ELi10EEvPKT_PKT0_S7_ifPKiS9_S9_iPKfiiiPfSC_PS2_PT2_iSB_SB_.uses_flat_scratch, or(0, .L__assert_fail.uses_flat_scratch)
	.set _Z39paged_attention_ll4mi_QKV_mfma16_kernelIDF16_hLN4vllm18Fp8KVCacheDataTypeE1EhLi16ELi64ELi256ELb1ELi10EEvPKT_PKT0_S7_ifPKiS9_S9_iPKfiiiPfSC_PS2_PT2_iSB_SB_.has_dyn_sized_stack, or(0, .L__assert_fail.has_dyn_sized_stack)
	.set _Z39paged_attention_ll4mi_QKV_mfma16_kernelIDF16_hLN4vllm18Fp8KVCacheDataTypeE1EhLi16ELi64ELi256ELb1ELi10EEvPKT_PKT0_S7_ifPKiS9_S9_iPKfiiiPfSC_PS2_PT2_iSB_SB_.has_recursion, or(0, .L__assert_fail.has_recursion)
	.set _Z39paged_attention_ll4mi_QKV_mfma16_kernelIDF16_hLN4vllm18Fp8KVCacheDataTypeE1EhLi16ELi64ELi256ELb1ELi10EEvPKT_PKT0_S7_ifPKiS9_S9_iPKfiiiPfSC_PS2_PT2_iSB_SB_.has_indirect_call, or(0, .L__assert_fail.has_indirect_call)
	.section	.AMDGPU.csdata,"",@progbits
; Kernel info:
; codeLenInByte = 68
; TotalNumSgprs: 36
; NumVgprs: 51
; ScratchSize: 64
; MemoryBound: 0
; FloatMode: 240
; IeeeMode: 1
; LDSByteSize: 0 bytes/workgroup (compile time only)
; SGPRBlocks: 0
; VGPRBlocks: 3
; NumSGPRsForWavesPerEU: 36
; NumVGPRsForWavesPerEU: 51
; NamedBarCnt: 0
; Occupancy: 16
; WaveLimiterHint : 1
; COMPUTE_PGM_RSRC2:SCRATCH_EN: 1
; COMPUTE_PGM_RSRC2:USER_SGPR: 2
; COMPUTE_PGM_RSRC2:TRAP_HANDLER: 0
; COMPUTE_PGM_RSRC2:TGID_X_EN: 1
; COMPUTE_PGM_RSRC2:TGID_Y_EN: 0
; COMPUTE_PGM_RSRC2:TGID_Z_EN: 0
; COMPUTE_PGM_RSRC2:TIDIG_COMP_CNT: 0
	.section	.text._Z39paged_attention_ll4mi_QKV_mfma16_kernelIDF16_hLN4vllm18Fp8KVCacheDataTypeE1EhLi16ELi64ELi256ELb1ELi11EEvPKT_PKT0_S7_ifPKiS9_S9_iPKfiiiPfSC_PS2_PT2_iSB_SB_,"axG",@progbits,_Z39paged_attention_ll4mi_QKV_mfma16_kernelIDF16_hLN4vllm18Fp8KVCacheDataTypeE1EhLi16ELi64ELi256ELb1ELi11EEvPKT_PKT0_S7_ifPKiS9_S9_iPKfiiiPfSC_PS2_PT2_iSB_SB_,comdat
	.protected	_Z39paged_attention_ll4mi_QKV_mfma16_kernelIDF16_hLN4vllm18Fp8KVCacheDataTypeE1EhLi16ELi64ELi256ELb1ELi11EEvPKT_PKT0_S7_ifPKiS9_S9_iPKfiiiPfSC_PS2_PT2_iSB_SB_ ; -- Begin function _Z39paged_attention_ll4mi_QKV_mfma16_kernelIDF16_hLN4vllm18Fp8KVCacheDataTypeE1EhLi16ELi64ELi256ELb1ELi11EEvPKT_PKT0_S7_ifPKiS9_S9_iPKfiiiPfSC_PS2_PT2_iSB_SB_
	.globl	_Z39paged_attention_ll4mi_QKV_mfma16_kernelIDF16_hLN4vllm18Fp8KVCacheDataTypeE1EhLi16ELi64ELi256ELb1ELi11EEvPKT_PKT0_S7_ifPKiS9_S9_iPKfiiiPfSC_PS2_PT2_iSB_SB_
	.p2align	8
	.type	_Z39paged_attention_ll4mi_QKV_mfma16_kernelIDF16_hLN4vllm18Fp8KVCacheDataTypeE1EhLi16ELi64ELi256ELb1ELi11EEvPKT_PKT0_S7_ifPKiS9_S9_iPKfiiiPfSC_PS2_PT2_iSB_SB_,@function
_Z39paged_attention_ll4mi_QKV_mfma16_kernelIDF16_hLN4vllm18Fp8KVCacheDataTypeE1EhLi16ELi64ELi256ELb1ELi11EEvPKT_PKT0_S7_ifPKiS9_S9_iPKfiiiPfSC_PS2_PT2_iSB_SB_: ; @_Z39paged_attention_ll4mi_QKV_mfma16_kernelIDF16_hLN4vllm18Fp8KVCacheDataTypeE1EhLi16ELi64ELi256ELb1ELi11EEvPKT_PKT0_S7_ifPKiS9_S9_iPKfiiiPfSC_PS2_PT2_iSB_SB_
; %bb.0:
	s_get_pc_i64 s[2:3]
	s_add_nc_u64 s[2:3], s[2:3], __PRETTY_FUNCTION__._Z39paged_attention_ll4mi_QKV_mfma16_kernelIDF16_hLN4vllm18Fp8KVCacheDataTypeE1EhLi16ELi64ELi256ELb1ELi11EEvPKT_PKT0_S7_ifPKiS9_S9_iPKfiiiPfSC_PS2_PT2_iSB_SB_@rel64+4
	s_delay_alu instid0(SALU_CYCLE_1)
	v_dual_mov_b32 v0, 0xbb3 :: v_dual_mov_b32 v1, s2
	v_mov_b32_e32 v2, s3
	s_add_nc_u64 s[8:9], s[0:1], 0x90
	s_get_pc_i64 s[0:1]
	s_add_nc_u64 s[0:1], s[0:1], __assert_fail@rel64+4
	s_mov_b32 s32, 0
	s_swap_pc_i64 s[30:31], s[0:1]
	.section	.rodata,"a",@progbits
	.p2align	6, 0x0
	.amdhsa_kernel _Z39paged_attention_ll4mi_QKV_mfma16_kernelIDF16_hLN4vllm18Fp8KVCacheDataTypeE1EhLi16ELi64ELi256ELb1ELi11EEvPKT_PKT0_S7_ifPKiS9_S9_iPKfiiiPfSC_PS2_PT2_iSB_SB_
		.amdhsa_group_segment_fixed_size 0
		.amdhsa_private_segment_fixed_size 64
		.amdhsa_kernarg_size 400
		.amdhsa_user_sgpr_count 2
		.amdhsa_user_sgpr_dispatch_ptr 0
		.amdhsa_user_sgpr_queue_ptr 0
		.amdhsa_user_sgpr_kernarg_segment_ptr 1
		.amdhsa_user_sgpr_dispatch_id 0
		.amdhsa_user_sgpr_kernarg_preload_length 0
		.amdhsa_user_sgpr_kernarg_preload_offset 0
		.amdhsa_user_sgpr_private_segment_size 0
		.amdhsa_wavefront_size32 1
		.amdhsa_uses_dynamic_stack 0
		.amdhsa_enable_private_segment 1
		.amdhsa_system_sgpr_workgroup_id_x 1
		.amdhsa_system_sgpr_workgroup_id_y 0
		.amdhsa_system_sgpr_workgroup_id_z 0
		.amdhsa_system_sgpr_workgroup_info 0
		.amdhsa_system_vgpr_workitem_id 0
		.amdhsa_next_free_vgpr 51
		.amdhsa_next_free_sgpr 34
		.amdhsa_named_barrier_count 0
		.amdhsa_reserve_vcc 1
		.amdhsa_float_round_mode_32 0
		.amdhsa_float_round_mode_16_64 0
		.amdhsa_float_denorm_mode_32 3
		.amdhsa_float_denorm_mode_16_64 3
		.amdhsa_fp16_overflow 0
		.amdhsa_memory_ordered 1
		.amdhsa_forward_progress 1
		.amdhsa_inst_pref_size 1
		.amdhsa_round_robin_scheduling 0
		.amdhsa_exception_fp_ieee_invalid_op 0
		.amdhsa_exception_fp_denorm_src 0
		.amdhsa_exception_fp_ieee_div_zero 0
		.amdhsa_exception_fp_ieee_overflow 0
		.amdhsa_exception_fp_ieee_underflow 0
		.amdhsa_exception_fp_ieee_inexact 0
		.amdhsa_exception_int_div_zero 0
	.end_amdhsa_kernel
	.section	.text._Z39paged_attention_ll4mi_QKV_mfma16_kernelIDF16_hLN4vllm18Fp8KVCacheDataTypeE1EhLi16ELi64ELi256ELb1ELi11EEvPKT_PKT0_S7_ifPKiS9_S9_iPKfiiiPfSC_PS2_PT2_iSB_SB_,"axG",@progbits,_Z39paged_attention_ll4mi_QKV_mfma16_kernelIDF16_hLN4vllm18Fp8KVCacheDataTypeE1EhLi16ELi64ELi256ELb1ELi11EEvPKT_PKT0_S7_ifPKiS9_S9_iPKfiiiPfSC_PS2_PT2_iSB_SB_,comdat
.Lfunc_end780:
	.size	_Z39paged_attention_ll4mi_QKV_mfma16_kernelIDF16_hLN4vllm18Fp8KVCacheDataTypeE1EhLi16ELi64ELi256ELb1ELi11EEvPKT_PKT0_S7_ifPKiS9_S9_iPKfiiiPfSC_PS2_PT2_iSB_SB_, .Lfunc_end780-_Z39paged_attention_ll4mi_QKV_mfma16_kernelIDF16_hLN4vllm18Fp8KVCacheDataTypeE1EhLi16ELi64ELi256ELb1ELi11EEvPKT_PKT0_S7_ifPKiS9_S9_iPKfiiiPfSC_PS2_PT2_iSB_SB_
                                        ; -- End function
	.set _Z39paged_attention_ll4mi_QKV_mfma16_kernelIDF16_hLN4vllm18Fp8KVCacheDataTypeE1EhLi16ELi64ELi256ELb1ELi11EEvPKT_PKT0_S7_ifPKiS9_S9_iPKfiiiPfSC_PS2_PT2_iSB_SB_.num_vgpr, max(3, .L__assert_fail.num_vgpr)
	.set _Z39paged_attention_ll4mi_QKV_mfma16_kernelIDF16_hLN4vllm18Fp8KVCacheDataTypeE1EhLi16ELi64ELi256ELb1ELi11EEvPKT_PKT0_S7_ifPKiS9_S9_iPKfiiiPfSC_PS2_PT2_iSB_SB_.num_agpr, max(0, .L__assert_fail.num_agpr)
	.set _Z39paged_attention_ll4mi_QKV_mfma16_kernelIDF16_hLN4vllm18Fp8KVCacheDataTypeE1EhLi16ELi64ELi256ELb1ELi11EEvPKT_PKT0_S7_ifPKiS9_S9_iPKfiiiPfSC_PS2_PT2_iSB_SB_.numbered_sgpr, max(33, .L__assert_fail.numbered_sgpr)
	.set _Z39paged_attention_ll4mi_QKV_mfma16_kernelIDF16_hLN4vllm18Fp8KVCacheDataTypeE1EhLi16ELi64ELi256ELb1ELi11EEvPKT_PKT0_S7_ifPKiS9_S9_iPKfiiiPfSC_PS2_PT2_iSB_SB_.num_named_barrier, max(0, .L__assert_fail.num_named_barrier)
	.set _Z39paged_attention_ll4mi_QKV_mfma16_kernelIDF16_hLN4vllm18Fp8KVCacheDataTypeE1EhLi16ELi64ELi256ELb1ELi11EEvPKT_PKT0_S7_ifPKiS9_S9_iPKfiiiPfSC_PS2_PT2_iSB_SB_.private_seg_size, 0+max(.L__assert_fail.private_seg_size)
	.set _Z39paged_attention_ll4mi_QKV_mfma16_kernelIDF16_hLN4vllm18Fp8KVCacheDataTypeE1EhLi16ELi64ELi256ELb1ELi11EEvPKT_PKT0_S7_ifPKiS9_S9_iPKfiiiPfSC_PS2_PT2_iSB_SB_.uses_vcc, or(1, .L__assert_fail.uses_vcc)
	.set _Z39paged_attention_ll4mi_QKV_mfma16_kernelIDF16_hLN4vllm18Fp8KVCacheDataTypeE1EhLi16ELi64ELi256ELb1ELi11EEvPKT_PKT0_S7_ifPKiS9_S9_iPKfiiiPfSC_PS2_PT2_iSB_SB_.uses_flat_scratch, or(0, .L__assert_fail.uses_flat_scratch)
	.set _Z39paged_attention_ll4mi_QKV_mfma16_kernelIDF16_hLN4vllm18Fp8KVCacheDataTypeE1EhLi16ELi64ELi256ELb1ELi11EEvPKT_PKT0_S7_ifPKiS9_S9_iPKfiiiPfSC_PS2_PT2_iSB_SB_.has_dyn_sized_stack, or(0, .L__assert_fail.has_dyn_sized_stack)
	.set _Z39paged_attention_ll4mi_QKV_mfma16_kernelIDF16_hLN4vllm18Fp8KVCacheDataTypeE1EhLi16ELi64ELi256ELb1ELi11EEvPKT_PKT0_S7_ifPKiS9_S9_iPKfiiiPfSC_PS2_PT2_iSB_SB_.has_recursion, or(0, .L__assert_fail.has_recursion)
	.set _Z39paged_attention_ll4mi_QKV_mfma16_kernelIDF16_hLN4vllm18Fp8KVCacheDataTypeE1EhLi16ELi64ELi256ELb1ELi11EEvPKT_PKT0_S7_ifPKiS9_S9_iPKfiiiPfSC_PS2_PT2_iSB_SB_.has_indirect_call, or(0, .L__assert_fail.has_indirect_call)
	.section	.AMDGPU.csdata,"",@progbits
; Kernel info:
; codeLenInByte = 68
; TotalNumSgprs: 36
; NumVgprs: 51
; ScratchSize: 64
; MemoryBound: 0
; FloatMode: 240
; IeeeMode: 1
; LDSByteSize: 0 bytes/workgroup (compile time only)
; SGPRBlocks: 0
; VGPRBlocks: 3
; NumSGPRsForWavesPerEU: 36
; NumVGPRsForWavesPerEU: 51
; NamedBarCnt: 0
; Occupancy: 16
; WaveLimiterHint : 1
; COMPUTE_PGM_RSRC2:SCRATCH_EN: 1
; COMPUTE_PGM_RSRC2:USER_SGPR: 2
; COMPUTE_PGM_RSRC2:TRAP_HANDLER: 0
; COMPUTE_PGM_RSRC2:TGID_X_EN: 1
; COMPUTE_PGM_RSRC2:TGID_Y_EN: 0
; COMPUTE_PGM_RSRC2:TGID_Z_EN: 0
; COMPUTE_PGM_RSRC2:TIDIG_COMP_CNT: 0
	.section	.text._Z39paged_attention_ll4mi_QKV_mfma16_kernelIDF16_hLN4vllm18Fp8KVCacheDataTypeE1EhLi16ELi64ELi256ELb1ELi12EEvPKT_PKT0_S7_ifPKiS9_S9_iPKfiiiPfSC_PS2_PT2_iSB_SB_,"axG",@progbits,_Z39paged_attention_ll4mi_QKV_mfma16_kernelIDF16_hLN4vllm18Fp8KVCacheDataTypeE1EhLi16ELi64ELi256ELb1ELi12EEvPKT_PKT0_S7_ifPKiS9_S9_iPKfiiiPfSC_PS2_PT2_iSB_SB_,comdat
	.protected	_Z39paged_attention_ll4mi_QKV_mfma16_kernelIDF16_hLN4vllm18Fp8KVCacheDataTypeE1EhLi16ELi64ELi256ELb1ELi12EEvPKT_PKT0_S7_ifPKiS9_S9_iPKfiiiPfSC_PS2_PT2_iSB_SB_ ; -- Begin function _Z39paged_attention_ll4mi_QKV_mfma16_kernelIDF16_hLN4vllm18Fp8KVCacheDataTypeE1EhLi16ELi64ELi256ELb1ELi12EEvPKT_PKT0_S7_ifPKiS9_S9_iPKfiiiPfSC_PS2_PT2_iSB_SB_
	.globl	_Z39paged_attention_ll4mi_QKV_mfma16_kernelIDF16_hLN4vllm18Fp8KVCacheDataTypeE1EhLi16ELi64ELi256ELb1ELi12EEvPKT_PKT0_S7_ifPKiS9_S9_iPKfiiiPfSC_PS2_PT2_iSB_SB_
	.p2align	8
	.type	_Z39paged_attention_ll4mi_QKV_mfma16_kernelIDF16_hLN4vllm18Fp8KVCacheDataTypeE1EhLi16ELi64ELi256ELb1ELi12EEvPKT_PKT0_S7_ifPKiS9_S9_iPKfiiiPfSC_PS2_PT2_iSB_SB_,@function
_Z39paged_attention_ll4mi_QKV_mfma16_kernelIDF16_hLN4vllm18Fp8KVCacheDataTypeE1EhLi16ELi64ELi256ELb1ELi12EEvPKT_PKT0_S7_ifPKiS9_S9_iPKfiiiPfSC_PS2_PT2_iSB_SB_: ; @_Z39paged_attention_ll4mi_QKV_mfma16_kernelIDF16_hLN4vllm18Fp8KVCacheDataTypeE1EhLi16ELi64ELi256ELb1ELi12EEvPKT_PKT0_S7_ifPKiS9_S9_iPKfiiiPfSC_PS2_PT2_iSB_SB_
; %bb.0:
	s_get_pc_i64 s[2:3]
	s_add_nc_u64 s[2:3], s[2:3], __PRETTY_FUNCTION__._Z39paged_attention_ll4mi_QKV_mfma16_kernelIDF16_hLN4vllm18Fp8KVCacheDataTypeE1EhLi16ELi64ELi256ELb1ELi12EEvPKT_PKT0_S7_ifPKiS9_S9_iPKfiiiPfSC_PS2_PT2_iSB_SB_@rel64+4
	s_delay_alu instid0(SALU_CYCLE_1)
	v_dual_mov_b32 v0, 0xbb3 :: v_dual_mov_b32 v1, s2
	v_mov_b32_e32 v2, s3
	s_add_nc_u64 s[8:9], s[0:1], 0x90
	s_get_pc_i64 s[0:1]
	s_add_nc_u64 s[0:1], s[0:1], __assert_fail@rel64+4
	s_mov_b32 s32, 0
	s_swap_pc_i64 s[30:31], s[0:1]
	.section	.rodata,"a",@progbits
	.p2align	6, 0x0
	.amdhsa_kernel _Z39paged_attention_ll4mi_QKV_mfma16_kernelIDF16_hLN4vllm18Fp8KVCacheDataTypeE1EhLi16ELi64ELi256ELb1ELi12EEvPKT_PKT0_S7_ifPKiS9_S9_iPKfiiiPfSC_PS2_PT2_iSB_SB_
		.amdhsa_group_segment_fixed_size 0
		.amdhsa_private_segment_fixed_size 64
		.amdhsa_kernarg_size 400
		.amdhsa_user_sgpr_count 2
		.amdhsa_user_sgpr_dispatch_ptr 0
		.amdhsa_user_sgpr_queue_ptr 0
		.amdhsa_user_sgpr_kernarg_segment_ptr 1
		.amdhsa_user_sgpr_dispatch_id 0
		.amdhsa_user_sgpr_kernarg_preload_length 0
		.amdhsa_user_sgpr_kernarg_preload_offset 0
		.amdhsa_user_sgpr_private_segment_size 0
		.amdhsa_wavefront_size32 1
		.amdhsa_uses_dynamic_stack 0
		.amdhsa_enable_private_segment 1
		.amdhsa_system_sgpr_workgroup_id_x 1
		.amdhsa_system_sgpr_workgroup_id_y 0
		.amdhsa_system_sgpr_workgroup_id_z 0
		.amdhsa_system_sgpr_workgroup_info 0
		.amdhsa_system_vgpr_workitem_id 0
		.amdhsa_next_free_vgpr 51
		.amdhsa_next_free_sgpr 34
		.amdhsa_named_barrier_count 0
		.amdhsa_reserve_vcc 1
		.amdhsa_float_round_mode_32 0
		.amdhsa_float_round_mode_16_64 0
		.amdhsa_float_denorm_mode_32 3
		.amdhsa_float_denorm_mode_16_64 3
		.amdhsa_fp16_overflow 0
		.amdhsa_memory_ordered 1
		.amdhsa_forward_progress 1
		.amdhsa_inst_pref_size 1
		.amdhsa_round_robin_scheduling 0
		.amdhsa_exception_fp_ieee_invalid_op 0
		.amdhsa_exception_fp_denorm_src 0
		.amdhsa_exception_fp_ieee_div_zero 0
		.amdhsa_exception_fp_ieee_overflow 0
		.amdhsa_exception_fp_ieee_underflow 0
		.amdhsa_exception_fp_ieee_inexact 0
		.amdhsa_exception_int_div_zero 0
	.end_amdhsa_kernel
	.section	.text._Z39paged_attention_ll4mi_QKV_mfma16_kernelIDF16_hLN4vllm18Fp8KVCacheDataTypeE1EhLi16ELi64ELi256ELb1ELi12EEvPKT_PKT0_S7_ifPKiS9_S9_iPKfiiiPfSC_PS2_PT2_iSB_SB_,"axG",@progbits,_Z39paged_attention_ll4mi_QKV_mfma16_kernelIDF16_hLN4vllm18Fp8KVCacheDataTypeE1EhLi16ELi64ELi256ELb1ELi12EEvPKT_PKT0_S7_ifPKiS9_S9_iPKfiiiPfSC_PS2_PT2_iSB_SB_,comdat
.Lfunc_end781:
	.size	_Z39paged_attention_ll4mi_QKV_mfma16_kernelIDF16_hLN4vllm18Fp8KVCacheDataTypeE1EhLi16ELi64ELi256ELb1ELi12EEvPKT_PKT0_S7_ifPKiS9_S9_iPKfiiiPfSC_PS2_PT2_iSB_SB_, .Lfunc_end781-_Z39paged_attention_ll4mi_QKV_mfma16_kernelIDF16_hLN4vllm18Fp8KVCacheDataTypeE1EhLi16ELi64ELi256ELb1ELi12EEvPKT_PKT0_S7_ifPKiS9_S9_iPKfiiiPfSC_PS2_PT2_iSB_SB_
                                        ; -- End function
	.set _Z39paged_attention_ll4mi_QKV_mfma16_kernelIDF16_hLN4vllm18Fp8KVCacheDataTypeE1EhLi16ELi64ELi256ELb1ELi12EEvPKT_PKT0_S7_ifPKiS9_S9_iPKfiiiPfSC_PS2_PT2_iSB_SB_.num_vgpr, max(3, .L__assert_fail.num_vgpr)
	.set _Z39paged_attention_ll4mi_QKV_mfma16_kernelIDF16_hLN4vllm18Fp8KVCacheDataTypeE1EhLi16ELi64ELi256ELb1ELi12EEvPKT_PKT0_S7_ifPKiS9_S9_iPKfiiiPfSC_PS2_PT2_iSB_SB_.num_agpr, max(0, .L__assert_fail.num_agpr)
	.set _Z39paged_attention_ll4mi_QKV_mfma16_kernelIDF16_hLN4vllm18Fp8KVCacheDataTypeE1EhLi16ELi64ELi256ELb1ELi12EEvPKT_PKT0_S7_ifPKiS9_S9_iPKfiiiPfSC_PS2_PT2_iSB_SB_.numbered_sgpr, max(33, .L__assert_fail.numbered_sgpr)
	.set _Z39paged_attention_ll4mi_QKV_mfma16_kernelIDF16_hLN4vllm18Fp8KVCacheDataTypeE1EhLi16ELi64ELi256ELb1ELi12EEvPKT_PKT0_S7_ifPKiS9_S9_iPKfiiiPfSC_PS2_PT2_iSB_SB_.num_named_barrier, max(0, .L__assert_fail.num_named_barrier)
	.set _Z39paged_attention_ll4mi_QKV_mfma16_kernelIDF16_hLN4vllm18Fp8KVCacheDataTypeE1EhLi16ELi64ELi256ELb1ELi12EEvPKT_PKT0_S7_ifPKiS9_S9_iPKfiiiPfSC_PS2_PT2_iSB_SB_.private_seg_size, 0+max(.L__assert_fail.private_seg_size)
	.set _Z39paged_attention_ll4mi_QKV_mfma16_kernelIDF16_hLN4vllm18Fp8KVCacheDataTypeE1EhLi16ELi64ELi256ELb1ELi12EEvPKT_PKT0_S7_ifPKiS9_S9_iPKfiiiPfSC_PS2_PT2_iSB_SB_.uses_vcc, or(1, .L__assert_fail.uses_vcc)
	.set _Z39paged_attention_ll4mi_QKV_mfma16_kernelIDF16_hLN4vllm18Fp8KVCacheDataTypeE1EhLi16ELi64ELi256ELb1ELi12EEvPKT_PKT0_S7_ifPKiS9_S9_iPKfiiiPfSC_PS2_PT2_iSB_SB_.uses_flat_scratch, or(0, .L__assert_fail.uses_flat_scratch)
	.set _Z39paged_attention_ll4mi_QKV_mfma16_kernelIDF16_hLN4vllm18Fp8KVCacheDataTypeE1EhLi16ELi64ELi256ELb1ELi12EEvPKT_PKT0_S7_ifPKiS9_S9_iPKfiiiPfSC_PS2_PT2_iSB_SB_.has_dyn_sized_stack, or(0, .L__assert_fail.has_dyn_sized_stack)
	.set _Z39paged_attention_ll4mi_QKV_mfma16_kernelIDF16_hLN4vllm18Fp8KVCacheDataTypeE1EhLi16ELi64ELi256ELb1ELi12EEvPKT_PKT0_S7_ifPKiS9_S9_iPKfiiiPfSC_PS2_PT2_iSB_SB_.has_recursion, or(0, .L__assert_fail.has_recursion)
	.set _Z39paged_attention_ll4mi_QKV_mfma16_kernelIDF16_hLN4vllm18Fp8KVCacheDataTypeE1EhLi16ELi64ELi256ELb1ELi12EEvPKT_PKT0_S7_ifPKiS9_S9_iPKfiiiPfSC_PS2_PT2_iSB_SB_.has_indirect_call, or(0, .L__assert_fail.has_indirect_call)
	.section	.AMDGPU.csdata,"",@progbits
; Kernel info:
; codeLenInByte = 68
; TotalNumSgprs: 36
; NumVgprs: 51
; ScratchSize: 64
; MemoryBound: 0
; FloatMode: 240
; IeeeMode: 1
; LDSByteSize: 0 bytes/workgroup (compile time only)
; SGPRBlocks: 0
; VGPRBlocks: 3
; NumSGPRsForWavesPerEU: 36
; NumVGPRsForWavesPerEU: 51
; NamedBarCnt: 0
; Occupancy: 16
; WaveLimiterHint : 1
; COMPUTE_PGM_RSRC2:SCRATCH_EN: 1
; COMPUTE_PGM_RSRC2:USER_SGPR: 2
; COMPUTE_PGM_RSRC2:TRAP_HANDLER: 0
; COMPUTE_PGM_RSRC2:TGID_X_EN: 1
; COMPUTE_PGM_RSRC2:TGID_Y_EN: 0
; COMPUTE_PGM_RSRC2:TGID_Z_EN: 0
; COMPUTE_PGM_RSRC2:TIDIG_COMP_CNT: 0
	.section	.text._Z39paged_attention_ll4mi_QKV_mfma16_kernelIDF16_hLN4vllm18Fp8KVCacheDataTypeE1EhLi16ELi64ELi256ELb1ELi13EEvPKT_PKT0_S7_ifPKiS9_S9_iPKfiiiPfSC_PS2_PT2_iSB_SB_,"axG",@progbits,_Z39paged_attention_ll4mi_QKV_mfma16_kernelIDF16_hLN4vllm18Fp8KVCacheDataTypeE1EhLi16ELi64ELi256ELb1ELi13EEvPKT_PKT0_S7_ifPKiS9_S9_iPKfiiiPfSC_PS2_PT2_iSB_SB_,comdat
	.protected	_Z39paged_attention_ll4mi_QKV_mfma16_kernelIDF16_hLN4vllm18Fp8KVCacheDataTypeE1EhLi16ELi64ELi256ELb1ELi13EEvPKT_PKT0_S7_ifPKiS9_S9_iPKfiiiPfSC_PS2_PT2_iSB_SB_ ; -- Begin function _Z39paged_attention_ll4mi_QKV_mfma16_kernelIDF16_hLN4vllm18Fp8KVCacheDataTypeE1EhLi16ELi64ELi256ELb1ELi13EEvPKT_PKT0_S7_ifPKiS9_S9_iPKfiiiPfSC_PS2_PT2_iSB_SB_
	.globl	_Z39paged_attention_ll4mi_QKV_mfma16_kernelIDF16_hLN4vllm18Fp8KVCacheDataTypeE1EhLi16ELi64ELi256ELb1ELi13EEvPKT_PKT0_S7_ifPKiS9_S9_iPKfiiiPfSC_PS2_PT2_iSB_SB_
	.p2align	8
	.type	_Z39paged_attention_ll4mi_QKV_mfma16_kernelIDF16_hLN4vllm18Fp8KVCacheDataTypeE1EhLi16ELi64ELi256ELb1ELi13EEvPKT_PKT0_S7_ifPKiS9_S9_iPKfiiiPfSC_PS2_PT2_iSB_SB_,@function
_Z39paged_attention_ll4mi_QKV_mfma16_kernelIDF16_hLN4vllm18Fp8KVCacheDataTypeE1EhLi16ELi64ELi256ELb1ELi13EEvPKT_PKT0_S7_ifPKiS9_S9_iPKfiiiPfSC_PS2_PT2_iSB_SB_: ; @_Z39paged_attention_ll4mi_QKV_mfma16_kernelIDF16_hLN4vllm18Fp8KVCacheDataTypeE1EhLi16ELi64ELi256ELb1ELi13EEvPKT_PKT0_S7_ifPKiS9_S9_iPKfiiiPfSC_PS2_PT2_iSB_SB_
; %bb.0:
	s_get_pc_i64 s[2:3]
	s_add_nc_u64 s[2:3], s[2:3], __PRETTY_FUNCTION__._Z39paged_attention_ll4mi_QKV_mfma16_kernelIDF16_hLN4vllm18Fp8KVCacheDataTypeE1EhLi16ELi64ELi256ELb1ELi13EEvPKT_PKT0_S7_ifPKiS9_S9_iPKfiiiPfSC_PS2_PT2_iSB_SB_@rel64+4
	s_delay_alu instid0(SALU_CYCLE_1)
	v_dual_mov_b32 v0, 0xbb3 :: v_dual_mov_b32 v1, s2
	v_mov_b32_e32 v2, s3
	s_add_nc_u64 s[8:9], s[0:1], 0x90
	s_get_pc_i64 s[0:1]
	s_add_nc_u64 s[0:1], s[0:1], __assert_fail@rel64+4
	s_mov_b32 s32, 0
	s_swap_pc_i64 s[30:31], s[0:1]
	.section	.rodata,"a",@progbits
	.p2align	6, 0x0
	.amdhsa_kernel _Z39paged_attention_ll4mi_QKV_mfma16_kernelIDF16_hLN4vllm18Fp8KVCacheDataTypeE1EhLi16ELi64ELi256ELb1ELi13EEvPKT_PKT0_S7_ifPKiS9_S9_iPKfiiiPfSC_PS2_PT2_iSB_SB_
		.amdhsa_group_segment_fixed_size 0
		.amdhsa_private_segment_fixed_size 64
		.amdhsa_kernarg_size 400
		.amdhsa_user_sgpr_count 2
		.amdhsa_user_sgpr_dispatch_ptr 0
		.amdhsa_user_sgpr_queue_ptr 0
		.amdhsa_user_sgpr_kernarg_segment_ptr 1
		.amdhsa_user_sgpr_dispatch_id 0
		.amdhsa_user_sgpr_kernarg_preload_length 0
		.amdhsa_user_sgpr_kernarg_preload_offset 0
		.amdhsa_user_sgpr_private_segment_size 0
		.amdhsa_wavefront_size32 1
		.amdhsa_uses_dynamic_stack 0
		.amdhsa_enable_private_segment 1
		.amdhsa_system_sgpr_workgroup_id_x 1
		.amdhsa_system_sgpr_workgroup_id_y 0
		.amdhsa_system_sgpr_workgroup_id_z 0
		.amdhsa_system_sgpr_workgroup_info 0
		.amdhsa_system_vgpr_workitem_id 0
		.amdhsa_next_free_vgpr 51
		.amdhsa_next_free_sgpr 34
		.amdhsa_named_barrier_count 0
		.amdhsa_reserve_vcc 1
		.amdhsa_float_round_mode_32 0
		.amdhsa_float_round_mode_16_64 0
		.amdhsa_float_denorm_mode_32 3
		.amdhsa_float_denorm_mode_16_64 3
		.amdhsa_fp16_overflow 0
		.amdhsa_memory_ordered 1
		.amdhsa_forward_progress 1
		.amdhsa_inst_pref_size 1
		.amdhsa_round_robin_scheduling 0
		.amdhsa_exception_fp_ieee_invalid_op 0
		.amdhsa_exception_fp_denorm_src 0
		.amdhsa_exception_fp_ieee_div_zero 0
		.amdhsa_exception_fp_ieee_overflow 0
		.amdhsa_exception_fp_ieee_underflow 0
		.amdhsa_exception_fp_ieee_inexact 0
		.amdhsa_exception_int_div_zero 0
	.end_amdhsa_kernel
	.section	.text._Z39paged_attention_ll4mi_QKV_mfma16_kernelIDF16_hLN4vllm18Fp8KVCacheDataTypeE1EhLi16ELi64ELi256ELb1ELi13EEvPKT_PKT0_S7_ifPKiS9_S9_iPKfiiiPfSC_PS2_PT2_iSB_SB_,"axG",@progbits,_Z39paged_attention_ll4mi_QKV_mfma16_kernelIDF16_hLN4vllm18Fp8KVCacheDataTypeE1EhLi16ELi64ELi256ELb1ELi13EEvPKT_PKT0_S7_ifPKiS9_S9_iPKfiiiPfSC_PS2_PT2_iSB_SB_,comdat
.Lfunc_end782:
	.size	_Z39paged_attention_ll4mi_QKV_mfma16_kernelIDF16_hLN4vllm18Fp8KVCacheDataTypeE1EhLi16ELi64ELi256ELb1ELi13EEvPKT_PKT0_S7_ifPKiS9_S9_iPKfiiiPfSC_PS2_PT2_iSB_SB_, .Lfunc_end782-_Z39paged_attention_ll4mi_QKV_mfma16_kernelIDF16_hLN4vllm18Fp8KVCacheDataTypeE1EhLi16ELi64ELi256ELb1ELi13EEvPKT_PKT0_S7_ifPKiS9_S9_iPKfiiiPfSC_PS2_PT2_iSB_SB_
                                        ; -- End function
	.set _Z39paged_attention_ll4mi_QKV_mfma16_kernelIDF16_hLN4vllm18Fp8KVCacheDataTypeE1EhLi16ELi64ELi256ELb1ELi13EEvPKT_PKT0_S7_ifPKiS9_S9_iPKfiiiPfSC_PS2_PT2_iSB_SB_.num_vgpr, max(3, .L__assert_fail.num_vgpr)
	.set _Z39paged_attention_ll4mi_QKV_mfma16_kernelIDF16_hLN4vllm18Fp8KVCacheDataTypeE1EhLi16ELi64ELi256ELb1ELi13EEvPKT_PKT0_S7_ifPKiS9_S9_iPKfiiiPfSC_PS2_PT2_iSB_SB_.num_agpr, max(0, .L__assert_fail.num_agpr)
	.set _Z39paged_attention_ll4mi_QKV_mfma16_kernelIDF16_hLN4vllm18Fp8KVCacheDataTypeE1EhLi16ELi64ELi256ELb1ELi13EEvPKT_PKT0_S7_ifPKiS9_S9_iPKfiiiPfSC_PS2_PT2_iSB_SB_.numbered_sgpr, max(33, .L__assert_fail.numbered_sgpr)
	.set _Z39paged_attention_ll4mi_QKV_mfma16_kernelIDF16_hLN4vllm18Fp8KVCacheDataTypeE1EhLi16ELi64ELi256ELb1ELi13EEvPKT_PKT0_S7_ifPKiS9_S9_iPKfiiiPfSC_PS2_PT2_iSB_SB_.num_named_barrier, max(0, .L__assert_fail.num_named_barrier)
	.set _Z39paged_attention_ll4mi_QKV_mfma16_kernelIDF16_hLN4vllm18Fp8KVCacheDataTypeE1EhLi16ELi64ELi256ELb1ELi13EEvPKT_PKT0_S7_ifPKiS9_S9_iPKfiiiPfSC_PS2_PT2_iSB_SB_.private_seg_size, 0+max(.L__assert_fail.private_seg_size)
	.set _Z39paged_attention_ll4mi_QKV_mfma16_kernelIDF16_hLN4vllm18Fp8KVCacheDataTypeE1EhLi16ELi64ELi256ELb1ELi13EEvPKT_PKT0_S7_ifPKiS9_S9_iPKfiiiPfSC_PS2_PT2_iSB_SB_.uses_vcc, or(1, .L__assert_fail.uses_vcc)
	.set _Z39paged_attention_ll4mi_QKV_mfma16_kernelIDF16_hLN4vllm18Fp8KVCacheDataTypeE1EhLi16ELi64ELi256ELb1ELi13EEvPKT_PKT0_S7_ifPKiS9_S9_iPKfiiiPfSC_PS2_PT2_iSB_SB_.uses_flat_scratch, or(0, .L__assert_fail.uses_flat_scratch)
	.set _Z39paged_attention_ll4mi_QKV_mfma16_kernelIDF16_hLN4vllm18Fp8KVCacheDataTypeE1EhLi16ELi64ELi256ELb1ELi13EEvPKT_PKT0_S7_ifPKiS9_S9_iPKfiiiPfSC_PS2_PT2_iSB_SB_.has_dyn_sized_stack, or(0, .L__assert_fail.has_dyn_sized_stack)
	.set _Z39paged_attention_ll4mi_QKV_mfma16_kernelIDF16_hLN4vllm18Fp8KVCacheDataTypeE1EhLi16ELi64ELi256ELb1ELi13EEvPKT_PKT0_S7_ifPKiS9_S9_iPKfiiiPfSC_PS2_PT2_iSB_SB_.has_recursion, or(0, .L__assert_fail.has_recursion)
	.set _Z39paged_attention_ll4mi_QKV_mfma16_kernelIDF16_hLN4vllm18Fp8KVCacheDataTypeE1EhLi16ELi64ELi256ELb1ELi13EEvPKT_PKT0_S7_ifPKiS9_S9_iPKfiiiPfSC_PS2_PT2_iSB_SB_.has_indirect_call, or(0, .L__assert_fail.has_indirect_call)
	.section	.AMDGPU.csdata,"",@progbits
; Kernel info:
; codeLenInByte = 68
; TotalNumSgprs: 36
; NumVgprs: 51
; ScratchSize: 64
; MemoryBound: 0
; FloatMode: 240
; IeeeMode: 1
; LDSByteSize: 0 bytes/workgroup (compile time only)
; SGPRBlocks: 0
; VGPRBlocks: 3
; NumSGPRsForWavesPerEU: 36
; NumVGPRsForWavesPerEU: 51
; NamedBarCnt: 0
; Occupancy: 16
; WaveLimiterHint : 1
; COMPUTE_PGM_RSRC2:SCRATCH_EN: 1
; COMPUTE_PGM_RSRC2:USER_SGPR: 2
; COMPUTE_PGM_RSRC2:TRAP_HANDLER: 0
; COMPUTE_PGM_RSRC2:TGID_X_EN: 1
; COMPUTE_PGM_RSRC2:TGID_Y_EN: 0
; COMPUTE_PGM_RSRC2:TGID_Z_EN: 0
; COMPUTE_PGM_RSRC2:TIDIG_COMP_CNT: 0
	.section	.text._Z39paged_attention_ll4mi_QKV_mfma16_kernelIDF16_hLN4vllm18Fp8KVCacheDataTypeE1EhLi16ELi64ELi256ELb1ELi14EEvPKT_PKT0_S7_ifPKiS9_S9_iPKfiiiPfSC_PS2_PT2_iSB_SB_,"axG",@progbits,_Z39paged_attention_ll4mi_QKV_mfma16_kernelIDF16_hLN4vllm18Fp8KVCacheDataTypeE1EhLi16ELi64ELi256ELb1ELi14EEvPKT_PKT0_S7_ifPKiS9_S9_iPKfiiiPfSC_PS2_PT2_iSB_SB_,comdat
	.protected	_Z39paged_attention_ll4mi_QKV_mfma16_kernelIDF16_hLN4vllm18Fp8KVCacheDataTypeE1EhLi16ELi64ELi256ELb1ELi14EEvPKT_PKT0_S7_ifPKiS9_S9_iPKfiiiPfSC_PS2_PT2_iSB_SB_ ; -- Begin function _Z39paged_attention_ll4mi_QKV_mfma16_kernelIDF16_hLN4vllm18Fp8KVCacheDataTypeE1EhLi16ELi64ELi256ELb1ELi14EEvPKT_PKT0_S7_ifPKiS9_S9_iPKfiiiPfSC_PS2_PT2_iSB_SB_
	.globl	_Z39paged_attention_ll4mi_QKV_mfma16_kernelIDF16_hLN4vllm18Fp8KVCacheDataTypeE1EhLi16ELi64ELi256ELb1ELi14EEvPKT_PKT0_S7_ifPKiS9_S9_iPKfiiiPfSC_PS2_PT2_iSB_SB_
	.p2align	8
	.type	_Z39paged_attention_ll4mi_QKV_mfma16_kernelIDF16_hLN4vllm18Fp8KVCacheDataTypeE1EhLi16ELi64ELi256ELb1ELi14EEvPKT_PKT0_S7_ifPKiS9_S9_iPKfiiiPfSC_PS2_PT2_iSB_SB_,@function
_Z39paged_attention_ll4mi_QKV_mfma16_kernelIDF16_hLN4vllm18Fp8KVCacheDataTypeE1EhLi16ELi64ELi256ELb1ELi14EEvPKT_PKT0_S7_ifPKiS9_S9_iPKfiiiPfSC_PS2_PT2_iSB_SB_: ; @_Z39paged_attention_ll4mi_QKV_mfma16_kernelIDF16_hLN4vllm18Fp8KVCacheDataTypeE1EhLi16ELi64ELi256ELb1ELi14EEvPKT_PKT0_S7_ifPKiS9_S9_iPKfiiiPfSC_PS2_PT2_iSB_SB_
; %bb.0:
	s_get_pc_i64 s[2:3]
	s_add_nc_u64 s[2:3], s[2:3], __PRETTY_FUNCTION__._Z39paged_attention_ll4mi_QKV_mfma16_kernelIDF16_hLN4vllm18Fp8KVCacheDataTypeE1EhLi16ELi64ELi256ELb1ELi14EEvPKT_PKT0_S7_ifPKiS9_S9_iPKfiiiPfSC_PS2_PT2_iSB_SB_@rel64+4
	s_delay_alu instid0(SALU_CYCLE_1)
	v_dual_mov_b32 v0, 0xbb3 :: v_dual_mov_b32 v1, s2
	v_mov_b32_e32 v2, s3
	s_add_nc_u64 s[8:9], s[0:1], 0x90
	s_get_pc_i64 s[0:1]
	s_add_nc_u64 s[0:1], s[0:1], __assert_fail@rel64+4
	s_mov_b32 s32, 0
	s_swap_pc_i64 s[30:31], s[0:1]
	.section	.rodata,"a",@progbits
	.p2align	6, 0x0
	.amdhsa_kernel _Z39paged_attention_ll4mi_QKV_mfma16_kernelIDF16_hLN4vllm18Fp8KVCacheDataTypeE1EhLi16ELi64ELi256ELb1ELi14EEvPKT_PKT0_S7_ifPKiS9_S9_iPKfiiiPfSC_PS2_PT2_iSB_SB_
		.amdhsa_group_segment_fixed_size 0
		.amdhsa_private_segment_fixed_size 64
		.amdhsa_kernarg_size 400
		.amdhsa_user_sgpr_count 2
		.amdhsa_user_sgpr_dispatch_ptr 0
		.amdhsa_user_sgpr_queue_ptr 0
		.amdhsa_user_sgpr_kernarg_segment_ptr 1
		.amdhsa_user_sgpr_dispatch_id 0
		.amdhsa_user_sgpr_kernarg_preload_length 0
		.amdhsa_user_sgpr_kernarg_preload_offset 0
		.amdhsa_user_sgpr_private_segment_size 0
		.amdhsa_wavefront_size32 1
		.amdhsa_uses_dynamic_stack 0
		.amdhsa_enable_private_segment 1
		.amdhsa_system_sgpr_workgroup_id_x 1
		.amdhsa_system_sgpr_workgroup_id_y 0
		.amdhsa_system_sgpr_workgroup_id_z 0
		.amdhsa_system_sgpr_workgroup_info 0
		.amdhsa_system_vgpr_workitem_id 0
		.amdhsa_next_free_vgpr 51
		.amdhsa_next_free_sgpr 34
		.amdhsa_named_barrier_count 0
		.amdhsa_reserve_vcc 1
		.amdhsa_float_round_mode_32 0
		.amdhsa_float_round_mode_16_64 0
		.amdhsa_float_denorm_mode_32 3
		.amdhsa_float_denorm_mode_16_64 3
		.amdhsa_fp16_overflow 0
		.amdhsa_memory_ordered 1
		.amdhsa_forward_progress 1
		.amdhsa_inst_pref_size 1
		.amdhsa_round_robin_scheduling 0
		.amdhsa_exception_fp_ieee_invalid_op 0
		.amdhsa_exception_fp_denorm_src 0
		.amdhsa_exception_fp_ieee_div_zero 0
		.amdhsa_exception_fp_ieee_overflow 0
		.amdhsa_exception_fp_ieee_underflow 0
		.amdhsa_exception_fp_ieee_inexact 0
		.amdhsa_exception_int_div_zero 0
	.end_amdhsa_kernel
	.section	.text._Z39paged_attention_ll4mi_QKV_mfma16_kernelIDF16_hLN4vllm18Fp8KVCacheDataTypeE1EhLi16ELi64ELi256ELb1ELi14EEvPKT_PKT0_S7_ifPKiS9_S9_iPKfiiiPfSC_PS2_PT2_iSB_SB_,"axG",@progbits,_Z39paged_attention_ll4mi_QKV_mfma16_kernelIDF16_hLN4vllm18Fp8KVCacheDataTypeE1EhLi16ELi64ELi256ELb1ELi14EEvPKT_PKT0_S7_ifPKiS9_S9_iPKfiiiPfSC_PS2_PT2_iSB_SB_,comdat
.Lfunc_end783:
	.size	_Z39paged_attention_ll4mi_QKV_mfma16_kernelIDF16_hLN4vllm18Fp8KVCacheDataTypeE1EhLi16ELi64ELi256ELb1ELi14EEvPKT_PKT0_S7_ifPKiS9_S9_iPKfiiiPfSC_PS2_PT2_iSB_SB_, .Lfunc_end783-_Z39paged_attention_ll4mi_QKV_mfma16_kernelIDF16_hLN4vllm18Fp8KVCacheDataTypeE1EhLi16ELi64ELi256ELb1ELi14EEvPKT_PKT0_S7_ifPKiS9_S9_iPKfiiiPfSC_PS2_PT2_iSB_SB_
                                        ; -- End function
	.set _Z39paged_attention_ll4mi_QKV_mfma16_kernelIDF16_hLN4vllm18Fp8KVCacheDataTypeE1EhLi16ELi64ELi256ELb1ELi14EEvPKT_PKT0_S7_ifPKiS9_S9_iPKfiiiPfSC_PS2_PT2_iSB_SB_.num_vgpr, max(3, .L__assert_fail.num_vgpr)
	.set _Z39paged_attention_ll4mi_QKV_mfma16_kernelIDF16_hLN4vllm18Fp8KVCacheDataTypeE1EhLi16ELi64ELi256ELb1ELi14EEvPKT_PKT0_S7_ifPKiS9_S9_iPKfiiiPfSC_PS2_PT2_iSB_SB_.num_agpr, max(0, .L__assert_fail.num_agpr)
	.set _Z39paged_attention_ll4mi_QKV_mfma16_kernelIDF16_hLN4vllm18Fp8KVCacheDataTypeE1EhLi16ELi64ELi256ELb1ELi14EEvPKT_PKT0_S7_ifPKiS9_S9_iPKfiiiPfSC_PS2_PT2_iSB_SB_.numbered_sgpr, max(33, .L__assert_fail.numbered_sgpr)
	.set _Z39paged_attention_ll4mi_QKV_mfma16_kernelIDF16_hLN4vllm18Fp8KVCacheDataTypeE1EhLi16ELi64ELi256ELb1ELi14EEvPKT_PKT0_S7_ifPKiS9_S9_iPKfiiiPfSC_PS2_PT2_iSB_SB_.num_named_barrier, max(0, .L__assert_fail.num_named_barrier)
	.set _Z39paged_attention_ll4mi_QKV_mfma16_kernelIDF16_hLN4vllm18Fp8KVCacheDataTypeE1EhLi16ELi64ELi256ELb1ELi14EEvPKT_PKT0_S7_ifPKiS9_S9_iPKfiiiPfSC_PS2_PT2_iSB_SB_.private_seg_size, 0+max(.L__assert_fail.private_seg_size)
	.set _Z39paged_attention_ll4mi_QKV_mfma16_kernelIDF16_hLN4vllm18Fp8KVCacheDataTypeE1EhLi16ELi64ELi256ELb1ELi14EEvPKT_PKT0_S7_ifPKiS9_S9_iPKfiiiPfSC_PS2_PT2_iSB_SB_.uses_vcc, or(1, .L__assert_fail.uses_vcc)
	.set _Z39paged_attention_ll4mi_QKV_mfma16_kernelIDF16_hLN4vllm18Fp8KVCacheDataTypeE1EhLi16ELi64ELi256ELb1ELi14EEvPKT_PKT0_S7_ifPKiS9_S9_iPKfiiiPfSC_PS2_PT2_iSB_SB_.uses_flat_scratch, or(0, .L__assert_fail.uses_flat_scratch)
	.set _Z39paged_attention_ll4mi_QKV_mfma16_kernelIDF16_hLN4vllm18Fp8KVCacheDataTypeE1EhLi16ELi64ELi256ELb1ELi14EEvPKT_PKT0_S7_ifPKiS9_S9_iPKfiiiPfSC_PS2_PT2_iSB_SB_.has_dyn_sized_stack, or(0, .L__assert_fail.has_dyn_sized_stack)
	.set _Z39paged_attention_ll4mi_QKV_mfma16_kernelIDF16_hLN4vllm18Fp8KVCacheDataTypeE1EhLi16ELi64ELi256ELb1ELi14EEvPKT_PKT0_S7_ifPKiS9_S9_iPKfiiiPfSC_PS2_PT2_iSB_SB_.has_recursion, or(0, .L__assert_fail.has_recursion)
	.set _Z39paged_attention_ll4mi_QKV_mfma16_kernelIDF16_hLN4vllm18Fp8KVCacheDataTypeE1EhLi16ELi64ELi256ELb1ELi14EEvPKT_PKT0_S7_ifPKiS9_S9_iPKfiiiPfSC_PS2_PT2_iSB_SB_.has_indirect_call, or(0, .L__assert_fail.has_indirect_call)
	.section	.AMDGPU.csdata,"",@progbits
; Kernel info:
; codeLenInByte = 68
; TotalNumSgprs: 36
; NumVgprs: 51
; ScratchSize: 64
; MemoryBound: 0
; FloatMode: 240
; IeeeMode: 1
; LDSByteSize: 0 bytes/workgroup (compile time only)
; SGPRBlocks: 0
; VGPRBlocks: 3
; NumSGPRsForWavesPerEU: 36
; NumVGPRsForWavesPerEU: 51
; NamedBarCnt: 0
; Occupancy: 16
; WaveLimiterHint : 1
; COMPUTE_PGM_RSRC2:SCRATCH_EN: 1
; COMPUTE_PGM_RSRC2:USER_SGPR: 2
; COMPUTE_PGM_RSRC2:TRAP_HANDLER: 0
; COMPUTE_PGM_RSRC2:TGID_X_EN: 1
; COMPUTE_PGM_RSRC2:TGID_Y_EN: 0
; COMPUTE_PGM_RSRC2:TGID_Z_EN: 0
; COMPUTE_PGM_RSRC2:TIDIG_COMP_CNT: 0
	.section	.text._Z39paged_attention_ll4mi_QKV_mfma16_kernelIDF16_hLN4vllm18Fp8KVCacheDataTypeE1EhLi16ELi64ELi256ELb1ELi15EEvPKT_PKT0_S7_ifPKiS9_S9_iPKfiiiPfSC_PS2_PT2_iSB_SB_,"axG",@progbits,_Z39paged_attention_ll4mi_QKV_mfma16_kernelIDF16_hLN4vllm18Fp8KVCacheDataTypeE1EhLi16ELi64ELi256ELb1ELi15EEvPKT_PKT0_S7_ifPKiS9_S9_iPKfiiiPfSC_PS2_PT2_iSB_SB_,comdat
	.protected	_Z39paged_attention_ll4mi_QKV_mfma16_kernelIDF16_hLN4vllm18Fp8KVCacheDataTypeE1EhLi16ELi64ELi256ELb1ELi15EEvPKT_PKT0_S7_ifPKiS9_S9_iPKfiiiPfSC_PS2_PT2_iSB_SB_ ; -- Begin function _Z39paged_attention_ll4mi_QKV_mfma16_kernelIDF16_hLN4vllm18Fp8KVCacheDataTypeE1EhLi16ELi64ELi256ELb1ELi15EEvPKT_PKT0_S7_ifPKiS9_S9_iPKfiiiPfSC_PS2_PT2_iSB_SB_
	.globl	_Z39paged_attention_ll4mi_QKV_mfma16_kernelIDF16_hLN4vllm18Fp8KVCacheDataTypeE1EhLi16ELi64ELi256ELb1ELi15EEvPKT_PKT0_S7_ifPKiS9_S9_iPKfiiiPfSC_PS2_PT2_iSB_SB_
	.p2align	8
	.type	_Z39paged_attention_ll4mi_QKV_mfma16_kernelIDF16_hLN4vllm18Fp8KVCacheDataTypeE1EhLi16ELi64ELi256ELb1ELi15EEvPKT_PKT0_S7_ifPKiS9_S9_iPKfiiiPfSC_PS2_PT2_iSB_SB_,@function
_Z39paged_attention_ll4mi_QKV_mfma16_kernelIDF16_hLN4vllm18Fp8KVCacheDataTypeE1EhLi16ELi64ELi256ELb1ELi15EEvPKT_PKT0_S7_ifPKiS9_S9_iPKfiiiPfSC_PS2_PT2_iSB_SB_: ; @_Z39paged_attention_ll4mi_QKV_mfma16_kernelIDF16_hLN4vllm18Fp8KVCacheDataTypeE1EhLi16ELi64ELi256ELb1ELi15EEvPKT_PKT0_S7_ifPKiS9_S9_iPKfiiiPfSC_PS2_PT2_iSB_SB_
; %bb.0:
	s_get_pc_i64 s[2:3]
	s_add_nc_u64 s[2:3], s[2:3], __PRETTY_FUNCTION__._Z39paged_attention_ll4mi_QKV_mfma16_kernelIDF16_hLN4vllm18Fp8KVCacheDataTypeE1EhLi16ELi64ELi256ELb1ELi15EEvPKT_PKT0_S7_ifPKiS9_S9_iPKfiiiPfSC_PS2_PT2_iSB_SB_@rel64+4
	s_delay_alu instid0(SALU_CYCLE_1)
	v_dual_mov_b32 v0, 0xbb3 :: v_dual_mov_b32 v1, s2
	v_mov_b32_e32 v2, s3
	s_add_nc_u64 s[8:9], s[0:1], 0x90
	s_get_pc_i64 s[0:1]
	s_add_nc_u64 s[0:1], s[0:1], __assert_fail@rel64+4
	s_mov_b32 s32, 0
	s_swap_pc_i64 s[30:31], s[0:1]
	.section	.rodata,"a",@progbits
	.p2align	6, 0x0
	.amdhsa_kernel _Z39paged_attention_ll4mi_QKV_mfma16_kernelIDF16_hLN4vllm18Fp8KVCacheDataTypeE1EhLi16ELi64ELi256ELb1ELi15EEvPKT_PKT0_S7_ifPKiS9_S9_iPKfiiiPfSC_PS2_PT2_iSB_SB_
		.amdhsa_group_segment_fixed_size 0
		.amdhsa_private_segment_fixed_size 64
		.amdhsa_kernarg_size 400
		.amdhsa_user_sgpr_count 2
		.amdhsa_user_sgpr_dispatch_ptr 0
		.amdhsa_user_sgpr_queue_ptr 0
		.amdhsa_user_sgpr_kernarg_segment_ptr 1
		.amdhsa_user_sgpr_dispatch_id 0
		.amdhsa_user_sgpr_kernarg_preload_length 0
		.amdhsa_user_sgpr_kernarg_preload_offset 0
		.amdhsa_user_sgpr_private_segment_size 0
		.amdhsa_wavefront_size32 1
		.amdhsa_uses_dynamic_stack 0
		.amdhsa_enable_private_segment 1
		.amdhsa_system_sgpr_workgroup_id_x 1
		.amdhsa_system_sgpr_workgroup_id_y 0
		.amdhsa_system_sgpr_workgroup_id_z 0
		.amdhsa_system_sgpr_workgroup_info 0
		.amdhsa_system_vgpr_workitem_id 0
		.amdhsa_next_free_vgpr 51
		.amdhsa_next_free_sgpr 34
		.amdhsa_named_barrier_count 0
		.amdhsa_reserve_vcc 1
		.amdhsa_float_round_mode_32 0
		.amdhsa_float_round_mode_16_64 0
		.amdhsa_float_denorm_mode_32 3
		.amdhsa_float_denorm_mode_16_64 3
		.amdhsa_fp16_overflow 0
		.amdhsa_memory_ordered 1
		.amdhsa_forward_progress 1
		.amdhsa_inst_pref_size 1
		.amdhsa_round_robin_scheduling 0
		.amdhsa_exception_fp_ieee_invalid_op 0
		.amdhsa_exception_fp_denorm_src 0
		.amdhsa_exception_fp_ieee_div_zero 0
		.amdhsa_exception_fp_ieee_overflow 0
		.amdhsa_exception_fp_ieee_underflow 0
		.amdhsa_exception_fp_ieee_inexact 0
		.amdhsa_exception_int_div_zero 0
	.end_amdhsa_kernel
	.section	.text._Z39paged_attention_ll4mi_QKV_mfma16_kernelIDF16_hLN4vllm18Fp8KVCacheDataTypeE1EhLi16ELi64ELi256ELb1ELi15EEvPKT_PKT0_S7_ifPKiS9_S9_iPKfiiiPfSC_PS2_PT2_iSB_SB_,"axG",@progbits,_Z39paged_attention_ll4mi_QKV_mfma16_kernelIDF16_hLN4vllm18Fp8KVCacheDataTypeE1EhLi16ELi64ELi256ELb1ELi15EEvPKT_PKT0_S7_ifPKiS9_S9_iPKfiiiPfSC_PS2_PT2_iSB_SB_,comdat
.Lfunc_end784:
	.size	_Z39paged_attention_ll4mi_QKV_mfma16_kernelIDF16_hLN4vllm18Fp8KVCacheDataTypeE1EhLi16ELi64ELi256ELb1ELi15EEvPKT_PKT0_S7_ifPKiS9_S9_iPKfiiiPfSC_PS2_PT2_iSB_SB_, .Lfunc_end784-_Z39paged_attention_ll4mi_QKV_mfma16_kernelIDF16_hLN4vllm18Fp8KVCacheDataTypeE1EhLi16ELi64ELi256ELb1ELi15EEvPKT_PKT0_S7_ifPKiS9_S9_iPKfiiiPfSC_PS2_PT2_iSB_SB_
                                        ; -- End function
	.set _Z39paged_attention_ll4mi_QKV_mfma16_kernelIDF16_hLN4vllm18Fp8KVCacheDataTypeE1EhLi16ELi64ELi256ELb1ELi15EEvPKT_PKT0_S7_ifPKiS9_S9_iPKfiiiPfSC_PS2_PT2_iSB_SB_.num_vgpr, max(3, .L__assert_fail.num_vgpr)
	.set _Z39paged_attention_ll4mi_QKV_mfma16_kernelIDF16_hLN4vllm18Fp8KVCacheDataTypeE1EhLi16ELi64ELi256ELb1ELi15EEvPKT_PKT0_S7_ifPKiS9_S9_iPKfiiiPfSC_PS2_PT2_iSB_SB_.num_agpr, max(0, .L__assert_fail.num_agpr)
	.set _Z39paged_attention_ll4mi_QKV_mfma16_kernelIDF16_hLN4vllm18Fp8KVCacheDataTypeE1EhLi16ELi64ELi256ELb1ELi15EEvPKT_PKT0_S7_ifPKiS9_S9_iPKfiiiPfSC_PS2_PT2_iSB_SB_.numbered_sgpr, max(33, .L__assert_fail.numbered_sgpr)
	.set _Z39paged_attention_ll4mi_QKV_mfma16_kernelIDF16_hLN4vllm18Fp8KVCacheDataTypeE1EhLi16ELi64ELi256ELb1ELi15EEvPKT_PKT0_S7_ifPKiS9_S9_iPKfiiiPfSC_PS2_PT2_iSB_SB_.num_named_barrier, max(0, .L__assert_fail.num_named_barrier)
	.set _Z39paged_attention_ll4mi_QKV_mfma16_kernelIDF16_hLN4vllm18Fp8KVCacheDataTypeE1EhLi16ELi64ELi256ELb1ELi15EEvPKT_PKT0_S7_ifPKiS9_S9_iPKfiiiPfSC_PS2_PT2_iSB_SB_.private_seg_size, 0+max(.L__assert_fail.private_seg_size)
	.set _Z39paged_attention_ll4mi_QKV_mfma16_kernelIDF16_hLN4vllm18Fp8KVCacheDataTypeE1EhLi16ELi64ELi256ELb1ELi15EEvPKT_PKT0_S7_ifPKiS9_S9_iPKfiiiPfSC_PS2_PT2_iSB_SB_.uses_vcc, or(1, .L__assert_fail.uses_vcc)
	.set _Z39paged_attention_ll4mi_QKV_mfma16_kernelIDF16_hLN4vllm18Fp8KVCacheDataTypeE1EhLi16ELi64ELi256ELb1ELi15EEvPKT_PKT0_S7_ifPKiS9_S9_iPKfiiiPfSC_PS2_PT2_iSB_SB_.uses_flat_scratch, or(0, .L__assert_fail.uses_flat_scratch)
	.set _Z39paged_attention_ll4mi_QKV_mfma16_kernelIDF16_hLN4vllm18Fp8KVCacheDataTypeE1EhLi16ELi64ELi256ELb1ELi15EEvPKT_PKT0_S7_ifPKiS9_S9_iPKfiiiPfSC_PS2_PT2_iSB_SB_.has_dyn_sized_stack, or(0, .L__assert_fail.has_dyn_sized_stack)
	.set _Z39paged_attention_ll4mi_QKV_mfma16_kernelIDF16_hLN4vllm18Fp8KVCacheDataTypeE1EhLi16ELi64ELi256ELb1ELi15EEvPKT_PKT0_S7_ifPKiS9_S9_iPKfiiiPfSC_PS2_PT2_iSB_SB_.has_recursion, or(0, .L__assert_fail.has_recursion)
	.set _Z39paged_attention_ll4mi_QKV_mfma16_kernelIDF16_hLN4vllm18Fp8KVCacheDataTypeE1EhLi16ELi64ELi256ELb1ELi15EEvPKT_PKT0_S7_ifPKiS9_S9_iPKfiiiPfSC_PS2_PT2_iSB_SB_.has_indirect_call, or(0, .L__assert_fail.has_indirect_call)
	.section	.AMDGPU.csdata,"",@progbits
; Kernel info:
; codeLenInByte = 68
; TotalNumSgprs: 36
; NumVgprs: 51
; ScratchSize: 64
; MemoryBound: 0
; FloatMode: 240
; IeeeMode: 1
; LDSByteSize: 0 bytes/workgroup (compile time only)
; SGPRBlocks: 0
; VGPRBlocks: 3
; NumSGPRsForWavesPerEU: 36
; NumVGPRsForWavesPerEU: 51
; NamedBarCnt: 0
; Occupancy: 16
; WaveLimiterHint : 1
; COMPUTE_PGM_RSRC2:SCRATCH_EN: 1
; COMPUTE_PGM_RSRC2:USER_SGPR: 2
; COMPUTE_PGM_RSRC2:TRAP_HANDLER: 0
; COMPUTE_PGM_RSRC2:TGID_X_EN: 1
; COMPUTE_PGM_RSRC2:TGID_Y_EN: 0
; COMPUTE_PGM_RSRC2:TGID_Z_EN: 0
; COMPUTE_PGM_RSRC2:TIDIG_COMP_CNT: 0
	.section	.text._Z39paged_attention_ll4mi_QKV_mfma16_kernelIDF16_hLN4vllm18Fp8KVCacheDataTypeE1EhLi16ELi64ELi256ELb1ELi16EEvPKT_PKT0_S7_ifPKiS9_S9_iPKfiiiPfSC_PS2_PT2_iSB_SB_,"axG",@progbits,_Z39paged_attention_ll4mi_QKV_mfma16_kernelIDF16_hLN4vllm18Fp8KVCacheDataTypeE1EhLi16ELi64ELi256ELb1ELi16EEvPKT_PKT0_S7_ifPKiS9_S9_iPKfiiiPfSC_PS2_PT2_iSB_SB_,comdat
	.protected	_Z39paged_attention_ll4mi_QKV_mfma16_kernelIDF16_hLN4vllm18Fp8KVCacheDataTypeE1EhLi16ELi64ELi256ELb1ELi16EEvPKT_PKT0_S7_ifPKiS9_S9_iPKfiiiPfSC_PS2_PT2_iSB_SB_ ; -- Begin function _Z39paged_attention_ll4mi_QKV_mfma16_kernelIDF16_hLN4vllm18Fp8KVCacheDataTypeE1EhLi16ELi64ELi256ELb1ELi16EEvPKT_PKT0_S7_ifPKiS9_S9_iPKfiiiPfSC_PS2_PT2_iSB_SB_
	.globl	_Z39paged_attention_ll4mi_QKV_mfma16_kernelIDF16_hLN4vllm18Fp8KVCacheDataTypeE1EhLi16ELi64ELi256ELb1ELi16EEvPKT_PKT0_S7_ifPKiS9_S9_iPKfiiiPfSC_PS2_PT2_iSB_SB_
	.p2align	8
	.type	_Z39paged_attention_ll4mi_QKV_mfma16_kernelIDF16_hLN4vllm18Fp8KVCacheDataTypeE1EhLi16ELi64ELi256ELb1ELi16EEvPKT_PKT0_S7_ifPKiS9_S9_iPKfiiiPfSC_PS2_PT2_iSB_SB_,@function
_Z39paged_attention_ll4mi_QKV_mfma16_kernelIDF16_hLN4vllm18Fp8KVCacheDataTypeE1EhLi16ELi64ELi256ELb1ELi16EEvPKT_PKT0_S7_ifPKiS9_S9_iPKfiiiPfSC_PS2_PT2_iSB_SB_: ; @_Z39paged_attention_ll4mi_QKV_mfma16_kernelIDF16_hLN4vllm18Fp8KVCacheDataTypeE1EhLi16ELi64ELi256ELb1ELi16EEvPKT_PKT0_S7_ifPKiS9_S9_iPKfiiiPfSC_PS2_PT2_iSB_SB_
; %bb.0:
	s_get_pc_i64 s[2:3]
	s_add_nc_u64 s[2:3], s[2:3], __PRETTY_FUNCTION__._Z39paged_attention_ll4mi_QKV_mfma16_kernelIDF16_hLN4vllm18Fp8KVCacheDataTypeE1EhLi16ELi64ELi256ELb1ELi16EEvPKT_PKT0_S7_ifPKiS9_S9_iPKfiiiPfSC_PS2_PT2_iSB_SB_@rel64+4
	s_delay_alu instid0(SALU_CYCLE_1)
	v_dual_mov_b32 v0, 0xbb3 :: v_dual_mov_b32 v1, s2
	v_mov_b32_e32 v2, s3
	s_add_nc_u64 s[8:9], s[0:1], 0x90
	s_get_pc_i64 s[0:1]
	s_add_nc_u64 s[0:1], s[0:1], __assert_fail@rel64+4
	s_mov_b32 s32, 0
	s_swap_pc_i64 s[30:31], s[0:1]
	.section	.rodata,"a",@progbits
	.p2align	6, 0x0
	.amdhsa_kernel _Z39paged_attention_ll4mi_QKV_mfma16_kernelIDF16_hLN4vllm18Fp8KVCacheDataTypeE1EhLi16ELi64ELi256ELb1ELi16EEvPKT_PKT0_S7_ifPKiS9_S9_iPKfiiiPfSC_PS2_PT2_iSB_SB_
		.amdhsa_group_segment_fixed_size 0
		.amdhsa_private_segment_fixed_size 64
		.amdhsa_kernarg_size 400
		.amdhsa_user_sgpr_count 2
		.amdhsa_user_sgpr_dispatch_ptr 0
		.amdhsa_user_sgpr_queue_ptr 0
		.amdhsa_user_sgpr_kernarg_segment_ptr 1
		.amdhsa_user_sgpr_dispatch_id 0
		.amdhsa_user_sgpr_kernarg_preload_length 0
		.amdhsa_user_sgpr_kernarg_preload_offset 0
		.amdhsa_user_sgpr_private_segment_size 0
		.amdhsa_wavefront_size32 1
		.amdhsa_uses_dynamic_stack 0
		.amdhsa_enable_private_segment 1
		.amdhsa_system_sgpr_workgroup_id_x 1
		.amdhsa_system_sgpr_workgroup_id_y 0
		.amdhsa_system_sgpr_workgroup_id_z 0
		.amdhsa_system_sgpr_workgroup_info 0
		.amdhsa_system_vgpr_workitem_id 0
		.amdhsa_next_free_vgpr 51
		.amdhsa_next_free_sgpr 34
		.amdhsa_named_barrier_count 0
		.amdhsa_reserve_vcc 1
		.amdhsa_float_round_mode_32 0
		.amdhsa_float_round_mode_16_64 0
		.amdhsa_float_denorm_mode_32 3
		.amdhsa_float_denorm_mode_16_64 3
		.amdhsa_fp16_overflow 0
		.amdhsa_memory_ordered 1
		.amdhsa_forward_progress 1
		.amdhsa_inst_pref_size 1
		.amdhsa_round_robin_scheduling 0
		.amdhsa_exception_fp_ieee_invalid_op 0
		.amdhsa_exception_fp_denorm_src 0
		.amdhsa_exception_fp_ieee_div_zero 0
		.amdhsa_exception_fp_ieee_overflow 0
		.amdhsa_exception_fp_ieee_underflow 0
		.amdhsa_exception_fp_ieee_inexact 0
		.amdhsa_exception_int_div_zero 0
	.end_amdhsa_kernel
	.section	.text._Z39paged_attention_ll4mi_QKV_mfma16_kernelIDF16_hLN4vllm18Fp8KVCacheDataTypeE1EhLi16ELi64ELi256ELb1ELi16EEvPKT_PKT0_S7_ifPKiS9_S9_iPKfiiiPfSC_PS2_PT2_iSB_SB_,"axG",@progbits,_Z39paged_attention_ll4mi_QKV_mfma16_kernelIDF16_hLN4vllm18Fp8KVCacheDataTypeE1EhLi16ELi64ELi256ELb1ELi16EEvPKT_PKT0_S7_ifPKiS9_S9_iPKfiiiPfSC_PS2_PT2_iSB_SB_,comdat
.Lfunc_end785:
	.size	_Z39paged_attention_ll4mi_QKV_mfma16_kernelIDF16_hLN4vllm18Fp8KVCacheDataTypeE1EhLi16ELi64ELi256ELb1ELi16EEvPKT_PKT0_S7_ifPKiS9_S9_iPKfiiiPfSC_PS2_PT2_iSB_SB_, .Lfunc_end785-_Z39paged_attention_ll4mi_QKV_mfma16_kernelIDF16_hLN4vllm18Fp8KVCacheDataTypeE1EhLi16ELi64ELi256ELb1ELi16EEvPKT_PKT0_S7_ifPKiS9_S9_iPKfiiiPfSC_PS2_PT2_iSB_SB_
                                        ; -- End function
	.set _Z39paged_attention_ll4mi_QKV_mfma16_kernelIDF16_hLN4vllm18Fp8KVCacheDataTypeE1EhLi16ELi64ELi256ELb1ELi16EEvPKT_PKT0_S7_ifPKiS9_S9_iPKfiiiPfSC_PS2_PT2_iSB_SB_.num_vgpr, max(3, .L__assert_fail.num_vgpr)
	.set _Z39paged_attention_ll4mi_QKV_mfma16_kernelIDF16_hLN4vllm18Fp8KVCacheDataTypeE1EhLi16ELi64ELi256ELb1ELi16EEvPKT_PKT0_S7_ifPKiS9_S9_iPKfiiiPfSC_PS2_PT2_iSB_SB_.num_agpr, max(0, .L__assert_fail.num_agpr)
	.set _Z39paged_attention_ll4mi_QKV_mfma16_kernelIDF16_hLN4vllm18Fp8KVCacheDataTypeE1EhLi16ELi64ELi256ELb1ELi16EEvPKT_PKT0_S7_ifPKiS9_S9_iPKfiiiPfSC_PS2_PT2_iSB_SB_.numbered_sgpr, max(33, .L__assert_fail.numbered_sgpr)
	.set _Z39paged_attention_ll4mi_QKV_mfma16_kernelIDF16_hLN4vllm18Fp8KVCacheDataTypeE1EhLi16ELi64ELi256ELb1ELi16EEvPKT_PKT0_S7_ifPKiS9_S9_iPKfiiiPfSC_PS2_PT2_iSB_SB_.num_named_barrier, max(0, .L__assert_fail.num_named_barrier)
	.set _Z39paged_attention_ll4mi_QKV_mfma16_kernelIDF16_hLN4vllm18Fp8KVCacheDataTypeE1EhLi16ELi64ELi256ELb1ELi16EEvPKT_PKT0_S7_ifPKiS9_S9_iPKfiiiPfSC_PS2_PT2_iSB_SB_.private_seg_size, 0+max(.L__assert_fail.private_seg_size)
	.set _Z39paged_attention_ll4mi_QKV_mfma16_kernelIDF16_hLN4vllm18Fp8KVCacheDataTypeE1EhLi16ELi64ELi256ELb1ELi16EEvPKT_PKT0_S7_ifPKiS9_S9_iPKfiiiPfSC_PS2_PT2_iSB_SB_.uses_vcc, or(1, .L__assert_fail.uses_vcc)
	.set _Z39paged_attention_ll4mi_QKV_mfma16_kernelIDF16_hLN4vllm18Fp8KVCacheDataTypeE1EhLi16ELi64ELi256ELb1ELi16EEvPKT_PKT0_S7_ifPKiS9_S9_iPKfiiiPfSC_PS2_PT2_iSB_SB_.uses_flat_scratch, or(0, .L__assert_fail.uses_flat_scratch)
	.set _Z39paged_attention_ll4mi_QKV_mfma16_kernelIDF16_hLN4vllm18Fp8KVCacheDataTypeE1EhLi16ELi64ELi256ELb1ELi16EEvPKT_PKT0_S7_ifPKiS9_S9_iPKfiiiPfSC_PS2_PT2_iSB_SB_.has_dyn_sized_stack, or(0, .L__assert_fail.has_dyn_sized_stack)
	.set _Z39paged_attention_ll4mi_QKV_mfma16_kernelIDF16_hLN4vllm18Fp8KVCacheDataTypeE1EhLi16ELi64ELi256ELb1ELi16EEvPKT_PKT0_S7_ifPKiS9_S9_iPKfiiiPfSC_PS2_PT2_iSB_SB_.has_recursion, or(0, .L__assert_fail.has_recursion)
	.set _Z39paged_attention_ll4mi_QKV_mfma16_kernelIDF16_hLN4vllm18Fp8KVCacheDataTypeE1EhLi16ELi64ELi256ELb1ELi16EEvPKT_PKT0_S7_ifPKiS9_S9_iPKfiiiPfSC_PS2_PT2_iSB_SB_.has_indirect_call, or(0, .L__assert_fail.has_indirect_call)
	.section	.AMDGPU.csdata,"",@progbits
; Kernel info:
; codeLenInByte = 68
; TotalNumSgprs: 36
; NumVgprs: 51
; ScratchSize: 64
; MemoryBound: 0
; FloatMode: 240
; IeeeMode: 1
; LDSByteSize: 0 bytes/workgroup (compile time only)
; SGPRBlocks: 0
; VGPRBlocks: 3
; NumSGPRsForWavesPerEU: 36
; NumVGPRsForWavesPerEU: 51
; NamedBarCnt: 0
; Occupancy: 16
; WaveLimiterHint : 1
; COMPUTE_PGM_RSRC2:SCRATCH_EN: 1
; COMPUTE_PGM_RSRC2:USER_SGPR: 2
; COMPUTE_PGM_RSRC2:TRAP_HANDLER: 0
; COMPUTE_PGM_RSRC2:TGID_X_EN: 1
; COMPUTE_PGM_RSRC2:TGID_Y_EN: 0
; COMPUTE_PGM_RSRC2:TGID_Z_EN: 0
; COMPUTE_PGM_RSRC2:TIDIG_COMP_CNT: 0
	.section	.text._Z39paged_attention_ll4mi_QKV_mfma16_kernelIDF16_hLN4vllm18Fp8KVCacheDataTypeE1EhLi16ELi64ELi256ELb1ELi1EEvPKT_PKT0_S7_ifPKiS9_S9_iPKfiiiPfSC_PS2_PT2_iSB_SB_,"axG",@progbits,_Z39paged_attention_ll4mi_QKV_mfma16_kernelIDF16_hLN4vllm18Fp8KVCacheDataTypeE1EhLi16ELi64ELi256ELb1ELi1EEvPKT_PKT0_S7_ifPKiS9_S9_iPKfiiiPfSC_PS2_PT2_iSB_SB_,comdat
	.protected	_Z39paged_attention_ll4mi_QKV_mfma16_kernelIDF16_hLN4vllm18Fp8KVCacheDataTypeE1EhLi16ELi64ELi256ELb1ELi1EEvPKT_PKT0_S7_ifPKiS9_S9_iPKfiiiPfSC_PS2_PT2_iSB_SB_ ; -- Begin function _Z39paged_attention_ll4mi_QKV_mfma16_kernelIDF16_hLN4vllm18Fp8KVCacheDataTypeE1EhLi16ELi64ELi256ELb1ELi1EEvPKT_PKT0_S7_ifPKiS9_S9_iPKfiiiPfSC_PS2_PT2_iSB_SB_
	.globl	_Z39paged_attention_ll4mi_QKV_mfma16_kernelIDF16_hLN4vllm18Fp8KVCacheDataTypeE1EhLi16ELi64ELi256ELb1ELi1EEvPKT_PKT0_S7_ifPKiS9_S9_iPKfiiiPfSC_PS2_PT2_iSB_SB_
	.p2align	8
	.type	_Z39paged_attention_ll4mi_QKV_mfma16_kernelIDF16_hLN4vllm18Fp8KVCacheDataTypeE1EhLi16ELi64ELi256ELb1ELi1EEvPKT_PKT0_S7_ifPKiS9_S9_iPKfiiiPfSC_PS2_PT2_iSB_SB_,@function
_Z39paged_attention_ll4mi_QKV_mfma16_kernelIDF16_hLN4vllm18Fp8KVCacheDataTypeE1EhLi16ELi64ELi256ELb1ELi1EEvPKT_PKT0_S7_ifPKiS9_S9_iPKfiiiPfSC_PS2_PT2_iSB_SB_: ; @_Z39paged_attention_ll4mi_QKV_mfma16_kernelIDF16_hLN4vllm18Fp8KVCacheDataTypeE1EhLi16ELi64ELi256ELb1ELi1EEvPKT_PKT0_S7_ifPKiS9_S9_iPKfiiiPfSC_PS2_PT2_iSB_SB_
; %bb.0:
	s_get_pc_i64 s[2:3]
	s_add_nc_u64 s[2:3], s[2:3], __PRETTY_FUNCTION__._Z39paged_attention_ll4mi_QKV_mfma16_kernelIDF16_hLN4vllm18Fp8KVCacheDataTypeE1EhLi16ELi64ELi256ELb1ELi1EEvPKT_PKT0_S7_ifPKiS9_S9_iPKfiiiPfSC_PS2_PT2_iSB_SB_@rel64+4
	s_delay_alu instid0(SALU_CYCLE_1)
	v_dual_mov_b32 v0, 0xbb3 :: v_dual_mov_b32 v1, s2
	v_mov_b32_e32 v2, s3
	s_add_nc_u64 s[8:9], s[0:1], 0x90
	s_get_pc_i64 s[0:1]
	s_add_nc_u64 s[0:1], s[0:1], __assert_fail@rel64+4
	s_mov_b32 s32, 0
	s_swap_pc_i64 s[30:31], s[0:1]
	.section	.rodata,"a",@progbits
	.p2align	6, 0x0
	.amdhsa_kernel _Z39paged_attention_ll4mi_QKV_mfma16_kernelIDF16_hLN4vllm18Fp8KVCacheDataTypeE1EhLi16ELi64ELi256ELb1ELi1EEvPKT_PKT0_S7_ifPKiS9_S9_iPKfiiiPfSC_PS2_PT2_iSB_SB_
		.amdhsa_group_segment_fixed_size 0
		.amdhsa_private_segment_fixed_size 64
		.amdhsa_kernarg_size 400
		.amdhsa_user_sgpr_count 2
		.amdhsa_user_sgpr_dispatch_ptr 0
		.amdhsa_user_sgpr_queue_ptr 0
		.amdhsa_user_sgpr_kernarg_segment_ptr 1
		.amdhsa_user_sgpr_dispatch_id 0
		.amdhsa_user_sgpr_kernarg_preload_length 0
		.amdhsa_user_sgpr_kernarg_preload_offset 0
		.amdhsa_user_sgpr_private_segment_size 0
		.amdhsa_wavefront_size32 1
		.amdhsa_uses_dynamic_stack 0
		.amdhsa_enable_private_segment 1
		.amdhsa_system_sgpr_workgroup_id_x 1
		.amdhsa_system_sgpr_workgroup_id_y 0
		.amdhsa_system_sgpr_workgroup_id_z 0
		.amdhsa_system_sgpr_workgroup_info 0
		.amdhsa_system_vgpr_workitem_id 0
		.amdhsa_next_free_vgpr 51
		.amdhsa_next_free_sgpr 34
		.amdhsa_named_barrier_count 0
		.amdhsa_reserve_vcc 1
		.amdhsa_float_round_mode_32 0
		.amdhsa_float_round_mode_16_64 0
		.amdhsa_float_denorm_mode_32 3
		.amdhsa_float_denorm_mode_16_64 3
		.amdhsa_fp16_overflow 0
		.amdhsa_memory_ordered 1
		.amdhsa_forward_progress 1
		.amdhsa_inst_pref_size 1
		.amdhsa_round_robin_scheduling 0
		.amdhsa_exception_fp_ieee_invalid_op 0
		.amdhsa_exception_fp_denorm_src 0
		.amdhsa_exception_fp_ieee_div_zero 0
		.amdhsa_exception_fp_ieee_overflow 0
		.amdhsa_exception_fp_ieee_underflow 0
		.amdhsa_exception_fp_ieee_inexact 0
		.amdhsa_exception_int_div_zero 0
	.end_amdhsa_kernel
	.section	.text._Z39paged_attention_ll4mi_QKV_mfma16_kernelIDF16_hLN4vllm18Fp8KVCacheDataTypeE1EhLi16ELi64ELi256ELb1ELi1EEvPKT_PKT0_S7_ifPKiS9_S9_iPKfiiiPfSC_PS2_PT2_iSB_SB_,"axG",@progbits,_Z39paged_attention_ll4mi_QKV_mfma16_kernelIDF16_hLN4vllm18Fp8KVCacheDataTypeE1EhLi16ELi64ELi256ELb1ELi1EEvPKT_PKT0_S7_ifPKiS9_S9_iPKfiiiPfSC_PS2_PT2_iSB_SB_,comdat
.Lfunc_end786:
	.size	_Z39paged_attention_ll4mi_QKV_mfma16_kernelIDF16_hLN4vllm18Fp8KVCacheDataTypeE1EhLi16ELi64ELi256ELb1ELi1EEvPKT_PKT0_S7_ifPKiS9_S9_iPKfiiiPfSC_PS2_PT2_iSB_SB_, .Lfunc_end786-_Z39paged_attention_ll4mi_QKV_mfma16_kernelIDF16_hLN4vllm18Fp8KVCacheDataTypeE1EhLi16ELi64ELi256ELb1ELi1EEvPKT_PKT0_S7_ifPKiS9_S9_iPKfiiiPfSC_PS2_PT2_iSB_SB_
                                        ; -- End function
	.set _Z39paged_attention_ll4mi_QKV_mfma16_kernelIDF16_hLN4vllm18Fp8KVCacheDataTypeE1EhLi16ELi64ELi256ELb1ELi1EEvPKT_PKT0_S7_ifPKiS9_S9_iPKfiiiPfSC_PS2_PT2_iSB_SB_.num_vgpr, max(3, .L__assert_fail.num_vgpr)
	.set _Z39paged_attention_ll4mi_QKV_mfma16_kernelIDF16_hLN4vllm18Fp8KVCacheDataTypeE1EhLi16ELi64ELi256ELb1ELi1EEvPKT_PKT0_S7_ifPKiS9_S9_iPKfiiiPfSC_PS2_PT2_iSB_SB_.num_agpr, max(0, .L__assert_fail.num_agpr)
	.set _Z39paged_attention_ll4mi_QKV_mfma16_kernelIDF16_hLN4vllm18Fp8KVCacheDataTypeE1EhLi16ELi64ELi256ELb1ELi1EEvPKT_PKT0_S7_ifPKiS9_S9_iPKfiiiPfSC_PS2_PT2_iSB_SB_.numbered_sgpr, max(33, .L__assert_fail.numbered_sgpr)
	.set _Z39paged_attention_ll4mi_QKV_mfma16_kernelIDF16_hLN4vllm18Fp8KVCacheDataTypeE1EhLi16ELi64ELi256ELb1ELi1EEvPKT_PKT0_S7_ifPKiS9_S9_iPKfiiiPfSC_PS2_PT2_iSB_SB_.num_named_barrier, max(0, .L__assert_fail.num_named_barrier)
	.set _Z39paged_attention_ll4mi_QKV_mfma16_kernelIDF16_hLN4vllm18Fp8KVCacheDataTypeE1EhLi16ELi64ELi256ELb1ELi1EEvPKT_PKT0_S7_ifPKiS9_S9_iPKfiiiPfSC_PS2_PT2_iSB_SB_.private_seg_size, 0+max(.L__assert_fail.private_seg_size)
	.set _Z39paged_attention_ll4mi_QKV_mfma16_kernelIDF16_hLN4vllm18Fp8KVCacheDataTypeE1EhLi16ELi64ELi256ELb1ELi1EEvPKT_PKT0_S7_ifPKiS9_S9_iPKfiiiPfSC_PS2_PT2_iSB_SB_.uses_vcc, or(1, .L__assert_fail.uses_vcc)
	.set _Z39paged_attention_ll4mi_QKV_mfma16_kernelIDF16_hLN4vllm18Fp8KVCacheDataTypeE1EhLi16ELi64ELi256ELb1ELi1EEvPKT_PKT0_S7_ifPKiS9_S9_iPKfiiiPfSC_PS2_PT2_iSB_SB_.uses_flat_scratch, or(0, .L__assert_fail.uses_flat_scratch)
	.set _Z39paged_attention_ll4mi_QKV_mfma16_kernelIDF16_hLN4vllm18Fp8KVCacheDataTypeE1EhLi16ELi64ELi256ELb1ELi1EEvPKT_PKT0_S7_ifPKiS9_S9_iPKfiiiPfSC_PS2_PT2_iSB_SB_.has_dyn_sized_stack, or(0, .L__assert_fail.has_dyn_sized_stack)
	.set _Z39paged_attention_ll4mi_QKV_mfma16_kernelIDF16_hLN4vllm18Fp8KVCacheDataTypeE1EhLi16ELi64ELi256ELb1ELi1EEvPKT_PKT0_S7_ifPKiS9_S9_iPKfiiiPfSC_PS2_PT2_iSB_SB_.has_recursion, or(0, .L__assert_fail.has_recursion)
	.set _Z39paged_attention_ll4mi_QKV_mfma16_kernelIDF16_hLN4vllm18Fp8KVCacheDataTypeE1EhLi16ELi64ELi256ELb1ELi1EEvPKT_PKT0_S7_ifPKiS9_S9_iPKfiiiPfSC_PS2_PT2_iSB_SB_.has_indirect_call, or(0, .L__assert_fail.has_indirect_call)
	.section	.AMDGPU.csdata,"",@progbits
; Kernel info:
; codeLenInByte = 68
; TotalNumSgprs: 36
; NumVgprs: 51
; ScratchSize: 64
; MemoryBound: 0
; FloatMode: 240
; IeeeMode: 1
; LDSByteSize: 0 bytes/workgroup (compile time only)
; SGPRBlocks: 0
; VGPRBlocks: 3
; NumSGPRsForWavesPerEU: 36
; NumVGPRsForWavesPerEU: 51
; NamedBarCnt: 0
; Occupancy: 16
; WaveLimiterHint : 1
; COMPUTE_PGM_RSRC2:SCRATCH_EN: 1
; COMPUTE_PGM_RSRC2:USER_SGPR: 2
; COMPUTE_PGM_RSRC2:TRAP_HANDLER: 0
; COMPUTE_PGM_RSRC2:TGID_X_EN: 1
; COMPUTE_PGM_RSRC2:TGID_Y_EN: 0
; COMPUTE_PGM_RSRC2:TGID_Z_EN: 0
; COMPUTE_PGM_RSRC2:TIDIG_COMP_CNT: 0
	.section	.text._Z39paged_attention_ll4mi_QKV_mfma16_kernelIDF16_hLN4vllm18Fp8KVCacheDataTypeE1EhLi16ELi64ELi256ELb1ELi2EEvPKT_PKT0_S7_ifPKiS9_S9_iPKfiiiPfSC_PS2_PT2_iSB_SB_,"axG",@progbits,_Z39paged_attention_ll4mi_QKV_mfma16_kernelIDF16_hLN4vllm18Fp8KVCacheDataTypeE1EhLi16ELi64ELi256ELb1ELi2EEvPKT_PKT0_S7_ifPKiS9_S9_iPKfiiiPfSC_PS2_PT2_iSB_SB_,comdat
	.protected	_Z39paged_attention_ll4mi_QKV_mfma16_kernelIDF16_hLN4vllm18Fp8KVCacheDataTypeE1EhLi16ELi64ELi256ELb1ELi2EEvPKT_PKT0_S7_ifPKiS9_S9_iPKfiiiPfSC_PS2_PT2_iSB_SB_ ; -- Begin function _Z39paged_attention_ll4mi_QKV_mfma16_kernelIDF16_hLN4vllm18Fp8KVCacheDataTypeE1EhLi16ELi64ELi256ELb1ELi2EEvPKT_PKT0_S7_ifPKiS9_S9_iPKfiiiPfSC_PS2_PT2_iSB_SB_
	.globl	_Z39paged_attention_ll4mi_QKV_mfma16_kernelIDF16_hLN4vllm18Fp8KVCacheDataTypeE1EhLi16ELi64ELi256ELb1ELi2EEvPKT_PKT0_S7_ifPKiS9_S9_iPKfiiiPfSC_PS2_PT2_iSB_SB_
	.p2align	8
	.type	_Z39paged_attention_ll4mi_QKV_mfma16_kernelIDF16_hLN4vllm18Fp8KVCacheDataTypeE1EhLi16ELi64ELi256ELb1ELi2EEvPKT_PKT0_S7_ifPKiS9_S9_iPKfiiiPfSC_PS2_PT2_iSB_SB_,@function
_Z39paged_attention_ll4mi_QKV_mfma16_kernelIDF16_hLN4vllm18Fp8KVCacheDataTypeE1EhLi16ELi64ELi256ELb1ELi2EEvPKT_PKT0_S7_ifPKiS9_S9_iPKfiiiPfSC_PS2_PT2_iSB_SB_: ; @_Z39paged_attention_ll4mi_QKV_mfma16_kernelIDF16_hLN4vllm18Fp8KVCacheDataTypeE1EhLi16ELi64ELi256ELb1ELi2EEvPKT_PKT0_S7_ifPKiS9_S9_iPKfiiiPfSC_PS2_PT2_iSB_SB_
; %bb.0:
	s_get_pc_i64 s[2:3]
	s_add_nc_u64 s[2:3], s[2:3], __PRETTY_FUNCTION__._Z39paged_attention_ll4mi_QKV_mfma16_kernelIDF16_hLN4vllm18Fp8KVCacheDataTypeE1EhLi16ELi64ELi256ELb1ELi2EEvPKT_PKT0_S7_ifPKiS9_S9_iPKfiiiPfSC_PS2_PT2_iSB_SB_@rel64+4
	s_delay_alu instid0(SALU_CYCLE_1)
	v_dual_mov_b32 v0, 0xbb3 :: v_dual_mov_b32 v1, s2
	v_mov_b32_e32 v2, s3
	s_add_nc_u64 s[8:9], s[0:1], 0x90
	s_get_pc_i64 s[0:1]
	s_add_nc_u64 s[0:1], s[0:1], __assert_fail@rel64+4
	s_mov_b32 s32, 0
	s_swap_pc_i64 s[30:31], s[0:1]
	.section	.rodata,"a",@progbits
	.p2align	6, 0x0
	.amdhsa_kernel _Z39paged_attention_ll4mi_QKV_mfma16_kernelIDF16_hLN4vllm18Fp8KVCacheDataTypeE1EhLi16ELi64ELi256ELb1ELi2EEvPKT_PKT0_S7_ifPKiS9_S9_iPKfiiiPfSC_PS2_PT2_iSB_SB_
		.amdhsa_group_segment_fixed_size 0
		.amdhsa_private_segment_fixed_size 64
		.amdhsa_kernarg_size 400
		.amdhsa_user_sgpr_count 2
		.amdhsa_user_sgpr_dispatch_ptr 0
		.amdhsa_user_sgpr_queue_ptr 0
		.amdhsa_user_sgpr_kernarg_segment_ptr 1
		.amdhsa_user_sgpr_dispatch_id 0
		.amdhsa_user_sgpr_kernarg_preload_length 0
		.amdhsa_user_sgpr_kernarg_preload_offset 0
		.amdhsa_user_sgpr_private_segment_size 0
		.amdhsa_wavefront_size32 1
		.amdhsa_uses_dynamic_stack 0
		.amdhsa_enable_private_segment 1
		.amdhsa_system_sgpr_workgroup_id_x 1
		.amdhsa_system_sgpr_workgroup_id_y 0
		.amdhsa_system_sgpr_workgroup_id_z 0
		.amdhsa_system_sgpr_workgroup_info 0
		.amdhsa_system_vgpr_workitem_id 0
		.amdhsa_next_free_vgpr 51
		.amdhsa_next_free_sgpr 34
		.amdhsa_named_barrier_count 0
		.amdhsa_reserve_vcc 1
		.amdhsa_float_round_mode_32 0
		.amdhsa_float_round_mode_16_64 0
		.amdhsa_float_denorm_mode_32 3
		.amdhsa_float_denorm_mode_16_64 3
		.amdhsa_fp16_overflow 0
		.amdhsa_memory_ordered 1
		.amdhsa_forward_progress 1
		.amdhsa_inst_pref_size 1
		.amdhsa_round_robin_scheduling 0
		.amdhsa_exception_fp_ieee_invalid_op 0
		.amdhsa_exception_fp_denorm_src 0
		.amdhsa_exception_fp_ieee_div_zero 0
		.amdhsa_exception_fp_ieee_overflow 0
		.amdhsa_exception_fp_ieee_underflow 0
		.amdhsa_exception_fp_ieee_inexact 0
		.amdhsa_exception_int_div_zero 0
	.end_amdhsa_kernel
	.section	.text._Z39paged_attention_ll4mi_QKV_mfma16_kernelIDF16_hLN4vllm18Fp8KVCacheDataTypeE1EhLi16ELi64ELi256ELb1ELi2EEvPKT_PKT0_S7_ifPKiS9_S9_iPKfiiiPfSC_PS2_PT2_iSB_SB_,"axG",@progbits,_Z39paged_attention_ll4mi_QKV_mfma16_kernelIDF16_hLN4vllm18Fp8KVCacheDataTypeE1EhLi16ELi64ELi256ELb1ELi2EEvPKT_PKT0_S7_ifPKiS9_S9_iPKfiiiPfSC_PS2_PT2_iSB_SB_,comdat
.Lfunc_end787:
	.size	_Z39paged_attention_ll4mi_QKV_mfma16_kernelIDF16_hLN4vllm18Fp8KVCacheDataTypeE1EhLi16ELi64ELi256ELb1ELi2EEvPKT_PKT0_S7_ifPKiS9_S9_iPKfiiiPfSC_PS2_PT2_iSB_SB_, .Lfunc_end787-_Z39paged_attention_ll4mi_QKV_mfma16_kernelIDF16_hLN4vllm18Fp8KVCacheDataTypeE1EhLi16ELi64ELi256ELb1ELi2EEvPKT_PKT0_S7_ifPKiS9_S9_iPKfiiiPfSC_PS2_PT2_iSB_SB_
                                        ; -- End function
	.set _Z39paged_attention_ll4mi_QKV_mfma16_kernelIDF16_hLN4vllm18Fp8KVCacheDataTypeE1EhLi16ELi64ELi256ELb1ELi2EEvPKT_PKT0_S7_ifPKiS9_S9_iPKfiiiPfSC_PS2_PT2_iSB_SB_.num_vgpr, max(3, .L__assert_fail.num_vgpr)
	.set _Z39paged_attention_ll4mi_QKV_mfma16_kernelIDF16_hLN4vllm18Fp8KVCacheDataTypeE1EhLi16ELi64ELi256ELb1ELi2EEvPKT_PKT0_S7_ifPKiS9_S9_iPKfiiiPfSC_PS2_PT2_iSB_SB_.num_agpr, max(0, .L__assert_fail.num_agpr)
	.set _Z39paged_attention_ll4mi_QKV_mfma16_kernelIDF16_hLN4vllm18Fp8KVCacheDataTypeE1EhLi16ELi64ELi256ELb1ELi2EEvPKT_PKT0_S7_ifPKiS9_S9_iPKfiiiPfSC_PS2_PT2_iSB_SB_.numbered_sgpr, max(33, .L__assert_fail.numbered_sgpr)
	.set _Z39paged_attention_ll4mi_QKV_mfma16_kernelIDF16_hLN4vllm18Fp8KVCacheDataTypeE1EhLi16ELi64ELi256ELb1ELi2EEvPKT_PKT0_S7_ifPKiS9_S9_iPKfiiiPfSC_PS2_PT2_iSB_SB_.num_named_barrier, max(0, .L__assert_fail.num_named_barrier)
	.set _Z39paged_attention_ll4mi_QKV_mfma16_kernelIDF16_hLN4vllm18Fp8KVCacheDataTypeE1EhLi16ELi64ELi256ELb1ELi2EEvPKT_PKT0_S7_ifPKiS9_S9_iPKfiiiPfSC_PS2_PT2_iSB_SB_.private_seg_size, 0+max(.L__assert_fail.private_seg_size)
	.set _Z39paged_attention_ll4mi_QKV_mfma16_kernelIDF16_hLN4vllm18Fp8KVCacheDataTypeE1EhLi16ELi64ELi256ELb1ELi2EEvPKT_PKT0_S7_ifPKiS9_S9_iPKfiiiPfSC_PS2_PT2_iSB_SB_.uses_vcc, or(1, .L__assert_fail.uses_vcc)
	.set _Z39paged_attention_ll4mi_QKV_mfma16_kernelIDF16_hLN4vllm18Fp8KVCacheDataTypeE1EhLi16ELi64ELi256ELb1ELi2EEvPKT_PKT0_S7_ifPKiS9_S9_iPKfiiiPfSC_PS2_PT2_iSB_SB_.uses_flat_scratch, or(0, .L__assert_fail.uses_flat_scratch)
	.set _Z39paged_attention_ll4mi_QKV_mfma16_kernelIDF16_hLN4vllm18Fp8KVCacheDataTypeE1EhLi16ELi64ELi256ELb1ELi2EEvPKT_PKT0_S7_ifPKiS9_S9_iPKfiiiPfSC_PS2_PT2_iSB_SB_.has_dyn_sized_stack, or(0, .L__assert_fail.has_dyn_sized_stack)
	.set _Z39paged_attention_ll4mi_QKV_mfma16_kernelIDF16_hLN4vllm18Fp8KVCacheDataTypeE1EhLi16ELi64ELi256ELb1ELi2EEvPKT_PKT0_S7_ifPKiS9_S9_iPKfiiiPfSC_PS2_PT2_iSB_SB_.has_recursion, or(0, .L__assert_fail.has_recursion)
	.set _Z39paged_attention_ll4mi_QKV_mfma16_kernelIDF16_hLN4vllm18Fp8KVCacheDataTypeE1EhLi16ELi64ELi256ELb1ELi2EEvPKT_PKT0_S7_ifPKiS9_S9_iPKfiiiPfSC_PS2_PT2_iSB_SB_.has_indirect_call, or(0, .L__assert_fail.has_indirect_call)
	.section	.AMDGPU.csdata,"",@progbits
; Kernel info:
; codeLenInByte = 68
; TotalNumSgprs: 36
; NumVgprs: 51
; ScratchSize: 64
; MemoryBound: 0
; FloatMode: 240
; IeeeMode: 1
; LDSByteSize: 0 bytes/workgroup (compile time only)
; SGPRBlocks: 0
; VGPRBlocks: 3
; NumSGPRsForWavesPerEU: 36
; NumVGPRsForWavesPerEU: 51
; NamedBarCnt: 0
; Occupancy: 16
; WaveLimiterHint : 1
; COMPUTE_PGM_RSRC2:SCRATCH_EN: 1
; COMPUTE_PGM_RSRC2:USER_SGPR: 2
; COMPUTE_PGM_RSRC2:TRAP_HANDLER: 0
; COMPUTE_PGM_RSRC2:TGID_X_EN: 1
; COMPUTE_PGM_RSRC2:TGID_Y_EN: 0
; COMPUTE_PGM_RSRC2:TGID_Z_EN: 0
; COMPUTE_PGM_RSRC2:TIDIG_COMP_CNT: 0
	.section	.text._Z39paged_attention_ll4mi_QKV_mfma16_kernelIDF16_hLN4vllm18Fp8KVCacheDataTypeE1EhLi16ELi64ELi256ELb1ELi3EEvPKT_PKT0_S7_ifPKiS9_S9_iPKfiiiPfSC_PS2_PT2_iSB_SB_,"axG",@progbits,_Z39paged_attention_ll4mi_QKV_mfma16_kernelIDF16_hLN4vllm18Fp8KVCacheDataTypeE1EhLi16ELi64ELi256ELb1ELi3EEvPKT_PKT0_S7_ifPKiS9_S9_iPKfiiiPfSC_PS2_PT2_iSB_SB_,comdat
	.protected	_Z39paged_attention_ll4mi_QKV_mfma16_kernelIDF16_hLN4vllm18Fp8KVCacheDataTypeE1EhLi16ELi64ELi256ELb1ELi3EEvPKT_PKT0_S7_ifPKiS9_S9_iPKfiiiPfSC_PS2_PT2_iSB_SB_ ; -- Begin function _Z39paged_attention_ll4mi_QKV_mfma16_kernelIDF16_hLN4vllm18Fp8KVCacheDataTypeE1EhLi16ELi64ELi256ELb1ELi3EEvPKT_PKT0_S7_ifPKiS9_S9_iPKfiiiPfSC_PS2_PT2_iSB_SB_
	.globl	_Z39paged_attention_ll4mi_QKV_mfma16_kernelIDF16_hLN4vllm18Fp8KVCacheDataTypeE1EhLi16ELi64ELi256ELb1ELi3EEvPKT_PKT0_S7_ifPKiS9_S9_iPKfiiiPfSC_PS2_PT2_iSB_SB_
	.p2align	8
	.type	_Z39paged_attention_ll4mi_QKV_mfma16_kernelIDF16_hLN4vllm18Fp8KVCacheDataTypeE1EhLi16ELi64ELi256ELb1ELi3EEvPKT_PKT0_S7_ifPKiS9_S9_iPKfiiiPfSC_PS2_PT2_iSB_SB_,@function
_Z39paged_attention_ll4mi_QKV_mfma16_kernelIDF16_hLN4vllm18Fp8KVCacheDataTypeE1EhLi16ELi64ELi256ELb1ELi3EEvPKT_PKT0_S7_ifPKiS9_S9_iPKfiiiPfSC_PS2_PT2_iSB_SB_: ; @_Z39paged_attention_ll4mi_QKV_mfma16_kernelIDF16_hLN4vllm18Fp8KVCacheDataTypeE1EhLi16ELi64ELi256ELb1ELi3EEvPKT_PKT0_S7_ifPKiS9_S9_iPKfiiiPfSC_PS2_PT2_iSB_SB_
; %bb.0:
	s_get_pc_i64 s[2:3]
	s_add_nc_u64 s[2:3], s[2:3], __PRETTY_FUNCTION__._Z39paged_attention_ll4mi_QKV_mfma16_kernelIDF16_hLN4vllm18Fp8KVCacheDataTypeE1EhLi16ELi64ELi256ELb1ELi3EEvPKT_PKT0_S7_ifPKiS9_S9_iPKfiiiPfSC_PS2_PT2_iSB_SB_@rel64+4
	s_delay_alu instid0(SALU_CYCLE_1)
	v_dual_mov_b32 v0, 0xbb3 :: v_dual_mov_b32 v1, s2
	v_mov_b32_e32 v2, s3
	s_add_nc_u64 s[8:9], s[0:1], 0x90
	s_get_pc_i64 s[0:1]
	s_add_nc_u64 s[0:1], s[0:1], __assert_fail@rel64+4
	s_mov_b32 s32, 0
	s_swap_pc_i64 s[30:31], s[0:1]
	.section	.rodata,"a",@progbits
	.p2align	6, 0x0
	.amdhsa_kernel _Z39paged_attention_ll4mi_QKV_mfma16_kernelIDF16_hLN4vllm18Fp8KVCacheDataTypeE1EhLi16ELi64ELi256ELb1ELi3EEvPKT_PKT0_S7_ifPKiS9_S9_iPKfiiiPfSC_PS2_PT2_iSB_SB_
		.amdhsa_group_segment_fixed_size 0
		.amdhsa_private_segment_fixed_size 64
		.amdhsa_kernarg_size 400
		.amdhsa_user_sgpr_count 2
		.amdhsa_user_sgpr_dispatch_ptr 0
		.amdhsa_user_sgpr_queue_ptr 0
		.amdhsa_user_sgpr_kernarg_segment_ptr 1
		.amdhsa_user_sgpr_dispatch_id 0
		.amdhsa_user_sgpr_kernarg_preload_length 0
		.amdhsa_user_sgpr_kernarg_preload_offset 0
		.amdhsa_user_sgpr_private_segment_size 0
		.amdhsa_wavefront_size32 1
		.amdhsa_uses_dynamic_stack 0
		.amdhsa_enable_private_segment 1
		.amdhsa_system_sgpr_workgroup_id_x 1
		.amdhsa_system_sgpr_workgroup_id_y 0
		.amdhsa_system_sgpr_workgroup_id_z 0
		.amdhsa_system_sgpr_workgroup_info 0
		.amdhsa_system_vgpr_workitem_id 0
		.amdhsa_next_free_vgpr 51
		.amdhsa_next_free_sgpr 34
		.amdhsa_named_barrier_count 0
		.amdhsa_reserve_vcc 1
		.amdhsa_float_round_mode_32 0
		.amdhsa_float_round_mode_16_64 0
		.amdhsa_float_denorm_mode_32 3
		.amdhsa_float_denorm_mode_16_64 3
		.amdhsa_fp16_overflow 0
		.amdhsa_memory_ordered 1
		.amdhsa_forward_progress 1
		.amdhsa_inst_pref_size 1
		.amdhsa_round_robin_scheduling 0
		.amdhsa_exception_fp_ieee_invalid_op 0
		.amdhsa_exception_fp_denorm_src 0
		.amdhsa_exception_fp_ieee_div_zero 0
		.amdhsa_exception_fp_ieee_overflow 0
		.amdhsa_exception_fp_ieee_underflow 0
		.amdhsa_exception_fp_ieee_inexact 0
		.amdhsa_exception_int_div_zero 0
	.end_amdhsa_kernel
	.section	.text._Z39paged_attention_ll4mi_QKV_mfma16_kernelIDF16_hLN4vllm18Fp8KVCacheDataTypeE1EhLi16ELi64ELi256ELb1ELi3EEvPKT_PKT0_S7_ifPKiS9_S9_iPKfiiiPfSC_PS2_PT2_iSB_SB_,"axG",@progbits,_Z39paged_attention_ll4mi_QKV_mfma16_kernelIDF16_hLN4vllm18Fp8KVCacheDataTypeE1EhLi16ELi64ELi256ELb1ELi3EEvPKT_PKT0_S7_ifPKiS9_S9_iPKfiiiPfSC_PS2_PT2_iSB_SB_,comdat
.Lfunc_end788:
	.size	_Z39paged_attention_ll4mi_QKV_mfma16_kernelIDF16_hLN4vllm18Fp8KVCacheDataTypeE1EhLi16ELi64ELi256ELb1ELi3EEvPKT_PKT0_S7_ifPKiS9_S9_iPKfiiiPfSC_PS2_PT2_iSB_SB_, .Lfunc_end788-_Z39paged_attention_ll4mi_QKV_mfma16_kernelIDF16_hLN4vllm18Fp8KVCacheDataTypeE1EhLi16ELi64ELi256ELb1ELi3EEvPKT_PKT0_S7_ifPKiS9_S9_iPKfiiiPfSC_PS2_PT2_iSB_SB_
                                        ; -- End function
	.set _Z39paged_attention_ll4mi_QKV_mfma16_kernelIDF16_hLN4vllm18Fp8KVCacheDataTypeE1EhLi16ELi64ELi256ELb1ELi3EEvPKT_PKT0_S7_ifPKiS9_S9_iPKfiiiPfSC_PS2_PT2_iSB_SB_.num_vgpr, max(3, .L__assert_fail.num_vgpr)
	.set _Z39paged_attention_ll4mi_QKV_mfma16_kernelIDF16_hLN4vllm18Fp8KVCacheDataTypeE1EhLi16ELi64ELi256ELb1ELi3EEvPKT_PKT0_S7_ifPKiS9_S9_iPKfiiiPfSC_PS2_PT2_iSB_SB_.num_agpr, max(0, .L__assert_fail.num_agpr)
	.set _Z39paged_attention_ll4mi_QKV_mfma16_kernelIDF16_hLN4vllm18Fp8KVCacheDataTypeE1EhLi16ELi64ELi256ELb1ELi3EEvPKT_PKT0_S7_ifPKiS9_S9_iPKfiiiPfSC_PS2_PT2_iSB_SB_.numbered_sgpr, max(33, .L__assert_fail.numbered_sgpr)
	.set _Z39paged_attention_ll4mi_QKV_mfma16_kernelIDF16_hLN4vllm18Fp8KVCacheDataTypeE1EhLi16ELi64ELi256ELb1ELi3EEvPKT_PKT0_S7_ifPKiS9_S9_iPKfiiiPfSC_PS2_PT2_iSB_SB_.num_named_barrier, max(0, .L__assert_fail.num_named_barrier)
	.set _Z39paged_attention_ll4mi_QKV_mfma16_kernelIDF16_hLN4vllm18Fp8KVCacheDataTypeE1EhLi16ELi64ELi256ELb1ELi3EEvPKT_PKT0_S7_ifPKiS9_S9_iPKfiiiPfSC_PS2_PT2_iSB_SB_.private_seg_size, 0+max(.L__assert_fail.private_seg_size)
	.set _Z39paged_attention_ll4mi_QKV_mfma16_kernelIDF16_hLN4vllm18Fp8KVCacheDataTypeE1EhLi16ELi64ELi256ELb1ELi3EEvPKT_PKT0_S7_ifPKiS9_S9_iPKfiiiPfSC_PS2_PT2_iSB_SB_.uses_vcc, or(1, .L__assert_fail.uses_vcc)
	.set _Z39paged_attention_ll4mi_QKV_mfma16_kernelIDF16_hLN4vllm18Fp8KVCacheDataTypeE1EhLi16ELi64ELi256ELb1ELi3EEvPKT_PKT0_S7_ifPKiS9_S9_iPKfiiiPfSC_PS2_PT2_iSB_SB_.uses_flat_scratch, or(0, .L__assert_fail.uses_flat_scratch)
	.set _Z39paged_attention_ll4mi_QKV_mfma16_kernelIDF16_hLN4vllm18Fp8KVCacheDataTypeE1EhLi16ELi64ELi256ELb1ELi3EEvPKT_PKT0_S7_ifPKiS9_S9_iPKfiiiPfSC_PS2_PT2_iSB_SB_.has_dyn_sized_stack, or(0, .L__assert_fail.has_dyn_sized_stack)
	.set _Z39paged_attention_ll4mi_QKV_mfma16_kernelIDF16_hLN4vllm18Fp8KVCacheDataTypeE1EhLi16ELi64ELi256ELb1ELi3EEvPKT_PKT0_S7_ifPKiS9_S9_iPKfiiiPfSC_PS2_PT2_iSB_SB_.has_recursion, or(0, .L__assert_fail.has_recursion)
	.set _Z39paged_attention_ll4mi_QKV_mfma16_kernelIDF16_hLN4vllm18Fp8KVCacheDataTypeE1EhLi16ELi64ELi256ELb1ELi3EEvPKT_PKT0_S7_ifPKiS9_S9_iPKfiiiPfSC_PS2_PT2_iSB_SB_.has_indirect_call, or(0, .L__assert_fail.has_indirect_call)
	.section	.AMDGPU.csdata,"",@progbits
; Kernel info:
; codeLenInByte = 68
; TotalNumSgprs: 36
; NumVgprs: 51
; ScratchSize: 64
; MemoryBound: 0
; FloatMode: 240
; IeeeMode: 1
; LDSByteSize: 0 bytes/workgroup (compile time only)
; SGPRBlocks: 0
; VGPRBlocks: 3
; NumSGPRsForWavesPerEU: 36
; NumVGPRsForWavesPerEU: 51
; NamedBarCnt: 0
; Occupancy: 16
; WaveLimiterHint : 1
; COMPUTE_PGM_RSRC2:SCRATCH_EN: 1
; COMPUTE_PGM_RSRC2:USER_SGPR: 2
; COMPUTE_PGM_RSRC2:TRAP_HANDLER: 0
; COMPUTE_PGM_RSRC2:TGID_X_EN: 1
; COMPUTE_PGM_RSRC2:TGID_Y_EN: 0
; COMPUTE_PGM_RSRC2:TGID_Z_EN: 0
; COMPUTE_PGM_RSRC2:TIDIG_COMP_CNT: 0
	.section	.text._Z39paged_attention_ll4mi_QKV_mfma16_kernelIDF16_hLN4vllm18Fp8KVCacheDataTypeE1EhLi16ELi64ELi256ELb1ELi4EEvPKT_PKT0_S7_ifPKiS9_S9_iPKfiiiPfSC_PS2_PT2_iSB_SB_,"axG",@progbits,_Z39paged_attention_ll4mi_QKV_mfma16_kernelIDF16_hLN4vllm18Fp8KVCacheDataTypeE1EhLi16ELi64ELi256ELb1ELi4EEvPKT_PKT0_S7_ifPKiS9_S9_iPKfiiiPfSC_PS2_PT2_iSB_SB_,comdat
	.protected	_Z39paged_attention_ll4mi_QKV_mfma16_kernelIDF16_hLN4vllm18Fp8KVCacheDataTypeE1EhLi16ELi64ELi256ELb1ELi4EEvPKT_PKT0_S7_ifPKiS9_S9_iPKfiiiPfSC_PS2_PT2_iSB_SB_ ; -- Begin function _Z39paged_attention_ll4mi_QKV_mfma16_kernelIDF16_hLN4vllm18Fp8KVCacheDataTypeE1EhLi16ELi64ELi256ELb1ELi4EEvPKT_PKT0_S7_ifPKiS9_S9_iPKfiiiPfSC_PS2_PT2_iSB_SB_
	.globl	_Z39paged_attention_ll4mi_QKV_mfma16_kernelIDF16_hLN4vllm18Fp8KVCacheDataTypeE1EhLi16ELi64ELi256ELb1ELi4EEvPKT_PKT0_S7_ifPKiS9_S9_iPKfiiiPfSC_PS2_PT2_iSB_SB_
	.p2align	8
	.type	_Z39paged_attention_ll4mi_QKV_mfma16_kernelIDF16_hLN4vllm18Fp8KVCacheDataTypeE1EhLi16ELi64ELi256ELb1ELi4EEvPKT_PKT0_S7_ifPKiS9_S9_iPKfiiiPfSC_PS2_PT2_iSB_SB_,@function
_Z39paged_attention_ll4mi_QKV_mfma16_kernelIDF16_hLN4vllm18Fp8KVCacheDataTypeE1EhLi16ELi64ELi256ELb1ELi4EEvPKT_PKT0_S7_ifPKiS9_S9_iPKfiiiPfSC_PS2_PT2_iSB_SB_: ; @_Z39paged_attention_ll4mi_QKV_mfma16_kernelIDF16_hLN4vllm18Fp8KVCacheDataTypeE1EhLi16ELi64ELi256ELb1ELi4EEvPKT_PKT0_S7_ifPKiS9_S9_iPKfiiiPfSC_PS2_PT2_iSB_SB_
; %bb.0:
	s_get_pc_i64 s[2:3]
	s_add_nc_u64 s[2:3], s[2:3], __PRETTY_FUNCTION__._Z39paged_attention_ll4mi_QKV_mfma16_kernelIDF16_hLN4vllm18Fp8KVCacheDataTypeE1EhLi16ELi64ELi256ELb1ELi4EEvPKT_PKT0_S7_ifPKiS9_S9_iPKfiiiPfSC_PS2_PT2_iSB_SB_@rel64+4
	s_delay_alu instid0(SALU_CYCLE_1)
	v_dual_mov_b32 v0, 0xbb3 :: v_dual_mov_b32 v1, s2
	v_mov_b32_e32 v2, s3
	s_add_nc_u64 s[8:9], s[0:1], 0x90
	s_get_pc_i64 s[0:1]
	s_add_nc_u64 s[0:1], s[0:1], __assert_fail@rel64+4
	s_mov_b32 s32, 0
	s_swap_pc_i64 s[30:31], s[0:1]
	.section	.rodata,"a",@progbits
	.p2align	6, 0x0
	.amdhsa_kernel _Z39paged_attention_ll4mi_QKV_mfma16_kernelIDF16_hLN4vllm18Fp8KVCacheDataTypeE1EhLi16ELi64ELi256ELb1ELi4EEvPKT_PKT0_S7_ifPKiS9_S9_iPKfiiiPfSC_PS2_PT2_iSB_SB_
		.amdhsa_group_segment_fixed_size 0
		.amdhsa_private_segment_fixed_size 64
		.amdhsa_kernarg_size 400
		.amdhsa_user_sgpr_count 2
		.amdhsa_user_sgpr_dispatch_ptr 0
		.amdhsa_user_sgpr_queue_ptr 0
		.amdhsa_user_sgpr_kernarg_segment_ptr 1
		.amdhsa_user_sgpr_dispatch_id 0
		.amdhsa_user_sgpr_kernarg_preload_length 0
		.amdhsa_user_sgpr_kernarg_preload_offset 0
		.amdhsa_user_sgpr_private_segment_size 0
		.amdhsa_wavefront_size32 1
		.amdhsa_uses_dynamic_stack 0
		.amdhsa_enable_private_segment 1
		.amdhsa_system_sgpr_workgroup_id_x 1
		.amdhsa_system_sgpr_workgroup_id_y 0
		.amdhsa_system_sgpr_workgroup_id_z 0
		.amdhsa_system_sgpr_workgroup_info 0
		.amdhsa_system_vgpr_workitem_id 0
		.amdhsa_next_free_vgpr 51
		.amdhsa_next_free_sgpr 34
		.amdhsa_named_barrier_count 0
		.amdhsa_reserve_vcc 1
		.amdhsa_float_round_mode_32 0
		.amdhsa_float_round_mode_16_64 0
		.amdhsa_float_denorm_mode_32 3
		.amdhsa_float_denorm_mode_16_64 3
		.amdhsa_fp16_overflow 0
		.amdhsa_memory_ordered 1
		.amdhsa_forward_progress 1
		.amdhsa_inst_pref_size 1
		.amdhsa_round_robin_scheduling 0
		.amdhsa_exception_fp_ieee_invalid_op 0
		.amdhsa_exception_fp_denorm_src 0
		.amdhsa_exception_fp_ieee_div_zero 0
		.amdhsa_exception_fp_ieee_overflow 0
		.amdhsa_exception_fp_ieee_underflow 0
		.amdhsa_exception_fp_ieee_inexact 0
		.amdhsa_exception_int_div_zero 0
	.end_amdhsa_kernel
	.section	.text._Z39paged_attention_ll4mi_QKV_mfma16_kernelIDF16_hLN4vllm18Fp8KVCacheDataTypeE1EhLi16ELi64ELi256ELb1ELi4EEvPKT_PKT0_S7_ifPKiS9_S9_iPKfiiiPfSC_PS2_PT2_iSB_SB_,"axG",@progbits,_Z39paged_attention_ll4mi_QKV_mfma16_kernelIDF16_hLN4vllm18Fp8KVCacheDataTypeE1EhLi16ELi64ELi256ELb1ELi4EEvPKT_PKT0_S7_ifPKiS9_S9_iPKfiiiPfSC_PS2_PT2_iSB_SB_,comdat
.Lfunc_end789:
	.size	_Z39paged_attention_ll4mi_QKV_mfma16_kernelIDF16_hLN4vllm18Fp8KVCacheDataTypeE1EhLi16ELi64ELi256ELb1ELi4EEvPKT_PKT0_S7_ifPKiS9_S9_iPKfiiiPfSC_PS2_PT2_iSB_SB_, .Lfunc_end789-_Z39paged_attention_ll4mi_QKV_mfma16_kernelIDF16_hLN4vllm18Fp8KVCacheDataTypeE1EhLi16ELi64ELi256ELb1ELi4EEvPKT_PKT0_S7_ifPKiS9_S9_iPKfiiiPfSC_PS2_PT2_iSB_SB_
                                        ; -- End function
	.set _Z39paged_attention_ll4mi_QKV_mfma16_kernelIDF16_hLN4vllm18Fp8KVCacheDataTypeE1EhLi16ELi64ELi256ELb1ELi4EEvPKT_PKT0_S7_ifPKiS9_S9_iPKfiiiPfSC_PS2_PT2_iSB_SB_.num_vgpr, max(3, .L__assert_fail.num_vgpr)
	.set _Z39paged_attention_ll4mi_QKV_mfma16_kernelIDF16_hLN4vllm18Fp8KVCacheDataTypeE1EhLi16ELi64ELi256ELb1ELi4EEvPKT_PKT0_S7_ifPKiS9_S9_iPKfiiiPfSC_PS2_PT2_iSB_SB_.num_agpr, max(0, .L__assert_fail.num_agpr)
	.set _Z39paged_attention_ll4mi_QKV_mfma16_kernelIDF16_hLN4vllm18Fp8KVCacheDataTypeE1EhLi16ELi64ELi256ELb1ELi4EEvPKT_PKT0_S7_ifPKiS9_S9_iPKfiiiPfSC_PS2_PT2_iSB_SB_.numbered_sgpr, max(33, .L__assert_fail.numbered_sgpr)
	.set _Z39paged_attention_ll4mi_QKV_mfma16_kernelIDF16_hLN4vllm18Fp8KVCacheDataTypeE1EhLi16ELi64ELi256ELb1ELi4EEvPKT_PKT0_S7_ifPKiS9_S9_iPKfiiiPfSC_PS2_PT2_iSB_SB_.num_named_barrier, max(0, .L__assert_fail.num_named_barrier)
	.set _Z39paged_attention_ll4mi_QKV_mfma16_kernelIDF16_hLN4vllm18Fp8KVCacheDataTypeE1EhLi16ELi64ELi256ELb1ELi4EEvPKT_PKT0_S7_ifPKiS9_S9_iPKfiiiPfSC_PS2_PT2_iSB_SB_.private_seg_size, 0+max(.L__assert_fail.private_seg_size)
	.set _Z39paged_attention_ll4mi_QKV_mfma16_kernelIDF16_hLN4vllm18Fp8KVCacheDataTypeE1EhLi16ELi64ELi256ELb1ELi4EEvPKT_PKT0_S7_ifPKiS9_S9_iPKfiiiPfSC_PS2_PT2_iSB_SB_.uses_vcc, or(1, .L__assert_fail.uses_vcc)
	.set _Z39paged_attention_ll4mi_QKV_mfma16_kernelIDF16_hLN4vllm18Fp8KVCacheDataTypeE1EhLi16ELi64ELi256ELb1ELi4EEvPKT_PKT0_S7_ifPKiS9_S9_iPKfiiiPfSC_PS2_PT2_iSB_SB_.uses_flat_scratch, or(0, .L__assert_fail.uses_flat_scratch)
	.set _Z39paged_attention_ll4mi_QKV_mfma16_kernelIDF16_hLN4vllm18Fp8KVCacheDataTypeE1EhLi16ELi64ELi256ELb1ELi4EEvPKT_PKT0_S7_ifPKiS9_S9_iPKfiiiPfSC_PS2_PT2_iSB_SB_.has_dyn_sized_stack, or(0, .L__assert_fail.has_dyn_sized_stack)
	.set _Z39paged_attention_ll4mi_QKV_mfma16_kernelIDF16_hLN4vllm18Fp8KVCacheDataTypeE1EhLi16ELi64ELi256ELb1ELi4EEvPKT_PKT0_S7_ifPKiS9_S9_iPKfiiiPfSC_PS2_PT2_iSB_SB_.has_recursion, or(0, .L__assert_fail.has_recursion)
	.set _Z39paged_attention_ll4mi_QKV_mfma16_kernelIDF16_hLN4vllm18Fp8KVCacheDataTypeE1EhLi16ELi64ELi256ELb1ELi4EEvPKT_PKT0_S7_ifPKiS9_S9_iPKfiiiPfSC_PS2_PT2_iSB_SB_.has_indirect_call, or(0, .L__assert_fail.has_indirect_call)
	.section	.AMDGPU.csdata,"",@progbits
; Kernel info:
; codeLenInByte = 68
; TotalNumSgprs: 36
; NumVgprs: 51
; ScratchSize: 64
; MemoryBound: 0
; FloatMode: 240
; IeeeMode: 1
; LDSByteSize: 0 bytes/workgroup (compile time only)
; SGPRBlocks: 0
; VGPRBlocks: 3
; NumSGPRsForWavesPerEU: 36
; NumVGPRsForWavesPerEU: 51
; NamedBarCnt: 0
; Occupancy: 16
; WaveLimiterHint : 1
; COMPUTE_PGM_RSRC2:SCRATCH_EN: 1
; COMPUTE_PGM_RSRC2:USER_SGPR: 2
; COMPUTE_PGM_RSRC2:TRAP_HANDLER: 0
; COMPUTE_PGM_RSRC2:TGID_X_EN: 1
; COMPUTE_PGM_RSRC2:TGID_Y_EN: 0
; COMPUTE_PGM_RSRC2:TGID_Z_EN: 0
; COMPUTE_PGM_RSRC2:TIDIG_COMP_CNT: 0
	.section	.text._Z38paged_attention_ll4mi_QKV_mfma4_kernelIDF16_hLN4vllm18Fp8KVCacheDataTypeE1EhLi16ELi64ELi256ELb0ELi1EEvPKT_PKT0_S7_ifPKiS9_S9_iPKfiiiPfSC_PS2_PT2_iSB_SB_,"axG",@progbits,_Z38paged_attention_ll4mi_QKV_mfma4_kernelIDF16_hLN4vllm18Fp8KVCacheDataTypeE1EhLi16ELi64ELi256ELb0ELi1EEvPKT_PKT0_S7_ifPKiS9_S9_iPKfiiiPfSC_PS2_PT2_iSB_SB_,comdat
	.protected	_Z38paged_attention_ll4mi_QKV_mfma4_kernelIDF16_hLN4vllm18Fp8KVCacheDataTypeE1EhLi16ELi64ELi256ELb0ELi1EEvPKT_PKT0_S7_ifPKiS9_S9_iPKfiiiPfSC_PS2_PT2_iSB_SB_ ; -- Begin function _Z38paged_attention_ll4mi_QKV_mfma4_kernelIDF16_hLN4vllm18Fp8KVCacheDataTypeE1EhLi16ELi64ELi256ELb0ELi1EEvPKT_PKT0_S7_ifPKiS9_S9_iPKfiiiPfSC_PS2_PT2_iSB_SB_
	.globl	_Z38paged_attention_ll4mi_QKV_mfma4_kernelIDF16_hLN4vllm18Fp8KVCacheDataTypeE1EhLi16ELi64ELi256ELb0ELi1EEvPKT_PKT0_S7_ifPKiS9_S9_iPKfiiiPfSC_PS2_PT2_iSB_SB_
	.p2align	8
	.type	_Z38paged_attention_ll4mi_QKV_mfma4_kernelIDF16_hLN4vllm18Fp8KVCacheDataTypeE1EhLi16ELi64ELi256ELb0ELi1EEvPKT_PKT0_S7_ifPKiS9_S9_iPKfiiiPfSC_PS2_PT2_iSB_SB_,@function
_Z38paged_attention_ll4mi_QKV_mfma4_kernelIDF16_hLN4vllm18Fp8KVCacheDataTypeE1EhLi16ELi64ELi256ELb0ELi1EEvPKT_PKT0_S7_ifPKiS9_S9_iPKfiiiPfSC_PS2_PT2_iSB_SB_: ; @_Z38paged_attention_ll4mi_QKV_mfma4_kernelIDF16_hLN4vllm18Fp8KVCacheDataTypeE1EhLi16ELi64ELi256ELb0ELi1EEvPKT_PKT0_S7_ifPKiS9_S9_iPKfiiiPfSC_PS2_PT2_iSB_SB_
; %bb.0:
	s_get_pc_i64 s[2:3]
	s_add_nc_u64 s[2:3], s[2:3], __PRETTY_FUNCTION__._Z38paged_attention_ll4mi_QKV_mfma4_kernelIDF16_hLN4vllm18Fp8KVCacheDataTypeE1EhLi16ELi64ELi256ELb0ELi1EEvPKT_PKT0_S7_ifPKiS9_S9_iPKfiiiPfSC_PS2_PT2_iSB_SB_@rel64+4
	s_delay_alu instid0(SALU_CYCLE_1)
	v_dual_mov_b32 v0, 0xbce :: v_dual_mov_b32 v1, s2
	v_mov_b32_e32 v2, s3
	s_add_nc_u64 s[8:9], s[0:1], 0x90
	s_get_pc_i64 s[0:1]
	s_add_nc_u64 s[0:1], s[0:1], __assert_fail@rel64+4
	s_mov_b32 s32, 0
	s_swap_pc_i64 s[30:31], s[0:1]
	.section	.rodata,"a",@progbits
	.p2align	6, 0x0
	.amdhsa_kernel _Z38paged_attention_ll4mi_QKV_mfma4_kernelIDF16_hLN4vllm18Fp8KVCacheDataTypeE1EhLi16ELi64ELi256ELb0ELi1EEvPKT_PKT0_S7_ifPKiS9_S9_iPKfiiiPfSC_PS2_PT2_iSB_SB_
		.amdhsa_group_segment_fixed_size 0
		.amdhsa_private_segment_fixed_size 64
		.amdhsa_kernarg_size 400
		.amdhsa_user_sgpr_count 2
		.amdhsa_user_sgpr_dispatch_ptr 0
		.amdhsa_user_sgpr_queue_ptr 0
		.amdhsa_user_sgpr_kernarg_segment_ptr 1
		.amdhsa_user_sgpr_dispatch_id 0
		.amdhsa_user_sgpr_kernarg_preload_length 0
		.amdhsa_user_sgpr_kernarg_preload_offset 0
		.amdhsa_user_sgpr_private_segment_size 0
		.amdhsa_wavefront_size32 1
		.amdhsa_uses_dynamic_stack 0
		.amdhsa_enable_private_segment 1
		.amdhsa_system_sgpr_workgroup_id_x 1
		.amdhsa_system_sgpr_workgroup_id_y 0
		.amdhsa_system_sgpr_workgroup_id_z 0
		.amdhsa_system_sgpr_workgroup_info 0
		.amdhsa_system_vgpr_workitem_id 0
		.amdhsa_next_free_vgpr 51
		.amdhsa_next_free_sgpr 34
		.amdhsa_named_barrier_count 0
		.amdhsa_reserve_vcc 1
		.amdhsa_float_round_mode_32 0
		.amdhsa_float_round_mode_16_64 0
		.amdhsa_float_denorm_mode_32 3
		.amdhsa_float_denorm_mode_16_64 3
		.amdhsa_fp16_overflow 0
		.amdhsa_memory_ordered 1
		.amdhsa_forward_progress 1
		.amdhsa_inst_pref_size 1
		.amdhsa_round_robin_scheduling 0
		.amdhsa_exception_fp_ieee_invalid_op 0
		.amdhsa_exception_fp_denorm_src 0
		.amdhsa_exception_fp_ieee_div_zero 0
		.amdhsa_exception_fp_ieee_overflow 0
		.amdhsa_exception_fp_ieee_underflow 0
		.amdhsa_exception_fp_ieee_inexact 0
		.amdhsa_exception_int_div_zero 0
	.end_amdhsa_kernel
	.section	.text._Z38paged_attention_ll4mi_QKV_mfma4_kernelIDF16_hLN4vllm18Fp8KVCacheDataTypeE1EhLi16ELi64ELi256ELb0ELi1EEvPKT_PKT0_S7_ifPKiS9_S9_iPKfiiiPfSC_PS2_PT2_iSB_SB_,"axG",@progbits,_Z38paged_attention_ll4mi_QKV_mfma4_kernelIDF16_hLN4vllm18Fp8KVCacheDataTypeE1EhLi16ELi64ELi256ELb0ELi1EEvPKT_PKT0_S7_ifPKiS9_S9_iPKfiiiPfSC_PS2_PT2_iSB_SB_,comdat
.Lfunc_end790:
	.size	_Z38paged_attention_ll4mi_QKV_mfma4_kernelIDF16_hLN4vllm18Fp8KVCacheDataTypeE1EhLi16ELi64ELi256ELb0ELi1EEvPKT_PKT0_S7_ifPKiS9_S9_iPKfiiiPfSC_PS2_PT2_iSB_SB_, .Lfunc_end790-_Z38paged_attention_ll4mi_QKV_mfma4_kernelIDF16_hLN4vllm18Fp8KVCacheDataTypeE1EhLi16ELi64ELi256ELb0ELi1EEvPKT_PKT0_S7_ifPKiS9_S9_iPKfiiiPfSC_PS2_PT2_iSB_SB_
                                        ; -- End function
	.set _Z38paged_attention_ll4mi_QKV_mfma4_kernelIDF16_hLN4vllm18Fp8KVCacheDataTypeE1EhLi16ELi64ELi256ELb0ELi1EEvPKT_PKT0_S7_ifPKiS9_S9_iPKfiiiPfSC_PS2_PT2_iSB_SB_.num_vgpr, max(3, .L__assert_fail.num_vgpr)
	.set _Z38paged_attention_ll4mi_QKV_mfma4_kernelIDF16_hLN4vllm18Fp8KVCacheDataTypeE1EhLi16ELi64ELi256ELb0ELi1EEvPKT_PKT0_S7_ifPKiS9_S9_iPKfiiiPfSC_PS2_PT2_iSB_SB_.num_agpr, max(0, .L__assert_fail.num_agpr)
	.set _Z38paged_attention_ll4mi_QKV_mfma4_kernelIDF16_hLN4vllm18Fp8KVCacheDataTypeE1EhLi16ELi64ELi256ELb0ELi1EEvPKT_PKT0_S7_ifPKiS9_S9_iPKfiiiPfSC_PS2_PT2_iSB_SB_.numbered_sgpr, max(33, .L__assert_fail.numbered_sgpr)
	.set _Z38paged_attention_ll4mi_QKV_mfma4_kernelIDF16_hLN4vllm18Fp8KVCacheDataTypeE1EhLi16ELi64ELi256ELb0ELi1EEvPKT_PKT0_S7_ifPKiS9_S9_iPKfiiiPfSC_PS2_PT2_iSB_SB_.num_named_barrier, max(0, .L__assert_fail.num_named_barrier)
	.set _Z38paged_attention_ll4mi_QKV_mfma4_kernelIDF16_hLN4vllm18Fp8KVCacheDataTypeE1EhLi16ELi64ELi256ELb0ELi1EEvPKT_PKT0_S7_ifPKiS9_S9_iPKfiiiPfSC_PS2_PT2_iSB_SB_.private_seg_size, 0+max(.L__assert_fail.private_seg_size)
	.set _Z38paged_attention_ll4mi_QKV_mfma4_kernelIDF16_hLN4vllm18Fp8KVCacheDataTypeE1EhLi16ELi64ELi256ELb0ELi1EEvPKT_PKT0_S7_ifPKiS9_S9_iPKfiiiPfSC_PS2_PT2_iSB_SB_.uses_vcc, or(1, .L__assert_fail.uses_vcc)
	.set _Z38paged_attention_ll4mi_QKV_mfma4_kernelIDF16_hLN4vllm18Fp8KVCacheDataTypeE1EhLi16ELi64ELi256ELb0ELi1EEvPKT_PKT0_S7_ifPKiS9_S9_iPKfiiiPfSC_PS2_PT2_iSB_SB_.uses_flat_scratch, or(0, .L__assert_fail.uses_flat_scratch)
	.set _Z38paged_attention_ll4mi_QKV_mfma4_kernelIDF16_hLN4vllm18Fp8KVCacheDataTypeE1EhLi16ELi64ELi256ELb0ELi1EEvPKT_PKT0_S7_ifPKiS9_S9_iPKfiiiPfSC_PS2_PT2_iSB_SB_.has_dyn_sized_stack, or(0, .L__assert_fail.has_dyn_sized_stack)
	.set _Z38paged_attention_ll4mi_QKV_mfma4_kernelIDF16_hLN4vllm18Fp8KVCacheDataTypeE1EhLi16ELi64ELi256ELb0ELi1EEvPKT_PKT0_S7_ifPKiS9_S9_iPKfiiiPfSC_PS2_PT2_iSB_SB_.has_recursion, or(0, .L__assert_fail.has_recursion)
	.set _Z38paged_attention_ll4mi_QKV_mfma4_kernelIDF16_hLN4vllm18Fp8KVCacheDataTypeE1EhLi16ELi64ELi256ELb0ELi1EEvPKT_PKT0_S7_ifPKiS9_S9_iPKfiiiPfSC_PS2_PT2_iSB_SB_.has_indirect_call, or(0, .L__assert_fail.has_indirect_call)
	.section	.AMDGPU.csdata,"",@progbits
; Kernel info:
; codeLenInByte = 68
; TotalNumSgprs: 36
; NumVgprs: 51
; ScratchSize: 64
; MemoryBound: 0
; FloatMode: 240
; IeeeMode: 1
; LDSByteSize: 0 bytes/workgroup (compile time only)
; SGPRBlocks: 0
; VGPRBlocks: 3
; NumSGPRsForWavesPerEU: 36
; NumVGPRsForWavesPerEU: 51
; NamedBarCnt: 0
; Occupancy: 16
; WaveLimiterHint : 1
; COMPUTE_PGM_RSRC2:SCRATCH_EN: 1
; COMPUTE_PGM_RSRC2:USER_SGPR: 2
; COMPUTE_PGM_RSRC2:TRAP_HANDLER: 0
; COMPUTE_PGM_RSRC2:TGID_X_EN: 1
; COMPUTE_PGM_RSRC2:TGID_Y_EN: 0
; COMPUTE_PGM_RSRC2:TGID_Z_EN: 0
; COMPUTE_PGM_RSRC2:TIDIG_COMP_CNT: 0
	.section	.text._Z38paged_attention_ll4mi_QKV_mfma4_kernelIDF16_hLN4vllm18Fp8KVCacheDataTypeE1EhLi16ELi64ELi256ELb0ELi2EEvPKT_PKT0_S7_ifPKiS9_S9_iPKfiiiPfSC_PS2_PT2_iSB_SB_,"axG",@progbits,_Z38paged_attention_ll4mi_QKV_mfma4_kernelIDF16_hLN4vllm18Fp8KVCacheDataTypeE1EhLi16ELi64ELi256ELb0ELi2EEvPKT_PKT0_S7_ifPKiS9_S9_iPKfiiiPfSC_PS2_PT2_iSB_SB_,comdat
	.protected	_Z38paged_attention_ll4mi_QKV_mfma4_kernelIDF16_hLN4vllm18Fp8KVCacheDataTypeE1EhLi16ELi64ELi256ELb0ELi2EEvPKT_PKT0_S7_ifPKiS9_S9_iPKfiiiPfSC_PS2_PT2_iSB_SB_ ; -- Begin function _Z38paged_attention_ll4mi_QKV_mfma4_kernelIDF16_hLN4vllm18Fp8KVCacheDataTypeE1EhLi16ELi64ELi256ELb0ELi2EEvPKT_PKT0_S7_ifPKiS9_S9_iPKfiiiPfSC_PS2_PT2_iSB_SB_
	.globl	_Z38paged_attention_ll4mi_QKV_mfma4_kernelIDF16_hLN4vllm18Fp8KVCacheDataTypeE1EhLi16ELi64ELi256ELb0ELi2EEvPKT_PKT0_S7_ifPKiS9_S9_iPKfiiiPfSC_PS2_PT2_iSB_SB_
	.p2align	8
	.type	_Z38paged_attention_ll4mi_QKV_mfma4_kernelIDF16_hLN4vllm18Fp8KVCacheDataTypeE1EhLi16ELi64ELi256ELb0ELi2EEvPKT_PKT0_S7_ifPKiS9_S9_iPKfiiiPfSC_PS2_PT2_iSB_SB_,@function
_Z38paged_attention_ll4mi_QKV_mfma4_kernelIDF16_hLN4vllm18Fp8KVCacheDataTypeE1EhLi16ELi64ELi256ELb0ELi2EEvPKT_PKT0_S7_ifPKiS9_S9_iPKfiiiPfSC_PS2_PT2_iSB_SB_: ; @_Z38paged_attention_ll4mi_QKV_mfma4_kernelIDF16_hLN4vllm18Fp8KVCacheDataTypeE1EhLi16ELi64ELi256ELb0ELi2EEvPKT_PKT0_S7_ifPKiS9_S9_iPKfiiiPfSC_PS2_PT2_iSB_SB_
; %bb.0:
	s_get_pc_i64 s[2:3]
	s_add_nc_u64 s[2:3], s[2:3], __PRETTY_FUNCTION__._Z38paged_attention_ll4mi_QKV_mfma4_kernelIDF16_hLN4vllm18Fp8KVCacheDataTypeE1EhLi16ELi64ELi256ELb0ELi2EEvPKT_PKT0_S7_ifPKiS9_S9_iPKfiiiPfSC_PS2_PT2_iSB_SB_@rel64+4
	s_delay_alu instid0(SALU_CYCLE_1)
	v_dual_mov_b32 v0, 0xbce :: v_dual_mov_b32 v1, s2
	v_mov_b32_e32 v2, s3
	s_add_nc_u64 s[8:9], s[0:1], 0x90
	s_get_pc_i64 s[0:1]
	s_add_nc_u64 s[0:1], s[0:1], __assert_fail@rel64+4
	s_mov_b32 s32, 0
	s_swap_pc_i64 s[30:31], s[0:1]
	.section	.rodata,"a",@progbits
	.p2align	6, 0x0
	.amdhsa_kernel _Z38paged_attention_ll4mi_QKV_mfma4_kernelIDF16_hLN4vllm18Fp8KVCacheDataTypeE1EhLi16ELi64ELi256ELb0ELi2EEvPKT_PKT0_S7_ifPKiS9_S9_iPKfiiiPfSC_PS2_PT2_iSB_SB_
		.amdhsa_group_segment_fixed_size 0
		.amdhsa_private_segment_fixed_size 64
		.amdhsa_kernarg_size 400
		.amdhsa_user_sgpr_count 2
		.amdhsa_user_sgpr_dispatch_ptr 0
		.amdhsa_user_sgpr_queue_ptr 0
		.amdhsa_user_sgpr_kernarg_segment_ptr 1
		.amdhsa_user_sgpr_dispatch_id 0
		.amdhsa_user_sgpr_kernarg_preload_length 0
		.amdhsa_user_sgpr_kernarg_preload_offset 0
		.amdhsa_user_sgpr_private_segment_size 0
		.amdhsa_wavefront_size32 1
		.amdhsa_uses_dynamic_stack 0
		.amdhsa_enable_private_segment 1
		.amdhsa_system_sgpr_workgroup_id_x 1
		.amdhsa_system_sgpr_workgroup_id_y 0
		.amdhsa_system_sgpr_workgroup_id_z 0
		.amdhsa_system_sgpr_workgroup_info 0
		.amdhsa_system_vgpr_workitem_id 0
		.amdhsa_next_free_vgpr 51
		.amdhsa_next_free_sgpr 34
		.amdhsa_named_barrier_count 0
		.amdhsa_reserve_vcc 1
		.amdhsa_float_round_mode_32 0
		.amdhsa_float_round_mode_16_64 0
		.amdhsa_float_denorm_mode_32 3
		.amdhsa_float_denorm_mode_16_64 3
		.amdhsa_fp16_overflow 0
		.amdhsa_memory_ordered 1
		.amdhsa_forward_progress 1
		.amdhsa_inst_pref_size 1
		.amdhsa_round_robin_scheduling 0
		.amdhsa_exception_fp_ieee_invalid_op 0
		.amdhsa_exception_fp_denorm_src 0
		.amdhsa_exception_fp_ieee_div_zero 0
		.amdhsa_exception_fp_ieee_overflow 0
		.amdhsa_exception_fp_ieee_underflow 0
		.amdhsa_exception_fp_ieee_inexact 0
		.amdhsa_exception_int_div_zero 0
	.end_amdhsa_kernel
	.section	.text._Z38paged_attention_ll4mi_QKV_mfma4_kernelIDF16_hLN4vllm18Fp8KVCacheDataTypeE1EhLi16ELi64ELi256ELb0ELi2EEvPKT_PKT0_S7_ifPKiS9_S9_iPKfiiiPfSC_PS2_PT2_iSB_SB_,"axG",@progbits,_Z38paged_attention_ll4mi_QKV_mfma4_kernelIDF16_hLN4vllm18Fp8KVCacheDataTypeE1EhLi16ELi64ELi256ELb0ELi2EEvPKT_PKT0_S7_ifPKiS9_S9_iPKfiiiPfSC_PS2_PT2_iSB_SB_,comdat
.Lfunc_end791:
	.size	_Z38paged_attention_ll4mi_QKV_mfma4_kernelIDF16_hLN4vllm18Fp8KVCacheDataTypeE1EhLi16ELi64ELi256ELb0ELi2EEvPKT_PKT0_S7_ifPKiS9_S9_iPKfiiiPfSC_PS2_PT2_iSB_SB_, .Lfunc_end791-_Z38paged_attention_ll4mi_QKV_mfma4_kernelIDF16_hLN4vllm18Fp8KVCacheDataTypeE1EhLi16ELi64ELi256ELb0ELi2EEvPKT_PKT0_S7_ifPKiS9_S9_iPKfiiiPfSC_PS2_PT2_iSB_SB_
                                        ; -- End function
	.set _Z38paged_attention_ll4mi_QKV_mfma4_kernelIDF16_hLN4vllm18Fp8KVCacheDataTypeE1EhLi16ELi64ELi256ELb0ELi2EEvPKT_PKT0_S7_ifPKiS9_S9_iPKfiiiPfSC_PS2_PT2_iSB_SB_.num_vgpr, max(3, .L__assert_fail.num_vgpr)
	.set _Z38paged_attention_ll4mi_QKV_mfma4_kernelIDF16_hLN4vllm18Fp8KVCacheDataTypeE1EhLi16ELi64ELi256ELb0ELi2EEvPKT_PKT0_S7_ifPKiS9_S9_iPKfiiiPfSC_PS2_PT2_iSB_SB_.num_agpr, max(0, .L__assert_fail.num_agpr)
	.set _Z38paged_attention_ll4mi_QKV_mfma4_kernelIDF16_hLN4vllm18Fp8KVCacheDataTypeE1EhLi16ELi64ELi256ELb0ELi2EEvPKT_PKT0_S7_ifPKiS9_S9_iPKfiiiPfSC_PS2_PT2_iSB_SB_.numbered_sgpr, max(33, .L__assert_fail.numbered_sgpr)
	.set _Z38paged_attention_ll4mi_QKV_mfma4_kernelIDF16_hLN4vllm18Fp8KVCacheDataTypeE1EhLi16ELi64ELi256ELb0ELi2EEvPKT_PKT0_S7_ifPKiS9_S9_iPKfiiiPfSC_PS2_PT2_iSB_SB_.num_named_barrier, max(0, .L__assert_fail.num_named_barrier)
	.set _Z38paged_attention_ll4mi_QKV_mfma4_kernelIDF16_hLN4vllm18Fp8KVCacheDataTypeE1EhLi16ELi64ELi256ELb0ELi2EEvPKT_PKT0_S7_ifPKiS9_S9_iPKfiiiPfSC_PS2_PT2_iSB_SB_.private_seg_size, 0+max(.L__assert_fail.private_seg_size)
	.set _Z38paged_attention_ll4mi_QKV_mfma4_kernelIDF16_hLN4vllm18Fp8KVCacheDataTypeE1EhLi16ELi64ELi256ELb0ELi2EEvPKT_PKT0_S7_ifPKiS9_S9_iPKfiiiPfSC_PS2_PT2_iSB_SB_.uses_vcc, or(1, .L__assert_fail.uses_vcc)
	.set _Z38paged_attention_ll4mi_QKV_mfma4_kernelIDF16_hLN4vllm18Fp8KVCacheDataTypeE1EhLi16ELi64ELi256ELb0ELi2EEvPKT_PKT0_S7_ifPKiS9_S9_iPKfiiiPfSC_PS2_PT2_iSB_SB_.uses_flat_scratch, or(0, .L__assert_fail.uses_flat_scratch)
	.set _Z38paged_attention_ll4mi_QKV_mfma4_kernelIDF16_hLN4vllm18Fp8KVCacheDataTypeE1EhLi16ELi64ELi256ELb0ELi2EEvPKT_PKT0_S7_ifPKiS9_S9_iPKfiiiPfSC_PS2_PT2_iSB_SB_.has_dyn_sized_stack, or(0, .L__assert_fail.has_dyn_sized_stack)
	.set _Z38paged_attention_ll4mi_QKV_mfma4_kernelIDF16_hLN4vllm18Fp8KVCacheDataTypeE1EhLi16ELi64ELi256ELb0ELi2EEvPKT_PKT0_S7_ifPKiS9_S9_iPKfiiiPfSC_PS2_PT2_iSB_SB_.has_recursion, or(0, .L__assert_fail.has_recursion)
	.set _Z38paged_attention_ll4mi_QKV_mfma4_kernelIDF16_hLN4vllm18Fp8KVCacheDataTypeE1EhLi16ELi64ELi256ELb0ELi2EEvPKT_PKT0_S7_ifPKiS9_S9_iPKfiiiPfSC_PS2_PT2_iSB_SB_.has_indirect_call, or(0, .L__assert_fail.has_indirect_call)
	.section	.AMDGPU.csdata,"",@progbits
; Kernel info:
; codeLenInByte = 68
; TotalNumSgprs: 36
; NumVgprs: 51
; ScratchSize: 64
; MemoryBound: 0
; FloatMode: 240
; IeeeMode: 1
; LDSByteSize: 0 bytes/workgroup (compile time only)
; SGPRBlocks: 0
; VGPRBlocks: 3
; NumSGPRsForWavesPerEU: 36
; NumVGPRsForWavesPerEU: 51
; NamedBarCnt: 0
; Occupancy: 16
; WaveLimiterHint : 1
; COMPUTE_PGM_RSRC2:SCRATCH_EN: 1
; COMPUTE_PGM_RSRC2:USER_SGPR: 2
; COMPUTE_PGM_RSRC2:TRAP_HANDLER: 0
; COMPUTE_PGM_RSRC2:TGID_X_EN: 1
; COMPUTE_PGM_RSRC2:TGID_Y_EN: 0
; COMPUTE_PGM_RSRC2:TGID_Z_EN: 0
; COMPUTE_PGM_RSRC2:TIDIG_COMP_CNT: 0
	.section	.text._Z38paged_attention_ll4mi_QKV_mfma4_kernelIDF16_hLN4vllm18Fp8KVCacheDataTypeE1EhLi16ELi64ELi256ELb0ELi3EEvPKT_PKT0_S7_ifPKiS9_S9_iPKfiiiPfSC_PS2_PT2_iSB_SB_,"axG",@progbits,_Z38paged_attention_ll4mi_QKV_mfma4_kernelIDF16_hLN4vllm18Fp8KVCacheDataTypeE1EhLi16ELi64ELi256ELb0ELi3EEvPKT_PKT0_S7_ifPKiS9_S9_iPKfiiiPfSC_PS2_PT2_iSB_SB_,comdat
	.protected	_Z38paged_attention_ll4mi_QKV_mfma4_kernelIDF16_hLN4vllm18Fp8KVCacheDataTypeE1EhLi16ELi64ELi256ELb0ELi3EEvPKT_PKT0_S7_ifPKiS9_S9_iPKfiiiPfSC_PS2_PT2_iSB_SB_ ; -- Begin function _Z38paged_attention_ll4mi_QKV_mfma4_kernelIDF16_hLN4vllm18Fp8KVCacheDataTypeE1EhLi16ELi64ELi256ELb0ELi3EEvPKT_PKT0_S7_ifPKiS9_S9_iPKfiiiPfSC_PS2_PT2_iSB_SB_
	.globl	_Z38paged_attention_ll4mi_QKV_mfma4_kernelIDF16_hLN4vllm18Fp8KVCacheDataTypeE1EhLi16ELi64ELi256ELb0ELi3EEvPKT_PKT0_S7_ifPKiS9_S9_iPKfiiiPfSC_PS2_PT2_iSB_SB_
	.p2align	8
	.type	_Z38paged_attention_ll4mi_QKV_mfma4_kernelIDF16_hLN4vllm18Fp8KVCacheDataTypeE1EhLi16ELi64ELi256ELb0ELi3EEvPKT_PKT0_S7_ifPKiS9_S9_iPKfiiiPfSC_PS2_PT2_iSB_SB_,@function
_Z38paged_attention_ll4mi_QKV_mfma4_kernelIDF16_hLN4vllm18Fp8KVCacheDataTypeE1EhLi16ELi64ELi256ELb0ELi3EEvPKT_PKT0_S7_ifPKiS9_S9_iPKfiiiPfSC_PS2_PT2_iSB_SB_: ; @_Z38paged_attention_ll4mi_QKV_mfma4_kernelIDF16_hLN4vllm18Fp8KVCacheDataTypeE1EhLi16ELi64ELi256ELb0ELi3EEvPKT_PKT0_S7_ifPKiS9_S9_iPKfiiiPfSC_PS2_PT2_iSB_SB_
; %bb.0:
	s_get_pc_i64 s[2:3]
	s_add_nc_u64 s[2:3], s[2:3], __PRETTY_FUNCTION__._Z38paged_attention_ll4mi_QKV_mfma4_kernelIDF16_hLN4vllm18Fp8KVCacheDataTypeE1EhLi16ELi64ELi256ELb0ELi3EEvPKT_PKT0_S7_ifPKiS9_S9_iPKfiiiPfSC_PS2_PT2_iSB_SB_@rel64+4
	s_delay_alu instid0(SALU_CYCLE_1)
	v_dual_mov_b32 v0, 0xbce :: v_dual_mov_b32 v1, s2
	v_mov_b32_e32 v2, s3
	s_add_nc_u64 s[8:9], s[0:1], 0x90
	s_get_pc_i64 s[0:1]
	s_add_nc_u64 s[0:1], s[0:1], __assert_fail@rel64+4
	s_mov_b32 s32, 0
	s_swap_pc_i64 s[30:31], s[0:1]
	.section	.rodata,"a",@progbits
	.p2align	6, 0x0
	.amdhsa_kernel _Z38paged_attention_ll4mi_QKV_mfma4_kernelIDF16_hLN4vllm18Fp8KVCacheDataTypeE1EhLi16ELi64ELi256ELb0ELi3EEvPKT_PKT0_S7_ifPKiS9_S9_iPKfiiiPfSC_PS2_PT2_iSB_SB_
		.amdhsa_group_segment_fixed_size 0
		.amdhsa_private_segment_fixed_size 64
		.amdhsa_kernarg_size 400
		.amdhsa_user_sgpr_count 2
		.amdhsa_user_sgpr_dispatch_ptr 0
		.amdhsa_user_sgpr_queue_ptr 0
		.amdhsa_user_sgpr_kernarg_segment_ptr 1
		.amdhsa_user_sgpr_dispatch_id 0
		.amdhsa_user_sgpr_kernarg_preload_length 0
		.amdhsa_user_sgpr_kernarg_preload_offset 0
		.amdhsa_user_sgpr_private_segment_size 0
		.amdhsa_wavefront_size32 1
		.amdhsa_uses_dynamic_stack 0
		.amdhsa_enable_private_segment 1
		.amdhsa_system_sgpr_workgroup_id_x 1
		.amdhsa_system_sgpr_workgroup_id_y 0
		.amdhsa_system_sgpr_workgroup_id_z 0
		.amdhsa_system_sgpr_workgroup_info 0
		.amdhsa_system_vgpr_workitem_id 0
		.amdhsa_next_free_vgpr 51
		.amdhsa_next_free_sgpr 34
		.amdhsa_named_barrier_count 0
		.amdhsa_reserve_vcc 1
		.amdhsa_float_round_mode_32 0
		.amdhsa_float_round_mode_16_64 0
		.amdhsa_float_denorm_mode_32 3
		.amdhsa_float_denorm_mode_16_64 3
		.amdhsa_fp16_overflow 0
		.amdhsa_memory_ordered 1
		.amdhsa_forward_progress 1
		.amdhsa_inst_pref_size 1
		.amdhsa_round_robin_scheduling 0
		.amdhsa_exception_fp_ieee_invalid_op 0
		.amdhsa_exception_fp_denorm_src 0
		.amdhsa_exception_fp_ieee_div_zero 0
		.amdhsa_exception_fp_ieee_overflow 0
		.amdhsa_exception_fp_ieee_underflow 0
		.amdhsa_exception_fp_ieee_inexact 0
		.amdhsa_exception_int_div_zero 0
	.end_amdhsa_kernel
	.section	.text._Z38paged_attention_ll4mi_QKV_mfma4_kernelIDF16_hLN4vllm18Fp8KVCacheDataTypeE1EhLi16ELi64ELi256ELb0ELi3EEvPKT_PKT0_S7_ifPKiS9_S9_iPKfiiiPfSC_PS2_PT2_iSB_SB_,"axG",@progbits,_Z38paged_attention_ll4mi_QKV_mfma4_kernelIDF16_hLN4vllm18Fp8KVCacheDataTypeE1EhLi16ELi64ELi256ELb0ELi3EEvPKT_PKT0_S7_ifPKiS9_S9_iPKfiiiPfSC_PS2_PT2_iSB_SB_,comdat
.Lfunc_end792:
	.size	_Z38paged_attention_ll4mi_QKV_mfma4_kernelIDF16_hLN4vllm18Fp8KVCacheDataTypeE1EhLi16ELi64ELi256ELb0ELi3EEvPKT_PKT0_S7_ifPKiS9_S9_iPKfiiiPfSC_PS2_PT2_iSB_SB_, .Lfunc_end792-_Z38paged_attention_ll4mi_QKV_mfma4_kernelIDF16_hLN4vllm18Fp8KVCacheDataTypeE1EhLi16ELi64ELi256ELb0ELi3EEvPKT_PKT0_S7_ifPKiS9_S9_iPKfiiiPfSC_PS2_PT2_iSB_SB_
                                        ; -- End function
	.set _Z38paged_attention_ll4mi_QKV_mfma4_kernelIDF16_hLN4vllm18Fp8KVCacheDataTypeE1EhLi16ELi64ELi256ELb0ELi3EEvPKT_PKT0_S7_ifPKiS9_S9_iPKfiiiPfSC_PS2_PT2_iSB_SB_.num_vgpr, max(3, .L__assert_fail.num_vgpr)
	.set _Z38paged_attention_ll4mi_QKV_mfma4_kernelIDF16_hLN4vllm18Fp8KVCacheDataTypeE1EhLi16ELi64ELi256ELb0ELi3EEvPKT_PKT0_S7_ifPKiS9_S9_iPKfiiiPfSC_PS2_PT2_iSB_SB_.num_agpr, max(0, .L__assert_fail.num_agpr)
	.set _Z38paged_attention_ll4mi_QKV_mfma4_kernelIDF16_hLN4vllm18Fp8KVCacheDataTypeE1EhLi16ELi64ELi256ELb0ELi3EEvPKT_PKT0_S7_ifPKiS9_S9_iPKfiiiPfSC_PS2_PT2_iSB_SB_.numbered_sgpr, max(33, .L__assert_fail.numbered_sgpr)
	.set _Z38paged_attention_ll4mi_QKV_mfma4_kernelIDF16_hLN4vllm18Fp8KVCacheDataTypeE1EhLi16ELi64ELi256ELb0ELi3EEvPKT_PKT0_S7_ifPKiS9_S9_iPKfiiiPfSC_PS2_PT2_iSB_SB_.num_named_barrier, max(0, .L__assert_fail.num_named_barrier)
	.set _Z38paged_attention_ll4mi_QKV_mfma4_kernelIDF16_hLN4vllm18Fp8KVCacheDataTypeE1EhLi16ELi64ELi256ELb0ELi3EEvPKT_PKT0_S7_ifPKiS9_S9_iPKfiiiPfSC_PS2_PT2_iSB_SB_.private_seg_size, 0+max(.L__assert_fail.private_seg_size)
	.set _Z38paged_attention_ll4mi_QKV_mfma4_kernelIDF16_hLN4vllm18Fp8KVCacheDataTypeE1EhLi16ELi64ELi256ELb0ELi3EEvPKT_PKT0_S7_ifPKiS9_S9_iPKfiiiPfSC_PS2_PT2_iSB_SB_.uses_vcc, or(1, .L__assert_fail.uses_vcc)
	.set _Z38paged_attention_ll4mi_QKV_mfma4_kernelIDF16_hLN4vllm18Fp8KVCacheDataTypeE1EhLi16ELi64ELi256ELb0ELi3EEvPKT_PKT0_S7_ifPKiS9_S9_iPKfiiiPfSC_PS2_PT2_iSB_SB_.uses_flat_scratch, or(0, .L__assert_fail.uses_flat_scratch)
	.set _Z38paged_attention_ll4mi_QKV_mfma4_kernelIDF16_hLN4vllm18Fp8KVCacheDataTypeE1EhLi16ELi64ELi256ELb0ELi3EEvPKT_PKT0_S7_ifPKiS9_S9_iPKfiiiPfSC_PS2_PT2_iSB_SB_.has_dyn_sized_stack, or(0, .L__assert_fail.has_dyn_sized_stack)
	.set _Z38paged_attention_ll4mi_QKV_mfma4_kernelIDF16_hLN4vllm18Fp8KVCacheDataTypeE1EhLi16ELi64ELi256ELb0ELi3EEvPKT_PKT0_S7_ifPKiS9_S9_iPKfiiiPfSC_PS2_PT2_iSB_SB_.has_recursion, or(0, .L__assert_fail.has_recursion)
	.set _Z38paged_attention_ll4mi_QKV_mfma4_kernelIDF16_hLN4vllm18Fp8KVCacheDataTypeE1EhLi16ELi64ELi256ELb0ELi3EEvPKT_PKT0_S7_ifPKiS9_S9_iPKfiiiPfSC_PS2_PT2_iSB_SB_.has_indirect_call, or(0, .L__assert_fail.has_indirect_call)
	.section	.AMDGPU.csdata,"",@progbits
; Kernel info:
; codeLenInByte = 68
; TotalNumSgprs: 36
; NumVgprs: 51
; ScratchSize: 64
; MemoryBound: 0
; FloatMode: 240
; IeeeMode: 1
; LDSByteSize: 0 bytes/workgroup (compile time only)
; SGPRBlocks: 0
; VGPRBlocks: 3
; NumSGPRsForWavesPerEU: 36
; NumVGPRsForWavesPerEU: 51
; NamedBarCnt: 0
; Occupancy: 16
; WaveLimiterHint : 1
; COMPUTE_PGM_RSRC2:SCRATCH_EN: 1
; COMPUTE_PGM_RSRC2:USER_SGPR: 2
; COMPUTE_PGM_RSRC2:TRAP_HANDLER: 0
; COMPUTE_PGM_RSRC2:TGID_X_EN: 1
; COMPUTE_PGM_RSRC2:TGID_Y_EN: 0
; COMPUTE_PGM_RSRC2:TGID_Z_EN: 0
; COMPUTE_PGM_RSRC2:TIDIG_COMP_CNT: 0
	.section	.text._Z38paged_attention_ll4mi_QKV_mfma4_kernelIDF16_hLN4vllm18Fp8KVCacheDataTypeE1EhLi16ELi64ELi256ELb0ELi4EEvPKT_PKT0_S7_ifPKiS9_S9_iPKfiiiPfSC_PS2_PT2_iSB_SB_,"axG",@progbits,_Z38paged_attention_ll4mi_QKV_mfma4_kernelIDF16_hLN4vllm18Fp8KVCacheDataTypeE1EhLi16ELi64ELi256ELb0ELi4EEvPKT_PKT0_S7_ifPKiS9_S9_iPKfiiiPfSC_PS2_PT2_iSB_SB_,comdat
	.protected	_Z38paged_attention_ll4mi_QKV_mfma4_kernelIDF16_hLN4vllm18Fp8KVCacheDataTypeE1EhLi16ELi64ELi256ELb0ELi4EEvPKT_PKT0_S7_ifPKiS9_S9_iPKfiiiPfSC_PS2_PT2_iSB_SB_ ; -- Begin function _Z38paged_attention_ll4mi_QKV_mfma4_kernelIDF16_hLN4vllm18Fp8KVCacheDataTypeE1EhLi16ELi64ELi256ELb0ELi4EEvPKT_PKT0_S7_ifPKiS9_S9_iPKfiiiPfSC_PS2_PT2_iSB_SB_
	.globl	_Z38paged_attention_ll4mi_QKV_mfma4_kernelIDF16_hLN4vllm18Fp8KVCacheDataTypeE1EhLi16ELi64ELi256ELb0ELi4EEvPKT_PKT0_S7_ifPKiS9_S9_iPKfiiiPfSC_PS2_PT2_iSB_SB_
	.p2align	8
	.type	_Z38paged_attention_ll4mi_QKV_mfma4_kernelIDF16_hLN4vllm18Fp8KVCacheDataTypeE1EhLi16ELi64ELi256ELb0ELi4EEvPKT_PKT0_S7_ifPKiS9_S9_iPKfiiiPfSC_PS2_PT2_iSB_SB_,@function
_Z38paged_attention_ll4mi_QKV_mfma4_kernelIDF16_hLN4vllm18Fp8KVCacheDataTypeE1EhLi16ELi64ELi256ELb0ELi4EEvPKT_PKT0_S7_ifPKiS9_S9_iPKfiiiPfSC_PS2_PT2_iSB_SB_: ; @_Z38paged_attention_ll4mi_QKV_mfma4_kernelIDF16_hLN4vllm18Fp8KVCacheDataTypeE1EhLi16ELi64ELi256ELb0ELi4EEvPKT_PKT0_S7_ifPKiS9_S9_iPKfiiiPfSC_PS2_PT2_iSB_SB_
; %bb.0:
	s_get_pc_i64 s[2:3]
	s_add_nc_u64 s[2:3], s[2:3], __PRETTY_FUNCTION__._Z38paged_attention_ll4mi_QKV_mfma4_kernelIDF16_hLN4vllm18Fp8KVCacheDataTypeE1EhLi16ELi64ELi256ELb0ELi4EEvPKT_PKT0_S7_ifPKiS9_S9_iPKfiiiPfSC_PS2_PT2_iSB_SB_@rel64+4
	s_delay_alu instid0(SALU_CYCLE_1)
	v_dual_mov_b32 v0, 0xbce :: v_dual_mov_b32 v1, s2
	v_mov_b32_e32 v2, s3
	s_add_nc_u64 s[8:9], s[0:1], 0x90
	s_get_pc_i64 s[0:1]
	s_add_nc_u64 s[0:1], s[0:1], __assert_fail@rel64+4
	s_mov_b32 s32, 0
	s_swap_pc_i64 s[30:31], s[0:1]
	.section	.rodata,"a",@progbits
	.p2align	6, 0x0
	.amdhsa_kernel _Z38paged_attention_ll4mi_QKV_mfma4_kernelIDF16_hLN4vllm18Fp8KVCacheDataTypeE1EhLi16ELi64ELi256ELb0ELi4EEvPKT_PKT0_S7_ifPKiS9_S9_iPKfiiiPfSC_PS2_PT2_iSB_SB_
		.amdhsa_group_segment_fixed_size 0
		.amdhsa_private_segment_fixed_size 64
		.amdhsa_kernarg_size 400
		.amdhsa_user_sgpr_count 2
		.amdhsa_user_sgpr_dispatch_ptr 0
		.amdhsa_user_sgpr_queue_ptr 0
		.amdhsa_user_sgpr_kernarg_segment_ptr 1
		.amdhsa_user_sgpr_dispatch_id 0
		.amdhsa_user_sgpr_kernarg_preload_length 0
		.amdhsa_user_sgpr_kernarg_preload_offset 0
		.amdhsa_user_sgpr_private_segment_size 0
		.amdhsa_wavefront_size32 1
		.amdhsa_uses_dynamic_stack 0
		.amdhsa_enable_private_segment 1
		.amdhsa_system_sgpr_workgroup_id_x 1
		.amdhsa_system_sgpr_workgroup_id_y 0
		.amdhsa_system_sgpr_workgroup_id_z 0
		.amdhsa_system_sgpr_workgroup_info 0
		.amdhsa_system_vgpr_workitem_id 0
		.amdhsa_next_free_vgpr 51
		.amdhsa_next_free_sgpr 34
		.amdhsa_named_barrier_count 0
		.amdhsa_reserve_vcc 1
		.amdhsa_float_round_mode_32 0
		.amdhsa_float_round_mode_16_64 0
		.amdhsa_float_denorm_mode_32 3
		.amdhsa_float_denorm_mode_16_64 3
		.amdhsa_fp16_overflow 0
		.amdhsa_memory_ordered 1
		.amdhsa_forward_progress 1
		.amdhsa_inst_pref_size 1
		.amdhsa_round_robin_scheduling 0
		.amdhsa_exception_fp_ieee_invalid_op 0
		.amdhsa_exception_fp_denorm_src 0
		.amdhsa_exception_fp_ieee_div_zero 0
		.amdhsa_exception_fp_ieee_overflow 0
		.amdhsa_exception_fp_ieee_underflow 0
		.amdhsa_exception_fp_ieee_inexact 0
		.amdhsa_exception_int_div_zero 0
	.end_amdhsa_kernel
	.section	.text._Z38paged_attention_ll4mi_QKV_mfma4_kernelIDF16_hLN4vllm18Fp8KVCacheDataTypeE1EhLi16ELi64ELi256ELb0ELi4EEvPKT_PKT0_S7_ifPKiS9_S9_iPKfiiiPfSC_PS2_PT2_iSB_SB_,"axG",@progbits,_Z38paged_attention_ll4mi_QKV_mfma4_kernelIDF16_hLN4vllm18Fp8KVCacheDataTypeE1EhLi16ELi64ELi256ELb0ELi4EEvPKT_PKT0_S7_ifPKiS9_S9_iPKfiiiPfSC_PS2_PT2_iSB_SB_,comdat
.Lfunc_end793:
	.size	_Z38paged_attention_ll4mi_QKV_mfma4_kernelIDF16_hLN4vllm18Fp8KVCacheDataTypeE1EhLi16ELi64ELi256ELb0ELi4EEvPKT_PKT0_S7_ifPKiS9_S9_iPKfiiiPfSC_PS2_PT2_iSB_SB_, .Lfunc_end793-_Z38paged_attention_ll4mi_QKV_mfma4_kernelIDF16_hLN4vllm18Fp8KVCacheDataTypeE1EhLi16ELi64ELi256ELb0ELi4EEvPKT_PKT0_S7_ifPKiS9_S9_iPKfiiiPfSC_PS2_PT2_iSB_SB_
                                        ; -- End function
	.set _Z38paged_attention_ll4mi_QKV_mfma4_kernelIDF16_hLN4vllm18Fp8KVCacheDataTypeE1EhLi16ELi64ELi256ELb0ELi4EEvPKT_PKT0_S7_ifPKiS9_S9_iPKfiiiPfSC_PS2_PT2_iSB_SB_.num_vgpr, max(3, .L__assert_fail.num_vgpr)
	.set _Z38paged_attention_ll4mi_QKV_mfma4_kernelIDF16_hLN4vllm18Fp8KVCacheDataTypeE1EhLi16ELi64ELi256ELb0ELi4EEvPKT_PKT0_S7_ifPKiS9_S9_iPKfiiiPfSC_PS2_PT2_iSB_SB_.num_agpr, max(0, .L__assert_fail.num_agpr)
	.set _Z38paged_attention_ll4mi_QKV_mfma4_kernelIDF16_hLN4vllm18Fp8KVCacheDataTypeE1EhLi16ELi64ELi256ELb0ELi4EEvPKT_PKT0_S7_ifPKiS9_S9_iPKfiiiPfSC_PS2_PT2_iSB_SB_.numbered_sgpr, max(33, .L__assert_fail.numbered_sgpr)
	.set _Z38paged_attention_ll4mi_QKV_mfma4_kernelIDF16_hLN4vllm18Fp8KVCacheDataTypeE1EhLi16ELi64ELi256ELb0ELi4EEvPKT_PKT0_S7_ifPKiS9_S9_iPKfiiiPfSC_PS2_PT2_iSB_SB_.num_named_barrier, max(0, .L__assert_fail.num_named_barrier)
	.set _Z38paged_attention_ll4mi_QKV_mfma4_kernelIDF16_hLN4vllm18Fp8KVCacheDataTypeE1EhLi16ELi64ELi256ELb0ELi4EEvPKT_PKT0_S7_ifPKiS9_S9_iPKfiiiPfSC_PS2_PT2_iSB_SB_.private_seg_size, 0+max(.L__assert_fail.private_seg_size)
	.set _Z38paged_attention_ll4mi_QKV_mfma4_kernelIDF16_hLN4vllm18Fp8KVCacheDataTypeE1EhLi16ELi64ELi256ELb0ELi4EEvPKT_PKT0_S7_ifPKiS9_S9_iPKfiiiPfSC_PS2_PT2_iSB_SB_.uses_vcc, or(1, .L__assert_fail.uses_vcc)
	.set _Z38paged_attention_ll4mi_QKV_mfma4_kernelIDF16_hLN4vllm18Fp8KVCacheDataTypeE1EhLi16ELi64ELi256ELb0ELi4EEvPKT_PKT0_S7_ifPKiS9_S9_iPKfiiiPfSC_PS2_PT2_iSB_SB_.uses_flat_scratch, or(0, .L__assert_fail.uses_flat_scratch)
	.set _Z38paged_attention_ll4mi_QKV_mfma4_kernelIDF16_hLN4vllm18Fp8KVCacheDataTypeE1EhLi16ELi64ELi256ELb0ELi4EEvPKT_PKT0_S7_ifPKiS9_S9_iPKfiiiPfSC_PS2_PT2_iSB_SB_.has_dyn_sized_stack, or(0, .L__assert_fail.has_dyn_sized_stack)
	.set _Z38paged_attention_ll4mi_QKV_mfma4_kernelIDF16_hLN4vllm18Fp8KVCacheDataTypeE1EhLi16ELi64ELi256ELb0ELi4EEvPKT_PKT0_S7_ifPKiS9_S9_iPKfiiiPfSC_PS2_PT2_iSB_SB_.has_recursion, or(0, .L__assert_fail.has_recursion)
	.set _Z38paged_attention_ll4mi_QKV_mfma4_kernelIDF16_hLN4vllm18Fp8KVCacheDataTypeE1EhLi16ELi64ELi256ELb0ELi4EEvPKT_PKT0_S7_ifPKiS9_S9_iPKfiiiPfSC_PS2_PT2_iSB_SB_.has_indirect_call, or(0, .L__assert_fail.has_indirect_call)
	.section	.AMDGPU.csdata,"",@progbits
; Kernel info:
; codeLenInByte = 68
; TotalNumSgprs: 36
; NumVgprs: 51
; ScratchSize: 64
; MemoryBound: 0
; FloatMode: 240
; IeeeMode: 1
; LDSByteSize: 0 bytes/workgroup (compile time only)
; SGPRBlocks: 0
; VGPRBlocks: 3
; NumSGPRsForWavesPerEU: 36
; NumVGPRsForWavesPerEU: 51
; NamedBarCnt: 0
; Occupancy: 16
; WaveLimiterHint : 1
; COMPUTE_PGM_RSRC2:SCRATCH_EN: 1
; COMPUTE_PGM_RSRC2:USER_SGPR: 2
; COMPUTE_PGM_RSRC2:TRAP_HANDLER: 0
; COMPUTE_PGM_RSRC2:TGID_X_EN: 1
; COMPUTE_PGM_RSRC2:TGID_Y_EN: 0
; COMPUTE_PGM_RSRC2:TGID_Z_EN: 0
; COMPUTE_PGM_RSRC2:TIDIG_COMP_CNT: 0
	.section	.text._Z39paged_attention_ll4mi_QKV_mfma16_kernelIDF16_hLN4vllm18Fp8KVCacheDataTypeE1EhLi16ELi64ELi256ELb0ELi5EEvPKT_PKT0_S7_ifPKiS9_S9_iPKfiiiPfSC_PS2_PT2_iSB_SB_,"axG",@progbits,_Z39paged_attention_ll4mi_QKV_mfma16_kernelIDF16_hLN4vllm18Fp8KVCacheDataTypeE1EhLi16ELi64ELi256ELb0ELi5EEvPKT_PKT0_S7_ifPKiS9_S9_iPKfiiiPfSC_PS2_PT2_iSB_SB_,comdat
	.protected	_Z39paged_attention_ll4mi_QKV_mfma16_kernelIDF16_hLN4vllm18Fp8KVCacheDataTypeE1EhLi16ELi64ELi256ELb0ELi5EEvPKT_PKT0_S7_ifPKiS9_S9_iPKfiiiPfSC_PS2_PT2_iSB_SB_ ; -- Begin function _Z39paged_attention_ll4mi_QKV_mfma16_kernelIDF16_hLN4vllm18Fp8KVCacheDataTypeE1EhLi16ELi64ELi256ELb0ELi5EEvPKT_PKT0_S7_ifPKiS9_S9_iPKfiiiPfSC_PS2_PT2_iSB_SB_
	.globl	_Z39paged_attention_ll4mi_QKV_mfma16_kernelIDF16_hLN4vllm18Fp8KVCacheDataTypeE1EhLi16ELi64ELi256ELb0ELi5EEvPKT_PKT0_S7_ifPKiS9_S9_iPKfiiiPfSC_PS2_PT2_iSB_SB_
	.p2align	8
	.type	_Z39paged_attention_ll4mi_QKV_mfma16_kernelIDF16_hLN4vllm18Fp8KVCacheDataTypeE1EhLi16ELi64ELi256ELb0ELi5EEvPKT_PKT0_S7_ifPKiS9_S9_iPKfiiiPfSC_PS2_PT2_iSB_SB_,@function
_Z39paged_attention_ll4mi_QKV_mfma16_kernelIDF16_hLN4vllm18Fp8KVCacheDataTypeE1EhLi16ELi64ELi256ELb0ELi5EEvPKT_PKT0_S7_ifPKiS9_S9_iPKfiiiPfSC_PS2_PT2_iSB_SB_: ; @_Z39paged_attention_ll4mi_QKV_mfma16_kernelIDF16_hLN4vllm18Fp8KVCacheDataTypeE1EhLi16ELi64ELi256ELb0ELi5EEvPKT_PKT0_S7_ifPKiS9_S9_iPKfiiiPfSC_PS2_PT2_iSB_SB_
; %bb.0:
	s_get_pc_i64 s[2:3]
	s_add_nc_u64 s[2:3], s[2:3], __PRETTY_FUNCTION__._Z39paged_attention_ll4mi_QKV_mfma16_kernelIDF16_hLN4vllm18Fp8KVCacheDataTypeE1EhLi16ELi64ELi256ELb0ELi5EEvPKT_PKT0_S7_ifPKiS9_S9_iPKfiiiPfSC_PS2_PT2_iSB_SB_@rel64+4
	s_delay_alu instid0(SALU_CYCLE_1)
	v_dual_mov_b32 v0, 0xbb3 :: v_dual_mov_b32 v1, s2
	v_mov_b32_e32 v2, s3
	s_add_nc_u64 s[8:9], s[0:1], 0x90
	s_get_pc_i64 s[0:1]
	s_add_nc_u64 s[0:1], s[0:1], __assert_fail@rel64+4
	s_mov_b32 s32, 0
	s_swap_pc_i64 s[30:31], s[0:1]
	.section	.rodata,"a",@progbits
	.p2align	6, 0x0
	.amdhsa_kernel _Z39paged_attention_ll4mi_QKV_mfma16_kernelIDF16_hLN4vllm18Fp8KVCacheDataTypeE1EhLi16ELi64ELi256ELb0ELi5EEvPKT_PKT0_S7_ifPKiS9_S9_iPKfiiiPfSC_PS2_PT2_iSB_SB_
		.amdhsa_group_segment_fixed_size 0
		.amdhsa_private_segment_fixed_size 64
		.amdhsa_kernarg_size 400
		.amdhsa_user_sgpr_count 2
		.amdhsa_user_sgpr_dispatch_ptr 0
		.amdhsa_user_sgpr_queue_ptr 0
		.amdhsa_user_sgpr_kernarg_segment_ptr 1
		.amdhsa_user_sgpr_dispatch_id 0
		.amdhsa_user_sgpr_kernarg_preload_length 0
		.amdhsa_user_sgpr_kernarg_preload_offset 0
		.amdhsa_user_sgpr_private_segment_size 0
		.amdhsa_wavefront_size32 1
		.amdhsa_uses_dynamic_stack 0
		.amdhsa_enable_private_segment 1
		.amdhsa_system_sgpr_workgroup_id_x 1
		.amdhsa_system_sgpr_workgroup_id_y 0
		.amdhsa_system_sgpr_workgroup_id_z 0
		.amdhsa_system_sgpr_workgroup_info 0
		.amdhsa_system_vgpr_workitem_id 0
		.amdhsa_next_free_vgpr 51
		.amdhsa_next_free_sgpr 34
		.amdhsa_named_barrier_count 0
		.amdhsa_reserve_vcc 1
		.amdhsa_float_round_mode_32 0
		.amdhsa_float_round_mode_16_64 0
		.amdhsa_float_denorm_mode_32 3
		.amdhsa_float_denorm_mode_16_64 3
		.amdhsa_fp16_overflow 0
		.amdhsa_memory_ordered 1
		.amdhsa_forward_progress 1
		.amdhsa_inst_pref_size 1
		.amdhsa_round_robin_scheduling 0
		.amdhsa_exception_fp_ieee_invalid_op 0
		.amdhsa_exception_fp_denorm_src 0
		.amdhsa_exception_fp_ieee_div_zero 0
		.amdhsa_exception_fp_ieee_overflow 0
		.amdhsa_exception_fp_ieee_underflow 0
		.amdhsa_exception_fp_ieee_inexact 0
		.amdhsa_exception_int_div_zero 0
	.end_amdhsa_kernel
	.section	.text._Z39paged_attention_ll4mi_QKV_mfma16_kernelIDF16_hLN4vllm18Fp8KVCacheDataTypeE1EhLi16ELi64ELi256ELb0ELi5EEvPKT_PKT0_S7_ifPKiS9_S9_iPKfiiiPfSC_PS2_PT2_iSB_SB_,"axG",@progbits,_Z39paged_attention_ll4mi_QKV_mfma16_kernelIDF16_hLN4vllm18Fp8KVCacheDataTypeE1EhLi16ELi64ELi256ELb0ELi5EEvPKT_PKT0_S7_ifPKiS9_S9_iPKfiiiPfSC_PS2_PT2_iSB_SB_,comdat
.Lfunc_end794:
	.size	_Z39paged_attention_ll4mi_QKV_mfma16_kernelIDF16_hLN4vllm18Fp8KVCacheDataTypeE1EhLi16ELi64ELi256ELb0ELi5EEvPKT_PKT0_S7_ifPKiS9_S9_iPKfiiiPfSC_PS2_PT2_iSB_SB_, .Lfunc_end794-_Z39paged_attention_ll4mi_QKV_mfma16_kernelIDF16_hLN4vllm18Fp8KVCacheDataTypeE1EhLi16ELi64ELi256ELb0ELi5EEvPKT_PKT0_S7_ifPKiS9_S9_iPKfiiiPfSC_PS2_PT2_iSB_SB_
                                        ; -- End function
	.set _Z39paged_attention_ll4mi_QKV_mfma16_kernelIDF16_hLN4vllm18Fp8KVCacheDataTypeE1EhLi16ELi64ELi256ELb0ELi5EEvPKT_PKT0_S7_ifPKiS9_S9_iPKfiiiPfSC_PS2_PT2_iSB_SB_.num_vgpr, max(3, .L__assert_fail.num_vgpr)
	.set _Z39paged_attention_ll4mi_QKV_mfma16_kernelIDF16_hLN4vllm18Fp8KVCacheDataTypeE1EhLi16ELi64ELi256ELb0ELi5EEvPKT_PKT0_S7_ifPKiS9_S9_iPKfiiiPfSC_PS2_PT2_iSB_SB_.num_agpr, max(0, .L__assert_fail.num_agpr)
	.set _Z39paged_attention_ll4mi_QKV_mfma16_kernelIDF16_hLN4vllm18Fp8KVCacheDataTypeE1EhLi16ELi64ELi256ELb0ELi5EEvPKT_PKT0_S7_ifPKiS9_S9_iPKfiiiPfSC_PS2_PT2_iSB_SB_.numbered_sgpr, max(33, .L__assert_fail.numbered_sgpr)
	.set _Z39paged_attention_ll4mi_QKV_mfma16_kernelIDF16_hLN4vllm18Fp8KVCacheDataTypeE1EhLi16ELi64ELi256ELb0ELi5EEvPKT_PKT0_S7_ifPKiS9_S9_iPKfiiiPfSC_PS2_PT2_iSB_SB_.num_named_barrier, max(0, .L__assert_fail.num_named_barrier)
	.set _Z39paged_attention_ll4mi_QKV_mfma16_kernelIDF16_hLN4vllm18Fp8KVCacheDataTypeE1EhLi16ELi64ELi256ELb0ELi5EEvPKT_PKT0_S7_ifPKiS9_S9_iPKfiiiPfSC_PS2_PT2_iSB_SB_.private_seg_size, 0+max(.L__assert_fail.private_seg_size)
	.set _Z39paged_attention_ll4mi_QKV_mfma16_kernelIDF16_hLN4vllm18Fp8KVCacheDataTypeE1EhLi16ELi64ELi256ELb0ELi5EEvPKT_PKT0_S7_ifPKiS9_S9_iPKfiiiPfSC_PS2_PT2_iSB_SB_.uses_vcc, or(1, .L__assert_fail.uses_vcc)
	.set _Z39paged_attention_ll4mi_QKV_mfma16_kernelIDF16_hLN4vllm18Fp8KVCacheDataTypeE1EhLi16ELi64ELi256ELb0ELi5EEvPKT_PKT0_S7_ifPKiS9_S9_iPKfiiiPfSC_PS2_PT2_iSB_SB_.uses_flat_scratch, or(0, .L__assert_fail.uses_flat_scratch)
	.set _Z39paged_attention_ll4mi_QKV_mfma16_kernelIDF16_hLN4vllm18Fp8KVCacheDataTypeE1EhLi16ELi64ELi256ELb0ELi5EEvPKT_PKT0_S7_ifPKiS9_S9_iPKfiiiPfSC_PS2_PT2_iSB_SB_.has_dyn_sized_stack, or(0, .L__assert_fail.has_dyn_sized_stack)
	.set _Z39paged_attention_ll4mi_QKV_mfma16_kernelIDF16_hLN4vllm18Fp8KVCacheDataTypeE1EhLi16ELi64ELi256ELb0ELi5EEvPKT_PKT0_S7_ifPKiS9_S9_iPKfiiiPfSC_PS2_PT2_iSB_SB_.has_recursion, or(0, .L__assert_fail.has_recursion)
	.set _Z39paged_attention_ll4mi_QKV_mfma16_kernelIDF16_hLN4vllm18Fp8KVCacheDataTypeE1EhLi16ELi64ELi256ELb0ELi5EEvPKT_PKT0_S7_ifPKiS9_S9_iPKfiiiPfSC_PS2_PT2_iSB_SB_.has_indirect_call, or(0, .L__assert_fail.has_indirect_call)
	.section	.AMDGPU.csdata,"",@progbits
; Kernel info:
; codeLenInByte = 68
; TotalNumSgprs: 36
; NumVgprs: 51
; ScratchSize: 64
; MemoryBound: 0
; FloatMode: 240
; IeeeMode: 1
; LDSByteSize: 0 bytes/workgroup (compile time only)
; SGPRBlocks: 0
; VGPRBlocks: 3
; NumSGPRsForWavesPerEU: 36
; NumVGPRsForWavesPerEU: 51
; NamedBarCnt: 0
; Occupancy: 16
; WaveLimiterHint : 1
; COMPUTE_PGM_RSRC2:SCRATCH_EN: 1
; COMPUTE_PGM_RSRC2:USER_SGPR: 2
; COMPUTE_PGM_RSRC2:TRAP_HANDLER: 0
; COMPUTE_PGM_RSRC2:TGID_X_EN: 1
; COMPUTE_PGM_RSRC2:TGID_Y_EN: 0
; COMPUTE_PGM_RSRC2:TGID_Z_EN: 0
; COMPUTE_PGM_RSRC2:TIDIG_COMP_CNT: 0
	.section	.text._Z39paged_attention_ll4mi_QKV_mfma16_kernelIDF16_hLN4vllm18Fp8KVCacheDataTypeE1EhLi16ELi64ELi256ELb0ELi6EEvPKT_PKT0_S7_ifPKiS9_S9_iPKfiiiPfSC_PS2_PT2_iSB_SB_,"axG",@progbits,_Z39paged_attention_ll4mi_QKV_mfma16_kernelIDF16_hLN4vllm18Fp8KVCacheDataTypeE1EhLi16ELi64ELi256ELb0ELi6EEvPKT_PKT0_S7_ifPKiS9_S9_iPKfiiiPfSC_PS2_PT2_iSB_SB_,comdat
	.protected	_Z39paged_attention_ll4mi_QKV_mfma16_kernelIDF16_hLN4vllm18Fp8KVCacheDataTypeE1EhLi16ELi64ELi256ELb0ELi6EEvPKT_PKT0_S7_ifPKiS9_S9_iPKfiiiPfSC_PS2_PT2_iSB_SB_ ; -- Begin function _Z39paged_attention_ll4mi_QKV_mfma16_kernelIDF16_hLN4vllm18Fp8KVCacheDataTypeE1EhLi16ELi64ELi256ELb0ELi6EEvPKT_PKT0_S7_ifPKiS9_S9_iPKfiiiPfSC_PS2_PT2_iSB_SB_
	.globl	_Z39paged_attention_ll4mi_QKV_mfma16_kernelIDF16_hLN4vllm18Fp8KVCacheDataTypeE1EhLi16ELi64ELi256ELb0ELi6EEvPKT_PKT0_S7_ifPKiS9_S9_iPKfiiiPfSC_PS2_PT2_iSB_SB_
	.p2align	8
	.type	_Z39paged_attention_ll4mi_QKV_mfma16_kernelIDF16_hLN4vllm18Fp8KVCacheDataTypeE1EhLi16ELi64ELi256ELb0ELi6EEvPKT_PKT0_S7_ifPKiS9_S9_iPKfiiiPfSC_PS2_PT2_iSB_SB_,@function
_Z39paged_attention_ll4mi_QKV_mfma16_kernelIDF16_hLN4vllm18Fp8KVCacheDataTypeE1EhLi16ELi64ELi256ELb0ELi6EEvPKT_PKT0_S7_ifPKiS9_S9_iPKfiiiPfSC_PS2_PT2_iSB_SB_: ; @_Z39paged_attention_ll4mi_QKV_mfma16_kernelIDF16_hLN4vllm18Fp8KVCacheDataTypeE1EhLi16ELi64ELi256ELb0ELi6EEvPKT_PKT0_S7_ifPKiS9_S9_iPKfiiiPfSC_PS2_PT2_iSB_SB_
; %bb.0:
	s_get_pc_i64 s[2:3]
	s_add_nc_u64 s[2:3], s[2:3], __PRETTY_FUNCTION__._Z39paged_attention_ll4mi_QKV_mfma16_kernelIDF16_hLN4vllm18Fp8KVCacheDataTypeE1EhLi16ELi64ELi256ELb0ELi6EEvPKT_PKT0_S7_ifPKiS9_S9_iPKfiiiPfSC_PS2_PT2_iSB_SB_@rel64+4
	s_delay_alu instid0(SALU_CYCLE_1)
	v_dual_mov_b32 v0, 0xbb3 :: v_dual_mov_b32 v1, s2
	v_mov_b32_e32 v2, s3
	s_add_nc_u64 s[8:9], s[0:1], 0x90
	s_get_pc_i64 s[0:1]
	s_add_nc_u64 s[0:1], s[0:1], __assert_fail@rel64+4
	s_mov_b32 s32, 0
	s_swap_pc_i64 s[30:31], s[0:1]
	.section	.rodata,"a",@progbits
	.p2align	6, 0x0
	.amdhsa_kernel _Z39paged_attention_ll4mi_QKV_mfma16_kernelIDF16_hLN4vllm18Fp8KVCacheDataTypeE1EhLi16ELi64ELi256ELb0ELi6EEvPKT_PKT0_S7_ifPKiS9_S9_iPKfiiiPfSC_PS2_PT2_iSB_SB_
		.amdhsa_group_segment_fixed_size 0
		.amdhsa_private_segment_fixed_size 64
		.amdhsa_kernarg_size 400
		.amdhsa_user_sgpr_count 2
		.amdhsa_user_sgpr_dispatch_ptr 0
		.amdhsa_user_sgpr_queue_ptr 0
		.amdhsa_user_sgpr_kernarg_segment_ptr 1
		.amdhsa_user_sgpr_dispatch_id 0
		.amdhsa_user_sgpr_kernarg_preload_length 0
		.amdhsa_user_sgpr_kernarg_preload_offset 0
		.amdhsa_user_sgpr_private_segment_size 0
		.amdhsa_wavefront_size32 1
		.amdhsa_uses_dynamic_stack 0
		.amdhsa_enable_private_segment 1
		.amdhsa_system_sgpr_workgroup_id_x 1
		.amdhsa_system_sgpr_workgroup_id_y 0
		.amdhsa_system_sgpr_workgroup_id_z 0
		.amdhsa_system_sgpr_workgroup_info 0
		.amdhsa_system_vgpr_workitem_id 0
		.amdhsa_next_free_vgpr 51
		.amdhsa_next_free_sgpr 34
		.amdhsa_named_barrier_count 0
		.amdhsa_reserve_vcc 1
		.amdhsa_float_round_mode_32 0
		.amdhsa_float_round_mode_16_64 0
		.amdhsa_float_denorm_mode_32 3
		.amdhsa_float_denorm_mode_16_64 3
		.amdhsa_fp16_overflow 0
		.amdhsa_memory_ordered 1
		.amdhsa_forward_progress 1
		.amdhsa_inst_pref_size 1
		.amdhsa_round_robin_scheduling 0
		.amdhsa_exception_fp_ieee_invalid_op 0
		.amdhsa_exception_fp_denorm_src 0
		.amdhsa_exception_fp_ieee_div_zero 0
		.amdhsa_exception_fp_ieee_overflow 0
		.amdhsa_exception_fp_ieee_underflow 0
		.amdhsa_exception_fp_ieee_inexact 0
		.amdhsa_exception_int_div_zero 0
	.end_amdhsa_kernel
	.section	.text._Z39paged_attention_ll4mi_QKV_mfma16_kernelIDF16_hLN4vllm18Fp8KVCacheDataTypeE1EhLi16ELi64ELi256ELb0ELi6EEvPKT_PKT0_S7_ifPKiS9_S9_iPKfiiiPfSC_PS2_PT2_iSB_SB_,"axG",@progbits,_Z39paged_attention_ll4mi_QKV_mfma16_kernelIDF16_hLN4vllm18Fp8KVCacheDataTypeE1EhLi16ELi64ELi256ELb0ELi6EEvPKT_PKT0_S7_ifPKiS9_S9_iPKfiiiPfSC_PS2_PT2_iSB_SB_,comdat
.Lfunc_end795:
	.size	_Z39paged_attention_ll4mi_QKV_mfma16_kernelIDF16_hLN4vllm18Fp8KVCacheDataTypeE1EhLi16ELi64ELi256ELb0ELi6EEvPKT_PKT0_S7_ifPKiS9_S9_iPKfiiiPfSC_PS2_PT2_iSB_SB_, .Lfunc_end795-_Z39paged_attention_ll4mi_QKV_mfma16_kernelIDF16_hLN4vllm18Fp8KVCacheDataTypeE1EhLi16ELi64ELi256ELb0ELi6EEvPKT_PKT0_S7_ifPKiS9_S9_iPKfiiiPfSC_PS2_PT2_iSB_SB_
                                        ; -- End function
	.set _Z39paged_attention_ll4mi_QKV_mfma16_kernelIDF16_hLN4vllm18Fp8KVCacheDataTypeE1EhLi16ELi64ELi256ELb0ELi6EEvPKT_PKT0_S7_ifPKiS9_S9_iPKfiiiPfSC_PS2_PT2_iSB_SB_.num_vgpr, max(3, .L__assert_fail.num_vgpr)
	.set _Z39paged_attention_ll4mi_QKV_mfma16_kernelIDF16_hLN4vllm18Fp8KVCacheDataTypeE1EhLi16ELi64ELi256ELb0ELi6EEvPKT_PKT0_S7_ifPKiS9_S9_iPKfiiiPfSC_PS2_PT2_iSB_SB_.num_agpr, max(0, .L__assert_fail.num_agpr)
	.set _Z39paged_attention_ll4mi_QKV_mfma16_kernelIDF16_hLN4vllm18Fp8KVCacheDataTypeE1EhLi16ELi64ELi256ELb0ELi6EEvPKT_PKT0_S7_ifPKiS9_S9_iPKfiiiPfSC_PS2_PT2_iSB_SB_.numbered_sgpr, max(33, .L__assert_fail.numbered_sgpr)
	.set _Z39paged_attention_ll4mi_QKV_mfma16_kernelIDF16_hLN4vllm18Fp8KVCacheDataTypeE1EhLi16ELi64ELi256ELb0ELi6EEvPKT_PKT0_S7_ifPKiS9_S9_iPKfiiiPfSC_PS2_PT2_iSB_SB_.num_named_barrier, max(0, .L__assert_fail.num_named_barrier)
	.set _Z39paged_attention_ll4mi_QKV_mfma16_kernelIDF16_hLN4vllm18Fp8KVCacheDataTypeE1EhLi16ELi64ELi256ELb0ELi6EEvPKT_PKT0_S7_ifPKiS9_S9_iPKfiiiPfSC_PS2_PT2_iSB_SB_.private_seg_size, 0+max(.L__assert_fail.private_seg_size)
	.set _Z39paged_attention_ll4mi_QKV_mfma16_kernelIDF16_hLN4vllm18Fp8KVCacheDataTypeE1EhLi16ELi64ELi256ELb0ELi6EEvPKT_PKT0_S7_ifPKiS9_S9_iPKfiiiPfSC_PS2_PT2_iSB_SB_.uses_vcc, or(1, .L__assert_fail.uses_vcc)
	.set _Z39paged_attention_ll4mi_QKV_mfma16_kernelIDF16_hLN4vllm18Fp8KVCacheDataTypeE1EhLi16ELi64ELi256ELb0ELi6EEvPKT_PKT0_S7_ifPKiS9_S9_iPKfiiiPfSC_PS2_PT2_iSB_SB_.uses_flat_scratch, or(0, .L__assert_fail.uses_flat_scratch)
	.set _Z39paged_attention_ll4mi_QKV_mfma16_kernelIDF16_hLN4vllm18Fp8KVCacheDataTypeE1EhLi16ELi64ELi256ELb0ELi6EEvPKT_PKT0_S7_ifPKiS9_S9_iPKfiiiPfSC_PS2_PT2_iSB_SB_.has_dyn_sized_stack, or(0, .L__assert_fail.has_dyn_sized_stack)
	.set _Z39paged_attention_ll4mi_QKV_mfma16_kernelIDF16_hLN4vllm18Fp8KVCacheDataTypeE1EhLi16ELi64ELi256ELb0ELi6EEvPKT_PKT0_S7_ifPKiS9_S9_iPKfiiiPfSC_PS2_PT2_iSB_SB_.has_recursion, or(0, .L__assert_fail.has_recursion)
	.set _Z39paged_attention_ll4mi_QKV_mfma16_kernelIDF16_hLN4vllm18Fp8KVCacheDataTypeE1EhLi16ELi64ELi256ELb0ELi6EEvPKT_PKT0_S7_ifPKiS9_S9_iPKfiiiPfSC_PS2_PT2_iSB_SB_.has_indirect_call, or(0, .L__assert_fail.has_indirect_call)
	.section	.AMDGPU.csdata,"",@progbits
; Kernel info:
; codeLenInByte = 68
; TotalNumSgprs: 36
; NumVgprs: 51
; ScratchSize: 64
; MemoryBound: 0
; FloatMode: 240
; IeeeMode: 1
; LDSByteSize: 0 bytes/workgroup (compile time only)
; SGPRBlocks: 0
; VGPRBlocks: 3
; NumSGPRsForWavesPerEU: 36
; NumVGPRsForWavesPerEU: 51
; NamedBarCnt: 0
; Occupancy: 16
; WaveLimiterHint : 1
; COMPUTE_PGM_RSRC2:SCRATCH_EN: 1
; COMPUTE_PGM_RSRC2:USER_SGPR: 2
; COMPUTE_PGM_RSRC2:TRAP_HANDLER: 0
; COMPUTE_PGM_RSRC2:TGID_X_EN: 1
; COMPUTE_PGM_RSRC2:TGID_Y_EN: 0
; COMPUTE_PGM_RSRC2:TGID_Z_EN: 0
; COMPUTE_PGM_RSRC2:TIDIG_COMP_CNT: 0
	.section	.text._Z39paged_attention_ll4mi_QKV_mfma16_kernelIDF16_hLN4vllm18Fp8KVCacheDataTypeE1EhLi16ELi64ELi256ELb0ELi7EEvPKT_PKT0_S7_ifPKiS9_S9_iPKfiiiPfSC_PS2_PT2_iSB_SB_,"axG",@progbits,_Z39paged_attention_ll4mi_QKV_mfma16_kernelIDF16_hLN4vllm18Fp8KVCacheDataTypeE1EhLi16ELi64ELi256ELb0ELi7EEvPKT_PKT0_S7_ifPKiS9_S9_iPKfiiiPfSC_PS2_PT2_iSB_SB_,comdat
	.protected	_Z39paged_attention_ll4mi_QKV_mfma16_kernelIDF16_hLN4vllm18Fp8KVCacheDataTypeE1EhLi16ELi64ELi256ELb0ELi7EEvPKT_PKT0_S7_ifPKiS9_S9_iPKfiiiPfSC_PS2_PT2_iSB_SB_ ; -- Begin function _Z39paged_attention_ll4mi_QKV_mfma16_kernelIDF16_hLN4vllm18Fp8KVCacheDataTypeE1EhLi16ELi64ELi256ELb0ELi7EEvPKT_PKT0_S7_ifPKiS9_S9_iPKfiiiPfSC_PS2_PT2_iSB_SB_
	.globl	_Z39paged_attention_ll4mi_QKV_mfma16_kernelIDF16_hLN4vllm18Fp8KVCacheDataTypeE1EhLi16ELi64ELi256ELb0ELi7EEvPKT_PKT0_S7_ifPKiS9_S9_iPKfiiiPfSC_PS2_PT2_iSB_SB_
	.p2align	8
	.type	_Z39paged_attention_ll4mi_QKV_mfma16_kernelIDF16_hLN4vllm18Fp8KVCacheDataTypeE1EhLi16ELi64ELi256ELb0ELi7EEvPKT_PKT0_S7_ifPKiS9_S9_iPKfiiiPfSC_PS2_PT2_iSB_SB_,@function
_Z39paged_attention_ll4mi_QKV_mfma16_kernelIDF16_hLN4vllm18Fp8KVCacheDataTypeE1EhLi16ELi64ELi256ELb0ELi7EEvPKT_PKT0_S7_ifPKiS9_S9_iPKfiiiPfSC_PS2_PT2_iSB_SB_: ; @_Z39paged_attention_ll4mi_QKV_mfma16_kernelIDF16_hLN4vllm18Fp8KVCacheDataTypeE1EhLi16ELi64ELi256ELb0ELi7EEvPKT_PKT0_S7_ifPKiS9_S9_iPKfiiiPfSC_PS2_PT2_iSB_SB_
; %bb.0:
	s_get_pc_i64 s[2:3]
	s_add_nc_u64 s[2:3], s[2:3], __PRETTY_FUNCTION__._Z39paged_attention_ll4mi_QKV_mfma16_kernelIDF16_hLN4vllm18Fp8KVCacheDataTypeE1EhLi16ELi64ELi256ELb0ELi7EEvPKT_PKT0_S7_ifPKiS9_S9_iPKfiiiPfSC_PS2_PT2_iSB_SB_@rel64+4
	s_delay_alu instid0(SALU_CYCLE_1)
	v_dual_mov_b32 v0, 0xbb3 :: v_dual_mov_b32 v1, s2
	v_mov_b32_e32 v2, s3
	s_add_nc_u64 s[8:9], s[0:1], 0x90
	s_get_pc_i64 s[0:1]
	s_add_nc_u64 s[0:1], s[0:1], __assert_fail@rel64+4
	s_mov_b32 s32, 0
	s_swap_pc_i64 s[30:31], s[0:1]
	.section	.rodata,"a",@progbits
	.p2align	6, 0x0
	.amdhsa_kernel _Z39paged_attention_ll4mi_QKV_mfma16_kernelIDF16_hLN4vllm18Fp8KVCacheDataTypeE1EhLi16ELi64ELi256ELb0ELi7EEvPKT_PKT0_S7_ifPKiS9_S9_iPKfiiiPfSC_PS2_PT2_iSB_SB_
		.amdhsa_group_segment_fixed_size 0
		.amdhsa_private_segment_fixed_size 64
		.amdhsa_kernarg_size 400
		.amdhsa_user_sgpr_count 2
		.amdhsa_user_sgpr_dispatch_ptr 0
		.amdhsa_user_sgpr_queue_ptr 0
		.amdhsa_user_sgpr_kernarg_segment_ptr 1
		.amdhsa_user_sgpr_dispatch_id 0
		.amdhsa_user_sgpr_kernarg_preload_length 0
		.amdhsa_user_sgpr_kernarg_preload_offset 0
		.amdhsa_user_sgpr_private_segment_size 0
		.amdhsa_wavefront_size32 1
		.amdhsa_uses_dynamic_stack 0
		.amdhsa_enable_private_segment 1
		.amdhsa_system_sgpr_workgroup_id_x 1
		.amdhsa_system_sgpr_workgroup_id_y 0
		.amdhsa_system_sgpr_workgroup_id_z 0
		.amdhsa_system_sgpr_workgroup_info 0
		.amdhsa_system_vgpr_workitem_id 0
		.amdhsa_next_free_vgpr 51
		.amdhsa_next_free_sgpr 34
		.amdhsa_named_barrier_count 0
		.amdhsa_reserve_vcc 1
		.amdhsa_float_round_mode_32 0
		.amdhsa_float_round_mode_16_64 0
		.amdhsa_float_denorm_mode_32 3
		.amdhsa_float_denorm_mode_16_64 3
		.amdhsa_fp16_overflow 0
		.amdhsa_memory_ordered 1
		.amdhsa_forward_progress 1
		.amdhsa_inst_pref_size 1
		.amdhsa_round_robin_scheduling 0
		.amdhsa_exception_fp_ieee_invalid_op 0
		.amdhsa_exception_fp_denorm_src 0
		.amdhsa_exception_fp_ieee_div_zero 0
		.amdhsa_exception_fp_ieee_overflow 0
		.amdhsa_exception_fp_ieee_underflow 0
		.amdhsa_exception_fp_ieee_inexact 0
		.amdhsa_exception_int_div_zero 0
	.end_amdhsa_kernel
	.section	.text._Z39paged_attention_ll4mi_QKV_mfma16_kernelIDF16_hLN4vllm18Fp8KVCacheDataTypeE1EhLi16ELi64ELi256ELb0ELi7EEvPKT_PKT0_S7_ifPKiS9_S9_iPKfiiiPfSC_PS2_PT2_iSB_SB_,"axG",@progbits,_Z39paged_attention_ll4mi_QKV_mfma16_kernelIDF16_hLN4vllm18Fp8KVCacheDataTypeE1EhLi16ELi64ELi256ELb0ELi7EEvPKT_PKT0_S7_ifPKiS9_S9_iPKfiiiPfSC_PS2_PT2_iSB_SB_,comdat
.Lfunc_end796:
	.size	_Z39paged_attention_ll4mi_QKV_mfma16_kernelIDF16_hLN4vllm18Fp8KVCacheDataTypeE1EhLi16ELi64ELi256ELb0ELi7EEvPKT_PKT0_S7_ifPKiS9_S9_iPKfiiiPfSC_PS2_PT2_iSB_SB_, .Lfunc_end796-_Z39paged_attention_ll4mi_QKV_mfma16_kernelIDF16_hLN4vllm18Fp8KVCacheDataTypeE1EhLi16ELi64ELi256ELb0ELi7EEvPKT_PKT0_S7_ifPKiS9_S9_iPKfiiiPfSC_PS2_PT2_iSB_SB_
                                        ; -- End function
	.set _Z39paged_attention_ll4mi_QKV_mfma16_kernelIDF16_hLN4vllm18Fp8KVCacheDataTypeE1EhLi16ELi64ELi256ELb0ELi7EEvPKT_PKT0_S7_ifPKiS9_S9_iPKfiiiPfSC_PS2_PT2_iSB_SB_.num_vgpr, max(3, .L__assert_fail.num_vgpr)
	.set _Z39paged_attention_ll4mi_QKV_mfma16_kernelIDF16_hLN4vllm18Fp8KVCacheDataTypeE1EhLi16ELi64ELi256ELb0ELi7EEvPKT_PKT0_S7_ifPKiS9_S9_iPKfiiiPfSC_PS2_PT2_iSB_SB_.num_agpr, max(0, .L__assert_fail.num_agpr)
	.set _Z39paged_attention_ll4mi_QKV_mfma16_kernelIDF16_hLN4vllm18Fp8KVCacheDataTypeE1EhLi16ELi64ELi256ELb0ELi7EEvPKT_PKT0_S7_ifPKiS9_S9_iPKfiiiPfSC_PS2_PT2_iSB_SB_.numbered_sgpr, max(33, .L__assert_fail.numbered_sgpr)
	.set _Z39paged_attention_ll4mi_QKV_mfma16_kernelIDF16_hLN4vllm18Fp8KVCacheDataTypeE1EhLi16ELi64ELi256ELb0ELi7EEvPKT_PKT0_S7_ifPKiS9_S9_iPKfiiiPfSC_PS2_PT2_iSB_SB_.num_named_barrier, max(0, .L__assert_fail.num_named_barrier)
	.set _Z39paged_attention_ll4mi_QKV_mfma16_kernelIDF16_hLN4vllm18Fp8KVCacheDataTypeE1EhLi16ELi64ELi256ELb0ELi7EEvPKT_PKT0_S7_ifPKiS9_S9_iPKfiiiPfSC_PS2_PT2_iSB_SB_.private_seg_size, 0+max(.L__assert_fail.private_seg_size)
	.set _Z39paged_attention_ll4mi_QKV_mfma16_kernelIDF16_hLN4vllm18Fp8KVCacheDataTypeE1EhLi16ELi64ELi256ELb0ELi7EEvPKT_PKT0_S7_ifPKiS9_S9_iPKfiiiPfSC_PS2_PT2_iSB_SB_.uses_vcc, or(1, .L__assert_fail.uses_vcc)
	.set _Z39paged_attention_ll4mi_QKV_mfma16_kernelIDF16_hLN4vllm18Fp8KVCacheDataTypeE1EhLi16ELi64ELi256ELb0ELi7EEvPKT_PKT0_S7_ifPKiS9_S9_iPKfiiiPfSC_PS2_PT2_iSB_SB_.uses_flat_scratch, or(0, .L__assert_fail.uses_flat_scratch)
	.set _Z39paged_attention_ll4mi_QKV_mfma16_kernelIDF16_hLN4vllm18Fp8KVCacheDataTypeE1EhLi16ELi64ELi256ELb0ELi7EEvPKT_PKT0_S7_ifPKiS9_S9_iPKfiiiPfSC_PS2_PT2_iSB_SB_.has_dyn_sized_stack, or(0, .L__assert_fail.has_dyn_sized_stack)
	.set _Z39paged_attention_ll4mi_QKV_mfma16_kernelIDF16_hLN4vllm18Fp8KVCacheDataTypeE1EhLi16ELi64ELi256ELb0ELi7EEvPKT_PKT0_S7_ifPKiS9_S9_iPKfiiiPfSC_PS2_PT2_iSB_SB_.has_recursion, or(0, .L__assert_fail.has_recursion)
	.set _Z39paged_attention_ll4mi_QKV_mfma16_kernelIDF16_hLN4vllm18Fp8KVCacheDataTypeE1EhLi16ELi64ELi256ELb0ELi7EEvPKT_PKT0_S7_ifPKiS9_S9_iPKfiiiPfSC_PS2_PT2_iSB_SB_.has_indirect_call, or(0, .L__assert_fail.has_indirect_call)
	.section	.AMDGPU.csdata,"",@progbits
; Kernel info:
; codeLenInByte = 68
; TotalNumSgprs: 36
; NumVgprs: 51
; ScratchSize: 64
; MemoryBound: 0
; FloatMode: 240
; IeeeMode: 1
; LDSByteSize: 0 bytes/workgroup (compile time only)
; SGPRBlocks: 0
; VGPRBlocks: 3
; NumSGPRsForWavesPerEU: 36
; NumVGPRsForWavesPerEU: 51
; NamedBarCnt: 0
; Occupancy: 16
; WaveLimiterHint : 1
; COMPUTE_PGM_RSRC2:SCRATCH_EN: 1
; COMPUTE_PGM_RSRC2:USER_SGPR: 2
; COMPUTE_PGM_RSRC2:TRAP_HANDLER: 0
; COMPUTE_PGM_RSRC2:TGID_X_EN: 1
; COMPUTE_PGM_RSRC2:TGID_Y_EN: 0
; COMPUTE_PGM_RSRC2:TGID_Z_EN: 0
; COMPUTE_PGM_RSRC2:TIDIG_COMP_CNT: 0
	.section	.text._Z39paged_attention_ll4mi_QKV_mfma16_kernelIDF16_hLN4vllm18Fp8KVCacheDataTypeE1EhLi16ELi64ELi256ELb0ELi8EEvPKT_PKT0_S7_ifPKiS9_S9_iPKfiiiPfSC_PS2_PT2_iSB_SB_,"axG",@progbits,_Z39paged_attention_ll4mi_QKV_mfma16_kernelIDF16_hLN4vllm18Fp8KVCacheDataTypeE1EhLi16ELi64ELi256ELb0ELi8EEvPKT_PKT0_S7_ifPKiS9_S9_iPKfiiiPfSC_PS2_PT2_iSB_SB_,comdat
	.protected	_Z39paged_attention_ll4mi_QKV_mfma16_kernelIDF16_hLN4vllm18Fp8KVCacheDataTypeE1EhLi16ELi64ELi256ELb0ELi8EEvPKT_PKT0_S7_ifPKiS9_S9_iPKfiiiPfSC_PS2_PT2_iSB_SB_ ; -- Begin function _Z39paged_attention_ll4mi_QKV_mfma16_kernelIDF16_hLN4vllm18Fp8KVCacheDataTypeE1EhLi16ELi64ELi256ELb0ELi8EEvPKT_PKT0_S7_ifPKiS9_S9_iPKfiiiPfSC_PS2_PT2_iSB_SB_
	.globl	_Z39paged_attention_ll4mi_QKV_mfma16_kernelIDF16_hLN4vllm18Fp8KVCacheDataTypeE1EhLi16ELi64ELi256ELb0ELi8EEvPKT_PKT0_S7_ifPKiS9_S9_iPKfiiiPfSC_PS2_PT2_iSB_SB_
	.p2align	8
	.type	_Z39paged_attention_ll4mi_QKV_mfma16_kernelIDF16_hLN4vllm18Fp8KVCacheDataTypeE1EhLi16ELi64ELi256ELb0ELi8EEvPKT_PKT0_S7_ifPKiS9_S9_iPKfiiiPfSC_PS2_PT2_iSB_SB_,@function
_Z39paged_attention_ll4mi_QKV_mfma16_kernelIDF16_hLN4vllm18Fp8KVCacheDataTypeE1EhLi16ELi64ELi256ELb0ELi8EEvPKT_PKT0_S7_ifPKiS9_S9_iPKfiiiPfSC_PS2_PT2_iSB_SB_: ; @_Z39paged_attention_ll4mi_QKV_mfma16_kernelIDF16_hLN4vllm18Fp8KVCacheDataTypeE1EhLi16ELi64ELi256ELb0ELi8EEvPKT_PKT0_S7_ifPKiS9_S9_iPKfiiiPfSC_PS2_PT2_iSB_SB_
; %bb.0:
	s_get_pc_i64 s[2:3]
	s_add_nc_u64 s[2:3], s[2:3], __PRETTY_FUNCTION__._Z39paged_attention_ll4mi_QKV_mfma16_kernelIDF16_hLN4vllm18Fp8KVCacheDataTypeE1EhLi16ELi64ELi256ELb0ELi8EEvPKT_PKT0_S7_ifPKiS9_S9_iPKfiiiPfSC_PS2_PT2_iSB_SB_@rel64+4
	s_delay_alu instid0(SALU_CYCLE_1)
	v_dual_mov_b32 v0, 0xbb3 :: v_dual_mov_b32 v1, s2
	v_mov_b32_e32 v2, s3
	s_add_nc_u64 s[8:9], s[0:1], 0x90
	s_get_pc_i64 s[0:1]
	s_add_nc_u64 s[0:1], s[0:1], __assert_fail@rel64+4
	s_mov_b32 s32, 0
	s_swap_pc_i64 s[30:31], s[0:1]
	.section	.rodata,"a",@progbits
	.p2align	6, 0x0
	.amdhsa_kernel _Z39paged_attention_ll4mi_QKV_mfma16_kernelIDF16_hLN4vllm18Fp8KVCacheDataTypeE1EhLi16ELi64ELi256ELb0ELi8EEvPKT_PKT0_S7_ifPKiS9_S9_iPKfiiiPfSC_PS2_PT2_iSB_SB_
		.amdhsa_group_segment_fixed_size 0
		.amdhsa_private_segment_fixed_size 64
		.amdhsa_kernarg_size 400
		.amdhsa_user_sgpr_count 2
		.amdhsa_user_sgpr_dispatch_ptr 0
		.amdhsa_user_sgpr_queue_ptr 0
		.amdhsa_user_sgpr_kernarg_segment_ptr 1
		.amdhsa_user_sgpr_dispatch_id 0
		.amdhsa_user_sgpr_kernarg_preload_length 0
		.amdhsa_user_sgpr_kernarg_preload_offset 0
		.amdhsa_user_sgpr_private_segment_size 0
		.amdhsa_wavefront_size32 1
		.amdhsa_uses_dynamic_stack 0
		.amdhsa_enable_private_segment 1
		.amdhsa_system_sgpr_workgroup_id_x 1
		.amdhsa_system_sgpr_workgroup_id_y 0
		.amdhsa_system_sgpr_workgroup_id_z 0
		.amdhsa_system_sgpr_workgroup_info 0
		.amdhsa_system_vgpr_workitem_id 0
		.amdhsa_next_free_vgpr 51
		.amdhsa_next_free_sgpr 34
		.amdhsa_named_barrier_count 0
		.amdhsa_reserve_vcc 1
		.amdhsa_float_round_mode_32 0
		.amdhsa_float_round_mode_16_64 0
		.amdhsa_float_denorm_mode_32 3
		.amdhsa_float_denorm_mode_16_64 3
		.amdhsa_fp16_overflow 0
		.amdhsa_memory_ordered 1
		.amdhsa_forward_progress 1
		.amdhsa_inst_pref_size 1
		.amdhsa_round_robin_scheduling 0
		.amdhsa_exception_fp_ieee_invalid_op 0
		.amdhsa_exception_fp_denorm_src 0
		.amdhsa_exception_fp_ieee_div_zero 0
		.amdhsa_exception_fp_ieee_overflow 0
		.amdhsa_exception_fp_ieee_underflow 0
		.amdhsa_exception_fp_ieee_inexact 0
		.amdhsa_exception_int_div_zero 0
	.end_amdhsa_kernel
	.section	.text._Z39paged_attention_ll4mi_QKV_mfma16_kernelIDF16_hLN4vllm18Fp8KVCacheDataTypeE1EhLi16ELi64ELi256ELb0ELi8EEvPKT_PKT0_S7_ifPKiS9_S9_iPKfiiiPfSC_PS2_PT2_iSB_SB_,"axG",@progbits,_Z39paged_attention_ll4mi_QKV_mfma16_kernelIDF16_hLN4vllm18Fp8KVCacheDataTypeE1EhLi16ELi64ELi256ELb0ELi8EEvPKT_PKT0_S7_ifPKiS9_S9_iPKfiiiPfSC_PS2_PT2_iSB_SB_,comdat
.Lfunc_end797:
	.size	_Z39paged_attention_ll4mi_QKV_mfma16_kernelIDF16_hLN4vllm18Fp8KVCacheDataTypeE1EhLi16ELi64ELi256ELb0ELi8EEvPKT_PKT0_S7_ifPKiS9_S9_iPKfiiiPfSC_PS2_PT2_iSB_SB_, .Lfunc_end797-_Z39paged_attention_ll4mi_QKV_mfma16_kernelIDF16_hLN4vllm18Fp8KVCacheDataTypeE1EhLi16ELi64ELi256ELb0ELi8EEvPKT_PKT0_S7_ifPKiS9_S9_iPKfiiiPfSC_PS2_PT2_iSB_SB_
                                        ; -- End function
	.set _Z39paged_attention_ll4mi_QKV_mfma16_kernelIDF16_hLN4vllm18Fp8KVCacheDataTypeE1EhLi16ELi64ELi256ELb0ELi8EEvPKT_PKT0_S7_ifPKiS9_S9_iPKfiiiPfSC_PS2_PT2_iSB_SB_.num_vgpr, max(3, .L__assert_fail.num_vgpr)
	.set _Z39paged_attention_ll4mi_QKV_mfma16_kernelIDF16_hLN4vllm18Fp8KVCacheDataTypeE1EhLi16ELi64ELi256ELb0ELi8EEvPKT_PKT0_S7_ifPKiS9_S9_iPKfiiiPfSC_PS2_PT2_iSB_SB_.num_agpr, max(0, .L__assert_fail.num_agpr)
	.set _Z39paged_attention_ll4mi_QKV_mfma16_kernelIDF16_hLN4vllm18Fp8KVCacheDataTypeE1EhLi16ELi64ELi256ELb0ELi8EEvPKT_PKT0_S7_ifPKiS9_S9_iPKfiiiPfSC_PS2_PT2_iSB_SB_.numbered_sgpr, max(33, .L__assert_fail.numbered_sgpr)
	.set _Z39paged_attention_ll4mi_QKV_mfma16_kernelIDF16_hLN4vllm18Fp8KVCacheDataTypeE1EhLi16ELi64ELi256ELb0ELi8EEvPKT_PKT0_S7_ifPKiS9_S9_iPKfiiiPfSC_PS2_PT2_iSB_SB_.num_named_barrier, max(0, .L__assert_fail.num_named_barrier)
	.set _Z39paged_attention_ll4mi_QKV_mfma16_kernelIDF16_hLN4vllm18Fp8KVCacheDataTypeE1EhLi16ELi64ELi256ELb0ELi8EEvPKT_PKT0_S7_ifPKiS9_S9_iPKfiiiPfSC_PS2_PT2_iSB_SB_.private_seg_size, 0+max(.L__assert_fail.private_seg_size)
	.set _Z39paged_attention_ll4mi_QKV_mfma16_kernelIDF16_hLN4vllm18Fp8KVCacheDataTypeE1EhLi16ELi64ELi256ELb0ELi8EEvPKT_PKT0_S7_ifPKiS9_S9_iPKfiiiPfSC_PS2_PT2_iSB_SB_.uses_vcc, or(1, .L__assert_fail.uses_vcc)
	.set _Z39paged_attention_ll4mi_QKV_mfma16_kernelIDF16_hLN4vllm18Fp8KVCacheDataTypeE1EhLi16ELi64ELi256ELb0ELi8EEvPKT_PKT0_S7_ifPKiS9_S9_iPKfiiiPfSC_PS2_PT2_iSB_SB_.uses_flat_scratch, or(0, .L__assert_fail.uses_flat_scratch)
	.set _Z39paged_attention_ll4mi_QKV_mfma16_kernelIDF16_hLN4vllm18Fp8KVCacheDataTypeE1EhLi16ELi64ELi256ELb0ELi8EEvPKT_PKT0_S7_ifPKiS9_S9_iPKfiiiPfSC_PS2_PT2_iSB_SB_.has_dyn_sized_stack, or(0, .L__assert_fail.has_dyn_sized_stack)
	.set _Z39paged_attention_ll4mi_QKV_mfma16_kernelIDF16_hLN4vllm18Fp8KVCacheDataTypeE1EhLi16ELi64ELi256ELb0ELi8EEvPKT_PKT0_S7_ifPKiS9_S9_iPKfiiiPfSC_PS2_PT2_iSB_SB_.has_recursion, or(0, .L__assert_fail.has_recursion)
	.set _Z39paged_attention_ll4mi_QKV_mfma16_kernelIDF16_hLN4vllm18Fp8KVCacheDataTypeE1EhLi16ELi64ELi256ELb0ELi8EEvPKT_PKT0_S7_ifPKiS9_S9_iPKfiiiPfSC_PS2_PT2_iSB_SB_.has_indirect_call, or(0, .L__assert_fail.has_indirect_call)
	.section	.AMDGPU.csdata,"",@progbits
; Kernel info:
; codeLenInByte = 68
; TotalNumSgprs: 36
; NumVgprs: 51
; ScratchSize: 64
; MemoryBound: 0
; FloatMode: 240
; IeeeMode: 1
; LDSByteSize: 0 bytes/workgroup (compile time only)
; SGPRBlocks: 0
; VGPRBlocks: 3
; NumSGPRsForWavesPerEU: 36
; NumVGPRsForWavesPerEU: 51
; NamedBarCnt: 0
; Occupancy: 16
; WaveLimiterHint : 1
; COMPUTE_PGM_RSRC2:SCRATCH_EN: 1
; COMPUTE_PGM_RSRC2:USER_SGPR: 2
; COMPUTE_PGM_RSRC2:TRAP_HANDLER: 0
; COMPUTE_PGM_RSRC2:TGID_X_EN: 1
; COMPUTE_PGM_RSRC2:TGID_Y_EN: 0
; COMPUTE_PGM_RSRC2:TGID_Z_EN: 0
; COMPUTE_PGM_RSRC2:TIDIG_COMP_CNT: 0
	.section	.text._Z39paged_attention_ll4mi_QKV_mfma16_kernelIDF16_hLN4vllm18Fp8KVCacheDataTypeE1EhLi16ELi64ELi256ELb0ELi9EEvPKT_PKT0_S7_ifPKiS9_S9_iPKfiiiPfSC_PS2_PT2_iSB_SB_,"axG",@progbits,_Z39paged_attention_ll4mi_QKV_mfma16_kernelIDF16_hLN4vllm18Fp8KVCacheDataTypeE1EhLi16ELi64ELi256ELb0ELi9EEvPKT_PKT0_S7_ifPKiS9_S9_iPKfiiiPfSC_PS2_PT2_iSB_SB_,comdat
	.protected	_Z39paged_attention_ll4mi_QKV_mfma16_kernelIDF16_hLN4vllm18Fp8KVCacheDataTypeE1EhLi16ELi64ELi256ELb0ELi9EEvPKT_PKT0_S7_ifPKiS9_S9_iPKfiiiPfSC_PS2_PT2_iSB_SB_ ; -- Begin function _Z39paged_attention_ll4mi_QKV_mfma16_kernelIDF16_hLN4vllm18Fp8KVCacheDataTypeE1EhLi16ELi64ELi256ELb0ELi9EEvPKT_PKT0_S7_ifPKiS9_S9_iPKfiiiPfSC_PS2_PT2_iSB_SB_
	.globl	_Z39paged_attention_ll4mi_QKV_mfma16_kernelIDF16_hLN4vllm18Fp8KVCacheDataTypeE1EhLi16ELi64ELi256ELb0ELi9EEvPKT_PKT0_S7_ifPKiS9_S9_iPKfiiiPfSC_PS2_PT2_iSB_SB_
	.p2align	8
	.type	_Z39paged_attention_ll4mi_QKV_mfma16_kernelIDF16_hLN4vllm18Fp8KVCacheDataTypeE1EhLi16ELi64ELi256ELb0ELi9EEvPKT_PKT0_S7_ifPKiS9_S9_iPKfiiiPfSC_PS2_PT2_iSB_SB_,@function
_Z39paged_attention_ll4mi_QKV_mfma16_kernelIDF16_hLN4vllm18Fp8KVCacheDataTypeE1EhLi16ELi64ELi256ELb0ELi9EEvPKT_PKT0_S7_ifPKiS9_S9_iPKfiiiPfSC_PS2_PT2_iSB_SB_: ; @_Z39paged_attention_ll4mi_QKV_mfma16_kernelIDF16_hLN4vllm18Fp8KVCacheDataTypeE1EhLi16ELi64ELi256ELb0ELi9EEvPKT_PKT0_S7_ifPKiS9_S9_iPKfiiiPfSC_PS2_PT2_iSB_SB_
; %bb.0:
	s_get_pc_i64 s[2:3]
	s_add_nc_u64 s[2:3], s[2:3], __PRETTY_FUNCTION__._Z39paged_attention_ll4mi_QKV_mfma16_kernelIDF16_hLN4vllm18Fp8KVCacheDataTypeE1EhLi16ELi64ELi256ELb0ELi9EEvPKT_PKT0_S7_ifPKiS9_S9_iPKfiiiPfSC_PS2_PT2_iSB_SB_@rel64+4
	s_delay_alu instid0(SALU_CYCLE_1)
	v_dual_mov_b32 v0, 0xbb3 :: v_dual_mov_b32 v1, s2
	v_mov_b32_e32 v2, s3
	s_add_nc_u64 s[8:9], s[0:1], 0x90
	s_get_pc_i64 s[0:1]
	s_add_nc_u64 s[0:1], s[0:1], __assert_fail@rel64+4
	s_mov_b32 s32, 0
	s_swap_pc_i64 s[30:31], s[0:1]
	.section	.rodata,"a",@progbits
	.p2align	6, 0x0
	.amdhsa_kernel _Z39paged_attention_ll4mi_QKV_mfma16_kernelIDF16_hLN4vllm18Fp8KVCacheDataTypeE1EhLi16ELi64ELi256ELb0ELi9EEvPKT_PKT0_S7_ifPKiS9_S9_iPKfiiiPfSC_PS2_PT2_iSB_SB_
		.amdhsa_group_segment_fixed_size 0
		.amdhsa_private_segment_fixed_size 64
		.amdhsa_kernarg_size 400
		.amdhsa_user_sgpr_count 2
		.amdhsa_user_sgpr_dispatch_ptr 0
		.amdhsa_user_sgpr_queue_ptr 0
		.amdhsa_user_sgpr_kernarg_segment_ptr 1
		.amdhsa_user_sgpr_dispatch_id 0
		.amdhsa_user_sgpr_kernarg_preload_length 0
		.amdhsa_user_sgpr_kernarg_preload_offset 0
		.amdhsa_user_sgpr_private_segment_size 0
		.amdhsa_wavefront_size32 1
		.amdhsa_uses_dynamic_stack 0
		.amdhsa_enable_private_segment 1
		.amdhsa_system_sgpr_workgroup_id_x 1
		.amdhsa_system_sgpr_workgroup_id_y 0
		.amdhsa_system_sgpr_workgroup_id_z 0
		.amdhsa_system_sgpr_workgroup_info 0
		.amdhsa_system_vgpr_workitem_id 0
		.amdhsa_next_free_vgpr 51
		.amdhsa_next_free_sgpr 34
		.amdhsa_named_barrier_count 0
		.amdhsa_reserve_vcc 1
		.amdhsa_float_round_mode_32 0
		.amdhsa_float_round_mode_16_64 0
		.amdhsa_float_denorm_mode_32 3
		.amdhsa_float_denorm_mode_16_64 3
		.amdhsa_fp16_overflow 0
		.amdhsa_memory_ordered 1
		.amdhsa_forward_progress 1
		.amdhsa_inst_pref_size 1
		.amdhsa_round_robin_scheduling 0
		.amdhsa_exception_fp_ieee_invalid_op 0
		.amdhsa_exception_fp_denorm_src 0
		.amdhsa_exception_fp_ieee_div_zero 0
		.amdhsa_exception_fp_ieee_overflow 0
		.amdhsa_exception_fp_ieee_underflow 0
		.amdhsa_exception_fp_ieee_inexact 0
		.amdhsa_exception_int_div_zero 0
	.end_amdhsa_kernel
	.section	.text._Z39paged_attention_ll4mi_QKV_mfma16_kernelIDF16_hLN4vllm18Fp8KVCacheDataTypeE1EhLi16ELi64ELi256ELb0ELi9EEvPKT_PKT0_S7_ifPKiS9_S9_iPKfiiiPfSC_PS2_PT2_iSB_SB_,"axG",@progbits,_Z39paged_attention_ll4mi_QKV_mfma16_kernelIDF16_hLN4vllm18Fp8KVCacheDataTypeE1EhLi16ELi64ELi256ELb0ELi9EEvPKT_PKT0_S7_ifPKiS9_S9_iPKfiiiPfSC_PS2_PT2_iSB_SB_,comdat
.Lfunc_end798:
	.size	_Z39paged_attention_ll4mi_QKV_mfma16_kernelIDF16_hLN4vllm18Fp8KVCacheDataTypeE1EhLi16ELi64ELi256ELb0ELi9EEvPKT_PKT0_S7_ifPKiS9_S9_iPKfiiiPfSC_PS2_PT2_iSB_SB_, .Lfunc_end798-_Z39paged_attention_ll4mi_QKV_mfma16_kernelIDF16_hLN4vllm18Fp8KVCacheDataTypeE1EhLi16ELi64ELi256ELb0ELi9EEvPKT_PKT0_S7_ifPKiS9_S9_iPKfiiiPfSC_PS2_PT2_iSB_SB_
                                        ; -- End function
	.set _Z39paged_attention_ll4mi_QKV_mfma16_kernelIDF16_hLN4vllm18Fp8KVCacheDataTypeE1EhLi16ELi64ELi256ELb0ELi9EEvPKT_PKT0_S7_ifPKiS9_S9_iPKfiiiPfSC_PS2_PT2_iSB_SB_.num_vgpr, max(3, .L__assert_fail.num_vgpr)
	.set _Z39paged_attention_ll4mi_QKV_mfma16_kernelIDF16_hLN4vllm18Fp8KVCacheDataTypeE1EhLi16ELi64ELi256ELb0ELi9EEvPKT_PKT0_S7_ifPKiS9_S9_iPKfiiiPfSC_PS2_PT2_iSB_SB_.num_agpr, max(0, .L__assert_fail.num_agpr)
	.set _Z39paged_attention_ll4mi_QKV_mfma16_kernelIDF16_hLN4vllm18Fp8KVCacheDataTypeE1EhLi16ELi64ELi256ELb0ELi9EEvPKT_PKT0_S7_ifPKiS9_S9_iPKfiiiPfSC_PS2_PT2_iSB_SB_.numbered_sgpr, max(33, .L__assert_fail.numbered_sgpr)
	.set _Z39paged_attention_ll4mi_QKV_mfma16_kernelIDF16_hLN4vllm18Fp8KVCacheDataTypeE1EhLi16ELi64ELi256ELb0ELi9EEvPKT_PKT0_S7_ifPKiS9_S9_iPKfiiiPfSC_PS2_PT2_iSB_SB_.num_named_barrier, max(0, .L__assert_fail.num_named_barrier)
	.set _Z39paged_attention_ll4mi_QKV_mfma16_kernelIDF16_hLN4vllm18Fp8KVCacheDataTypeE1EhLi16ELi64ELi256ELb0ELi9EEvPKT_PKT0_S7_ifPKiS9_S9_iPKfiiiPfSC_PS2_PT2_iSB_SB_.private_seg_size, 0+max(.L__assert_fail.private_seg_size)
	.set _Z39paged_attention_ll4mi_QKV_mfma16_kernelIDF16_hLN4vllm18Fp8KVCacheDataTypeE1EhLi16ELi64ELi256ELb0ELi9EEvPKT_PKT0_S7_ifPKiS9_S9_iPKfiiiPfSC_PS2_PT2_iSB_SB_.uses_vcc, or(1, .L__assert_fail.uses_vcc)
	.set _Z39paged_attention_ll4mi_QKV_mfma16_kernelIDF16_hLN4vllm18Fp8KVCacheDataTypeE1EhLi16ELi64ELi256ELb0ELi9EEvPKT_PKT0_S7_ifPKiS9_S9_iPKfiiiPfSC_PS2_PT2_iSB_SB_.uses_flat_scratch, or(0, .L__assert_fail.uses_flat_scratch)
	.set _Z39paged_attention_ll4mi_QKV_mfma16_kernelIDF16_hLN4vllm18Fp8KVCacheDataTypeE1EhLi16ELi64ELi256ELb0ELi9EEvPKT_PKT0_S7_ifPKiS9_S9_iPKfiiiPfSC_PS2_PT2_iSB_SB_.has_dyn_sized_stack, or(0, .L__assert_fail.has_dyn_sized_stack)
	.set _Z39paged_attention_ll4mi_QKV_mfma16_kernelIDF16_hLN4vllm18Fp8KVCacheDataTypeE1EhLi16ELi64ELi256ELb0ELi9EEvPKT_PKT0_S7_ifPKiS9_S9_iPKfiiiPfSC_PS2_PT2_iSB_SB_.has_recursion, or(0, .L__assert_fail.has_recursion)
	.set _Z39paged_attention_ll4mi_QKV_mfma16_kernelIDF16_hLN4vllm18Fp8KVCacheDataTypeE1EhLi16ELi64ELi256ELb0ELi9EEvPKT_PKT0_S7_ifPKiS9_S9_iPKfiiiPfSC_PS2_PT2_iSB_SB_.has_indirect_call, or(0, .L__assert_fail.has_indirect_call)
	.section	.AMDGPU.csdata,"",@progbits
; Kernel info:
; codeLenInByte = 68
; TotalNumSgprs: 36
; NumVgprs: 51
; ScratchSize: 64
; MemoryBound: 0
; FloatMode: 240
; IeeeMode: 1
; LDSByteSize: 0 bytes/workgroup (compile time only)
; SGPRBlocks: 0
; VGPRBlocks: 3
; NumSGPRsForWavesPerEU: 36
; NumVGPRsForWavesPerEU: 51
; NamedBarCnt: 0
; Occupancy: 16
; WaveLimiterHint : 1
; COMPUTE_PGM_RSRC2:SCRATCH_EN: 1
; COMPUTE_PGM_RSRC2:USER_SGPR: 2
; COMPUTE_PGM_RSRC2:TRAP_HANDLER: 0
; COMPUTE_PGM_RSRC2:TGID_X_EN: 1
; COMPUTE_PGM_RSRC2:TGID_Y_EN: 0
; COMPUTE_PGM_RSRC2:TGID_Z_EN: 0
; COMPUTE_PGM_RSRC2:TIDIG_COMP_CNT: 0
	.section	.text._Z39paged_attention_ll4mi_QKV_mfma16_kernelIDF16_hLN4vllm18Fp8KVCacheDataTypeE1EhLi16ELi64ELi256ELb0ELi10EEvPKT_PKT0_S7_ifPKiS9_S9_iPKfiiiPfSC_PS2_PT2_iSB_SB_,"axG",@progbits,_Z39paged_attention_ll4mi_QKV_mfma16_kernelIDF16_hLN4vllm18Fp8KVCacheDataTypeE1EhLi16ELi64ELi256ELb0ELi10EEvPKT_PKT0_S7_ifPKiS9_S9_iPKfiiiPfSC_PS2_PT2_iSB_SB_,comdat
	.protected	_Z39paged_attention_ll4mi_QKV_mfma16_kernelIDF16_hLN4vllm18Fp8KVCacheDataTypeE1EhLi16ELi64ELi256ELb0ELi10EEvPKT_PKT0_S7_ifPKiS9_S9_iPKfiiiPfSC_PS2_PT2_iSB_SB_ ; -- Begin function _Z39paged_attention_ll4mi_QKV_mfma16_kernelIDF16_hLN4vllm18Fp8KVCacheDataTypeE1EhLi16ELi64ELi256ELb0ELi10EEvPKT_PKT0_S7_ifPKiS9_S9_iPKfiiiPfSC_PS2_PT2_iSB_SB_
	.globl	_Z39paged_attention_ll4mi_QKV_mfma16_kernelIDF16_hLN4vllm18Fp8KVCacheDataTypeE1EhLi16ELi64ELi256ELb0ELi10EEvPKT_PKT0_S7_ifPKiS9_S9_iPKfiiiPfSC_PS2_PT2_iSB_SB_
	.p2align	8
	.type	_Z39paged_attention_ll4mi_QKV_mfma16_kernelIDF16_hLN4vllm18Fp8KVCacheDataTypeE1EhLi16ELi64ELi256ELb0ELi10EEvPKT_PKT0_S7_ifPKiS9_S9_iPKfiiiPfSC_PS2_PT2_iSB_SB_,@function
_Z39paged_attention_ll4mi_QKV_mfma16_kernelIDF16_hLN4vllm18Fp8KVCacheDataTypeE1EhLi16ELi64ELi256ELb0ELi10EEvPKT_PKT0_S7_ifPKiS9_S9_iPKfiiiPfSC_PS2_PT2_iSB_SB_: ; @_Z39paged_attention_ll4mi_QKV_mfma16_kernelIDF16_hLN4vllm18Fp8KVCacheDataTypeE1EhLi16ELi64ELi256ELb0ELi10EEvPKT_PKT0_S7_ifPKiS9_S9_iPKfiiiPfSC_PS2_PT2_iSB_SB_
; %bb.0:
	s_get_pc_i64 s[2:3]
	s_add_nc_u64 s[2:3], s[2:3], __PRETTY_FUNCTION__._Z39paged_attention_ll4mi_QKV_mfma16_kernelIDF16_hLN4vllm18Fp8KVCacheDataTypeE1EhLi16ELi64ELi256ELb0ELi10EEvPKT_PKT0_S7_ifPKiS9_S9_iPKfiiiPfSC_PS2_PT2_iSB_SB_@rel64+4
	s_delay_alu instid0(SALU_CYCLE_1)
	v_dual_mov_b32 v0, 0xbb3 :: v_dual_mov_b32 v1, s2
	v_mov_b32_e32 v2, s3
	s_add_nc_u64 s[8:9], s[0:1], 0x90
	s_get_pc_i64 s[0:1]
	s_add_nc_u64 s[0:1], s[0:1], __assert_fail@rel64+4
	s_mov_b32 s32, 0
	s_swap_pc_i64 s[30:31], s[0:1]
	.section	.rodata,"a",@progbits
	.p2align	6, 0x0
	.amdhsa_kernel _Z39paged_attention_ll4mi_QKV_mfma16_kernelIDF16_hLN4vllm18Fp8KVCacheDataTypeE1EhLi16ELi64ELi256ELb0ELi10EEvPKT_PKT0_S7_ifPKiS9_S9_iPKfiiiPfSC_PS2_PT2_iSB_SB_
		.amdhsa_group_segment_fixed_size 0
		.amdhsa_private_segment_fixed_size 64
		.amdhsa_kernarg_size 400
		.amdhsa_user_sgpr_count 2
		.amdhsa_user_sgpr_dispatch_ptr 0
		.amdhsa_user_sgpr_queue_ptr 0
		.amdhsa_user_sgpr_kernarg_segment_ptr 1
		.amdhsa_user_sgpr_dispatch_id 0
		.amdhsa_user_sgpr_kernarg_preload_length 0
		.amdhsa_user_sgpr_kernarg_preload_offset 0
		.amdhsa_user_sgpr_private_segment_size 0
		.amdhsa_wavefront_size32 1
		.amdhsa_uses_dynamic_stack 0
		.amdhsa_enable_private_segment 1
		.amdhsa_system_sgpr_workgroup_id_x 1
		.amdhsa_system_sgpr_workgroup_id_y 0
		.amdhsa_system_sgpr_workgroup_id_z 0
		.amdhsa_system_sgpr_workgroup_info 0
		.amdhsa_system_vgpr_workitem_id 0
		.amdhsa_next_free_vgpr 51
		.amdhsa_next_free_sgpr 34
		.amdhsa_named_barrier_count 0
		.amdhsa_reserve_vcc 1
		.amdhsa_float_round_mode_32 0
		.amdhsa_float_round_mode_16_64 0
		.amdhsa_float_denorm_mode_32 3
		.amdhsa_float_denorm_mode_16_64 3
		.amdhsa_fp16_overflow 0
		.amdhsa_memory_ordered 1
		.amdhsa_forward_progress 1
		.amdhsa_inst_pref_size 1
		.amdhsa_round_robin_scheduling 0
		.amdhsa_exception_fp_ieee_invalid_op 0
		.amdhsa_exception_fp_denorm_src 0
		.amdhsa_exception_fp_ieee_div_zero 0
		.amdhsa_exception_fp_ieee_overflow 0
		.amdhsa_exception_fp_ieee_underflow 0
		.amdhsa_exception_fp_ieee_inexact 0
		.amdhsa_exception_int_div_zero 0
	.end_amdhsa_kernel
	.section	.text._Z39paged_attention_ll4mi_QKV_mfma16_kernelIDF16_hLN4vllm18Fp8KVCacheDataTypeE1EhLi16ELi64ELi256ELb0ELi10EEvPKT_PKT0_S7_ifPKiS9_S9_iPKfiiiPfSC_PS2_PT2_iSB_SB_,"axG",@progbits,_Z39paged_attention_ll4mi_QKV_mfma16_kernelIDF16_hLN4vllm18Fp8KVCacheDataTypeE1EhLi16ELi64ELi256ELb0ELi10EEvPKT_PKT0_S7_ifPKiS9_S9_iPKfiiiPfSC_PS2_PT2_iSB_SB_,comdat
.Lfunc_end799:
	.size	_Z39paged_attention_ll4mi_QKV_mfma16_kernelIDF16_hLN4vllm18Fp8KVCacheDataTypeE1EhLi16ELi64ELi256ELb0ELi10EEvPKT_PKT0_S7_ifPKiS9_S9_iPKfiiiPfSC_PS2_PT2_iSB_SB_, .Lfunc_end799-_Z39paged_attention_ll4mi_QKV_mfma16_kernelIDF16_hLN4vllm18Fp8KVCacheDataTypeE1EhLi16ELi64ELi256ELb0ELi10EEvPKT_PKT0_S7_ifPKiS9_S9_iPKfiiiPfSC_PS2_PT2_iSB_SB_
                                        ; -- End function
	.set _Z39paged_attention_ll4mi_QKV_mfma16_kernelIDF16_hLN4vllm18Fp8KVCacheDataTypeE1EhLi16ELi64ELi256ELb0ELi10EEvPKT_PKT0_S7_ifPKiS9_S9_iPKfiiiPfSC_PS2_PT2_iSB_SB_.num_vgpr, max(3, .L__assert_fail.num_vgpr)
	.set _Z39paged_attention_ll4mi_QKV_mfma16_kernelIDF16_hLN4vllm18Fp8KVCacheDataTypeE1EhLi16ELi64ELi256ELb0ELi10EEvPKT_PKT0_S7_ifPKiS9_S9_iPKfiiiPfSC_PS2_PT2_iSB_SB_.num_agpr, max(0, .L__assert_fail.num_agpr)
	.set _Z39paged_attention_ll4mi_QKV_mfma16_kernelIDF16_hLN4vllm18Fp8KVCacheDataTypeE1EhLi16ELi64ELi256ELb0ELi10EEvPKT_PKT0_S7_ifPKiS9_S9_iPKfiiiPfSC_PS2_PT2_iSB_SB_.numbered_sgpr, max(33, .L__assert_fail.numbered_sgpr)
	.set _Z39paged_attention_ll4mi_QKV_mfma16_kernelIDF16_hLN4vllm18Fp8KVCacheDataTypeE1EhLi16ELi64ELi256ELb0ELi10EEvPKT_PKT0_S7_ifPKiS9_S9_iPKfiiiPfSC_PS2_PT2_iSB_SB_.num_named_barrier, max(0, .L__assert_fail.num_named_barrier)
	.set _Z39paged_attention_ll4mi_QKV_mfma16_kernelIDF16_hLN4vllm18Fp8KVCacheDataTypeE1EhLi16ELi64ELi256ELb0ELi10EEvPKT_PKT0_S7_ifPKiS9_S9_iPKfiiiPfSC_PS2_PT2_iSB_SB_.private_seg_size, 0+max(.L__assert_fail.private_seg_size)
	.set _Z39paged_attention_ll4mi_QKV_mfma16_kernelIDF16_hLN4vllm18Fp8KVCacheDataTypeE1EhLi16ELi64ELi256ELb0ELi10EEvPKT_PKT0_S7_ifPKiS9_S9_iPKfiiiPfSC_PS2_PT2_iSB_SB_.uses_vcc, or(1, .L__assert_fail.uses_vcc)
	.set _Z39paged_attention_ll4mi_QKV_mfma16_kernelIDF16_hLN4vllm18Fp8KVCacheDataTypeE1EhLi16ELi64ELi256ELb0ELi10EEvPKT_PKT0_S7_ifPKiS9_S9_iPKfiiiPfSC_PS2_PT2_iSB_SB_.uses_flat_scratch, or(0, .L__assert_fail.uses_flat_scratch)
	.set _Z39paged_attention_ll4mi_QKV_mfma16_kernelIDF16_hLN4vllm18Fp8KVCacheDataTypeE1EhLi16ELi64ELi256ELb0ELi10EEvPKT_PKT0_S7_ifPKiS9_S9_iPKfiiiPfSC_PS2_PT2_iSB_SB_.has_dyn_sized_stack, or(0, .L__assert_fail.has_dyn_sized_stack)
	.set _Z39paged_attention_ll4mi_QKV_mfma16_kernelIDF16_hLN4vllm18Fp8KVCacheDataTypeE1EhLi16ELi64ELi256ELb0ELi10EEvPKT_PKT0_S7_ifPKiS9_S9_iPKfiiiPfSC_PS2_PT2_iSB_SB_.has_recursion, or(0, .L__assert_fail.has_recursion)
	.set _Z39paged_attention_ll4mi_QKV_mfma16_kernelIDF16_hLN4vllm18Fp8KVCacheDataTypeE1EhLi16ELi64ELi256ELb0ELi10EEvPKT_PKT0_S7_ifPKiS9_S9_iPKfiiiPfSC_PS2_PT2_iSB_SB_.has_indirect_call, or(0, .L__assert_fail.has_indirect_call)
	.section	.AMDGPU.csdata,"",@progbits
; Kernel info:
; codeLenInByte = 68
; TotalNumSgprs: 36
; NumVgprs: 51
; ScratchSize: 64
; MemoryBound: 0
; FloatMode: 240
; IeeeMode: 1
; LDSByteSize: 0 bytes/workgroup (compile time only)
; SGPRBlocks: 0
; VGPRBlocks: 3
; NumSGPRsForWavesPerEU: 36
; NumVGPRsForWavesPerEU: 51
; NamedBarCnt: 0
; Occupancy: 16
; WaveLimiterHint : 1
; COMPUTE_PGM_RSRC2:SCRATCH_EN: 1
; COMPUTE_PGM_RSRC2:USER_SGPR: 2
; COMPUTE_PGM_RSRC2:TRAP_HANDLER: 0
; COMPUTE_PGM_RSRC2:TGID_X_EN: 1
; COMPUTE_PGM_RSRC2:TGID_Y_EN: 0
; COMPUTE_PGM_RSRC2:TGID_Z_EN: 0
; COMPUTE_PGM_RSRC2:TIDIG_COMP_CNT: 0
	.section	.text._Z39paged_attention_ll4mi_QKV_mfma16_kernelIDF16_hLN4vllm18Fp8KVCacheDataTypeE1EhLi16ELi64ELi256ELb0ELi11EEvPKT_PKT0_S7_ifPKiS9_S9_iPKfiiiPfSC_PS2_PT2_iSB_SB_,"axG",@progbits,_Z39paged_attention_ll4mi_QKV_mfma16_kernelIDF16_hLN4vllm18Fp8KVCacheDataTypeE1EhLi16ELi64ELi256ELb0ELi11EEvPKT_PKT0_S7_ifPKiS9_S9_iPKfiiiPfSC_PS2_PT2_iSB_SB_,comdat
	.protected	_Z39paged_attention_ll4mi_QKV_mfma16_kernelIDF16_hLN4vllm18Fp8KVCacheDataTypeE1EhLi16ELi64ELi256ELb0ELi11EEvPKT_PKT0_S7_ifPKiS9_S9_iPKfiiiPfSC_PS2_PT2_iSB_SB_ ; -- Begin function _Z39paged_attention_ll4mi_QKV_mfma16_kernelIDF16_hLN4vllm18Fp8KVCacheDataTypeE1EhLi16ELi64ELi256ELb0ELi11EEvPKT_PKT0_S7_ifPKiS9_S9_iPKfiiiPfSC_PS2_PT2_iSB_SB_
	.globl	_Z39paged_attention_ll4mi_QKV_mfma16_kernelIDF16_hLN4vllm18Fp8KVCacheDataTypeE1EhLi16ELi64ELi256ELb0ELi11EEvPKT_PKT0_S7_ifPKiS9_S9_iPKfiiiPfSC_PS2_PT2_iSB_SB_
	.p2align	8
	.type	_Z39paged_attention_ll4mi_QKV_mfma16_kernelIDF16_hLN4vllm18Fp8KVCacheDataTypeE1EhLi16ELi64ELi256ELb0ELi11EEvPKT_PKT0_S7_ifPKiS9_S9_iPKfiiiPfSC_PS2_PT2_iSB_SB_,@function
_Z39paged_attention_ll4mi_QKV_mfma16_kernelIDF16_hLN4vllm18Fp8KVCacheDataTypeE1EhLi16ELi64ELi256ELb0ELi11EEvPKT_PKT0_S7_ifPKiS9_S9_iPKfiiiPfSC_PS2_PT2_iSB_SB_: ; @_Z39paged_attention_ll4mi_QKV_mfma16_kernelIDF16_hLN4vllm18Fp8KVCacheDataTypeE1EhLi16ELi64ELi256ELb0ELi11EEvPKT_PKT0_S7_ifPKiS9_S9_iPKfiiiPfSC_PS2_PT2_iSB_SB_
; %bb.0:
	s_get_pc_i64 s[2:3]
	s_add_nc_u64 s[2:3], s[2:3], __PRETTY_FUNCTION__._Z39paged_attention_ll4mi_QKV_mfma16_kernelIDF16_hLN4vllm18Fp8KVCacheDataTypeE1EhLi16ELi64ELi256ELb0ELi11EEvPKT_PKT0_S7_ifPKiS9_S9_iPKfiiiPfSC_PS2_PT2_iSB_SB_@rel64+4
	s_delay_alu instid0(SALU_CYCLE_1)
	v_dual_mov_b32 v0, 0xbb3 :: v_dual_mov_b32 v1, s2
	v_mov_b32_e32 v2, s3
	s_add_nc_u64 s[8:9], s[0:1], 0x90
	s_get_pc_i64 s[0:1]
	s_add_nc_u64 s[0:1], s[0:1], __assert_fail@rel64+4
	s_mov_b32 s32, 0
	s_swap_pc_i64 s[30:31], s[0:1]
	.section	.rodata,"a",@progbits
	.p2align	6, 0x0
	.amdhsa_kernel _Z39paged_attention_ll4mi_QKV_mfma16_kernelIDF16_hLN4vllm18Fp8KVCacheDataTypeE1EhLi16ELi64ELi256ELb0ELi11EEvPKT_PKT0_S7_ifPKiS9_S9_iPKfiiiPfSC_PS2_PT2_iSB_SB_
		.amdhsa_group_segment_fixed_size 0
		.amdhsa_private_segment_fixed_size 64
		.amdhsa_kernarg_size 400
		.amdhsa_user_sgpr_count 2
		.amdhsa_user_sgpr_dispatch_ptr 0
		.amdhsa_user_sgpr_queue_ptr 0
		.amdhsa_user_sgpr_kernarg_segment_ptr 1
		.amdhsa_user_sgpr_dispatch_id 0
		.amdhsa_user_sgpr_kernarg_preload_length 0
		.amdhsa_user_sgpr_kernarg_preload_offset 0
		.amdhsa_user_sgpr_private_segment_size 0
		.amdhsa_wavefront_size32 1
		.amdhsa_uses_dynamic_stack 0
		.amdhsa_enable_private_segment 1
		.amdhsa_system_sgpr_workgroup_id_x 1
		.amdhsa_system_sgpr_workgroup_id_y 0
		.amdhsa_system_sgpr_workgroup_id_z 0
		.amdhsa_system_sgpr_workgroup_info 0
		.amdhsa_system_vgpr_workitem_id 0
		.amdhsa_next_free_vgpr 51
		.amdhsa_next_free_sgpr 34
		.amdhsa_named_barrier_count 0
		.amdhsa_reserve_vcc 1
		.amdhsa_float_round_mode_32 0
		.amdhsa_float_round_mode_16_64 0
		.amdhsa_float_denorm_mode_32 3
		.amdhsa_float_denorm_mode_16_64 3
		.amdhsa_fp16_overflow 0
		.amdhsa_memory_ordered 1
		.amdhsa_forward_progress 1
		.amdhsa_inst_pref_size 1
		.amdhsa_round_robin_scheduling 0
		.amdhsa_exception_fp_ieee_invalid_op 0
		.amdhsa_exception_fp_denorm_src 0
		.amdhsa_exception_fp_ieee_div_zero 0
		.amdhsa_exception_fp_ieee_overflow 0
		.amdhsa_exception_fp_ieee_underflow 0
		.amdhsa_exception_fp_ieee_inexact 0
		.amdhsa_exception_int_div_zero 0
	.end_amdhsa_kernel
	.section	.text._Z39paged_attention_ll4mi_QKV_mfma16_kernelIDF16_hLN4vllm18Fp8KVCacheDataTypeE1EhLi16ELi64ELi256ELb0ELi11EEvPKT_PKT0_S7_ifPKiS9_S9_iPKfiiiPfSC_PS2_PT2_iSB_SB_,"axG",@progbits,_Z39paged_attention_ll4mi_QKV_mfma16_kernelIDF16_hLN4vllm18Fp8KVCacheDataTypeE1EhLi16ELi64ELi256ELb0ELi11EEvPKT_PKT0_S7_ifPKiS9_S9_iPKfiiiPfSC_PS2_PT2_iSB_SB_,comdat
.Lfunc_end800:
	.size	_Z39paged_attention_ll4mi_QKV_mfma16_kernelIDF16_hLN4vllm18Fp8KVCacheDataTypeE1EhLi16ELi64ELi256ELb0ELi11EEvPKT_PKT0_S7_ifPKiS9_S9_iPKfiiiPfSC_PS2_PT2_iSB_SB_, .Lfunc_end800-_Z39paged_attention_ll4mi_QKV_mfma16_kernelIDF16_hLN4vllm18Fp8KVCacheDataTypeE1EhLi16ELi64ELi256ELb0ELi11EEvPKT_PKT0_S7_ifPKiS9_S9_iPKfiiiPfSC_PS2_PT2_iSB_SB_
                                        ; -- End function
	.set _Z39paged_attention_ll4mi_QKV_mfma16_kernelIDF16_hLN4vllm18Fp8KVCacheDataTypeE1EhLi16ELi64ELi256ELb0ELi11EEvPKT_PKT0_S7_ifPKiS9_S9_iPKfiiiPfSC_PS2_PT2_iSB_SB_.num_vgpr, max(3, .L__assert_fail.num_vgpr)
	.set _Z39paged_attention_ll4mi_QKV_mfma16_kernelIDF16_hLN4vllm18Fp8KVCacheDataTypeE1EhLi16ELi64ELi256ELb0ELi11EEvPKT_PKT0_S7_ifPKiS9_S9_iPKfiiiPfSC_PS2_PT2_iSB_SB_.num_agpr, max(0, .L__assert_fail.num_agpr)
	.set _Z39paged_attention_ll4mi_QKV_mfma16_kernelIDF16_hLN4vllm18Fp8KVCacheDataTypeE1EhLi16ELi64ELi256ELb0ELi11EEvPKT_PKT0_S7_ifPKiS9_S9_iPKfiiiPfSC_PS2_PT2_iSB_SB_.numbered_sgpr, max(33, .L__assert_fail.numbered_sgpr)
	.set _Z39paged_attention_ll4mi_QKV_mfma16_kernelIDF16_hLN4vllm18Fp8KVCacheDataTypeE1EhLi16ELi64ELi256ELb0ELi11EEvPKT_PKT0_S7_ifPKiS9_S9_iPKfiiiPfSC_PS2_PT2_iSB_SB_.num_named_barrier, max(0, .L__assert_fail.num_named_barrier)
	.set _Z39paged_attention_ll4mi_QKV_mfma16_kernelIDF16_hLN4vllm18Fp8KVCacheDataTypeE1EhLi16ELi64ELi256ELb0ELi11EEvPKT_PKT0_S7_ifPKiS9_S9_iPKfiiiPfSC_PS2_PT2_iSB_SB_.private_seg_size, 0+max(.L__assert_fail.private_seg_size)
	.set _Z39paged_attention_ll4mi_QKV_mfma16_kernelIDF16_hLN4vllm18Fp8KVCacheDataTypeE1EhLi16ELi64ELi256ELb0ELi11EEvPKT_PKT0_S7_ifPKiS9_S9_iPKfiiiPfSC_PS2_PT2_iSB_SB_.uses_vcc, or(1, .L__assert_fail.uses_vcc)
	.set _Z39paged_attention_ll4mi_QKV_mfma16_kernelIDF16_hLN4vllm18Fp8KVCacheDataTypeE1EhLi16ELi64ELi256ELb0ELi11EEvPKT_PKT0_S7_ifPKiS9_S9_iPKfiiiPfSC_PS2_PT2_iSB_SB_.uses_flat_scratch, or(0, .L__assert_fail.uses_flat_scratch)
	.set _Z39paged_attention_ll4mi_QKV_mfma16_kernelIDF16_hLN4vllm18Fp8KVCacheDataTypeE1EhLi16ELi64ELi256ELb0ELi11EEvPKT_PKT0_S7_ifPKiS9_S9_iPKfiiiPfSC_PS2_PT2_iSB_SB_.has_dyn_sized_stack, or(0, .L__assert_fail.has_dyn_sized_stack)
	.set _Z39paged_attention_ll4mi_QKV_mfma16_kernelIDF16_hLN4vllm18Fp8KVCacheDataTypeE1EhLi16ELi64ELi256ELb0ELi11EEvPKT_PKT0_S7_ifPKiS9_S9_iPKfiiiPfSC_PS2_PT2_iSB_SB_.has_recursion, or(0, .L__assert_fail.has_recursion)
	.set _Z39paged_attention_ll4mi_QKV_mfma16_kernelIDF16_hLN4vllm18Fp8KVCacheDataTypeE1EhLi16ELi64ELi256ELb0ELi11EEvPKT_PKT0_S7_ifPKiS9_S9_iPKfiiiPfSC_PS2_PT2_iSB_SB_.has_indirect_call, or(0, .L__assert_fail.has_indirect_call)
	.section	.AMDGPU.csdata,"",@progbits
; Kernel info:
; codeLenInByte = 68
; TotalNumSgprs: 36
; NumVgprs: 51
; ScratchSize: 64
; MemoryBound: 0
; FloatMode: 240
; IeeeMode: 1
; LDSByteSize: 0 bytes/workgroup (compile time only)
; SGPRBlocks: 0
; VGPRBlocks: 3
; NumSGPRsForWavesPerEU: 36
; NumVGPRsForWavesPerEU: 51
; NamedBarCnt: 0
; Occupancy: 16
; WaveLimiterHint : 1
; COMPUTE_PGM_RSRC2:SCRATCH_EN: 1
; COMPUTE_PGM_RSRC2:USER_SGPR: 2
; COMPUTE_PGM_RSRC2:TRAP_HANDLER: 0
; COMPUTE_PGM_RSRC2:TGID_X_EN: 1
; COMPUTE_PGM_RSRC2:TGID_Y_EN: 0
; COMPUTE_PGM_RSRC2:TGID_Z_EN: 0
; COMPUTE_PGM_RSRC2:TIDIG_COMP_CNT: 0
	.section	.text._Z39paged_attention_ll4mi_QKV_mfma16_kernelIDF16_hLN4vllm18Fp8KVCacheDataTypeE1EhLi16ELi64ELi256ELb0ELi12EEvPKT_PKT0_S7_ifPKiS9_S9_iPKfiiiPfSC_PS2_PT2_iSB_SB_,"axG",@progbits,_Z39paged_attention_ll4mi_QKV_mfma16_kernelIDF16_hLN4vllm18Fp8KVCacheDataTypeE1EhLi16ELi64ELi256ELb0ELi12EEvPKT_PKT0_S7_ifPKiS9_S9_iPKfiiiPfSC_PS2_PT2_iSB_SB_,comdat
	.protected	_Z39paged_attention_ll4mi_QKV_mfma16_kernelIDF16_hLN4vllm18Fp8KVCacheDataTypeE1EhLi16ELi64ELi256ELb0ELi12EEvPKT_PKT0_S7_ifPKiS9_S9_iPKfiiiPfSC_PS2_PT2_iSB_SB_ ; -- Begin function _Z39paged_attention_ll4mi_QKV_mfma16_kernelIDF16_hLN4vllm18Fp8KVCacheDataTypeE1EhLi16ELi64ELi256ELb0ELi12EEvPKT_PKT0_S7_ifPKiS9_S9_iPKfiiiPfSC_PS2_PT2_iSB_SB_
	.globl	_Z39paged_attention_ll4mi_QKV_mfma16_kernelIDF16_hLN4vllm18Fp8KVCacheDataTypeE1EhLi16ELi64ELi256ELb0ELi12EEvPKT_PKT0_S7_ifPKiS9_S9_iPKfiiiPfSC_PS2_PT2_iSB_SB_
	.p2align	8
	.type	_Z39paged_attention_ll4mi_QKV_mfma16_kernelIDF16_hLN4vllm18Fp8KVCacheDataTypeE1EhLi16ELi64ELi256ELb0ELi12EEvPKT_PKT0_S7_ifPKiS9_S9_iPKfiiiPfSC_PS2_PT2_iSB_SB_,@function
_Z39paged_attention_ll4mi_QKV_mfma16_kernelIDF16_hLN4vllm18Fp8KVCacheDataTypeE1EhLi16ELi64ELi256ELb0ELi12EEvPKT_PKT0_S7_ifPKiS9_S9_iPKfiiiPfSC_PS2_PT2_iSB_SB_: ; @_Z39paged_attention_ll4mi_QKV_mfma16_kernelIDF16_hLN4vllm18Fp8KVCacheDataTypeE1EhLi16ELi64ELi256ELb0ELi12EEvPKT_PKT0_S7_ifPKiS9_S9_iPKfiiiPfSC_PS2_PT2_iSB_SB_
; %bb.0:
	s_get_pc_i64 s[2:3]
	s_add_nc_u64 s[2:3], s[2:3], __PRETTY_FUNCTION__._Z39paged_attention_ll4mi_QKV_mfma16_kernelIDF16_hLN4vllm18Fp8KVCacheDataTypeE1EhLi16ELi64ELi256ELb0ELi12EEvPKT_PKT0_S7_ifPKiS9_S9_iPKfiiiPfSC_PS2_PT2_iSB_SB_@rel64+4
	s_delay_alu instid0(SALU_CYCLE_1)
	v_dual_mov_b32 v0, 0xbb3 :: v_dual_mov_b32 v1, s2
	v_mov_b32_e32 v2, s3
	s_add_nc_u64 s[8:9], s[0:1], 0x90
	s_get_pc_i64 s[0:1]
	s_add_nc_u64 s[0:1], s[0:1], __assert_fail@rel64+4
	s_mov_b32 s32, 0
	s_swap_pc_i64 s[30:31], s[0:1]
	.section	.rodata,"a",@progbits
	.p2align	6, 0x0
	.amdhsa_kernel _Z39paged_attention_ll4mi_QKV_mfma16_kernelIDF16_hLN4vllm18Fp8KVCacheDataTypeE1EhLi16ELi64ELi256ELb0ELi12EEvPKT_PKT0_S7_ifPKiS9_S9_iPKfiiiPfSC_PS2_PT2_iSB_SB_
		.amdhsa_group_segment_fixed_size 0
		.amdhsa_private_segment_fixed_size 64
		.amdhsa_kernarg_size 400
		.amdhsa_user_sgpr_count 2
		.amdhsa_user_sgpr_dispatch_ptr 0
		.amdhsa_user_sgpr_queue_ptr 0
		.amdhsa_user_sgpr_kernarg_segment_ptr 1
		.amdhsa_user_sgpr_dispatch_id 0
		.amdhsa_user_sgpr_kernarg_preload_length 0
		.amdhsa_user_sgpr_kernarg_preload_offset 0
		.amdhsa_user_sgpr_private_segment_size 0
		.amdhsa_wavefront_size32 1
		.amdhsa_uses_dynamic_stack 0
		.amdhsa_enable_private_segment 1
		.amdhsa_system_sgpr_workgroup_id_x 1
		.amdhsa_system_sgpr_workgroup_id_y 0
		.amdhsa_system_sgpr_workgroup_id_z 0
		.amdhsa_system_sgpr_workgroup_info 0
		.amdhsa_system_vgpr_workitem_id 0
		.amdhsa_next_free_vgpr 51
		.amdhsa_next_free_sgpr 34
		.amdhsa_named_barrier_count 0
		.amdhsa_reserve_vcc 1
		.amdhsa_float_round_mode_32 0
		.amdhsa_float_round_mode_16_64 0
		.amdhsa_float_denorm_mode_32 3
		.amdhsa_float_denorm_mode_16_64 3
		.amdhsa_fp16_overflow 0
		.amdhsa_memory_ordered 1
		.amdhsa_forward_progress 1
		.amdhsa_inst_pref_size 1
		.amdhsa_round_robin_scheduling 0
		.amdhsa_exception_fp_ieee_invalid_op 0
		.amdhsa_exception_fp_denorm_src 0
		.amdhsa_exception_fp_ieee_div_zero 0
		.amdhsa_exception_fp_ieee_overflow 0
		.amdhsa_exception_fp_ieee_underflow 0
		.amdhsa_exception_fp_ieee_inexact 0
		.amdhsa_exception_int_div_zero 0
	.end_amdhsa_kernel
	.section	.text._Z39paged_attention_ll4mi_QKV_mfma16_kernelIDF16_hLN4vllm18Fp8KVCacheDataTypeE1EhLi16ELi64ELi256ELb0ELi12EEvPKT_PKT0_S7_ifPKiS9_S9_iPKfiiiPfSC_PS2_PT2_iSB_SB_,"axG",@progbits,_Z39paged_attention_ll4mi_QKV_mfma16_kernelIDF16_hLN4vllm18Fp8KVCacheDataTypeE1EhLi16ELi64ELi256ELb0ELi12EEvPKT_PKT0_S7_ifPKiS9_S9_iPKfiiiPfSC_PS2_PT2_iSB_SB_,comdat
.Lfunc_end801:
	.size	_Z39paged_attention_ll4mi_QKV_mfma16_kernelIDF16_hLN4vllm18Fp8KVCacheDataTypeE1EhLi16ELi64ELi256ELb0ELi12EEvPKT_PKT0_S7_ifPKiS9_S9_iPKfiiiPfSC_PS2_PT2_iSB_SB_, .Lfunc_end801-_Z39paged_attention_ll4mi_QKV_mfma16_kernelIDF16_hLN4vllm18Fp8KVCacheDataTypeE1EhLi16ELi64ELi256ELb0ELi12EEvPKT_PKT0_S7_ifPKiS9_S9_iPKfiiiPfSC_PS2_PT2_iSB_SB_
                                        ; -- End function
	.set _Z39paged_attention_ll4mi_QKV_mfma16_kernelIDF16_hLN4vllm18Fp8KVCacheDataTypeE1EhLi16ELi64ELi256ELb0ELi12EEvPKT_PKT0_S7_ifPKiS9_S9_iPKfiiiPfSC_PS2_PT2_iSB_SB_.num_vgpr, max(3, .L__assert_fail.num_vgpr)
	.set _Z39paged_attention_ll4mi_QKV_mfma16_kernelIDF16_hLN4vllm18Fp8KVCacheDataTypeE1EhLi16ELi64ELi256ELb0ELi12EEvPKT_PKT0_S7_ifPKiS9_S9_iPKfiiiPfSC_PS2_PT2_iSB_SB_.num_agpr, max(0, .L__assert_fail.num_agpr)
	.set _Z39paged_attention_ll4mi_QKV_mfma16_kernelIDF16_hLN4vllm18Fp8KVCacheDataTypeE1EhLi16ELi64ELi256ELb0ELi12EEvPKT_PKT0_S7_ifPKiS9_S9_iPKfiiiPfSC_PS2_PT2_iSB_SB_.numbered_sgpr, max(33, .L__assert_fail.numbered_sgpr)
	.set _Z39paged_attention_ll4mi_QKV_mfma16_kernelIDF16_hLN4vllm18Fp8KVCacheDataTypeE1EhLi16ELi64ELi256ELb0ELi12EEvPKT_PKT0_S7_ifPKiS9_S9_iPKfiiiPfSC_PS2_PT2_iSB_SB_.num_named_barrier, max(0, .L__assert_fail.num_named_barrier)
	.set _Z39paged_attention_ll4mi_QKV_mfma16_kernelIDF16_hLN4vllm18Fp8KVCacheDataTypeE1EhLi16ELi64ELi256ELb0ELi12EEvPKT_PKT0_S7_ifPKiS9_S9_iPKfiiiPfSC_PS2_PT2_iSB_SB_.private_seg_size, 0+max(.L__assert_fail.private_seg_size)
	.set _Z39paged_attention_ll4mi_QKV_mfma16_kernelIDF16_hLN4vllm18Fp8KVCacheDataTypeE1EhLi16ELi64ELi256ELb0ELi12EEvPKT_PKT0_S7_ifPKiS9_S9_iPKfiiiPfSC_PS2_PT2_iSB_SB_.uses_vcc, or(1, .L__assert_fail.uses_vcc)
	.set _Z39paged_attention_ll4mi_QKV_mfma16_kernelIDF16_hLN4vllm18Fp8KVCacheDataTypeE1EhLi16ELi64ELi256ELb0ELi12EEvPKT_PKT0_S7_ifPKiS9_S9_iPKfiiiPfSC_PS2_PT2_iSB_SB_.uses_flat_scratch, or(0, .L__assert_fail.uses_flat_scratch)
	.set _Z39paged_attention_ll4mi_QKV_mfma16_kernelIDF16_hLN4vllm18Fp8KVCacheDataTypeE1EhLi16ELi64ELi256ELb0ELi12EEvPKT_PKT0_S7_ifPKiS9_S9_iPKfiiiPfSC_PS2_PT2_iSB_SB_.has_dyn_sized_stack, or(0, .L__assert_fail.has_dyn_sized_stack)
	.set _Z39paged_attention_ll4mi_QKV_mfma16_kernelIDF16_hLN4vllm18Fp8KVCacheDataTypeE1EhLi16ELi64ELi256ELb0ELi12EEvPKT_PKT0_S7_ifPKiS9_S9_iPKfiiiPfSC_PS2_PT2_iSB_SB_.has_recursion, or(0, .L__assert_fail.has_recursion)
	.set _Z39paged_attention_ll4mi_QKV_mfma16_kernelIDF16_hLN4vllm18Fp8KVCacheDataTypeE1EhLi16ELi64ELi256ELb0ELi12EEvPKT_PKT0_S7_ifPKiS9_S9_iPKfiiiPfSC_PS2_PT2_iSB_SB_.has_indirect_call, or(0, .L__assert_fail.has_indirect_call)
	.section	.AMDGPU.csdata,"",@progbits
; Kernel info:
; codeLenInByte = 68
; TotalNumSgprs: 36
; NumVgprs: 51
; ScratchSize: 64
; MemoryBound: 0
; FloatMode: 240
; IeeeMode: 1
; LDSByteSize: 0 bytes/workgroup (compile time only)
; SGPRBlocks: 0
; VGPRBlocks: 3
; NumSGPRsForWavesPerEU: 36
; NumVGPRsForWavesPerEU: 51
; NamedBarCnt: 0
; Occupancy: 16
; WaveLimiterHint : 1
; COMPUTE_PGM_RSRC2:SCRATCH_EN: 1
; COMPUTE_PGM_RSRC2:USER_SGPR: 2
; COMPUTE_PGM_RSRC2:TRAP_HANDLER: 0
; COMPUTE_PGM_RSRC2:TGID_X_EN: 1
; COMPUTE_PGM_RSRC2:TGID_Y_EN: 0
; COMPUTE_PGM_RSRC2:TGID_Z_EN: 0
; COMPUTE_PGM_RSRC2:TIDIG_COMP_CNT: 0
	.section	.text._Z39paged_attention_ll4mi_QKV_mfma16_kernelIDF16_hLN4vllm18Fp8KVCacheDataTypeE1EhLi16ELi64ELi256ELb0ELi13EEvPKT_PKT0_S7_ifPKiS9_S9_iPKfiiiPfSC_PS2_PT2_iSB_SB_,"axG",@progbits,_Z39paged_attention_ll4mi_QKV_mfma16_kernelIDF16_hLN4vllm18Fp8KVCacheDataTypeE1EhLi16ELi64ELi256ELb0ELi13EEvPKT_PKT0_S7_ifPKiS9_S9_iPKfiiiPfSC_PS2_PT2_iSB_SB_,comdat
	.protected	_Z39paged_attention_ll4mi_QKV_mfma16_kernelIDF16_hLN4vllm18Fp8KVCacheDataTypeE1EhLi16ELi64ELi256ELb0ELi13EEvPKT_PKT0_S7_ifPKiS9_S9_iPKfiiiPfSC_PS2_PT2_iSB_SB_ ; -- Begin function _Z39paged_attention_ll4mi_QKV_mfma16_kernelIDF16_hLN4vllm18Fp8KVCacheDataTypeE1EhLi16ELi64ELi256ELb0ELi13EEvPKT_PKT0_S7_ifPKiS9_S9_iPKfiiiPfSC_PS2_PT2_iSB_SB_
	.globl	_Z39paged_attention_ll4mi_QKV_mfma16_kernelIDF16_hLN4vllm18Fp8KVCacheDataTypeE1EhLi16ELi64ELi256ELb0ELi13EEvPKT_PKT0_S7_ifPKiS9_S9_iPKfiiiPfSC_PS2_PT2_iSB_SB_
	.p2align	8
	.type	_Z39paged_attention_ll4mi_QKV_mfma16_kernelIDF16_hLN4vllm18Fp8KVCacheDataTypeE1EhLi16ELi64ELi256ELb0ELi13EEvPKT_PKT0_S7_ifPKiS9_S9_iPKfiiiPfSC_PS2_PT2_iSB_SB_,@function
_Z39paged_attention_ll4mi_QKV_mfma16_kernelIDF16_hLN4vllm18Fp8KVCacheDataTypeE1EhLi16ELi64ELi256ELb0ELi13EEvPKT_PKT0_S7_ifPKiS9_S9_iPKfiiiPfSC_PS2_PT2_iSB_SB_: ; @_Z39paged_attention_ll4mi_QKV_mfma16_kernelIDF16_hLN4vllm18Fp8KVCacheDataTypeE1EhLi16ELi64ELi256ELb0ELi13EEvPKT_PKT0_S7_ifPKiS9_S9_iPKfiiiPfSC_PS2_PT2_iSB_SB_
; %bb.0:
	s_get_pc_i64 s[2:3]
	s_add_nc_u64 s[2:3], s[2:3], __PRETTY_FUNCTION__._Z39paged_attention_ll4mi_QKV_mfma16_kernelIDF16_hLN4vllm18Fp8KVCacheDataTypeE1EhLi16ELi64ELi256ELb0ELi13EEvPKT_PKT0_S7_ifPKiS9_S9_iPKfiiiPfSC_PS2_PT2_iSB_SB_@rel64+4
	s_delay_alu instid0(SALU_CYCLE_1)
	v_dual_mov_b32 v0, 0xbb3 :: v_dual_mov_b32 v1, s2
	v_mov_b32_e32 v2, s3
	s_add_nc_u64 s[8:9], s[0:1], 0x90
	s_get_pc_i64 s[0:1]
	s_add_nc_u64 s[0:1], s[0:1], __assert_fail@rel64+4
	s_mov_b32 s32, 0
	s_swap_pc_i64 s[30:31], s[0:1]
	.section	.rodata,"a",@progbits
	.p2align	6, 0x0
	.amdhsa_kernel _Z39paged_attention_ll4mi_QKV_mfma16_kernelIDF16_hLN4vllm18Fp8KVCacheDataTypeE1EhLi16ELi64ELi256ELb0ELi13EEvPKT_PKT0_S7_ifPKiS9_S9_iPKfiiiPfSC_PS2_PT2_iSB_SB_
		.amdhsa_group_segment_fixed_size 0
		.amdhsa_private_segment_fixed_size 64
		.amdhsa_kernarg_size 400
		.amdhsa_user_sgpr_count 2
		.amdhsa_user_sgpr_dispatch_ptr 0
		.amdhsa_user_sgpr_queue_ptr 0
		.amdhsa_user_sgpr_kernarg_segment_ptr 1
		.amdhsa_user_sgpr_dispatch_id 0
		.amdhsa_user_sgpr_kernarg_preload_length 0
		.amdhsa_user_sgpr_kernarg_preload_offset 0
		.amdhsa_user_sgpr_private_segment_size 0
		.amdhsa_wavefront_size32 1
		.amdhsa_uses_dynamic_stack 0
		.amdhsa_enable_private_segment 1
		.amdhsa_system_sgpr_workgroup_id_x 1
		.amdhsa_system_sgpr_workgroup_id_y 0
		.amdhsa_system_sgpr_workgroup_id_z 0
		.amdhsa_system_sgpr_workgroup_info 0
		.amdhsa_system_vgpr_workitem_id 0
		.amdhsa_next_free_vgpr 51
		.amdhsa_next_free_sgpr 34
		.amdhsa_named_barrier_count 0
		.amdhsa_reserve_vcc 1
		.amdhsa_float_round_mode_32 0
		.amdhsa_float_round_mode_16_64 0
		.amdhsa_float_denorm_mode_32 3
		.amdhsa_float_denorm_mode_16_64 3
		.amdhsa_fp16_overflow 0
		.amdhsa_memory_ordered 1
		.amdhsa_forward_progress 1
		.amdhsa_inst_pref_size 1
		.amdhsa_round_robin_scheduling 0
		.amdhsa_exception_fp_ieee_invalid_op 0
		.amdhsa_exception_fp_denorm_src 0
		.amdhsa_exception_fp_ieee_div_zero 0
		.amdhsa_exception_fp_ieee_overflow 0
		.amdhsa_exception_fp_ieee_underflow 0
		.amdhsa_exception_fp_ieee_inexact 0
		.amdhsa_exception_int_div_zero 0
	.end_amdhsa_kernel
	.section	.text._Z39paged_attention_ll4mi_QKV_mfma16_kernelIDF16_hLN4vllm18Fp8KVCacheDataTypeE1EhLi16ELi64ELi256ELb0ELi13EEvPKT_PKT0_S7_ifPKiS9_S9_iPKfiiiPfSC_PS2_PT2_iSB_SB_,"axG",@progbits,_Z39paged_attention_ll4mi_QKV_mfma16_kernelIDF16_hLN4vllm18Fp8KVCacheDataTypeE1EhLi16ELi64ELi256ELb0ELi13EEvPKT_PKT0_S7_ifPKiS9_S9_iPKfiiiPfSC_PS2_PT2_iSB_SB_,comdat
.Lfunc_end802:
	.size	_Z39paged_attention_ll4mi_QKV_mfma16_kernelIDF16_hLN4vllm18Fp8KVCacheDataTypeE1EhLi16ELi64ELi256ELb0ELi13EEvPKT_PKT0_S7_ifPKiS9_S9_iPKfiiiPfSC_PS2_PT2_iSB_SB_, .Lfunc_end802-_Z39paged_attention_ll4mi_QKV_mfma16_kernelIDF16_hLN4vllm18Fp8KVCacheDataTypeE1EhLi16ELi64ELi256ELb0ELi13EEvPKT_PKT0_S7_ifPKiS9_S9_iPKfiiiPfSC_PS2_PT2_iSB_SB_
                                        ; -- End function
	.set _Z39paged_attention_ll4mi_QKV_mfma16_kernelIDF16_hLN4vllm18Fp8KVCacheDataTypeE1EhLi16ELi64ELi256ELb0ELi13EEvPKT_PKT0_S7_ifPKiS9_S9_iPKfiiiPfSC_PS2_PT2_iSB_SB_.num_vgpr, max(3, .L__assert_fail.num_vgpr)
	.set _Z39paged_attention_ll4mi_QKV_mfma16_kernelIDF16_hLN4vllm18Fp8KVCacheDataTypeE1EhLi16ELi64ELi256ELb0ELi13EEvPKT_PKT0_S7_ifPKiS9_S9_iPKfiiiPfSC_PS2_PT2_iSB_SB_.num_agpr, max(0, .L__assert_fail.num_agpr)
	.set _Z39paged_attention_ll4mi_QKV_mfma16_kernelIDF16_hLN4vllm18Fp8KVCacheDataTypeE1EhLi16ELi64ELi256ELb0ELi13EEvPKT_PKT0_S7_ifPKiS9_S9_iPKfiiiPfSC_PS2_PT2_iSB_SB_.numbered_sgpr, max(33, .L__assert_fail.numbered_sgpr)
	.set _Z39paged_attention_ll4mi_QKV_mfma16_kernelIDF16_hLN4vllm18Fp8KVCacheDataTypeE1EhLi16ELi64ELi256ELb0ELi13EEvPKT_PKT0_S7_ifPKiS9_S9_iPKfiiiPfSC_PS2_PT2_iSB_SB_.num_named_barrier, max(0, .L__assert_fail.num_named_barrier)
	.set _Z39paged_attention_ll4mi_QKV_mfma16_kernelIDF16_hLN4vllm18Fp8KVCacheDataTypeE1EhLi16ELi64ELi256ELb0ELi13EEvPKT_PKT0_S7_ifPKiS9_S9_iPKfiiiPfSC_PS2_PT2_iSB_SB_.private_seg_size, 0+max(.L__assert_fail.private_seg_size)
	.set _Z39paged_attention_ll4mi_QKV_mfma16_kernelIDF16_hLN4vllm18Fp8KVCacheDataTypeE1EhLi16ELi64ELi256ELb0ELi13EEvPKT_PKT0_S7_ifPKiS9_S9_iPKfiiiPfSC_PS2_PT2_iSB_SB_.uses_vcc, or(1, .L__assert_fail.uses_vcc)
	.set _Z39paged_attention_ll4mi_QKV_mfma16_kernelIDF16_hLN4vllm18Fp8KVCacheDataTypeE1EhLi16ELi64ELi256ELb0ELi13EEvPKT_PKT0_S7_ifPKiS9_S9_iPKfiiiPfSC_PS2_PT2_iSB_SB_.uses_flat_scratch, or(0, .L__assert_fail.uses_flat_scratch)
	.set _Z39paged_attention_ll4mi_QKV_mfma16_kernelIDF16_hLN4vllm18Fp8KVCacheDataTypeE1EhLi16ELi64ELi256ELb0ELi13EEvPKT_PKT0_S7_ifPKiS9_S9_iPKfiiiPfSC_PS2_PT2_iSB_SB_.has_dyn_sized_stack, or(0, .L__assert_fail.has_dyn_sized_stack)
	.set _Z39paged_attention_ll4mi_QKV_mfma16_kernelIDF16_hLN4vllm18Fp8KVCacheDataTypeE1EhLi16ELi64ELi256ELb0ELi13EEvPKT_PKT0_S7_ifPKiS9_S9_iPKfiiiPfSC_PS2_PT2_iSB_SB_.has_recursion, or(0, .L__assert_fail.has_recursion)
	.set _Z39paged_attention_ll4mi_QKV_mfma16_kernelIDF16_hLN4vllm18Fp8KVCacheDataTypeE1EhLi16ELi64ELi256ELb0ELi13EEvPKT_PKT0_S7_ifPKiS9_S9_iPKfiiiPfSC_PS2_PT2_iSB_SB_.has_indirect_call, or(0, .L__assert_fail.has_indirect_call)
	.section	.AMDGPU.csdata,"",@progbits
; Kernel info:
; codeLenInByte = 68
; TotalNumSgprs: 36
; NumVgprs: 51
; ScratchSize: 64
; MemoryBound: 0
; FloatMode: 240
; IeeeMode: 1
; LDSByteSize: 0 bytes/workgroup (compile time only)
; SGPRBlocks: 0
; VGPRBlocks: 3
; NumSGPRsForWavesPerEU: 36
; NumVGPRsForWavesPerEU: 51
; NamedBarCnt: 0
; Occupancy: 16
; WaveLimiterHint : 1
; COMPUTE_PGM_RSRC2:SCRATCH_EN: 1
; COMPUTE_PGM_RSRC2:USER_SGPR: 2
; COMPUTE_PGM_RSRC2:TRAP_HANDLER: 0
; COMPUTE_PGM_RSRC2:TGID_X_EN: 1
; COMPUTE_PGM_RSRC2:TGID_Y_EN: 0
; COMPUTE_PGM_RSRC2:TGID_Z_EN: 0
; COMPUTE_PGM_RSRC2:TIDIG_COMP_CNT: 0
	.section	.text._Z39paged_attention_ll4mi_QKV_mfma16_kernelIDF16_hLN4vllm18Fp8KVCacheDataTypeE1EhLi16ELi64ELi256ELb0ELi14EEvPKT_PKT0_S7_ifPKiS9_S9_iPKfiiiPfSC_PS2_PT2_iSB_SB_,"axG",@progbits,_Z39paged_attention_ll4mi_QKV_mfma16_kernelIDF16_hLN4vllm18Fp8KVCacheDataTypeE1EhLi16ELi64ELi256ELb0ELi14EEvPKT_PKT0_S7_ifPKiS9_S9_iPKfiiiPfSC_PS2_PT2_iSB_SB_,comdat
	.protected	_Z39paged_attention_ll4mi_QKV_mfma16_kernelIDF16_hLN4vllm18Fp8KVCacheDataTypeE1EhLi16ELi64ELi256ELb0ELi14EEvPKT_PKT0_S7_ifPKiS9_S9_iPKfiiiPfSC_PS2_PT2_iSB_SB_ ; -- Begin function _Z39paged_attention_ll4mi_QKV_mfma16_kernelIDF16_hLN4vllm18Fp8KVCacheDataTypeE1EhLi16ELi64ELi256ELb0ELi14EEvPKT_PKT0_S7_ifPKiS9_S9_iPKfiiiPfSC_PS2_PT2_iSB_SB_
	.globl	_Z39paged_attention_ll4mi_QKV_mfma16_kernelIDF16_hLN4vllm18Fp8KVCacheDataTypeE1EhLi16ELi64ELi256ELb0ELi14EEvPKT_PKT0_S7_ifPKiS9_S9_iPKfiiiPfSC_PS2_PT2_iSB_SB_
	.p2align	8
	.type	_Z39paged_attention_ll4mi_QKV_mfma16_kernelIDF16_hLN4vllm18Fp8KVCacheDataTypeE1EhLi16ELi64ELi256ELb0ELi14EEvPKT_PKT0_S7_ifPKiS9_S9_iPKfiiiPfSC_PS2_PT2_iSB_SB_,@function
_Z39paged_attention_ll4mi_QKV_mfma16_kernelIDF16_hLN4vllm18Fp8KVCacheDataTypeE1EhLi16ELi64ELi256ELb0ELi14EEvPKT_PKT0_S7_ifPKiS9_S9_iPKfiiiPfSC_PS2_PT2_iSB_SB_: ; @_Z39paged_attention_ll4mi_QKV_mfma16_kernelIDF16_hLN4vllm18Fp8KVCacheDataTypeE1EhLi16ELi64ELi256ELb0ELi14EEvPKT_PKT0_S7_ifPKiS9_S9_iPKfiiiPfSC_PS2_PT2_iSB_SB_
; %bb.0:
	s_get_pc_i64 s[2:3]
	s_add_nc_u64 s[2:3], s[2:3], __PRETTY_FUNCTION__._Z39paged_attention_ll4mi_QKV_mfma16_kernelIDF16_hLN4vllm18Fp8KVCacheDataTypeE1EhLi16ELi64ELi256ELb0ELi14EEvPKT_PKT0_S7_ifPKiS9_S9_iPKfiiiPfSC_PS2_PT2_iSB_SB_@rel64+4
	s_delay_alu instid0(SALU_CYCLE_1)
	v_dual_mov_b32 v0, 0xbb3 :: v_dual_mov_b32 v1, s2
	v_mov_b32_e32 v2, s3
	s_add_nc_u64 s[8:9], s[0:1], 0x90
	s_get_pc_i64 s[0:1]
	s_add_nc_u64 s[0:1], s[0:1], __assert_fail@rel64+4
	s_mov_b32 s32, 0
	s_swap_pc_i64 s[30:31], s[0:1]
	.section	.rodata,"a",@progbits
	.p2align	6, 0x0
	.amdhsa_kernel _Z39paged_attention_ll4mi_QKV_mfma16_kernelIDF16_hLN4vllm18Fp8KVCacheDataTypeE1EhLi16ELi64ELi256ELb0ELi14EEvPKT_PKT0_S7_ifPKiS9_S9_iPKfiiiPfSC_PS2_PT2_iSB_SB_
		.amdhsa_group_segment_fixed_size 0
		.amdhsa_private_segment_fixed_size 64
		.amdhsa_kernarg_size 400
		.amdhsa_user_sgpr_count 2
		.amdhsa_user_sgpr_dispatch_ptr 0
		.amdhsa_user_sgpr_queue_ptr 0
		.amdhsa_user_sgpr_kernarg_segment_ptr 1
		.amdhsa_user_sgpr_dispatch_id 0
		.amdhsa_user_sgpr_kernarg_preload_length 0
		.amdhsa_user_sgpr_kernarg_preload_offset 0
		.amdhsa_user_sgpr_private_segment_size 0
		.amdhsa_wavefront_size32 1
		.amdhsa_uses_dynamic_stack 0
		.amdhsa_enable_private_segment 1
		.amdhsa_system_sgpr_workgroup_id_x 1
		.amdhsa_system_sgpr_workgroup_id_y 0
		.amdhsa_system_sgpr_workgroup_id_z 0
		.amdhsa_system_sgpr_workgroup_info 0
		.amdhsa_system_vgpr_workitem_id 0
		.amdhsa_next_free_vgpr 51
		.amdhsa_next_free_sgpr 34
		.amdhsa_named_barrier_count 0
		.amdhsa_reserve_vcc 1
		.amdhsa_float_round_mode_32 0
		.amdhsa_float_round_mode_16_64 0
		.amdhsa_float_denorm_mode_32 3
		.amdhsa_float_denorm_mode_16_64 3
		.amdhsa_fp16_overflow 0
		.amdhsa_memory_ordered 1
		.amdhsa_forward_progress 1
		.amdhsa_inst_pref_size 1
		.amdhsa_round_robin_scheduling 0
		.amdhsa_exception_fp_ieee_invalid_op 0
		.amdhsa_exception_fp_denorm_src 0
		.amdhsa_exception_fp_ieee_div_zero 0
		.amdhsa_exception_fp_ieee_overflow 0
		.amdhsa_exception_fp_ieee_underflow 0
		.amdhsa_exception_fp_ieee_inexact 0
		.amdhsa_exception_int_div_zero 0
	.end_amdhsa_kernel
	.section	.text._Z39paged_attention_ll4mi_QKV_mfma16_kernelIDF16_hLN4vllm18Fp8KVCacheDataTypeE1EhLi16ELi64ELi256ELb0ELi14EEvPKT_PKT0_S7_ifPKiS9_S9_iPKfiiiPfSC_PS2_PT2_iSB_SB_,"axG",@progbits,_Z39paged_attention_ll4mi_QKV_mfma16_kernelIDF16_hLN4vllm18Fp8KVCacheDataTypeE1EhLi16ELi64ELi256ELb0ELi14EEvPKT_PKT0_S7_ifPKiS9_S9_iPKfiiiPfSC_PS2_PT2_iSB_SB_,comdat
.Lfunc_end803:
	.size	_Z39paged_attention_ll4mi_QKV_mfma16_kernelIDF16_hLN4vllm18Fp8KVCacheDataTypeE1EhLi16ELi64ELi256ELb0ELi14EEvPKT_PKT0_S7_ifPKiS9_S9_iPKfiiiPfSC_PS2_PT2_iSB_SB_, .Lfunc_end803-_Z39paged_attention_ll4mi_QKV_mfma16_kernelIDF16_hLN4vllm18Fp8KVCacheDataTypeE1EhLi16ELi64ELi256ELb0ELi14EEvPKT_PKT0_S7_ifPKiS9_S9_iPKfiiiPfSC_PS2_PT2_iSB_SB_
                                        ; -- End function
	.set _Z39paged_attention_ll4mi_QKV_mfma16_kernelIDF16_hLN4vllm18Fp8KVCacheDataTypeE1EhLi16ELi64ELi256ELb0ELi14EEvPKT_PKT0_S7_ifPKiS9_S9_iPKfiiiPfSC_PS2_PT2_iSB_SB_.num_vgpr, max(3, .L__assert_fail.num_vgpr)
	.set _Z39paged_attention_ll4mi_QKV_mfma16_kernelIDF16_hLN4vllm18Fp8KVCacheDataTypeE1EhLi16ELi64ELi256ELb0ELi14EEvPKT_PKT0_S7_ifPKiS9_S9_iPKfiiiPfSC_PS2_PT2_iSB_SB_.num_agpr, max(0, .L__assert_fail.num_agpr)
	.set _Z39paged_attention_ll4mi_QKV_mfma16_kernelIDF16_hLN4vllm18Fp8KVCacheDataTypeE1EhLi16ELi64ELi256ELb0ELi14EEvPKT_PKT0_S7_ifPKiS9_S9_iPKfiiiPfSC_PS2_PT2_iSB_SB_.numbered_sgpr, max(33, .L__assert_fail.numbered_sgpr)
	.set _Z39paged_attention_ll4mi_QKV_mfma16_kernelIDF16_hLN4vllm18Fp8KVCacheDataTypeE1EhLi16ELi64ELi256ELb0ELi14EEvPKT_PKT0_S7_ifPKiS9_S9_iPKfiiiPfSC_PS2_PT2_iSB_SB_.num_named_barrier, max(0, .L__assert_fail.num_named_barrier)
	.set _Z39paged_attention_ll4mi_QKV_mfma16_kernelIDF16_hLN4vllm18Fp8KVCacheDataTypeE1EhLi16ELi64ELi256ELb0ELi14EEvPKT_PKT0_S7_ifPKiS9_S9_iPKfiiiPfSC_PS2_PT2_iSB_SB_.private_seg_size, 0+max(.L__assert_fail.private_seg_size)
	.set _Z39paged_attention_ll4mi_QKV_mfma16_kernelIDF16_hLN4vllm18Fp8KVCacheDataTypeE1EhLi16ELi64ELi256ELb0ELi14EEvPKT_PKT0_S7_ifPKiS9_S9_iPKfiiiPfSC_PS2_PT2_iSB_SB_.uses_vcc, or(1, .L__assert_fail.uses_vcc)
	.set _Z39paged_attention_ll4mi_QKV_mfma16_kernelIDF16_hLN4vllm18Fp8KVCacheDataTypeE1EhLi16ELi64ELi256ELb0ELi14EEvPKT_PKT0_S7_ifPKiS9_S9_iPKfiiiPfSC_PS2_PT2_iSB_SB_.uses_flat_scratch, or(0, .L__assert_fail.uses_flat_scratch)
	.set _Z39paged_attention_ll4mi_QKV_mfma16_kernelIDF16_hLN4vllm18Fp8KVCacheDataTypeE1EhLi16ELi64ELi256ELb0ELi14EEvPKT_PKT0_S7_ifPKiS9_S9_iPKfiiiPfSC_PS2_PT2_iSB_SB_.has_dyn_sized_stack, or(0, .L__assert_fail.has_dyn_sized_stack)
	.set _Z39paged_attention_ll4mi_QKV_mfma16_kernelIDF16_hLN4vllm18Fp8KVCacheDataTypeE1EhLi16ELi64ELi256ELb0ELi14EEvPKT_PKT0_S7_ifPKiS9_S9_iPKfiiiPfSC_PS2_PT2_iSB_SB_.has_recursion, or(0, .L__assert_fail.has_recursion)
	.set _Z39paged_attention_ll4mi_QKV_mfma16_kernelIDF16_hLN4vllm18Fp8KVCacheDataTypeE1EhLi16ELi64ELi256ELb0ELi14EEvPKT_PKT0_S7_ifPKiS9_S9_iPKfiiiPfSC_PS2_PT2_iSB_SB_.has_indirect_call, or(0, .L__assert_fail.has_indirect_call)
	.section	.AMDGPU.csdata,"",@progbits
; Kernel info:
; codeLenInByte = 68
; TotalNumSgprs: 36
; NumVgprs: 51
; ScratchSize: 64
; MemoryBound: 0
; FloatMode: 240
; IeeeMode: 1
; LDSByteSize: 0 bytes/workgroup (compile time only)
; SGPRBlocks: 0
; VGPRBlocks: 3
; NumSGPRsForWavesPerEU: 36
; NumVGPRsForWavesPerEU: 51
; NamedBarCnt: 0
; Occupancy: 16
; WaveLimiterHint : 1
; COMPUTE_PGM_RSRC2:SCRATCH_EN: 1
; COMPUTE_PGM_RSRC2:USER_SGPR: 2
; COMPUTE_PGM_RSRC2:TRAP_HANDLER: 0
; COMPUTE_PGM_RSRC2:TGID_X_EN: 1
; COMPUTE_PGM_RSRC2:TGID_Y_EN: 0
; COMPUTE_PGM_RSRC2:TGID_Z_EN: 0
; COMPUTE_PGM_RSRC2:TIDIG_COMP_CNT: 0
	.section	.text._Z39paged_attention_ll4mi_QKV_mfma16_kernelIDF16_hLN4vllm18Fp8KVCacheDataTypeE1EhLi16ELi64ELi256ELb0ELi15EEvPKT_PKT0_S7_ifPKiS9_S9_iPKfiiiPfSC_PS2_PT2_iSB_SB_,"axG",@progbits,_Z39paged_attention_ll4mi_QKV_mfma16_kernelIDF16_hLN4vllm18Fp8KVCacheDataTypeE1EhLi16ELi64ELi256ELb0ELi15EEvPKT_PKT0_S7_ifPKiS9_S9_iPKfiiiPfSC_PS2_PT2_iSB_SB_,comdat
	.protected	_Z39paged_attention_ll4mi_QKV_mfma16_kernelIDF16_hLN4vllm18Fp8KVCacheDataTypeE1EhLi16ELi64ELi256ELb0ELi15EEvPKT_PKT0_S7_ifPKiS9_S9_iPKfiiiPfSC_PS2_PT2_iSB_SB_ ; -- Begin function _Z39paged_attention_ll4mi_QKV_mfma16_kernelIDF16_hLN4vllm18Fp8KVCacheDataTypeE1EhLi16ELi64ELi256ELb0ELi15EEvPKT_PKT0_S7_ifPKiS9_S9_iPKfiiiPfSC_PS2_PT2_iSB_SB_
	.globl	_Z39paged_attention_ll4mi_QKV_mfma16_kernelIDF16_hLN4vllm18Fp8KVCacheDataTypeE1EhLi16ELi64ELi256ELb0ELi15EEvPKT_PKT0_S7_ifPKiS9_S9_iPKfiiiPfSC_PS2_PT2_iSB_SB_
	.p2align	8
	.type	_Z39paged_attention_ll4mi_QKV_mfma16_kernelIDF16_hLN4vllm18Fp8KVCacheDataTypeE1EhLi16ELi64ELi256ELb0ELi15EEvPKT_PKT0_S7_ifPKiS9_S9_iPKfiiiPfSC_PS2_PT2_iSB_SB_,@function
_Z39paged_attention_ll4mi_QKV_mfma16_kernelIDF16_hLN4vllm18Fp8KVCacheDataTypeE1EhLi16ELi64ELi256ELb0ELi15EEvPKT_PKT0_S7_ifPKiS9_S9_iPKfiiiPfSC_PS2_PT2_iSB_SB_: ; @_Z39paged_attention_ll4mi_QKV_mfma16_kernelIDF16_hLN4vllm18Fp8KVCacheDataTypeE1EhLi16ELi64ELi256ELb0ELi15EEvPKT_PKT0_S7_ifPKiS9_S9_iPKfiiiPfSC_PS2_PT2_iSB_SB_
; %bb.0:
	s_get_pc_i64 s[2:3]
	s_add_nc_u64 s[2:3], s[2:3], __PRETTY_FUNCTION__._Z39paged_attention_ll4mi_QKV_mfma16_kernelIDF16_hLN4vllm18Fp8KVCacheDataTypeE1EhLi16ELi64ELi256ELb0ELi15EEvPKT_PKT0_S7_ifPKiS9_S9_iPKfiiiPfSC_PS2_PT2_iSB_SB_@rel64+4
	s_delay_alu instid0(SALU_CYCLE_1)
	v_dual_mov_b32 v0, 0xbb3 :: v_dual_mov_b32 v1, s2
	v_mov_b32_e32 v2, s3
	s_add_nc_u64 s[8:9], s[0:1], 0x90
	s_get_pc_i64 s[0:1]
	s_add_nc_u64 s[0:1], s[0:1], __assert_fail@rel64+4
	s_mov_b32 s32, 0
	s_swap_pc_i64 s[30:31], s[0:1]
	.section	.rodata,"a",@progbits
	.p2align	6, 0x0
	.amdhsa_kernel _Z39paged_attention_ll4mi_QKV_mfma16_kernelIDF16_hLN4vllm18Fp8KVCacheDataTypeE1EhLi16ELi64ELi256ELb0ELi15EEvPKT_PKT0_S7_ifPKiS9_S9_iPKfiiiPfSC_PS2_PT2_iSB_SB_
		.amdhsa_group_segment_fixed_size 0
		.amdhsa_private_segment_fixed_size 64
		.amdhsa_kernarg_size 400
		.amdhsa_user_sgpr_count 2
		.amdhsa_user_sgpr_dispatch_ptr 0
		.amdhsa_user_sgpr_queue_ptr 0
		.amdhsa_user_sgpr_kernarg_segment_ptr 1
		.amdhsa_user_sgpr_dispatch_id 0
		.amdhsa_user_sgpr_kernarg_preload_length 0
		.amdhsa_user_sgpr_kernarg_preload_offset 0
		.amdhsa_user_sgpr_private_segment_size 0
		.amdhsa_wavefront_size32 1
		.amdhsa_uses_dynamic_stack 0
		.amdhsa_enable_private_segment 1
		.amdhsa_system_sgpr_workgroup_id_x 1
		.amdhsa_system_sgpr_workgroup_id_y 0
		.amdhsa_system_sgpr_workgroup_id_z 0
		.amdhsa_system_sgpr_workgroup_info 0
		.amdhsa_system_vgpr_workitem_id 0
		.amdhsa_next_free_vgpr 51
		.amdhsa_next_free_sgpr 34
		.amdhsa_named_barrier_count 0
		.amdhsa_reserve_vcc 1
		.amdhsa_float_round_mode_32 0
		.amdhsa_float_round_mode_16_64 0
		.amdhsa_float_denorm_mode_32 3
		.amdhsa_float_denorm_mode_16_64 3
		.amdhsa_fp16_overflow 0
		.amdhsa_memory_ordered 1
		.amdhsa_forward_progress 1
		.amdhsa_inst_pref_size 1
		.amdhsa_round_robin_scheduling 0
		.amdhsa_exception_fp_ieee_invalid_op 0
		.amdhsa_exception_fp_denorm_src 0
		.amdhsa_exception_fp_ieee_div_zero 0
		.amdhsa_exception_fp_ieee_overflow 0
		.amdhsa_exception_fp_ieee_underflow 0
		.amdhsa_exception_fp_ieee_inexact 0
		.amdhsa_exception_int_div_zero 0
	.end_amdhsa_kernel
	.section	.text._Z39paged_attention_ll4mi_QKV_mfma16_kernelIDF16_hLN4vllm18Fp8KVCacheDataTypeE1EhLi16ELi64ELi256ELb0ELi15EEvPKT_PKT0_S7_ifPKiS9_S9_iPKfiiiPfSC_PS2_PT2_iSB_SB_,"axG",@progbits,_Z39paged_attention_ll4mi_QKV_mfma16_kernelIDF16_hLN4vllm18Fp8KVCacheDataTypeE1EhLi16ELi64ELi256ELb0ELi15EEvPKT_PKT0_S7_ifPKiS9_S9_iPKfiiiPfSC_PS2_PT2_iSB_SB_,comdat
.Lfunc_end804:
	.size	_Z39paged_attention_ll4mi_QKV_mfma16_kernelIDF16_hLN4vllm18Fp8KVCacheDataTypeE1EhLi16ELi64ELi256ELb0ELi15EEvPKT_PKT0_S7_ifPKiS9_S9_iPKfiiiPfSC_PS2_PT2_iSB_SB_, .Lfunc_end804-_Z39paged_attention_ll4mi_QKV_mfma16_kernelIDF16_hLN4vllm18Fp8KVCacheDataTypeE1EhLi16ELi64ELi256ELb0ELi15EEvPKT_PKT0_S7_ifPKiS9_S9_iPKfiiiPfSC_PS2_PT2_iSB_SB_
                                        ; -- End function
	.set _Z39paged_attention_ll4mi_QKV_mfma16_kernelIDF16_hLN4vllm18Fp8KVCacheDataTypeE1EhLi16ELi64ELi256ELb0ELi15EEvPKT_PKT0_S7_ifPKiS9_S9_iPKfiiiPfSC_PS2_PT2_iSB_SB_.num_vgpr, max(3, .L__assert_fail.num_vgpr)
	.set _Z39paged_attention_ll4mi_QKV_mfma16_kernelIDF16_hLN4vllm18Fp8KVCacheDataTypeE1EhLi16ELi64ELi256ELb0ELi15EEvPKT_PKT0_S7_ifPKiS9_S9_iPKfiiiPfSC_PS2_PT2_iSB_SB_.num_agpr, max(0, .L__assert_fail.num_agpr)
	.set _Z39paged_attention_ll4mi_QKV_mfma16_kernelIDF16_hLN4vllm18Fp8KVCacheDataTypeE1EhLi16ELi64ELi256ELb0ELi15EEvPKT_PKT0_S7_ifPKiS9_S9_iPKfiiiPfSC_PS2_PT2_iSB_SB_.numbered_sgpr, max(33, .L__assert_fail.numbered_sgpr)
	.set _Z39paged_attention_ll4mi_QKV_mfma16_kernelIDF16_hLN4vllm18Fp8KVCacheDataTypeE1EhLi16ELi64ELi256ELb0ELi15EEvPKT_PKT0_S7_ifPKiS9_S9_iPKfiiiPfSC_PS2_PT2_iSB_SB_.num_named_barrier, max(0, .L__assert_fail.num_named_barrier)
	.set _Z39paged_attention_ll4mi_QKV_mfma16_kernelIDF16_hLN4vllm18Fp8KVCacheDataTypeE1EhLi16ELi64ELi256ELb0ELi15EEvPKT_PKT0_S7_ifPKiS9_S9_iPKfiiiPfSC_PS2_PT2_iSB_SB_.private_seg_size, 0+max(.L__assert_fail.private_seg_size)
	.set _Z39paged_attention_ll4mi_QKV_mfma16_kernelIDF16_hLN4vllm18Fp8KVCacheDataTypeE1EhLi16ELi64ELi256ELb0ELi15EEvPKT_PKT0_S7_ifPKiS9_S9_iPKfiiiPfSC_PS2_PT2_iSB_SB_.uses_vcc, or(1, .L__assert_fail.uses_vcc)
	.set _Z39paged_attention_ll4mi_QKV_mfma16_kernelIDF16_hLN4vllm18Fp8KVCacheDataTypeE1EhLi16ELi64ELi256ELb0ELi15EEvPKT_PKT0_S7_ifPKiS9_S9_iPKfiiiPfSC_PS2_PT2_iSB_SB_.uses_flat_scratch, or(0, .L__assert_fail.uses_flat_scratch)
	.set _Z39paged_attention_ll4mi_QKV_mfma16_kernelIDF16_hLN4vllm18Fp8KVCacheDataTypeE1EhLi16ELi64ELi256ELb0ELi15EEvPKT_PKT0_S7_ifPKiS9_S9_iPKfiiiPfSC_PS2_PT2_iSB_SB_.has_dyn_sized_stack, or(0, .L__assert_fail.has_dyn_sized_stack)
	.set _Z39paged_attention_ll4mi_QKV_mfma16_kernelIDF16_hLN4vllm18Fp8KVCacheDataTypeE1EhLi16ELi64ELi256ELb0ELi15EEvPKT_PKT0_S7_ifPKiS9_S9_iPKfiiiPfSC_PS2_PT2_iSB_SB_.has_recursion, or(0, .L__assert_fail.has_recursion)
	.set _Z39paged_attention_ll4mi_QKV_mfma16_kernelIDF16_hLN4vllm18Fp8KVCacheDataTypeE1EhLi16ELi64ELi256ELb0ELi15EEvPKT_PKT0_S7_ifPKiS9_S9_iPKfiiiPfSC_PS2_PT2_iSB_SB_.has_indirect_call, or(0, .L__assert_fail.has_indirect_call)
	.section	.AMDGPU.csdata,"",@progbits
; Kernel info:
; codeLenInByte = 68
; TotalNumSgprs: 36
; NumVgprs: 51
; ScratchSize: 64
; MemoryBound: 0
; FloatMode: 240
; IeeeMode: 1
; LDSByteSize: 0 bytes/workgroup (compile time only)
; SGPRBlocks: 0
; VGPRBlocks: 3
; NumSGPRsForWavesPerEU: 36
; NumVGPRsForWavesPerEU: 51
; NamedBarCnt: 0
; Occupancy: 16
; WaveLimiterHint : 1
; COMPUTE_PGM_RSRC2:SCRATCH_EN: 1
; COMPUTE_PGM_RSRC2:USER_SGPR: 2
; COMPUTE_PGM_RSRC2:TRAP_HANDLER: 0
; COMPUTE_PGM_RSRC2:TGID_X_EN: 1
; COMPUTE_PGM_RSRC2:TGID_Y_EN: 0
; COMPUTE_PGM_RSRC2:TGID_Z_EN: 0
; COMPUTE_PGM_RSRC2:TIDIG_COMP_CNT: 0
	.section	.text._Z39paged_attention_ll4mi_QKV_mfma16_kernelIDF16_hLN4vllm18Fp8KVCacheDataTypeE1EhLi16ELi64ELi256ELb0ELi16EEvPKT_PKT0_S7_ifPKiS9_S9_iPKfiiiPfSC_PS2_PT2_iSB_SB_,"axG",@progbits,_Z39paged_attention_ll4mi_QKV_mfma16_kernelIDF16_hLN4vllm18Fp8KVCacheDataTypeE1EhLi16ELi64ELi256ELb0ELi16EEvPKT_PKT0_S7_ifPKiS9_S9_iPKfiiiPfSC_PS2_PT2_iSB_SB_,comdat
	.protected	_Z39paged_attention_ll4mi_QKV_mfma16_kernelIDF16_hLN4vllm18Fp8KVCacheDataTypeE1EhLi16ELi64ELi256ELb0ELi16EEvPKT_PKT0_S7_ifPKiS9_S9_iPKfiiiPfSC_PS2_PT2_iSB_SB_ ; -- Begin function _Z39paged_attention_ll4mi_QKV_mfma16_kernelIDF16_hLN4vllm18Fp8KVCacheDataTypeE1EhLi16ELi64ELi256ELb0ELi16EEvPKT_PKT0_S7_ifPKiS9_S9_iPKfiiiPfSC_PS2_PT2_iSB_SB_
	.globl	_Z39paged_attention_ll4mi_QKV_mfma16_kernelIDF16_hLN4vllm18Fp8KVCacheDataTypeE1EhLi16ELi64ELi256ELb0ELi16EEvPKT_PKT0_S7_ifPKiS9_S9_iPKfiiiPfSC_PS2_PT2_iSB_SB_
	.p2align	8
	.type	_Z39paged_attention_ll4mi_QKV_mfma16_kernelIDF16_hLN4vllm18Fp8KVCacheDataTypeE1EhLi16ELi64ELi256ELb0ELi16EEvPKT_PKT0_S7_ifPKiS9_S9_iPKfiiiPfSC_PS2_PT2_iSB_SB_,@function
_Z39paged_attention_ll4mi_QKV_mfma16_kernelIDF16_hLN4vllm18Fp8KVCacheDataTypeE1EhLi16ELi64ELi256ELb0ELi16EEvPKT_PKT0_S7_ifPKiS9_S9_iPKfiiiPfSC_PS2_PT2_iSB_SB_: ; @_Z39paged_attention_ll4mi_QKV_mfma16_kernelIDF16_hLN4vllm18Fp8KVCacheDataTypeE1EhLi16ELi64ELi256ELb0ELi16EEvPKT_PKT0_S7_ifPKiS9_S9_iPKfiiiPfSC_PS2_PT2_iSB_SB_
; %bb.0:
	s_get_pc_i64 s[2:3]
	s_add_nc_u64 s[2:3], s[2:3], __PRETTY_FUNCTION__._Z39paged_attention_ll4mi_QKV_mfma16_kernelIDF16_hLN4vllm18Fp8KVCacheDataTypeE1EhLi16ELi64ELi256ELb0ELi16EEvPKT_PKT0_S7_ifPKiS9_S9_iPKfiiiPfSC_PS2_PT2_iSB_SB_@rel64+4
	s_delay_alu instid0(SALU_CYCLE_1)
	v_dual_mov_b32 v0, 0xbb3 :: v_dual_mov_b32 v1, s2
	v_mov_b32_e32 v2, s3
	s_add_nc_u64 s[8:9], s[0:1], 0x90
	s_get_pc_i64 s[0:1]
	s_add_nc_u64 s[0:1], s[0:1], __assert_fail@rel64+4
	s_mov_b32 s32, 0
	s_swap_pc_i64 s[30:31], s[0:1]
	.section	.rodata,"a",@progbits
	.p2align	6, 0x0
	.amdhsa_kernel _Z39paged_attention_ll4mi_QKV_mfma16_kernelIDF16_hLN4vllm18Fp8KVCacheDataTypeE1EhLi16ELi64ELi256ELb0ELi16EEvPKT_PKT0_S7_ifPKiS9_S9_iPKfiiiPfSC_PS2_PT2_iSB_SB_
		.amdhsa_group_segment_fixed_size 0
		.amdhsa_private_segment_fixed_size 64
		.amdhsa_kernarg_size 400
		.amdhsa_user_sgpr_count 2
		.amdhsa_user_sgpr_dispatch_ptr 0
		.amdhsa_user_sgpr_queue_ptr 0
		.amdhsa_user_sgpr_kernarg_segment_ptr 1
		.amdhsa_user_sgpr_dispatch_id 0
		.amdhsa_user_sgpr_kernarg_preload_length 0
		.amdhsa_user_sgpr_kernarg_preload_offset 0
		.amdhsa_user_sgpr_private_segment_size 0
		.amdhsa_wavefront_size32 1
		.amdhsa_uses_dynamic_stack 0
		.amdhsa_enable_private_segment 1
		.amdhsa_system_sgpr_workgroup_id_x 1
		.amdhsa_system_sgpr_workgroup_id_y 0
		.amdhsa_system_sgpr_workgroup_id_z 0
		.amdhsa_system_sgpr_workgroup_info 0
		.amdhsa_system_vgpr_workitem_id 0
		.amdhsa_next_free_vgpr 51
		.amdhsa_next_free_sgpr 34
		.amdhsa_named_barrier_count 0
		.amdhsa_reserve_vcc 1
		.amdhsa_float_round_mode_32 0
		.amdhsa_float_round_mode_16_64 0
		.amdhsa_float_denorm_mode_32 3
		.amdhsa_float_denorm_mode_16_64 3
		.amdhsa_fp16_overflow 0
		.amdhsa_memory_ordered 1
		.amdhsa_forward_progress 1
		.amdhsa_inst_pref_size 1
		.amdhsa_round_robin_scheduling 0
		.amdhsa_exception_fp_ieee_invalid_op 0
		.amdhsa_exception_fp_denorm_src 0
		.amdhsa_exception_fp_ieee_div_zero 0
		.amdhsa_exception_fp_ieee_overflow 0
		.amdhsa_exception_fp_ieee_underflow 0
		.amdhsa_exception_fp_ieee_inexact 0
		.amdhsa_exception_int_div_zero 0
	.end_amdhsa_kernel
	.section	.text._Z39paged_attention_ll4mi_QKV_mfma16_kernelIDF16_hLN4vllm18Fp8KVCacheDataTypeE1EhLi16ELi64ELi256ELb0ELi16EEvPKT_PKT0_S7_ifPKiS9_S9_iPKfiiiPfSC_PS2_PT2_iSB_SB_,"axG",@progbits,_Z39paged_attention_ll4mi_QKV_mfma16_kernelIDF16_hLN4vllm18Fp8KVCacheDataTypeE1EhLi16ELi64ELi256ELb0ELi16EEvPKT_PKT0_S7_ifPKiS9_S9_iPKfiiiPfSC_PS2_PT2_iSB_SB_,comdat
.Lfunc_end805:
	.size	_Z39paged_attention_ll4mi_QKV_mfma16_kernelIDF16_hLN4vllm18Fp8KVCacheDataTypeE1EhLi16ELi64ELi256ELb0ELi16EEvPKT_PKT0_S7_ifPKiS9_S9_iPKfiiiPfSC_PS2_PT2_iSB_SB_, .Lfunc_end805-_Z39paged_attention_ll4mi_QKV_mfma16_kernelIDF16_hLN4vllm18Fp8KVCacheDataTypeE1EhLi16ELi64ELi256ELb0ELi16EEvPKT_PKT0_S7_ifPKiS9_S9_iPKfiiiPfSC_PS2_PT2_iSB_SB_
                                        ; -- End function
	.set _Z39paged_attention_ll4mi_QKV_mfma16_kernelIDF16_hLN4vllm18Fp8KVCacheDataTypeE1EhLi16ELi64ELi256ELb0ELi16EEvPKT_PKT0_S7_ifPKiS9_S9_iPKfiiiPfSC_PS2_PT2_iSB_SB_.num_vgpr, max(3, .L__assert_fail.num_vgpr)
	.set _Z39paged_attention_ll4mi_QKV_mfma16_kernelIDF16_hLN4vllm18Fp8KVCacheDataTypeE1EhLi16ELi64ELi256ELb0ELi16EEvPKT_PKT0_S7_ifPKiS9_S9_iPKfiiiPfSC_PS2_PT2_iSB_SB_.num_agpr, max(0, .L__assert_fail.num_agpr)
	.set _Z39paged_attention_ll4mi_QKV_mfma16_kernelIDF16_hLN4vllm18Fp8KVCacheDataTypeE1EhLi16ELi64ELi256ELb0ELi16EEvPKT_PKT0_S7_ifPKiS9_S9_iPKfiiiPfSC_PS2_PT2_iSB_SB_.numbered_sgpr, max(33, .L__assert_fail.numbered_sgpr)
	.set _Z39paged_attention_ll4mi_QKV_mfma16_kernelIDF16_hLN4vllm18Fp8KVCacheDataTypeE1EhLi16ELi64ELi256ELb0ELi16EEvPKT_PKT0_S7_ifPKiS9_S9_iPKfiiiPfSC_PS2_PT2_iSB_SB_.num_named_barrier, max(0, .L__assert_fail.num_named_barrier)
	.set _Z39paged_attention_ll4mi_QKV_mfma16_kernelIDF16_hLN4vllm18Fp8KVCacheDataTypeE1EhLi16ELi64ELi256ELb0ELi16EEvPKT_PKT0_S7_ifPKiS9_S9_iPKfiiiPfSC_PS2_PT2_iSB_SB_.private_seg_size, 0+max(.L__assert_fail.private_seg_size)
	.set _Z39paged_attention_ll4mi_QKV_mfma16_kernelIDF16_hLN4vllm18Fp8KVCacheDataTypeE1EhLi16ELi64ELi256ELb0ELi16EEvPKT_PKT0_S7_ifPKiS9_S9_iPKfiiiPfSC_PS2_PT2_iSB_SB_.uses_vcc, or(1, .L__assert_fail.uses_vcc)
	.set _Z39paged_attention_ll4mi_QKV_mfma16_kernelIDF16_hLN4vllm18Fp8KVCacheDataTypeE1EhLi16ELi64ELi256ELb0ELi16EEvPKT_PKT0_S7_ifPKiS9_S9_iPKfiiiPfSC_PS2_PT2_iSB_SB_.uses_flat_scratch, or(0, .L__assert_fail.uses_flat_scratch)
	.set _Z39paged_attention_ll4mi_QKV_mfma16_kernelIDF16_hLN4vllm18Fp8KVCacheDataTypeE1EhLi16ELi64ELi256ELb0ELi16EEvPKT_PKT0_S7_ifPKiS9_S9_iPKfiiiPfSC_PS2_PT2_iSB_SB_.has_dyn_sized_stack, or(0, .L__assert_fail.has_dyn_sized_stack)
	.set _Z39paged_attention_ll4mi_QKV_mfma16_kernelIDF16_hLN4vllm18Fp8KVCacheDataTypeE1EhLi16ELi64ELi256ELb0ELi16EEvPKT_PKT0_S7_ifPKiS9_S9_iPKfiiiPfSC_PS2_PT2_iSB_SB_.has_recursion, or(0, .L__assert_fail.has_recursion)
	.set _Z39paged_attention_ll4mi_QKV_mfma16_kernelIDF16_hLN4vllm18Fp8KVCacheDataTypeE1EhLi16ELi64ELi256ELb0ELi16EEvPKT_PKT0_S7_ifPKiS9_S9_iPKfiiiPfSC_PS2_PT2_iSB_SB_.has_indirect_call, or(0, .L__assert_fail.has_indirect_call)
	.section	.AMDGPU.csdata,"",@progbits
; Kernel info:
; codeLenInByte = 68
; TotalNumSgprs: 36
; NumVgprs: 51
; ScratchSize: 64
; MemoryBound: 0
; FloatMode: 240
; IeeeMode: 1
; LDSByteSize: 0 bytes/workgroup (compile time only)
; SGPRBlocks: 0
; VGPRBlocks: 3
; NumSGPRsForWavesPerEU: 36
; NumVGPRsForWavesPerEU: 51
; NamedBarCnt: 0
; Occupancy: 16
; WaveLimiterHint : 1
; COMPUTE_PGM_RSRC2:SCRATCH_EN: 1
; COMPUTE_PGM_RSRC2:USER_SGPR: 2
; COMPUTE_PGM_RSRC2:TRAP_HANDLER: 0
; COMPUTE_PGM_RSRC2:TGID_X_EN: 1
; COMPUTE_PGM_RSRC2:TGID_Y_EN: 0
; COMPUTE_PGM_RSRC2:TGID_Z_EN: 0
; COMPUTE_PGM_RSRC2:TIDIG_COMP_CNT: 0
	.section	.text._Z39paged_attention_ll4mi_QKV_mfma16_kernelIDF16_hLN4vllm18Fp8KVCacheDataTypeE1EhLi16ELi64ELi256ELb0ELi1EEvPKT_PKT0_S7_ifPKiS9_S9_iPKfiiiPfSC_PS2_PT2_iSB_SB_,"axG",@progbits,_Z39paged_attention_ll4mi_QKV_mfma16_kernelIDF16_hLN4vllm18Fp8KVCacheDataTypeE1EhLi16ELi64ELi256ELb0ELi1EEvPKT_PKT0_S7_ifPKiS9_S9_iPKfiiiPfSC_PS2_PT2_iSB_SB_,comdat
	.protected	_Z39paged_attention_ll4mi_QKV_mfma16_kernelIDF16_hLN4vllm18Fp8KVCacheDataTypeE1EhLi16ELi64ELi256ELb0ELi1EEvPKT_PKT0_S7_ifPKiS9_S9_iPKfiiiPfSC_PS2_PT2_iSB_SB_ ; -- Begin function _Z39paged_attention_ll4mi_QKV_mfma16_kernelIDF16_hLN4vllm18Fp8KVCacheDataTypeE1EhLi16ELi64ELi256ELb0ELi1EEvPKT_PKT0_S7_ifPKiS9_S9_iPKfiiiPfSC_PS2_PT2_iSB_SB_
	.globl	_Z39paged_attention_ll4mi_QKV_mfma16_kernelIDF16_hLN4vllm18Fp8KVCacheDataTypeE1EhLi16ELi64ELi256ELb0ELi1EEvPKT_PKT0_S7_ifPKiS9_S9_iPKfiiiPfSC_PS2_PT2_iSB_SB_
	.p2align	8
	.type	_Z39paged_attention_ll4mi_QKV_mfma16_kernelIDF16_hLN4vllm18Fp8KVCacheDataTypeE1EhLi16ELi64ELi256ELb0ELi1EEvPKT_PKT0_S7_ifPKiS9_S9_iPKfiiiPfSC_PS2_PT2_iSB_SB_,@function
_Z39paged_attention_ll4mi_QKV_mfma16_kernelIDF16_hLN4vllm18Fp8KVCacheDataTypeE1EhLi16ELi64ELi256ELb0ELi1EEvPKT_PKT0_S7_ifPKiS9_S9_iPKfiiiPfSC_PS2_PT2_iSB_SB_: ; @_Z39paged_attention_ll4mi_QKV_mfma16_kernelIDF16_hLN4vllm18Fp8KVCacheDataTypeE1EhLi16ELi64ELi256ELb0ELi1EEvPKT_PKT0_S7_ifPKiS9_S9_iPKfiiiPfSC_PS2_PT2_iSB_SB_
; %bb.0:
	s_get_pc_i64 s[2:3]
	s_add_nc_u64 s[2:3], s[2:3], __PRETTY_FUNCTION__._Z39paged_attention_ll4mi_QKV_mfma16_kernelIDF16_hLN4vllm18Fp8KVCacheDataTypeE1EhLi16ELi64ELi256ELb0ELi1EEvPKT_PKT0_S7_ifPKiS9_S9_iPKfiiiPfSC_PS2_PT2_iSB_SB_@rel64+4
	s_delay_alu instid0(SALU_CYCLE_1)
	v_dual_mov_b32 v0, 0xbb3 :: v_dual_mov_b32 v1, s2
	v_mov_b32_e32 v2, s3
	s_add_nc_u64 s[8:9], s[0:1], 0x90
	s_get_pc_i64 s[0:1]
	s_add_nc_u64 s[0:1], s[0:1], __assert_fail@rel64+4
	s_mov_b32 s32, 0
	s_swap_pc_i64 s[30:31], s[0:1]
	.section	.rodata,"a",@progbits
	.p2align	6, 0x0
	.amdhsa_kernel _Z39paged_attention_ll4mi_QKV_mfma16_kernelIDF16_hLN4vllm18Fp8KVCacheDataTypeE1EhLi16ELi64ELi256ELb0ELi1EEvPKT_PKT0_S7_ifPKiS9_S9_iPKfiiiPfSC_PS2_PT2_iSB_SB_
		.amdhsa_group_segment_fixed_size 0
		.amdhsa_private_segment_fixed_size 64
		.amdhsa_kernarg_size 400
		.amdhsa_user_sgpr_count 2
		.amdhsa_user_sgpr_dispatch_ptr 0
		.amdhsa_user_sgpr_queue_ptr 0
		.amdhsa_user_sgpr_kernarg_segment_ptr 1
		.amdhsa_user_sgpr_dispatch_id 0
		.amdhsa_user_sgpr_kernarg_preload_length 0
		.amdhsa_user_sgpr_kernarg_preload_offset 0
		.amdhsa_user_sgpr_private_segment_size 0
		.amdhsa_wavefront_size32 1
		.amdhsa_uses_dynamic_stack 0
		.amdhsa_enable_private_segment 1
		.amdhsa_system_sgpr_workgroup_id_x 1
		.amdhsa_system_sgpr_workgroup_id_y 0
		.amdhsa_system_sgpr_workgroup_id_z 0
		.amdhsa_system_sgpr_workgroup_info 0
		.amdhsa_system_vgpr_workitem_id 0
		.amdhsa_next_free_vgpr 51
		.amdhsa_next_free_sgpr 34
		.amdhsa_named_barrier_count 0
		.amdhsa_reserve_vcc 1
		.amdhsa_float_round_mode_32 0
		.amdhsa_float_round_mode_16_64 0
		.amdhsa_float_denorm_mode_32 3
		.amdhsa_float_denorm_mode_16_64 3
		.amdhsa_fp16_overflow 0
		.amdhsa_memory_ordered 1
		.amdhsa_forward_progress 1
		.amdhsa_inst_pref_size 1
		.amdhsa_round_robin_scheduling 0
		.amdhsa_exception_fp_ieee_invalid_op 0
		.amdhsa_exception_fp_denorm_src 0
		.amdhsa_exception_fp_ieee_div_zero 0
		.amdhsa_exception_fp_ieee_overflow 0
		.amdhsa_exception_fp_ieee_underflow 0
		.amdhsa_exception_fp_ieee_inexact 0
		.amdhsa_exception_int_div_zero 0
	.end_amdhsa_kernel
	.section	.text._Z39paged_attention_ll4mi_QKV_mfma16_kernelIDF16_hLN4vllm18Fp8KVCacheDataTypeE1EhLi16ELi64ELi256ELb0ELi1EEvPKT_PKT0_S7_ifPKiS9_S9_iPKfiiiPfSC_PS2_PT2_iSB_SB_,"axG",@progbits,_Z39paged_attention_ll4mi_QKV_mfma16_kernelIDF16_hLN4vllm18Fp8KVCacheDataTypeE1EhLi16ELi64ELi256ELb0ELi1EEvPKT_PKT0_S7_ifPKiS9_S9_iPKfiiiPfSC_PS2_PT2_iSB_SB_,comdat
.Lfunc_end806:
	.size	_Z39paged_attention_ll4mi_QKV_mfma16_kernelIDF16_hLN4vllm18Fp8KVCacheDataTypeE1EhLi16ELi64ELi256ELb0ELi1EEvPKT_PKT0_S7_ifPKiS9_S9_iPKfiiiPfSC_PS2_PT2_iSB_SB_, .Lfunc_end806-_Z39paged_attention_ll4mi_QKV_mfma16_kernelIDF16_hLN4vllm18Fp8KVCacheDataTypeE1EhLi16ELi64ELi256ELb0ELi1EEvPKT_PKT0_S7_ifPKiS9_S9_iPKfiiiPfSC_PS2_PT2_iSB_SB_
                                        ; -- End function
	.set _Z39paged_attention_ll4mi_QKV_mfma16_kernelIDF16_hLN4vllm18Fp8KVCacheDataTypeE1EhLi16ELi64ELi256ELb0ELi1EEvPKT_PKT0_S7_ifPKiS9_S9_iPKfiiiPfSC_PS2_PT2_iSB_SB_.num_vgpr, max(3, .L__assert_fail.num_vgpr)
	.set _Z39paged_attention_ll4mi_QKV_mfma16_kernelIDF16_hLN4vllm18Fp8KVCacheDataTypeE1EhLi16ELi64ELi256ELb0ELi1EEvPKT_PKT0_S7_ifPKiS9_S9_iPKfiiiPfSC_PS2_PT2_iSB_SB_.num_agpr, max(0, .L__assert_fail.num_agpr)
	.set _Z39paged_attention_ll4mi_QKV_mfma16_kernelIDF16_hLN4vllm18Fp8KVCacheDataTypeE1EhLi16ELi64ELi256ELb0ELi1EEvPKT_PKT0_S7_ifPKiS9_S9_iPKfiiiPfSC_PS2_PT2_iSB_SB_.numbered_sgpr, max(33, .L__assert_fail.numbered_sgpr)
	.set _Z39paged_attention_ll4mi_QKV_mfma16_kernelIDF16_hLN4vllm18Fp8KVCacheDataTypeE1EhLi16ELi64ELi256ELb0ELi1EEvPKT_PKT0_S7_ifPKiS9_S9_iPKfiiiPfSC_PS2_PT2_iSB_SB_.num_named_barrier, max(0, .L__assert_fail.num_named_barrier)
	.set _Z39paged_attention_ll4mi_QKV_mfma16_kernelIDF16_hLN4vllm18Fp8KVCacheDataTypeE1EhLi16ELi64ELi256ELb0ELi1EEvPKT_PKT0_S7_ifPKiS9_S9_iPKfiiiPfSC_PS2_PT2_iSB_SB_.private_seg_size, 0+max(.L__assert_fail.private_seg_size)
	.set _Z39paged_attention_ll4mi_QKV_mfma16_kernelIDF16_hLN4vllm18Fp8KVCacheDataTypeE1EhLi16ELi64ELi256ELb0ELi1EEvPKT_PKT0_S7_ifPKiS9_S9_iPKfiiiPfSC_PS2_PT2_iSB_SB_.uses_vcc, or(1, .L__assert_fail.uses_vcc)
	.set _Z39paged_attention_ll4mi_QKV_mfma16_kernelIDF16_hLN4vllm18Fp8KVCacheDataTypeE1EhLi16ELi64ELi256ELb0ELi1EEvPKT_PKT0_S7_ifPKiS9_S9_iPKfiiiPfSC_PS2_PT2_iSB_SB_.uses_flat_scratch, or(0, .L__assert_fail.uses_flat_scratch)
	.set _Z39paged_attention_ll4mi_QKV_mfma16_kernelIDF16_hLN4vllm18Fp8KVCacheDataTypeE1EhLi16ELi64ELi256ELb0ELi1EEvPKT_PKT0_S7_ifPKiS9_S9_iPKfiiiPfSC_PS2_PT2_iSB_SB_.has_dyn_sized_stack, or(0, .L__assert_fail.has_dyn_sized_stack)
	.set _Z39paged_attention_ll4mi_QKV_mfma16_kernelIDF16_hLN4vllm18Fp8KVCacheDataTypeE1EhLi16ELi64ELi256ELb0ELi1EEvPKT_PKT0_S7_ifPKiS9_S9_iPKfiiiPfSC_PS2_PT2_iSB_SB_.has_recursion, or(0, .L__assert_fail.has_recursion)
	.set _Z39paged_attention_ll4mi_QKV_mfma16_kernelIDF16_hLN4vllm18Fp8KVCacheDataTypeE1EhLi16ELi64ELi256ELb0ELi1EEvPKT_PKT0_S7_ifPKiS9_S9_iPKfiiiPfSC_PS2_PT2_iSB_SB_.has_indirect_call, or(0, .L__assert_fail.has_indirect_call)
	.section	.AMDGPU.csdata,"",@progbits
; Kernel info:
; codeLenInByte = 68
; TotalNumSgprs: 36
; NumVgprs: 51
; ScratchSize: 64
; MemoryBound: 0
; FloatMode: 240
; IeeeMode: 1
; LDSByteSize: 0 bytes/workgroup (compile time only)
; SGPRBlocks: 0
; VGPRBlocks: 3
; NumSGPRsForWavesPerEU: 36
; NumVGPRsForWavesPerEU: 51
; NamedBarCnt: 0
; Occupancy: 16
; WaveLimiterHint : 1
; COMPUTE_PGM_RSRC2:SCRATCH_EN: 1
; COMPUTE_PGM_RSRC2:USER_SGPR: 2
; COMPUTE_PGM_RSRC2:TRAP_HANDLER: 0
; COMPUTE_PGM_RSRC2:TGID_X_EN: 1
; COMPUTE_PGM_RSRC2:TGID_Y_EN: 0
; COMPUTE_PGM_RSRC2:TGID_Z_EN: 0
; COMPUTE_PGM_RSRC2:TIDIG_COMP_CNT: 0
	.section	.text._Z39paged_attention_ll4mi_QKV_mfma16_kernelIDF16_hLN4vllm18Fp8KVCacheDataTypeE1EhLi16ELi64ELi256ELb0ELi2EEvPKT_PKT0_S7_ifPKiS9_S9_iPKfiiiPfSC_PS2_PT2_iSB_SB_,"axG",@progbits,_Z39paged_attention_ll4mi_QKV_mfma16_kernelIDF16_hLN4vllm18Fp8KVCacheDataTypeE1EhLi16ELi64ELi256ELb0ELi2EEvPKT_PKT0_S7_ifPKiS9_S9_iPKfiiiPfSC_PS2_PT2_iSB_SB_,comdat
	.protected	_Z39paged_attention_ll4mi_QKV_mfma16_kernelIDF16_hLN4vllm18Fp8KVCacheDataTypeE1EhLi16ELi64ELi256ELb0ELi2EEvPKT_PKT0_S7_ifPKiS9_S9_iPKfiiiPfSC_PS2_PT2_iSB_SB_ ; -- Begin function _Z39paged_attention_ll4mi_QKV_mfma16_kernelIDF16_hLN4vllm18Fp8KVCacheDataTypeE1EhLi16ELi64ELi256ELb0ELi2EEvPKT_PKT0_S7_ifPKiS9_S9_iPKfiiiPfSC_PS2_PT2_iSB_SB_
	.globl	_Z39paged_attention_ll4mi_QKV_mfma16_kernelIDF16_hLN4vllm18Fp8KVCacheDataTypeE1EhLi16ELi64ELi256ELb0ELi2EEvPKT_PKT0_S7_ifPKiS9_S9_iPKfiiiPfSC_PS2_PT2_iSB_SB_
	.p2align	8
	.type	_Z39paged_attention_ll4mi_QKV_mfma16_kernelIDF16_hLN4vllm18Fp8KVCacheDataTypeE1EhLi16ELi64ELi256ELb0ELi2EEvPKT_PKT0_S7_ifPKiS9_S9_iPKfiiiPfSC_PS2_PT2_iSB_SB_,@function
_Z39paged_attention_ll4mi_QKV_mfma16_kernelIDF16_hLN4vllm18Fp8KVCacheDataTypeE1EhLi16ELi64ELi256ELb0ELi2EEvPKT_PKT0_S7_ifPKiS9_S9_iPKfiiiPfSC_PS2_PT2_iSB_SB_: ; @_Z39paged_attention_ll4mi_QKV_mfma16_kernelIDF16_hLN4vllm18Fp8KVCacheDataTypeE1EhLi16ELi64ELi256ELb0ELi2EEvPKT_PKT0_S7_ifPKiS9_S9_iPKfiiiPfSC_PS2_PT2_iSB_SB_
; %bb.0:
	s_get_pc_i64 s[2:3]
	s_add_nc_u64 s[2:3], s[2:3], __PRETTY_FUNCTION__._Z39paged_attention_ll4mi_QKV_mfma16_kernelIDF16_hLN4vllm18Fp8KVCacheDataTypeE1EhLi16ELi64ELi256ELb0ELi2EEvPKT_PKT0_S7_ifPKiS9_S9_iPKfiiiPfSC_PS2_PT2_iSB_SB_@rel64+4
	s_delay_alu instid0(SALU_CYCLE_1)
	v_dual_mov_b32 v0, 0xbb3 :: v_dual_mov_b32 v1, s2
	v_mov_b32_e32 v2, s3
	s_add_nc_u64 s[8:9], s[0:1], 0x90
	s_get_pc_i64 s[0:1]
	s_add_nc_u64 s[0:1], s[0:1], __assert_fail@rel64+4
	s_mov_b32 s32, 0
	s_swap_pc_i64 s[30:31], s[0:1]
	.section	.rodata,"a",@progbits
	.p2align	6, 0x0
	.amdhsa_kernel _Z39paged_attention_ll4mi_QKV_mfma16_kernelIDF16_hLN4vllm18Fp8KVCacheDataTypeE1EhLi16ELi64ELi256ELb0ELi2EEvPKT_PKT0_S7_ifPKiS9_S9_iPKfiiiPfSC_PS2_PT2_iSB_SB_
		.amdhsa_group_segment_fixed_size 0
		.amdhsa_private_segment_fixed_size 64
		.amdhsa_kernarg_size 400
		.amdhsa_user_sgpr_count 2
		.amdhsa_user_sgpr_dispatch_ptr 0
		.amdhsa_user_sgpr_queue_ptr 0
		.amdhsa_user_sgpr_kernarg_segment_ptr 1
		.amdhsa_user_sgpr_dispatch_id 0
		.amdhsa_user_sgpr_kernarg_preload_length 0
		.amdhsa_user_sgpr_kernarg_preload_offset 0
		.amdhsa_user_sgpr_private_segment_size 0
		.amdhsa_wavefront_size32 1
		.amdhsa_uses_dynamic_stack 0
		.amdhsa_enable_private_segment 1
		.amdhsa_system_sgpr_workgroup_id_x 1
		.amdhsa_system_sgpr_workgroup_id_y 0
		.amdhsa_system_sgpr_workgroup_id_z 0
		.amdhsa_system_sgpr_workgroup_info 0
		.amdhsa_system_vgpr_workitem_id 0
		.amdhsa_next_free_vgpr 51
		.amdhsa_next_free_sgpr 34
		.amdhsa_named_barrier_count 0
		.amdhsa_reserve_vcc 1
		.amdhsa_float_round_mode_32 0
		.amdhsa_float_round_mode_16_64 0
		.amdhsa_float_denorm_mode_32 3
		.amdhsa_float_denorm_mode_16_64 3
		.amdhsa_fp16_overflow 0
		.amdhsa_memory_ordered 1
		.amdhsa_forward_progress 1
		.amdhsa_inst_pref_size 1
		.amdhsa_round_robin_scheduling 0
		.amdhsa_exception_fp_ieee_invalid_op 0
		.amdhsa_exception_fp_denorm_src 0
		.amdhsa_exception_fp_ieee_div_zero 0
		.amdhsa_exception_fp_ieee_overflow 0
		.amdhsa_exception_fp_ieee_underflow 0
		.amdhsa_exception_fp_ieee_inexact 0
		.amdhsa_exception_int_div_zero 0
	.end_amdhsa_kernel
	.section	.text._Z39paged_attention_ll4mi_QKV_mfma16_kernelIDF16_hLN4vllm18Fp8KVCacheDataTypeE1EhLi16ELi64ELi256ELb0ELi2EEvPKT_PKT0_S7_ifPKiS9_S9_iPKfiiiPfSC_PS2_PT2_iSB_SB_,"axG",@progbits,_Z39paged_attention_ll4mi_QKV_mfma16_kernelIDF16_hLN4vllm18Fp8KVCacheDataTypeE1EhLi16ELi64ELi256ELb0ELi2EEvPKT_PKT0_S7_ifPKiS9_S9_iPKfiiiPfSC_PS2_PT2_iSB_SB_,comdat
.Lfunc_end807:
	.size	_Z39paged_attention_ll4mi_QKV_mfma16_kernelIDF16_hLN4vllm18Fp8KVCacheDataTypeE1EhLi16ELi64ELi256ELb0ELi2EEvPKT_PKT0_S7_ifPKiS9_S9_iPKfiiiPfSC_PS2_PT2_iSB_SB_, .Lfunc_end807-_Z39paged_attention_ll4mi_QKV_mfma16_kernelIDF16_hLN4vllm18Fp8KVCacheDataTypeE1EhLi16ELi64ELi256ELb0ELi2EEvPKT_PKT0_S7_ifPKiS9_S9_iPKfiiiPfSC_PS2_PT2_iSB_SB_
                                        ; -- End function
	.set _Z39paged_attention_ll4mi_QKV_mfma16_kernelIDF16_hLN4vllm18Fp8KVCacheDataTypeE1EhLi16ELi64ELi256ELb0ELi2EEvPKT_PKT0_S7_ifPKiS9_S9_iPKfiiiPfSC_PS2_PT2_iSB_SB_.num_vgpr, max(3, .L__assert_fail.num_vgpr)
	.set _Z39paged_attention_ll4mi_QKV_mfma16_kernelIDF16_hLN4vllm18Fp8KVCacheDataTypeE1EhLi16ELi64ELi256ELb0ELi2EEvPKT_PKT0_S7_ifPKiS9_S9_iPKfiiiPfSC_PS2_PT2_iSB_SB_.num_agpr, max(0, .L__assert_fail.num_agpr)
	.set _Z39paged_attention_ll4mi_QKV_mfma16_kernelIDF16_hLN4vllm18Fp8KVCacheDataTypeE1EhLi16ELi64ELi256ELb0ELi2EEvPKT_PKT0_S7_ifPKiS9_S9_iPKfiiiPfSC_PS2_PT2_iSB_SB_.numbered_sgpr, max(33, .L__assert_fail.numbered_sgpr)
	.set _Z39paged_attention_ll4mi_QKV_mfma16_kernelIDF16_hLN4vllm18Fp8KVCacheDataTypeE1EhLi16ELi64ELi256ELb0ELi2EEvPKT_PKT0_S7_ifPKiS9_S9_iPKfiiiPfSC_PS2_PT2_iSB_SB_.num_named_barrier, max(0, .L__assert_fail.num_named_barrier)
	.set _Z39paged_attention_ll4mi_QKV_mfma16_kernelIDF16_hLN4vllm18Fp8KVCacheDataTypeE1EhLi16ELi64ELi256ELb0ELi2EEvPKT_PKT0_S7_ifPKiS9_S9_iPKfiiiPfSC_PS2_PT2_iSB_SB_.private_seg_size, 0+max(.L__assert_fail.private_seg_size)
	.set _Z39paged_attention_ll4mi_QKV_mfma16_kernelIDF16_hLN4vllm18Fp8KVCacheDataTypeE1EhLi16ELi64ELi256ELb0ELi2EEvPKT_PKT0_S7_ifPKiS9_S9_iPKfiiiPfSC_PS2_PT2_iSB_SB_.uses_vcc, or(1, .L__assert_fail.uses_vcc)
	.set _Z39paged_attention_ll4mi_QKV_mfma16_kernelIDF16_hLN4vllm18Fp8KVCacheDataTypeE1EhLi16ELi64ELi256ELb0ELi2EEvPKT_PKT0_S7_ifPKiS9_S9_iPKfiiiPfSC_PS2_PT2_iSB_SB_.uses_flat_scratch, or(0, .L__assert_fail.uses_flat_scratch)
	.set _Z39paged_attention_ll4mi_QKV_mfma16_kernelIDF16_hLN4vllm18Fp8KVCacheDataTypeE1EhLi16ELi64ELi256ELb0ELi2EEvPKT_PKT0_S7_ifPKiS9_S9_iPKfiiiPfSC_PS2_PT2_iSB_SB_.has_dyn_sized_stack, or(0, .L__assert_fail.has_dyn_sized_stack)
	.set _Z39paged_attention_ll4mi_QKV_mfma16_kernelIDF16_hLN4vllm18Fp8KVCacheDataTypeE1EhLi16ELi64ELi256ELb0ELi2EEvPKT_PKT0_S7_ifPKiS9_S9_iPKfiiiPfSC_PS2_PT2_iSB_SB_.has_recursion, or(0, .L__assert_fail.has_recursion)
	.set _Z39paged_attention_ll4mi_QKV_mfma16_kernelIDF16_hLN4vllm18Fp8KVCacheDataTypeE1EhLi16ELi64ELi256ELb0ELi2EEvPKT_PKT0_S7_ifPKiS9_S9_iPKfiiiPfSC_PS2_PT2_iSB_SB_.has_indirect_call, or(0, .L__assert_fail.has_indirect_call)
	.section	.AMDGPU.csdata,"",@progbits
; Kernel info:
; codeLenInByte = 68
; TotalNumSgprs: 36
; NumVgprs: 51
; ScratchSize: 64
; MemoryBound: 0
; FloatMode: 240
; IeeeMode: 1
; LDSByteSize: 0 bytes/workgroup (compile time only)
; SGPRBlocks: 0
; VGPRBlocks: 3
; NumSGPRsForWavesPerEU: 36
; NumVGPRsForWavesPerEU: 51
; NamedBarCnt: 0
; Occupancy: 16
; WaveLimiterHint : 1
; COMPUTE_PGM_RSRC2:SCRATCH_EN: 1
; COMPUTE_PGM_RSRC2:USER_SGPR: 2
; COMPUTE_PGM_RSRC2:TRAP_HANDLER: 0
; COMPUTE_PGM_RSRC2:TGID_X_EN: 1
; COMPUTE_PGM_RSRC2:TGID_Y_EN: 0
; COMPUTE_PGM_RSRC2:TGID_Z_EN: 0
; COMPUTE_PGM_RSRC2:TIDIG_COMP_CNT: 0
	.section	.text._Z39paged_attention_ll4mi_QKV_mfma16_kernelIDF16_hLN4vllm18Fp8KVCacheDataTypeE1EhLi16ELi64ELi256ELb0ELi3EEvPKT_PKT0_S7_ifPKiS9_S9_iPKfiiiPfSC_PS2_PT2_iSB_SB_,"axG",@progbits,_Z39paged_attention_ll4mi_QKV_mfma16_kernelIDF16_hLN4vllm18Fp8KVCacheDataTypeE1EhLi16ELi64ELi256ELb0ELi3EEvPKT_PKT0_S7_ifPKiS9_S9_iPKfiiiPfSC_PS2_PT2_iSB_SB_,comdat
	.protected	_Z39paged_attention_ll4mi_QKV_mfma16_kernelIDF16_hLN4vllm18Fp8KVCacheDataTypeE1EhLi16ELi64ELi256ELb0ELi3EEvPKT_PKT0_S7_ifPKiS9_S9_iPKfiiiPfSC_PS2_PT2_iSB_SB_ ; -- Begin function _Z39paged_attention_ll4mi_QKV_mfma16_kernelIDF16_hLN4vllm18Fp8KVCacheDataTypeE1EhLi16ELi64ELi256ELb0ELi3EEvPKT_PKT0_S7_ifPKiS9_S9_iPKfiiiPfSC_PS2_PT2_iSB_SB_
	.globl	_Z39paged_attention_ll4mi_QKV_mfma16_kernelIDF16_hLN4vllm18Fp8KVCacheDataTypeE1EhLi16ELi64ELi256ELb0ELi3EEvPKT_PKT0_S7_ifPKiS9_S9_iPKfiiiPfSC_PS2_PT2_iSB_SB_
	.p2align	8
	.type	_Z39paged_attention_ll4mi_QKV_mfma16_kernelIDF16_hLN4vllm18Fp8KVCacheDataTypeE1EhLi16ELi64ELi256ELb0ELi3EEvPKT_PKT0_S7_ifPKiS9_S9_iPKfiiiPfSC_PS2_PT2_iSB_SB_,@function
_Z39paged_attention_ll4mi_QKV_mfma16_kernelIDF16_hLN4vllm18Fp8KVCacheDataTypeE1EhLi16ELi64ELi256ELb0ELi3EEvPKT_PKT0_S7_ifPKiS9_S9_iPKfiiiPfSC_PS2_PT2_iSB_SB_: ; @_Z39paged_attention_ll4mi_QKV_mfma16_kernelIDF16_hLN4vllm18Fp8KVCacheDataTypeE1EhLi16ELi64ELi256ELb0ELi3EEvPKT_PKT0_S7_ifPKiS9_S9_iPKfiiiPfSC_PS2_PT2_iSB_SB_
; %bb.0:
	s_get_pc_i64 s[2:3]
	s_add_nc_u64 s[2:3], s[2:3], __PRETTY_FUNCTION__._Z39paged_attention_ll4mi_QKV_mfma16_kernelIDF16_hLN4vllm18Fp8KVCacheDataTypeE1EhLi16ELi64ELi256ELb0ELi3EEvPKT_PKT0_S7_ifPKiS9_S9_iPKfiiiPfSC_PS2_PT2_iSB_SB_@rel64+4
	s_delay_alu instid0(SALU_CYCLE_1)
	v_dual_mov_b32 v0, 0xbb3 :: v_dual_mov_b32 v1, s2
	v_mov_b32_e32 v2, s3
	s_add_nc_u64 s[8:9], s[0:1], 0x90
	s_get_pc_i64 s[0:1]
	s_add_nc_u64 s[0:1], s[0:1], __assert_fail@rel64+4
	s_mov_b32 s32, 0
	s_swap_pc_i64 s[30:31], s[0:1]
	.section	.rodata,"a",@progbits
	.p2align	6, 0x0
	.amdhsa_kernel _Z39paged_attention_ll4mi_QKV_mfma16_kernelIDF16_hLN4vllm18Fp8KVCacheDataTypeE1EhLi16ELi64ELi256ELb0ELi3EEvPKT_PKT0_S7_ifPKiS9_S9_iPKfiiiPfSC_PS2_PT2_iSB_SB_
		.amdhsa_group_segment_fixed_size 0
		.amdhsa_private_segment_fixed_size 64
		.amdhsa_kernarg_size 400
		.amdhsa_user_sgpr_count 2
		.amdhsa_user_sgpr_dispatch_ptr 0
		.amdhsa_user_sgpr_queue_ptr 0
		.amdhsa_user_sgpr_kernarg_segment_ptr 1
		.amdhsa_user_sgpr_dispatch_id 0
		.amdhsa_user_sgpr_kernarg_preload_length 0
		.amdhsa_user_sgpr_kernarg_preload_offset 0
		.amdhsa_user_sgpr_private_segment_size 0
		.amdhsa_wavefront_size32 1
		.amdhsa_uses_dynamic_stack 0
		.amdhsa_enable_private_segment 1
		.amdhsa_system_sgpr_workgroup_id_x 1
		.amdhsa_system_sgpr_workgroup_id_y 0
		.amdhsa_system_sgpr_workgroup_id_z 0
		.amdhsa_system_sgpr_workgroup_info 0
		.amdhsa_system_vgpr_workitem_id 0
		.amdhsa_next_free_vgpr 51
		.amdhsa_next_free_sgpr 34
		.amdhsa_named_barrier_count 0
		.amdhsa_reserve_vcc 1
		.amdhsa_float_round_mode_32 0
		.amdhsa_float_round_mode_16_64 0
		.amdhsa_float_denorm_mode_32 3
		.amdhsa_float_denorm_mode_16_64 3
		.amdhsa_fp16_overflow 0
		.amdhsa_memory_ordered 1
		.amdhsa_forward_progress 1
		.amdhsa_inst_pref_size 1
		.amdhsa_round_robin_scheduling 0
		.amdhsa_exception_fp_ieee_invalid_op 0
		.amdhsa_exception_fp_denorm_src 0
		.amdhsa_exception_fp_ieee_div_zero 0
		.amdhsa_exception_fp_ieee_overflow 0
		.amdhsa_exception_fp_ieee_underflow 0
		.amdhsa_exception_fp_ieee_inexact 0
		.amdhsa_exception_int_div_zero 0
	.end_amdhsa_kernel
	.section	.text._Z39paged_attention_ll4mi_QKV_mfma16_kernelIDF16_hLN4vllm18Fp8KVCacheDataTypeE1EhLi16ELi64ELi256ELb0ELi3EEvPKT_PKT0_S7_ifPKiS9_S9_iPKfiiiPfSC_PS2_PT2_iSB_SB_,"axG",@progbits,_Z39paged_attention_ll4mi_QKV_mfma16_kernelIDF16_hLN4vllm18Fp8KVCacheDataTypeE1EhLi16ELi64ELi256ELb0ELi3EEvPKT_PKT0_S7_ifPKiS9_S9_iPKfiiiPfSC_PS2_PT2_iSB_SB_,comdat
.Lfunc_end808:
	.size	_Z39paged_attention_ll4mi_QKV_mfma16_kernelIDF16_hLN4vllm18Fp8KVCacheDataTypeE1EhLi16ELi64ELi256ELb0ELi3EEvPKT_PKT0_S7_ifPKiS9_S9_iPKfiiiPfSC_PS2_PT2_iSB_SB_, .Lfunc_end808-_Z39paged_attention_ll4mi_QKV_mfma16_kernelIDF16_hLN4vllm18Fp8KVCacheDataTypeE1EhLi16ELi64ELi256ELb0ELi3EEvPKT_PKT0_S7_ifPKiS9_S9_iPKfiiiPfSC_PS2_PT2_iSB_SB_
                                        ; -- End function
	.set _Z39paged_attention_ll4mi_QKV_mfma16_kernelIDF16_hLN4vllm18Fp8KVCacheDataTypeE1EhLi16ELi64ELi256ELb0ELi3EEvPKT_PKT0_S7_ifPKiS9_S9_iPKfiiiPfSC_PS2_PT2_iSB_SB_.num_vgpr, max(3, .L__assert_fail.num_vgpr)
	.set _Z39paged_attention_ll4mi_QKV_mfma16_kernelIDF16_hLN4vllm18Fp8KVCacheDataTypeE1EhLi16ELi64ELi256ELb0ELi3EEvPKT_PKT0_S7_ifPKiS9_S9_iPKfiiiPfSC_PS2_PT2_iSB_SB_.num_agpr, max(0, .L__assert_fail.num_agpr)
	.set _Z39paged_attention_ll4mi_QKV_mfma16_kernelIDF16_hLN4vllm18Fp8KVCacheDataTypeE1EhLi16ELi64ELi256ELb0ELi3EEvPKT_PKT0_S7_ifPKiS9_S9_iPKfiiiPfSC_PS2_PT2_iSB_SB_.numbered_sgpr, max(33, .L__assert_fail.numbered_sgpr)
	.set _Z39paged_attention_ll4mi_QKV_mfma16_kernelIDF16_hLN4vllm18Fp8KVCacheDataTypeE1EhLi16ELi64ELi256ELb0ELi3EEvPKT_PKT0_S7_ifPKiS9_S9_iPKfiiiPfSC_PS2_PT2_iSB_SB_.num_named_barrier, max(0, .L__assert_fail.num_named_barrier)
	.set _Z39paged_attention_ll4mi_QKV_mfma16_kernelIDF16_hLN4vllm18Fp8KVCacheDataTypeE1EhLi16ELi64ELi256ELb0ELi3EEvPKT_PKT0_S7_ifPKiS9_S9_iPKfiiiPfSC_PS2_PT2_iSB_SB_.private_seg_size, 0+max(.L__assert_fail.private_seg_size)
	.set _Z39paged_attention_ll4mi_QKV_mfma16_kernelIDF16_hLN4vllm18Fp8KVCacheDataTypeE1EhLi16ELi64ELi256ELb0ELi3EEvPKT_PKT0_S7_ifPKiS9_S9_iPKfiiiPfSC_PS2_PT2_iSB_SB_.uses_vcc, or(1, .L__assert_fail.uses_vcc)
	.set _Z39paged_attention_ll4mi_QKV_mfma16_kernelIDF16_hLN4vllm18Fp8KVCacheDataTypeE1EhLi16ELi64ELi256ELb0ELi3EEvPKT_PKT0_S7_ifPKiS9_S9_iPKfiiiPfSC_PS2_PT2_iSB_SB_.uses_flat_scratch, or(0, .L__assert_fail.uses_flat_scratch)
	.set _Z39paged_attention_ll4mi_QKV_mfma16_kernelIDF16_hLN4vllm18Fp8KVCacheDataTypeE1EhLi16ELi64ELi256ELb0ELi3EEvPKT_PKT0_S7_ifPKiS9_S9_iPKfiiiPfSC_PS2_PT2_iSB_SB_.has_dyn_sized_stack, or(0, .L__assert_fail.has_dyn_sized_stack)
	.set _Z39paged_attention_ll4mi_QKV_mfma16_kernelIDF16_hLN4vllm18Fp8KVCacheDataTypeE1EhLi16ELi64ELi256ELb0ELi3EEvPKT_PKT0_S7_ifPKiS9_S9_iPKfiiiPfSC_PS2_PT2_iSB_SB_.has_recursion, or(0, .L__assert_fail.has_recursion)
	.set _Z39paged_attention_ll4mi_QKV_mfma16_kernelIDF16_hLN4vllm18Fp8KVCacheDataTypeE1EhLi16ELi64ELi256ELb0ELi3EEvPKT_PKT0_S7_ifPKiS9_S9_iPKfiiiPfSC_PS2_PT2_iSB_SB_.has_indirect_call, or(0, .L__assert_fail.has_indirect_call)
	.section	.AMDGPU.csdata,"",@progbits
; Kernel info:
; codeLenInByte = 68
; TotalNumSgprs: 36
; NumVgprs: 51
; ScratchSize: 64
; MemoryBound: 0
; FloatMode: 240
; IeeeMode: 1
; LDSByteSize: 0 bytes/workgroup (compile time only)
; SGPRBlocks: 0
; VGPRBlocks: 3
; NumSGPRsForWavesPerEU: 36
; NumVGPRsForWavesPerEU: 51
; NamedBarCnt: 0
; Occupancy: 16
; WaveLimiterHint : 1
; COMPUTE_PGM_RSRC2:SCRATCH_EN: 1
; COMPUTE_PGM_RSRC2:USER_SGPR: 2
; COMPUTE_PGM_RSRC2:TRAP_HANDLER: 0
; COMPUTE_PGM_RSRC2:TGID_X_EN: 1
; COMPUTE_PGM_RSRC2:TGID_Y_EN: 0
; COMPUTE_PGM_RSRC2:TGID_Z_EN: 0
; COMPUTE_PGM_RSRC2:TIDIG_COMP_CNT: 0
	.section	.text._Z39paged_attention_ll4mi_QKV_mfma16_kernelIDF16_hLN4vllm18Fp8KVCacheDataTypeE1EhLi16ELi64ELi256ELb0ELi4EEvPKT_PKT0_S7_ifPKiS9_S9_iPKfiiiPfSC_PS2_PT2_iSB_SB_,"axG",@progbits,_Z39paged_attention_ll4mi_QKV_mfma16_kernelIDF16_hLN4vllm18Fp8KVCacheDataTypeE1EhLi16ELi64ELi256ELb0ELi4EEvPKT_PKT0_S7_ifPKiS9_S9_iPKfiiiPfSC_PS2_PT2_iSB_SB_,comdat
	.protected	_Z39paged_attention_ll4mi_QKV_mfma16_kernelIDF16_hLN4vllm18Fp8KVCacheDataTypeE1EhLi16ELi64ELi256ELb0ELi4EEvPKT_PKT0_S7_ifPKiS9_S9_iPKfiiiPfSC_PS2_PT2_iSB_SB_ ; -- Begin function _Z39paged_attention_ll4mi_QKV_mfma16_kernelIDF16_hLN4vllm18Fp8KVCacheDataTypeE1EhLi16ELi64ELi256ELb0ELi4EEvPKT_PKT0_S7_ifPKiS9_S9_iPKfiiiPfSC_PS2_PT2_iSB_SB_
	.globl	_Z39paged_attention_ll4mi_QKV_mfma16_kernelIDF16_hLN4vllm18Fp8KVCacheDataTypeE1EhLi16ELi64ELi256ELb0ELi4EEvPKT_PKT0_S7_ifPKiS9_S9_iPKfiiiPfSC_PS2_PT2_iSB_SB_
	.p2align	8
	.type	_Z39paged_attention_ll4mi_QKV_mfma16_kernelIDF16_hLN4vllm18Fp8KVCacheDataTypeE1EhLi16ELi64ELi256ELb0ELi4EEvPKT_PKT0_S7_ifPKiS9_S9_iPKfiiiPfSC_PS2_PT2_iSB_SB_,@function
_Z39paged_attention_ll4mi_QKV_mfma16_kernelIDF16_hLN4vllm18Fp8KVCacheDataTypeE1EhLi16ELi64ELi256ELb0ELi4EEvPKT_PKT0_S7_ifPKiS9_S9_iPKfiiiPfSC_PS2_PT2_iSB_SB_: ; @_Z39paged_attention_ll4mi_QKV_mfma16_kernelIDF16_hLN4vllm18Fp8KVCacheDataTypeE1EhLi16ELi64ELi256ELb0ELi4EEvPKT_PKT0_S7_ifPKiS9_S9_iPKfiiiPfSC_PS2_PT2_iSB_SB_
; %bb.0:
	s_get_pc_i64 s[2:3]
	s_add_nc_u64 s[2:3], s[2:3], __PRETTY_FUNCTION__._Z39paged_attention_ll4mi_QKV_mfma16_kernelIDF16_hLN4vllm18Fp8KVCacheDataTypeE1EhLi16ELi64ELi256ELb0ELi4EEvPKT_PKT0_S7_ifPKiS9_S9_iPKfiiiPfSC_PS2_PT2_iSB_SB_@rel64+4
	s_delay_alu instid0(SALU_CYCLE_1)
	v_dual_mov_b32 v0, 0xbb3 :: v_dual_mov_b32 v1, s2
	v_mov_b32_e32 v2, s3
	s_add_nc_u64 s[8:9], s[0:1], 0x90
	s_get_pc_i64 s[0:1]
	s_add_nc_u64 s[0:1], s[0:1], __assert_fail@rel64+4
	s_mov_b32 s32, 0
	s_swap_pc_i64 s[30:31], s[0:1]
	.section	.rodata,"a",@progbits
	.p2align	6, 0x0
	.amdhsa_kernel _Z39paged_attention_ll4mi_QKV_mfma16_kernelIDF16_hLN4vllm18Fp8KVCacheDataTypeE1EhLi16ELi64ELi256ELb0ELi4EEvPKT_PKT0_S7_ifPKiS9_S9_iPKfiiiPfSC_PS2_PT2_iSB_SB_
		.amdhsa_group_segment_fixed_size 0
		.amdhsa_private_segment_fixed_size 64
		.amdhsa_kernarg_size 400
		.amdhsa_user_sgpr_count 2
		.amdhsa_user_sgpr_dispatch_ptr 0
		.amdhsa_user_sgpr_queue_ptr 0
		.amdhsa_user_sgpr_kernarg_segment_ptr 1
		.amdhsa_user_sgpr_dispatch_id 0
		.amdhsa_user_sgpr_kernarg_preload_length 0
		.amdhsa_user_sgpr_kernarg_preload_offset 0
		.amdhsa_user_sgpr_private_segment_size 0
		.amdhsa_wavefront_size32 1
		.amdhsa_uses_dynamic_stack 0
		.amdhsa_enable_private_segment 1
		.amdhsa_system_sgpr_workgroup_id_x 1
		.amdhsa_system_sgpr_workgroup_id_y 0
		.amdhsa_system_sgpr_workgroup_id_z 0
		.amdhsa_system_sgpr_workgroup_info 0
		.amdhsa_system_vgpr_workitem_id 0
		.amdhsa_next_free_vgpr 51
		.amdhsa_next_free_sgpr 34
		.amdhsa_named_barrier_count 0
		.amdhsa_reserve_vcc 1
		.amdhsa_float_round_mode_32 0
		.amdhsa_float_round_mode_16_64 0
		.amdhsa_float_denorm_mode_32 3
		.amdhsa_float_denorm_mode_16_64 3
		.amdhsa_fp16_overflow 0
		.amdhsa_memory_ordered 1
		.amdhsa_forward_progress 1
		.amdhsa_inst_pref_size 1
		.amdhsa_round_robin_scheduling 0
		.amdhsa_exception_fp_ieee_invalid_op 0
		.amdhsa_exception_fp_denorm_src 0
		.amdhsa_exception_fp_ieee_div_zero 0
		.amdhsa_exception_fp_ieee_overflow 0
		.amdhsa_exception_fp_ieee_underflow 0
		.amdhsa_exception_fp_ieee_inexact 0
		.amdhsa_exception_int_div_zero 0
	.end_amdhsa_kernel
	.section	.text._Z39paged_attention_ll4mi_QKV_mfma16_kernelIDF16_hLN4vllm18Fp8KVCacheDataTypeE1EhLi16ELi64ELi256ELb0ELi4EEvPKT_PKT0_S7_ifPKiS9_S9_iPKfiiiPfSC_PS2_PT2_iSB_SB_,"axG",@progbits,_Z39paged_attention_ll4mi_QKV_mfma16_kernelIDF16_hLN4vllm18Fp8KVCacheDataTypeE1EhLi16ELi64ELi256ELb0ELi4EEvPKT_PKT0_S7_ifPKiS9_S9_iPKfiiiPfSC_PS2_PT2_iSB_SB_,comdat
.Lfunc_end809:
	.size	_Z39paged_attention_ll4mi_QKV_mfma16_kernelIDF16_hLN4vllm18Fp8KVCacheDataTypeE1EhLi16ELi64ELi256ELb0ELi4EEvPKT_PKT0_S7_ifPKiS9_S9_iPKfiiiPfSC_PS2_PT2_iSB_SB_, .Lfunc_end809-_Z39paged_attention_ll4mi_QKV_mfma16_kernelIDF16_hLN4vllm18Fp8KVCacheDataTypeE1EhLi16ELi64ELi256ELb0ELi4EEvPKT_PKT0_S7_ifPKiS9_S9_iPKfiiiPfSC_PS2_PT2_iSB_SB_
                                        ; -- End function
	.set _Z39paged_attention_ll4mi_QKV_mfma16_kernelIDF16_hLN4vllm18Fp8KVCacheDataTypeE1EhLi16ELi64ELi256ELb0ELi4EEvPKT_PKT0_S7_ifPKiS9_S9_iPKfiiiPfSC_PS2_PT2_iSB_SB_.num_vgpr, max(3, .L__assert_fail.num_vgpr)
	.set _Z39paged_attention_ll4mi_QKV_mfma16_kernelIDF16_hLN4vllm18Fp8KVCacheDataTypeE1EhLi16ELi64ELi256ELb0ELi4EEvPKT_PKT0_S7_ifPKiS9_S9_iPKfiiiPfSC_PS2_PT2_iSB_SB_.num_agpr, max(0, .L__assert_fail.num_agpr)
	.set _Z39paged_attention_ll4mi_QKV_mfma16_kernelIDF16_hLN4vllm18Fp8KVCacheDataTypeE1EhLi16ELi64ELi256ELb0ELi4EEvPKT_PKT0_S7_ifPKiS9_S9_iPKfiiiPfSC_PS2_PT2_iSB_SB_.numbered_sgpr, max(33, .L__assert_fail.numbered_sgpr)
	.set _Z39paged_attention_ll4mi_QKV_mfma16_kernelIDF16_hLN4vllm18Fp8KVCacheDataTypeE1EhLi16ELi64ELi256ELb0ELi4EEvPKT_PKT0_S7_ifPKiS9_S9_iPKfiiiPfSC_PS2_PT2_iSB_SB_.num_named_barrier, max(0, .L__assert_fail.num_named_barrier)
	.set _Z39paged_attention_ll4mi_QKV_mfma16_kernelIDF16_hLN4vllm18Fp8KVCacheDataTypeE1EhLi16ELi64ELi256ELb0ELi4EEvPKT_PKT0_S7_ifPKiS9_S9_iPKfiiiPfSC_PS2_PT2_iSB_SB_.private_seg_size, 0+max(.L__assert_fail.private_seg_size)
	.set _Z39paged_attention_ll4mi_QKV_mfma16_kernelIDF16_hLN4vllm18Fp8KVCacheDataTypeE1EhLi16ELi64ELi256ELb0ELi4EEvPKT_PKT0_S7_ifPKiS9_S9_iPKfiiiPfSC_PS2_PT2_iSB_SB_.uses_vcc, or(1, .L__assert_fail.uses_vcc)
	.set _Z39paged_attention_ll4mi_QKV_mfma16_kernelIDF16_hLN4vllm18Fp8KVCacheDataTypeE1EhLi16ELi64ELi256ELb0ELi4EEvPKT_PKT0_S7_ifPKiS9_S9_iPKfiiiPfSC_PS2_PT2_iSB_SB_.uses_flat_scratch, or(0, .L__assert_fail.uses_flat_scratch)
	.set _Z39paged_attention_ll4mi_QKV_mfma16_kernelIDF16_hLN4vllm18Fp8KVCacheDataTypeE1EhLi16ELi64ELi256ELb0ELi4EEvPKT_PKT0_S7_ifPKiS9_S9_iPKfiiiPfSC_PS2_PT2_iSB_SB_.has_dyn_sized_stack, or(0, .L__assert_fail.has_dyn_sized_stack)
	.set _Z39paged_attention_ll4mi_QKV_mfma16_kernelIDF16_hLN4vllm18Fp8KVCacheDataTypeE1EhLi16ELi64ELi256ELb0ELi4EEvPKT_PKT0_S7_ifPKiS9_S9_iPKfiiiPfSC_PS2_PT2_iSB_SB_.has_recursion, or(0, .L__assert_fail.has_recursion)
	.set _Z39paged_attention_ll4mi_QKV_mfma16_kernelIDF16_hLN4vllm18Fp8KVCacheDataTypeE1EhLi16ELi64ELi256ELb0ELi4EEvPKT_PKT0_S7_ifPKiS9_S9_iPKfiiiPfSC_PS2_PT2_iSB_SB_.has_indirect_call, or(0, .L__assert_fail.has_indirect_call)
	.section	.AMDGPU.csdata,"",@progbits
; Kernel info:
; codeLenInByte = 68
; TotalNumSgprs: 36
; NumVgprs: 51
; ScratchSize: 64
; MemoryBound: 0
; FloatMode: 240
; IeeeMode: 1
; LDSByteSize: 0 bytes/workgroup (compile time only)
; SGPRBlocks: 0
; VGPRBlocks: 3
; NumSGPRsForWavesPerEU: 36
; NumVGPRsForWavesPerEU: 51
; NamedBarCnt: 0
; Occupancy: 16
; WaveLimiterHint : 1
; COMPUTE_PGM_RSRC2:SCRATCH_EN: 1
; COMPUTE_PGM_RSRC2:USER_SGPR: 2
; COMPUTE_PGM_RSRC2:TRAP_HANDLER: 0
; COMPUTE_PGM_RSRC2:TGID_X_EN: 1
; COMPUTE_PGM_RSRC2:TGID_Y_EN: 0
; COMPUTE_PGM_RSRC2:TGID_Z_EN: 0
; COMPUTE_PGM_RSRC2:TIDIG_COMP_CNT: 0
	.section	.text._Z38paged_attention_ll4mi_QKV_mfma4_kernelIDF16_hLN4vllm18Fp8KVCacheDataTypeE1EDF16_Li16ELi64ELi256ELb1ELi1EEvPKT_PKT0_S7_ifPKiS9_S9_iPKfiiiPfSC_PS2_PT2_iSB_SB_,"axG",@progbits,_Z38paged_attention_ll4mi_QKV_mfma4_kernelIDF16_hLN4vllm18Fp8KVCacheDataTypeE1EDF16_Li16ELi64ELi256ELb1ELi1EEvPKT_PKT0_S7_ifPKiS9_S9_iPKfiiiPfSC_PS2_PT2_iSB_SB_,comdat
	.protected	_Z38paged_attention_ll4mi_QKV_mfma4_kernelIDF16_hLN4vllm18Fp8KVCacheDataTypeE1EDF16_Li16ELi64ELi256ELb1ELi1EEvPKT_PKT0_S7_ifPKiS9_S9_iPKfiiiPfSC_PS2_PT2_iSB_SB_ ; -- Begin function _Z38paged_attention_ll4mi_QKV_mfma4_kernelIDF16_hLN4vllm18Fp8KVCacheDataTypeE1EDF16_Li16ELi64ELi256ELb1ELi1EEvPKT_PKT0_S7_ifPKiS9_S9_iPKfiiiPfSC_PS2_PT2_iSB_SB_
	.globl	_Z38paged_attention_ll4mi_QKV_mfma4_kernelIDF16_hLN4vllm18Fp8KVCacheDataTypeE1EDF16_Li16ELi64ELi256ELb1ELi1EEvPKT_PKT0_S7_ifPKiS9_S9_iPKfiiiPfSC_PS2_PT2_iSB_SB_
	.p2align	8
	.type	_Z38paged_attention_ll4mi_QKV_mfma4_kernelIDF16_hLN4vllm18Fp8KVCacheDataTypeE1EDF16_Li16ELi64ELi256ELb1ELi1EEvPKT_PKT0_S7_ifPKiS9_S9_iPKfiiiPfSC_PS2_PT2_iSB_SB_,@function
_Z38paged_attention_ll4mi_QKV_mfma4_kernelIDF16_hLN4vllm18Fp8KVCacheDataTypeE1EDF16_Li16ELi64ELi256ELb1ELi1EEvPKT_PKT0_S7_ifPKiS9_S9_iPKfiiiPfSC_PS2_PT2_iSB_SB_: ; @_Z38paged_attention_ll4mi_QKV_mfma4_kernelIDF16_hLN4vllm18Fp8KVCacheDataTypeE1EDF16_Li16ELi64ELi256ELb1ELi1EEvPKT_PKT0_S7_ifPKiS9_S9_iPKfiiiPfSC_PS2_PT2_iSB_SB_
; %bb.0:
	s_get_pc_i64 s[2:3]
	s_add_nc_u64 s[2:3], s[2:3], __PRETTY_FUNCTION__._Z38paged_attention_ll4mi_QKV_mfma4_kernelIDF16_hLN4vllm18Fp8KVCacheDataTypeE1EDF16_Li16ELi64ELi256ELb1ELi1EEvPKT_PKT0_S7_ifPKiS9_S9_iPKfiiiPfSC_PS2_PT2_iSB_SB_@rel64+4
	s_delay_alu instid0(SALU_CYCLE_1)
	v_dual_mov_b32 v0, 0xbce :: v_dual_mov_b32 v1, s2
	v_mov_b32_e32 v2, s3
	s_add_nc_u64 s[8:9], s[0:1], 0x90
	s_get_pc_i64 s[0:1]
	s_add_nc_u64 s[0:1], s[0:1], __assert_fail@rel64+4
	s_mov_b32 s32, 0
	s_swap_pc_i64 s[30:31], s[0:1]
	.section	.rodata,"a",@progbits
	.p2align	6, 0x0
	.amdhsa_kernel _Z38paged_attention_ll4mi_QKV_mfma4_kernelIDF16_hLN4vllm18Fp8KVCacheDataTypeE1EDF16_Li16ELi64ELi256ELb1ELi1EEvPKT_PKT0_S7_ifPKiS9_S9_iPKfiiiPfSC_PS2_PT2_iSB_SB_
		.amdhsa_group_segment_fixed_size 0
		.amdhsa_private_segment_fixed_size 64
		.amdhsa_kernarg_size 400
		.amdhsa_user_sgpr_count 2
		.amdhsa_user_sgpr_dispatch_ptr 0
		.amdhsa_user_sgpr_queue_ptr 0
		.amdhsa_user_sgpr_kernarg_segment_ptr 1
		.amdhsa_user_sgpr_dispatch_id 0
		.amdhsa_user_sgpr_kernarg_preload_length 0
		.amdhsa_user_sgpr_kernarg_preload_offset 0
		.amdhsa_user_sgpr_private_segment_size 0
		.amdhsa_wavefront_size32 1
		.amdhsa_uses_dynamic_stack 0
		.amdhsa_enable_private_segment 1
		.amdhsa_system_sgpr_workgroup_id_x 1
		.amdhsa_system_sgpr_workgroup_id_y 0
		.amdhsa_system_sgpr_workgroup_id_z 0
		.amdhsa_system_sgpr_workgroup_info 0
		.amdhsa_system_vgpr_workitem_id 0
		.amdhsa_next_free_vgpr 51
		.amdhsa_next_free_sgpr 34
		.amdhsa_named_barrier_count 0
		.amdhsa_reserve_vcc 1
		.amdhsa_float_round_mode_32 0
		.amdhsa_float_round_mode_16_64 0
		.amdhsa_float_denorm_mode_32 3
		.amdhsa_float_denorm_mode_16_64 3
		.amdhsa_fp16_overflow 0
		.amdhsa_memory_ordered 1
		.amdhsa_forward_progress 1
		.amdhsa_inst_pref_size 1
		.amdhsa_round_robin_scheduling 0
		.amdhsa_exception_fp_ieee_invalid_op 0
		.amdhsa_exception_fp_denorm_src 0
		.amdhsa_exception_fp_ieee_div_zero 0
		.amdhsa_exception_fp_ieee_overflow 0
		.amdhsa_exception_fp_ieee_underflow 0
		.amdhsa_exception_fp_ieee_inexact 0
		.amdhsa_exception_int_div_zero 0
	.end_amdhsa_kernel
	.section	.text._Z38paged_attention_ll4mi_QKV_mfma4_kernelIDF16_hLN4vllm18Fp8KVCacheDataTypeE1EDF16_Li16ELi64ELi256ELb1ELi1EEvPKT_PKT0_S7_ifPKiS9_S9_iPKfiiiPfSC_PS2_PT2_iSB_SB_,"axG",@progbits,_Z38paged_attention_ll4mi_QKV_mfma4_kernelIDF16_hLN4vllm18Fp8KVCacheDataTypeE1EDF16_Li16ELi64ELi256ELb1ELi1EEvPKT_PKT0_S7_ifPKiS9_S9_iPKfiiiPfSC_PS2_PT2_iSB_SB_,comdat
.Lfunc_end810:
	.size	_Z38paged_attention_ll4mi_QKV_mfma4_kernelIDF16_hLN4vllm18Fp8KVCacheDataTypeE1EDF16_Li16ELi64ELi256ELb1ELi1EEvPKT_PKT0_S7_ifPKiS9_S9_iPKfiiiPfSC_PS2_PT2_iSB_SB_, .Lfunc_end810-_Z38paged_attention_ll4mi_QKV_mfma4_kernelIDF16_hLN4vllm18Fp8KVCacheDataTypeE1EDF16_Li16ELi64ELi256ELb1ELi1EEvPKT_PKT0_S7_ifPKiS9_S9_iPKfiiiPfSC_PS2_PT2_iSB_SB_
                                        ; -- End function
	.set _Z38paged_attention_ll4mi_QKV_mfma4_kernelIDF16_hLN4vllm18Fp8KVCacheDataTypeE1EDF16_Li16ELi64ELi256ELb1ELi1EEvPKT_PKT0_S7_ifPKiS9_S9_iPKfiiiPfSC_PS2_PT2_iSB_SB_.num_vgpr, max(3, .L__assert_fail.num_vgpr)
	.set _Z38paged_attention_ll4mi_QKV_mfma4_kernelIDF16_hLN4vllm18Fp8KVCacheDataTypeE1EDF16_Li16ELi64ELi256ELb1ELi1EEvPKT_PKT0_S7_ifPKiS9_S9_iPKfiiiPfSC_PS2_PT2_iSB_SB_.num_agpr, max(0, .L__assert_fail.num_agpr)
	.set _Z38paged_attention_ll4mi_QKV_mfma4_kernelIDF16_hLN4vllm18Fp8KVCacheDataTypeE1EDF16_Li16ELi64ELi256ELb1ELi1EEvPKT_PKT0_S7_ifPKiS9_S9_iPKfiiiPfSC_PS2_PT2_iSB_SB_.numbered_sgpr, max(33, .L__assert_fail.numbered_sgpr)
	.set _Z38paged_attention_ll4mi_QKV_mfma4_kernelIDF16_hLN4vllm18Fp8KVCacheDataTypeE1EDF16_Li16ELi64ELi256ELb1ELi1EEvPKT_PKT0_S7_ifPKiS9_S9_iPKfiiiPfSC_PS2_PT2_iSB_SB_.num_named_barrier, max(0, .L__assert_fail.num_named_barrier)
	.set _Z38paged_attention_ll4mi_QKV_mfma4_kernelIDF16_hLN4vllm18Fp8KVCacheDataTypeE1EDF16_Li16ELi64ELi256ELb1ELi1EEvPKT_PKT0_S7_ifPKiS9_S9_iPKfiiiPfSC_PS2_PT2_iSB_SB_.private_seg_size, 0+max(.L__assert_fail.private_seg_size)
	.set _Z38paged_attention_ll4mi_QKV_mfma4_kernelIDF16_hLN4vllm18Fp8KVCacheDataTypeE1EDF16_Li16ELi64ELi256ELb1ELi1EEvPKT_PKT0_S7_ifPKiS9_S9_iPKfiiiPfSC_PS2_PT2_iSB_SB_.uses_vcc, or(1, .L__assert_fail.uses_vcc)
	.set _Z38paged_attention_ll4mi_QKV_mfma4_kernelIDF16_hLN4vllm18Fp8KVCacheDataTypeE1EDF16_Li16ELi64ELi256ELb1ELi1EEvPKT_PKT0_S7_ifPKiS9_S9_iPKfiiiPfSC_PS2_PT2_iSB_SB_.uses_flat_scratch, or(0, .L__assert_fail.uses_flat_scratch)
	.set _Z38paged_attention_ll4mi_QKV_mfma4_kernelIDF16_hLN4vllm18Fp8KVCacheDataTypeE1EDF16_Li16ELi64ELi256ELb1ELi1EEvPKT_PKT0_S7_ifPKiS9_S9_iPKfiiiPfSC_PS2_PT2_iSB_SB_.has_dyn_sized_stack, or(0, .L__assert_fail.has_dyn_sized_stack)
	.set _Z38paged_attention_ll4mi_QKV_mfma4_kernelIDF16_hLN4vllm18Fp8KVCacheDataTypeE1EDF16_Li16ELi64ELi256ELb1ELi1EEvPKT_PKT0_S7_ifPKiS9_S9_iPKfiiiPfSC_PS2_PT2_iSB_SB_.has_recursion, or(0, .L__assert_fail.has_recursion)
	.set _Z38paged_attention_ll4mi_QKV_mfma4_kernelIDF16_hLN4vllm18Fp8KVCacheDataTypeE1EDF16_Li16ELi64ELi256ELb1ELi1EEvPKT_PKT0_S7_ifPKiS9_S9_iPKfiiiPfSC_PS2_PT2_iSB_SB_.has_indirect_call, or(0, .L__assert_fail.has_indirect_call)
	.section	.AMDGPU.csdata,"",@progbits
; Kernel info:
; codeLenInByte = 68
; TotalNumSgprs: 36
; NumVgprs: 51
; ScratchSize: 64
; MemoryBound: 0
; FloatMode: 240
; IeeeMode: 1
; LDSByteSize: 0 bytes/workgroup (compile time only)
; SGPRBlocks: 0
; VGPRBlocks: 3
; NumSGPRsForWavesPerEU: 36
; NumVGPRsForWavesPerEU: 51
; NamedBarCnt: 0
; Occupancy: 16
; WaveLimiterHint : 1
; COMPUTE_PGM_RSRC2:SCRATCH_EN: 1
; COMPUTE_PGM_RSRC2:USER_SGPR: 2
; COMPUTE_PGM_RSRC2:TRAP_HANDLER: 0
; COMPUTE_PGM_RSRC2:TGID_X_EN: 1
; COMPUTE_PGM_RSRC2:TGID_Y_EN: 0
; COMPUTE_PGM_RSRC2:TGID_Z_EN: 0
; COMPUTE_PGM_RSRC2:TIDIG_COMP_CNT: 0
	.section	.text._Z38paged_attention_ll4mi_QKV_mfma4_kernelIDF16_hLN4vllm18Fp8KVCacheDataTypeE1EDF16_Li16ELi64ELi256ELb1ELi2EEvPKT_PKT0_S7_ifPKiS9_S9_iPKfiiiPfSC_PS2_PT2_iSB_SB_,"axG",@progbits,_Z38paged_attention_ll4mi_QKV_mfma4_kernelIDF16_hLN4vllm18Fp8KVCacheDataTypeE1EDF16_Li16ELi64ELi256ELb1ELi2EEvPKT_PKT0_S7_ifPKiS9_S9_iPKfiiiPfSC_PS2_PT2_iSB_SB_,comdat
	.protected	_Z38paged_attention_ll4mi_QKV_mfma4_kernelIDF16_hLN4vllm18Fp8KVCacheDataTypeE1EDF16_Li16ELi64ELi256ELb1ELi2EEvPKT_PKT0_S7_ifPKiS9_S9_iPKfiiiPfSC_PS2_PT2_iSB_SB_ ; -- Begin function _Z38paged_attention_ll4mi_QKV_mfma4_kernelIDF16_hLN4vllm18Fp8KVCacheDataTypeE1EDF16_Li16ELi64ELi256ELb1ELi2EEvPKT_PKT0_S7_ifPKiS9_S9_iPKfiiiPfSC_PS2_PT2_iSB_SB_
	.globl	_Z38paged_attention_ll4mi_QKV_mfma4_kernelIDF16_hLN4vllm18Fp8KVCacheDataTypeE1EDF16_Li16ELi64ELi256ELb1ELi2EEvPKT_PKT0_S7_ifPKiS9_S9_iPKfiiiPfSC_PS2_PT2_iSB_SB_
	.p2align	8
	.type	_Z38paged_attention_ll4mi_QKV_mfma4_kernelIDF16_hLN4vllm18Fp8KVCacheDataTypeE1EDF16_Li16ELi64ELi256ELb1ELi2EEvPKT_PKT0_S7_ifPKiS9_S9_iPKfiiiPfSC_PS2_PT2_iSB_SB_,@function
_Z38paged_attention_ll4mi_QKV_mfma4_kernelIDF16_hLN4vllm18Fp8KVCacheDataTypeE1EDF16_Li16ELi64ELi256ELb1ELi2EEvPKT_PKT0_S7_ifPKiS9_S9_iPKfiiiPfSC_PS2_PT2_iSB_SB_: ; @_Z38paged_attention_ll4mi_QKV_mfma4_kernelIDF16_hLN4vllm18Fp8KVCacheDataTypeE1EDF16_Li16ELi64ELi256ELb1ELi2EEvPKT_PKT0_S7_ifPKiS9_S9_iPKfiiiPfSC_PS2_PT2_iSB_SB_
; %bb.0:
	s_get_pc_i64 s[2:3]
	s_add_nc_u64 s[2:3], s[2:3], __PRETTY_FUNCTION__._Z38paged_attention_ll4mi_QKV_mfma4_kernelIDF16_hLN4vllm18Fp8KVCacheDataTypeE1EDF16_Li16ELi64ELi256ELb1ELi2EEvPKT_PKT0_S7_ifPKiS9_S9_iPKfiiiPfSC_PS2_PT2_iSB_SB_@rel64+4
	s_delay_alu instid0(SALU_CYCLE_1)
	v_dual_mov_b32 v0, 0xbce :: v_dual_mov_b32 v1, s2
	v_mov_b32_e32 v2, s3
	s_add_nc_u64 s[8:9], s[0:1], 0x90
	s_get_pc_i64 s[0:1]
	s_add_nc_u64 s[0:1], s[0:1], __assert_fail@rel64+4
	s_mov_b32 s32, 0
	s_swap_pc_i64 s[30:31], s[0:1]
	.section	.rodata,"a",@progbits
	.p2align	6, 0x0
	.amdhsa_kernel _Z38paged_attention_ll4mi_QKV_mfma4_kernelIDF16_hLN4vllm18Fp8KVCacheDataTypeE1EDF16_Li16ELi64ELi256ELb1ELi2EEvPKT_PKT0_S7_ifPKiS9_S9_iPKfiiiPfSC_PS2_PT2_iSB_SB_
		.amdhsa_group_segment_fixed_size 0
		.amdhsa_private_segment_fixed_size 64
		.amdhsa_kernarg_size 400
		.amdhsa_user_sgpr_count 2
		.amdhsa_user_sgpr_dispatch_ptr 0
		.amdhsa_user_sgpr_queue_ptr 0
		.amdhsa_user_sgpr_kernarg_segment_ptr 1
		.amdhsa_user_sgpr_dispatch_id 0
		.amdhsa_user_sgpr_kernarg_preload_length 0
		.amdhsa_user_sgpr_kernarg_preload_offset 0
		.amdhsa_user_sgpr_private_segment_size 0
		.amdhsa_wavefront_size32 1
		.amdhsa_uses_dynamic_stack 0
		.amdhsa_enable_private_segment 1
		.amdhsa_system_sgpr_workgroup_id_x 1
		.amdhsa_system_sgpr_workgroup_id_y 0
		.amdhsa_system_sgpr_workgroup_id_z 0
		.amdhsa_system_sgpr_workgroup_info 0
		.amdhsa_system_vgpr_workitem_id 0
		.amdhsa_next_free_vgpr 51
		.amdhsa_next_free_sgpr 34
		.amdhsa_named_barrier_count 0
		.amdhsa_reserve_vcc 1
		.amdhsa_float_round_mode_32 0
		.amdhsa_float_round_mode_16_64 0
		.amdhsa_float_denorm_mode_32 3
		.amdhsa_float_denorm_mode_16_64 3
		.amdhsa_fp16_overflow 0
		.amdhsa_memory_ordered 1
		.amdhsa_forward_progress 1
		.amdhsa_inst_pref_size 1
		.amdhsa_round_robin_scheduling 0
		.amdhsa_exception_fp_ieee_invalid_op 0
		.amdhsa_exception_fp_denorm_src 0
		.amdhsa_exception_fp_ieee_div_zero 0
		.amdhsa_exception_fp_ieee_overflow 0
		.amdhsa_exception_fp_ieee_underflow 0
		.amdhsa_exception_fp_ieee_inexact 0
		.amdhsa_exception_int_div_zero 0
	.end_amdhsa_kernel
	.section	.text._Z38paged_attention_ll4mi_QKV_mfma4_kernelIDF16_hLN4vllm18Fp8KVCacheDataTypeE1EDF16_Li16ELi64ELi256ELb1ELi2EEvPKT_PKT0_S7_ifPKiS9_S9_iPKfiiiPfSC_PS2_PT2_iSB_SB_,"axG",@progbits,_Z38paged_attention_ll4mi_QKV_mfma4_kernelIDF16_hLN4vllm18Fp8KVCacheDataTypeE1EDF16_Li16ELi64ELi256ELb1ELi2EEvPKT_PKT0_S7_ifPKiS9_S9_iPKfiiiPfSC_PS2_PT2_iSB_SB_,comdat
.Lfunc_end811:
	.size	_Z38paged_attention_ll4mi_QKV_mfma4_kernelIDF16_hLN4vllm18Fp8KVCacheDataTypeE1EDF16_Li16ELi64ELi256ELb1ELi2EEvPKT_PKT0_S7_ifPKiS9_S9_iPKfiiiPfSC_PS2_PT2_iSB_SB_, .Lfunc_end811-_Z38paged_attention_ll4mi_QKV_mfma4_kernelIDF16_hLN4vllm18Fp8KVCacheDataTypeE1EDF16_Li16ELi64ELi256ELb1ELi2EEvPKT_PKT0_S7_ifPKiS9_S9_iPKfiiiPfSC_PS2_PT2_iSB_SB_
                                        ; -- End function
	.set _Z38paged_attention_ll4mi_QKV_mfma4_kernelIDF16_hLN4vllm18Fp8KVCacheDataTypeE1EDF16_Li16ELi64ELi256ELb1ELi2EEvPKT_PKT0_S7_ifPKiS9_S9_iPKfiiiPfSC_PS2_PT2_iSB_SB_.num_vgpr, max(3, .L__assert_fail.num_vgpr)
	.set _Z38paged_attention_ll4mi_QKV_mfma4_kernelIDF16_hLN4vllm18Fp8KVCacheDataTypeE1EDF16_Li16ELi64ELi256ELb1ELi2EEvPKT_PKT0_S7_ifPKiS9_S9_iPKfiiiPfSC_PS2_PT2_iSB_SB_.num_agpr, max(0, .L__assert_fail.num_agpr)
	.set _Z38paged_attention_ll4mi_QKV_mfma4_kernelIDF16_hLN4vllm18Fp8KVCacheDataTypeE1EDF16_Li16ELi64ELi256ELb1ELi2EEvPKT_PKT0_S7_ifPKiS9_S9_iPKfiiiPfSC_PS2_PT2_iSB_SB_.numbered_sgpr, max(33, .L__assert_fail.numbered_sgpr)
	.set _Z38paged_attention_ll4mi_QKV_mfma4_kernelIDF16_hLN4vllm18Fp8KVCacheDataTypeE1EDF16_Li16ELi64ELi256ELb1ELi2EEvPKT_PKT0_S7_ifPKiS9_S9_iPKfiiiPfSC_PS2_PT2_iSB_SB_.num_named_barrier, max(0, .L__assert_fail.num_named_barrier)
	.set _Z38paged_attention_ll4mi_QKV_mfma4_kernelIDF16_hLN4vllm18Fp8KVCacheDataTypeE1EDF16_Li16ELi64ELi256ELb1ELi2EEvPKT_PKT0_S7_ifPKiS9_S9_iPKfiiiPfSC_PS2_PT2_iSB_SB_.private_seg_size, 0+max(.L__assert_fail.private_seg_size)
	.set _Z38paged_attention_ll4mi_QKV_mfma4_kernelIDF16_hLN4vllm18Fp8KVCacheDataTypeE1EDF16_Li16ELi64ELi256ELb1ELi2EEvPKT_PKT0_S7_ifPKiS9_S9_iPKfiiiPfSC_PS2_PT2_iSB_SB_.uses_vcc, or(1, .L__assert_fail.uses_vcc)
	.set _Z38paged_attention_ll4mi_QKV_mfma4_kernelIDF16_hLN4vllm18Fp8KVCacheDataTypeE1EDF16_Li16ELi64ELi256ELb1ELi2EEvPKT_PKT0_S7_ifPKiS9_S9_iPKfiiiPfSC_PS2_PT2_iSB_SB_.uses_flat_scratch, or(0, .L__assert_fail.uses_flat_scratch)
	.set _Z38paged_attention_ll4mi_QKV_mfma4_kernelIDF16_hLN4vllm18Fp8KVCacheDataTypeE1EDF16_Li16ELi64ELi256ELb1ELi2EEvPKT_PKT0_S7_ifPKiS9_S9_iPKfiiiPfSC_PS2_PT2_iSB_SB_.has_dyn_sized_stack, or(0, .L__assert_fail.has_dyn_sized_stack)
	.set _Z38paged_attention_ll4mi_QKV_mfma4_kernelIDF16_hLN4vllm18Fp8KVCacheDataTypeE1EDF16_Li16ELi64ELi256ELb1ELi2EEvPKT_PKT0_S7_ifPKiS9_S9_iPKfiiiPfSC_PS2_PT2_iSB_SB_.has_recursion, or(0, .L__assert_fail.has_recursion)
	.set _Z38paged_attention_ll4mi_QKV_mfma4_kernelIDF16_hLN4vllm18Fp8KVCacheDataTypeE1EDF16_Li16ELi64ELi256ELb1ELi2EEvPKT_PKT0_S7_ifPKiS9_S9_iPKfiiiPfSC_PS2_PT2_iSB_SB_.has_indirect_call, or(0, .L__assert_fail.has_indirect_call)
	.section	.AMDGPU.csdata,"",@progbits
; Kernel info:
; codeLenInByte = 68
; TotalNumSgprs: 36
; NumVgprs: 51
; ScratchSize: 64
; MemoryBound: 0
; FloatMode: 240
; IeeeMode: 1
; LDSByteSize: 0 bytes/workgroup (compile time only)
; SGPRBlocks: 0
; VGPRBlocks: 3
; NumSGPRsForWavesPerEU: 36
; NumVGPRsForWavesPerEU: 51
; NamedBarCnt: 0
; Occupancy: 16
; WaveLimiterHint : 1
; COMPUTE_PGM_RSRC2:SCRATCH_EN: 1
; COMPUTE_PGM_RSRC2:USER_SGPR: 2
; COMPUTE_PGM_RSRC2:TRAP_HANDLER: 0
; COMPUTE_PGM_RSRC2:TGID_X_EN: 1
; COMPUTE_PGM_RSRC2:TGID_Y_EN: 0
; COMPUTE_PGM_RSRC2:TGID_Z_EN: 0
; COMPUTE_PGM_RSRC2:TIDIG_COMP_CNT: 0
	.section	.text._Z38paged_attention_ll4mi_QKV_mfma4_kernelIDF16_hLN4vllm18Fp8KVCacheDataTypeE1EDF16_Li16ELi64ELi256ELb1ELi3EEvPKT_PKT0_S7_ifPKiS9_S9_iPKfiiiPfSC_PS2_PT2_iSB_SB_,"axG",@progbits,_Z38paged_attention_ll4mi_QKV_mfma4_kernelIDF16_hLN4vllm18Fp8KVCacheDataTypeE1EDF16_Li16ELi64ELi256ELb1ELi3EEvPKT_PKT0_S7_ifPKiS9_S9_iPKfiiiPfSC_PS2_PT2_iSB_SB_,comdat
	.protected	_Z38paged_attention_ll4mi_QKV_mfma4_kernelIDF16_hLN4vllm18Fp8KVCacheDataTypeE1EDF16_Li16ELi64ELi256ELb1ELi3EEvPKT_PKT0_S7_ifPKiS9_S9_iPKfiiiPfSC_PS2_PT2_iSB_SB_ ; -- Begin function _Z38paged_attention_ll4mi_QKV_mfma4_kernelIDF16_hLN4vllm18Fp8KVCacheDataTypeE1EDF16_Li16ELi64ELi256ELb1ELi3EEvPKT_PKT0_S7_ifPKiS9_S9_iPKfiiiPfSC_PS2_PT2_iSB_SB_
	.globl	_Z38paged_attention_ll4mi_QKV_mfma4_kernelIDF16_hLN4vllm18Fp8KVCacheDataTypeE1EDF16_Li16ELi64ELi256ELb1ELi3EEvPKT_PKT0_S7_ifPKiS9_S9_iPKfiiiPfSC_PS2_PT2_iSB_SB_
	.p2align	8
	.type	_Z38paged_attention_ll4mi_QKV_mfma4_kernelIDF16_hLN4vllm18Fp8KVCacheDataTypeE1EDF16_Li16ELi64ELi256ELb1ELi3EEvPKT_PKT0_S7_ifPKiS9_S9_iPKfiiiPfSC_PS2_PT2_iSB_SB_,@function
_Z38paged_attention_ll4mi_QKV_mfma4_kernelIDF16_hLN4vllm18Fp8KVCacheDataTypeE1EDF16_Li16ELi64ELi256ELb1ELi3EEvPKT_PKT0_S7_ifPKiS9_S9_iPKfiiiPfSC_PS2_PT2_iSB_SB_: ; @_Z38paged_attention_ll4mi_QKV_mfma4_kernelIDF16_hLN4vllm18Fp8KVCacheDataTypeE1EDF16_Li16ELi64ELi256ELb1ELi3EEvPKT_PKT0_S7_ifPKiS9_S9_iPKfiiiPfSC_PS2_PT2_iSB_SB_
; %bb.0:
	s_get_pc_i64 s[2:3]
	s_add_nc_u64 s[2:3], s[2:3], __PRETTY_FUNCTION__._Z38paged_attention_ll4mi_QKV_mfma4_kernelIDF16_hLN4vllm18Fp8KVCacheDataTypeE1EDF16_Li16ELi64ELi256ELb1ELi3EEvPKT_PKT0_S7_ifPKiS9_S9_iPKfiiiPfSC_PS2_PT2_iSB_SB_@rel64+4
	s_delay_alu instid0(SALU_CYCLE_1)
	v_dual_mov_b32 v0, 0xbce :: v_dual_mov_b32 v1, s2
	v_mov_b32_e32 v2, s3
	s_add_nc_u64 s[8:9], s[0:1], 0x90
	s_get_pc_i64 s[0:1]
	s_add_nc_u64 s[0:1], s[0:1], __assert_fail@rel64+4
	s_mov_b32 s32, 0
	s_swap_pc_i64 s[30:31], s[0:1]
	.section	.rodata,"a",@progbits
	.p2align	6, 0x0
	.amdhsa_kernel _Z38paged_attention_ll4mi_QKV_mfma4_kernelIDF16_hLN4vllm18Fp8KVCacheDataTypeE1EDF16_Li16ELi64ELi256ELb1ELi3EEvPKT_PKT0_S7_ifPKiS9_S9_iPKfiiiPfSC_PS2_PT2_iSB_SB_
		.amdhsa_group_segment_fixed_size 0
		.amdhsa_private_segment_fixed_size 64
		.amdhsa_kernarg_size 400
		.amdhsa_user_sgpr_count 2
		.amdhsa_user_sgpr_dispatch_ptr 0
		.amdhsa_user_sgpr_queue_ptr 0
		.amdhsa_user_sgpr_kernarg_segment_ptr 1
		.amdhsa_user_sgpr_dispatch_id 0
		.amdhsa_user_sgpr_kernarg_preload_length 0
		.amdhsa_user_sgpr_kernarg_preload_offset 0
		.amdhsa_user_sgpr_private_segment_size 0
		.amdhsa_wavefront_size32 1
		.amdhsa_uses_dynamic_stack 0
		.amdhsa_enable_private_segment 1
		.amdhsa_system_sgpr_workgroup_id_x 1
		.amdhsa_system_sgpr_workgroup_id_y 0
		.amdhsa_system_sgpr_workgroup_id_z 0
		.amdhsa_system_sgpr_workgroup_info 0
		.amdhsa_system_vgpr_workitem_id 0
		.amdhsa_next_free_vgpr 51
		.amdhsa_next_free_sgpr 34
		.amdhsa_named_barrier_count 0
		.amdhsa_reserve_vcc 1
		.amdhsa_float_round_mode_32 0
		.amdhsa_float_round_mode_16_64 0
		.amdhsa_float_denorm_mode_32 3
		.amdhsa_float_denorm_mode_16_64 3
		.amdhsa_fp16_overflow 0
		.amdhsa_memory_ordered 1
		.amdhsa_forward_progress 1
		.amdhsa_inst_pref_size 1
		.amdhsa_round_robin_scheduling 0
		.amdhsa_exception_fp_ieee_invalid_op 0
		.amdhsa_exception_fp_denorm_src 0
		.amdhsa_exception_fp_ieee_div_zero 0
		.amdhsa_exception_fp_ieee_overflow 0
		.amdhsa_exception_fp_ieee_underflow 0
		.amdhsa_exception_fp_ieee_inexact 0
		.amdhsa_exception_int_div_zero 0
	.end_amdhsa_kernel
	.section	.text._Z38paged_attention_ll4mi_QKV_mfma4_kernelIDF16_hLN4vllm18Fp8KVCacheDataTypeE1EDF16_Li16ELi64ELi256ELb1ELi3EEvPKT_PKT0_S7_ifPKiS9_S9_iPKfiiiPfSC_PS2_PT2_iSB_SB_,"axG",@progbits,_Z38paged_attention_ll4mi_QKV_mfma4_kernelIDF16_hLN4vllm18Fp8KVCacheDataTypeE1EDF16_Li16ELi64ELi256ELb1ELi3EEvPKT_PKT0_S7_ifPKiS9_S9_iPKfiiiPfSC_PS2_PT2_iSB_SB_,comdat
.Lfunc_end812:
	.size	_Z38paged_attention_ll4mi_QKV_mfma4_kernelIDF16_hLN4vllm18Fp8KVCacheDataTypeE1EDF16_Li16ELi64ELi256ELb1ELi3EEvPKT_PKT0_S7_ifPKiS9_S9_iPKfiiiPfSC_PS2_PT2_iSB_SB_, .Lfunc_end812-_Z38paged_attention_ll4mi_QKV_mfma4_kernelIDF16_hLN4vllm18Fp8KVCacheDataTypeE1EDF16_Li16ELi64ELi256ELb1ELi3EEvPKT_PKT0_S7_ifPKiS9_S9_iPKfiiiPfSC_PS2_PT2_iSB_SB_
                                        ; -- End function
	.set _Z38paged_attention_ll4mi_QKV_mfma4_kernelIDF16_hLN4vllm18Fp8KVCacheDataTypeE1EDF16_Li16ELi64ELi256ELb1ELi3EEvPKT_PKT0_S7_ifPKiS9_S9_iPKfiiiPfSC_PS2_PT2_iSB_SB_.num_vgpr, max(3, .L__assert_fail.num_vgpr)
	.set _Z38paged_attention_ll4mi_QKV_mfma4_kernelIDF16_hLN4vllm18Fp8KVCacheDataTypeE1EDF16_Li16ELi64ELi256ELb1ELi3EEvPKT_PKT0_S7_ifPKiS9_S9_iPKfiiiPfSC_PS2_PT2_iSB_SB_.num_agpr, max(0, .L__assert_fail.num_agpr)
	.set _Z38paged_attention_ll4mi_QKV_mfma4_kernelIDF16_hLN4vllm18Fp8KVCacheDataTypeE1EDF16_Li16ELi64ELi256ELb1ELi3EEvPKT_PKT0_S7_ifPKiS9_S9_iPKfiiiPfSC_PS2_PT2_iSB_SB_.numbered_sgpr, max(33, .L__assert_fail.numbered_sgpr)
	.set _Z38paged_attention_ll4mi_QKV_mfma4_kernelIDF16_hLN4vllm18Fp8KVCacheDataTypeE1EDF16_Li16ELi64ELi256ELb1ELi3EEvPKT_PKT0_S7_ifPKiS9_S9_iPKfiiiPfSC_PS2_PT2_iSB_SB_.num_named_barrier, max(0, .L__assert_fail.num_named_barrier)
	.set _Z38paged_attention_ll4mi_QKV_mfma4_kernelIDF16_hLN4vllm18Fp8KVCacheDataTypeE1EDF16_Li16ELi64ELi256ELb1ELi3EEvPKT_PKT0_S7_ifPKiS9_S9_iPKfiiiPfSC_PS2_PT2_iSB_SB_.private_seg_size, 0+max(.L__assert_fail.private_seg_size)
	.set _Z38paged_attention_ll4mi_QKV_mfma4_kernelIDF16_hLN4vllm18Fp8KVCacheDataTypeE1EDF16_Li16ELi64ELi256ELb1ELi3EEvPKT_PKT0_S7_ifPKiS9_S9_iPKfiiiPfSC_PS2_PT2_iSB_SB_.uses_vcc, or(1, .L__assert_fail.uses_vcc)
	.set _Z38paged_attention_ll4mi_QKV_mfma4_kernelIDF16_hLN4vllm18Fp8KVCacheDataTypeE1EDF16_Li16ELi64ELi256ELb1ELi3EEvPKT_PKT0_S7_ifPKiS9_S9_iPKfiiiPfSC_PS2_PT2_iSB_SB_.uses_flat_scratch, or(0, .L__assert_fail.uses_flat_scratch)
	.set _Z38paged_attention_ll4mi_QKV_mfma4_kernelIDF16_hLN4vllm18Fp8KVCacheDataTypeE1EDF16_Li16ELi64ELi256ELb1ELi3EEvPKT_PKT0_S7_ifPKiS9_S9_iPKfiiiPfSC_PS2_PT2_iSB_SB_.has_dyn_sized_stack, or(0, .L__assert_fail.has_dyn_sized_stack)
	.set _Z38paged_attention_ll4mi_QKV_mfma4_kernelIDF16_hLN4vllm18Fp8KVCacheDataTypeE1EDF16_Li16ELi64ELi256ELb1ELi3EEvPKT_PKT0_S7_ifPKiS9_S9_iPKfiiiPfSC_PS2_PT2_iSB_SB_.has_recursion, or(0, .L__assert_fail.has_recursion)
	.set _Z38paged_attention_ll4mi_QKV_mfma4_kernelIDF16_hLN4vllm18Fp8KVCacheDataTypeE1EDF16_Li16ELi64ELi256ELb1ELi3EEvPKT_PKT0_S7_ifPKiS9_S9_iPKfiiiPfSC_PS2_PT2_iSB_SB_.has_indirect_call, or(0, .L__assert_fail.has_indirect_call)
	.section	.AMDGPU.csdata,"",@progbits
; Kernel info:
; codeLenInByte = 68
; TotalNumSgprs: 36
; NumVgprs: 51
; ScratchSize: 64
; MemoryBound: 0
; FloatMode: 240
; IeeeMode: 1
; LDSByteSize: 0 bytes/workgroup (compile time only)
; SGPRBlocks: 0
; VGPRBlocks: 3
; NumSGPRsForWavesPerEU: 36
; NumVGPRsForWavesPerEU: 51
; NamedBarCnt: 0
; Occupancy: 16
; WaveLimiterHint : 1
; COMPUTE_PGM_RSRC2:SCRATCH_EN: 1
; COMPUTE_PGM_RSRC2:USER_SGPR: 2
; COMPUTE_PGM_RSRC2:TRAP_HANDLER: 0
; COMPUTE_PGM_RSRC2:TGID_X_EN: 1
; COMPUTE_PGM_RSRC2:TGID_Y_EN: 0
; COMPUTE_PGM_RSRC2:TGID_Z_EN: 0
; COMPUTE_PGM_RSRC2:TIDIG_COMP_CNT: 0
	.section	.text._Z38paged_attention_ll4mi_QKV_mfma4_kernelIDF16_hLN4vllm18Fp8KVCacheDataTypeE1EDF16_Li16ELi64ELi256ELb1ELi4EEvPKT_PKT0_S7_ifPKiS9_S9_iPKfiiiPfSC_PS2_PT2_iSB_SB_,"axG",@progbits,_Z38paged_attention_ll4mi_QKV_mfma4_kernelIDF16_hLN4vllm18Fp8KVCacheDataTypeE1EDF16_Li16ELi64ELi256ELb1ELi4EEvPKT_PKT0_S7_ifPKiS9_S9_iPKfiiiPfSC_PS2_PT2_iSB_SB_,comdat
	.protected	_Z38paged_attention_ll4mi_QKV_mfma4_kernelIDF16_hLN4vllm18Fp8KVCacheDataTypeE1EDF16_Li16ELi64ELi256ELb1ELi4EEvPKT_PKT0_S7_ifPKiS9_S9_iPKfiiiPfSC_PS2_PT2_iSB_SB_ ; -- Begin function _Z38paged_attention_ll4mi_QKV_mfma4_kernelIDF16_hLN4vllm18Fp8KVCacheDataTypeE1EDF16_Li16ELi64ELi256ELb1ELi4EEvPKT_PKT0_S7_ifPKiS9_S9_iPKfiiiPfSC_PS2_PT2_iSB_SB_
	.globl	_Z38paged_attention_ll4mi_QKV_mfma4_kernelIDF16_hLN4vllm18Fp8KVCacheDataTypeE1EDF16_Li16ELi64ELi256ELb1ELi4EEvPKT_PKT0_S7_ifPKiS9_S9_iPKfiiiPfSC_PS2_PT2_iSB_SB_
	.p2align	8
	.type	_Z38paged_attention_ll4mi_QKV_mfma4_kernelIDF16_hLN4vllm18Fp8KVCacheDataTypeE1EDF16_Li16ELi64ELi256ELb1ELi4EEvPKT_PKT0_S7_ifPKiS9_S9_iPKfiiiPfSC_PS2_PT2_iSB_SB_,@function
_Z38paged_attention_ll4mi_QKV_mfma4_kernelIDF16_hLN4vllm18Fp8KVCacheDataTypeE1EDF16_Li16ELi64ELi256ELb1ELi4EEvPKT_PKT0_S7_ifPKiS9_S9_iPKfiiiPfSC_PS2_PT2_iSB_SB_: ; @_Z38paged_attention_ll4mi_QKV_mfma4_kernelIDF16_hLN4vllm18Fp8KVCacheDataTypeE1EDF16_Li16ELi64ELi256ELb1ELi4EEvPKT_PKT0_S7_ifPKiS9_S9_iPKfiiiPfSC_PS2_PT2_iSB_SB_
; %bb.0:
	s_get_pc_i64 s[2:3]
	s_add_nc_u64 s[2:3], s[2:3], __PRETTY_FUNCTION__._Z38paged_attention_ll4mi_QKV_mfma4_kernelIDF16_hLN4vllm18Fp8KVCacheDataTypeE1EDF16_Li16ELi64ELi256ELb1ELi4EEvPKT_PKT0_S7_ifPKiS9_S9_iPKfiiiPfSC_PS2_PT2_iSB_SB_@rel64+4
	s_delay_alu instid0(SALU_CYCLE_1)
	v_dual_mov_b32 v0, 0xbce :: v_dual_mov_b32 v1, s2
	v_mov_b32_e32 v2, s3
	s_add_nc_u64 s[8:9], s[0:1], 0x90
	s_get_pc_i64 s[0:1]
	s_add_nc_u64 s[0:1], s[0:1], __assert_fail@rel64+4
	s_mov_b32 s32, 0
	s_swap_pc_i64 s[30:31], s[0:1]
	.section	.rodata,"a",@progbits
	.p2align	6, 0x0
	.amdhsa_kernel _Z38paged_attention_ll4mi_QKV_mfma4_kernelIDF16_hLN4vllm18Fp8KVCacheDataTypeE1EDF16_Li16ELi64ELi256ELb1ELi4EEvPKT_PKT0_S7_ifPKiS9_S9_iPKfiiiPfSC_PS2_PT2_iSB_SB_
		.amdhsa_group_segment_fixed_size 0
		.amdhsa_private_segment_fixed_size 64
		.amdhsa_kernarg_size 400
		.amdhsa_user_sgpr_count 2
		.amdhsa_user_sgpr_dispatch_ptr 0
		.amdhsa_user_sgpr_queue_ptr 0
		.amdhsa_user_sgpr_kernarg_segment_ptr 1
		.amdhsa_user_sgpr_dispatch_id 0
		.amdhsa_user_sgpr_kernarg_preload_length 0
		.amdhsa_user_sgpr_kernarg_preload_offset 0
		.amdhsa_user_sgpr_private_segment_size 0
		.amdhsa_wavefront_size32 1
		.amdhsa_uses_dynamic_stack 0
		.amdhsa_enable_private_segment 1
		.amdhsa_system_sgpr_workgroup_id_x 1
		.amdhsa_system_sgpr_workgroup_id_y 0
		.amdhsa_system_sgpr_workgroup_id_z 0
		.amdhsa_system_sgpr_workgroup_info 0
		.amdhsa_system_vgpr_workitem_id 0
		.amdhsa_next_free_vgpr 51
		.amdhsa_next_free_sgpr 34
		.amdhsa_named_barrier_count 0
		.amdhsa_reserve_vcc 1
		.amdhsa_float_round_mode_32 0
		.amdhsa_float_round_mode_16_64 0
		.amdhsa_float_denorm_mode_32 3
		.amdhsa_float_denorm_mode_16_64 3
		.amdhsa_fp16_overflow 0
		.amdhsa_memory_ordered 1
		.amdhsa_forward_progress 1
		.amdhsa_inst_pref_size 1
		.amdhsa_round_robin_scheduling 0
		.amdhsa_exception_fp_ieee_invalid_op 0
		.amdhsa_exception_fp_denorm_src 0
		.amdhsa_exception_fp_ieee_div_zero 0
		.amdhsa_exception_fp_ieee_overflow 0
		.amdhsa_exception_fp_ieee_underflow 0
		.amdhsa_exception_fp_ieee_inexact 0
		.amdhsa_exception_int_div_zero 0
	.end_amdhsa_kernel
	.section	.text._Z38paged_attention_ll4mi_QKV_mfma4_kernelIDF16_hLN4vllm18Fp8KVCacheDataTypeE1EDF16_Li16ELi64ELi256ELb1ELi4EEvPKT_PKT0_S7_ifPKiS9_S9_iPKfiiiPfSC_PS2_PT2_iSB_SB_,"axG",@progbits,_Z38paged_attention_ll4mi_QKV_mfma4_kernelIDF16_hLN4vllm18Fp8KVCacheDataTypeE1EDF16_Li16ELi64ELi256ELb1ELi4EEvPKT_PKT0_S7_ifPKiS9_S9_iPKfiiiPfSC_PS2_PT2_iSB_SB_,comdat
.Lfunc_end813:
	.size	_Z38paged_attention_ll4mi_QKV_mfma4_kernelIDF16_hLN4vllm18Fp8KVCacheDataTypeE1EDF16_Li16ELi64ELi256ELb1ELi4EEvPKT_PKT0_S7_ifPKiS9_S9_iPKfiiiPfSC_PS2_PT2_iSB_SB_, .Lfunc_end813-_Z38paged_attention_ll4mi_QKV_mfma4_kernelIDF16_hLN4vllm18Fp8KVCacheDataTypeE1EDF16_Li16ELi64ELi256ELb1ELi4EEvPKT_PKT0_S7_ifPKiS9_S9_iPKfiiiPfSC_PS2_PT2_iSB_SB_
                                        ; -- End function
	.set _Z38paged_attention_ll4mi_QKV_mfma4_kernelIDF16_hLN4vllm18Fp8KVCacheDataTypeE1EDF16_Li16ELi64ELi256ELb1ELi4EEvPKT_PKT0_S7_ifPKiS9_S9_iPKfiiiPfSC_PS2_PT2_iSB_SB_.num_vgpr, max(3, .L__assert_fail.num_vgpr)
	.set _Z38paged_attention_ll4mi_QKV_mfma4_kernelIDF16_hLN4vllm18Fp8KVCacheDataTypeE1EDF16_Li16ELi64ELi256ELb1ELi4EEvPKT_PKT0_S7_ifPKiS9_S9_iPKfiiiPfSC_PS2_PT2_iSB_SB_.num_agpr, max(0, .L__assert_fail.num_agpr)
	.set _Z38paged_attention_ll4mi_QKV_mfma4_kernelIDF16_hLN4vllm18Fp8KVCacheDataTypeE1EDF16_Li16ELi64ELi256ELb1ELi4EEvPKT_PKT0_S7_ifPKiS9_S9_iPKfiiiPfSC_PS2_PT2_iSB_SB_.numbered_sgpr, max(33, .L__assert_fail.numbered_sgpr)
	.set _Z38paged_attention_ll4mi_QKV_mfma4_kernelIDF16_hLN4vllm18Fp8KVCacheDataTypeE1EDF16_Li16ELi64ELi256ELb1ELi4EEvPKT_PKT0_S7_ifPKiS9_S9_iPKfiiiPfSC_PS2_PT2_iSB_SB_.num_named_barrier, max(0, .L__assert_fail.num_named_barrier)
	.set _Z38paged_attention_ll4mi_QKV_mfma4_kernelIDF16_hLN4vllm18Fp8KVCacheDataTypeE1EDF16_Li16ELi64ELi256ELb1ELi4EEvPKT_PKT0_S7_ifPKiS9_S9_iPKfiiiPfSC_PS2_PT2_iSB_SB_.private_seg_size, 0+max(.L__assert_fail.private_seg_size)
	.set _Z38paged_attention_ll4mi_QKV_mfma4_kernelIDF16_hLN4vllm18Fp8KVCacheDataTypeE1EDF16_Li16ELi64ELi256ELb1ELi4EEvPKT_PKT0_S7_ifPKiS9_S9_iPKfiiiPfSC_PS2_PT2_iSB_SB_.uses_vcc, or(1, .L__assert_fail.uses_vcc)
	.set _Z38paged_attention_ll4mi_QKV_mfma4_kernelIDF16_hLN4vllm18Fp8KVCacheDataTypeE1EDF16_Li16ELi64ELi256ELb1ELi4EEvPKT_PKT0_S7_ifPKiS9_S9_iPKfiiiPfSC_PS2_PT2_iSB_SB_.uses_flat_scratch, or(0, .L__assert_fail.uses_flat_scratch)
	.set _Z38paged_attention_ll4mi_QKV_mfma4_kernelIDF16_hLN4vllm18Fp8KVCacheDataTypeE1EDF16_Li16ELi64ELi256ELb1ELi4EEvPKT_PKT0_S7_ifPKiS9_S9_iPKfiiiPfSC_PS2_PT2_iSB_SB_.has_dyn_sized_stack, or(0, .L__assert_fail.has_dyn_sized_stack)
	.set _Z38paged_attention_ll4mi_QKV_mfma4_kernelIDF16_hLN4vllm18Fp8KVCacheDataTypeE1EDF16_Li16ELi64ELi256ELb1ELi4EEvPKT_PKT0_S7_ifPKiS9_S9_iPKfiiiPfSC_PS2_PT2_iSB_SB_.has_recursion, or(0, .L__assert_fail.has_recursion)
	.set _Z38paged_attention_ll4mi_QKV_mfma4_kernelIDF16_hLN4vllm18Fp8KVCacheDataTypeE1EDF16_Li16ELi64ELi256ELb1ELi4EEvPKT_PKT0_S7_ifPKiS9_S9_iPKfiiiPfSC_PS2_PT2_iSB_SB_.has_indirect_call, or(0, .L__assert_fail.has_indirect_call)
	.section	.AMDGPU.csdata,"",@progbits
; Kernel info:
; codeLenInByte = 68
; TotalNumSgprs: 36
; NumVgprs: 51
; ScratchSize: 64
; MemoryBound: 0
; FloatMode: 240
; IeeeMode: 1
; LDSByteSize: 0 bytes/workgroup (compile time only)
; SGPRBlocks: 0
; VGPRBlocks: 3
; NumSGPRsForWavesPerEU: 36
; NumVGPRsForWavesPerEU: 51
; NamedBarCnt: 0
; Occupancy: 16
; WaveLimiterHint : 1
; COMPUTE_PGM_RSRC2:SCRATCH_EN: 1
; COMPUTE_PGM_RSRC2:USER_SGPR: 2
; COMPUTE_PGM_RSRC2:TRAP_HANDLER: 0
; COMPUTE_PGM_RSRC2:TGID_X_EN: 1
; COMPUTE_PGM_RSRC2:TGID_Y_EN: 0
; COMPUTE_PGM_RSRC2:TGID_Z_EN: 0
; COMPUTE_PGM_RSRC2:TIDIG_COMP_CNT: 0
	.section	.text._Z39paged_attention_ll4mi_QKV_mfma16_kernelIDF16_hLN4vllm18Fp8KVCacheDataTypeE1EDF16_Li16ELi64ELi256ELb1ELi5EEvPKT_PKT0_S7_ifPKiS9_S9_iPKfiiiPfSC_PS2_PT2_iSB_SB_,"axG",@progbits,_Z39paged_attention_ll4mi_QKV_mfma16_kernelIDF16_hLN4vllm18Fp8KVCacheDataTypeE1EDF16_Li16ELi64ELi256ELb1ELi5EEvPKT_PKT0_S7_ifPKiS9_S9_iPKfiiiPfSC_PS2_PT2_iSB_SB_,comdat
	.protected	_Z39paged_attention_ll4mi_QKV_mfma16_kernelIDF16_hLN4vllm18Fp8KVCacheDataTypeE1EDF16_Li16ELi64ELi256ELb1ELi5EEvPKT_PKT0_S7_ifPKiS9_S9_iPKfiiiPfSC_PS2_PT2_iSB_SB_ ; -- Begin function _Z39paged_attention_ll4mi_QKV_mfma16_kernelIDF16_hLN4vllm18Fp8KVCacheDataTypeE1EDF16_Li16ELi64ELi256ELb1ELi5EEvPKT_PKT0_S7_ifPKiS9_S9_iPKfiiiPfSC_PS2_PT2_iSB_SB_
	.globl	_Z39paged_attention_ll4mi_QKV_mfma16_kernelIDF16_hLN4vllm18Fp8KVCacheDataTypeE1EDF16_Li16ELi64ELi256ELb1ELi5EEvPKT_PKT0_S7_ifPKiS9_S9_iPKfiiiPfSC_PS2_PT2_iSB_SB_
	.p2align	8
	.type	_Z39paged_attention_ll4mi_QKV_mfma16_kernelIDF16_hLN4vllm18Fp8KVCacheDataTypeE1EDF16_Li16ELi64ELi256ELb1ELi5EEvPKT_PKT0_S7_ifPKiS9_S9_iPKfiiiPfSC_PS2_PT2_iSB_SB_,@function
_Z39paged_attention_ll4mi_QKV_mfma16_kernelIDF16_hLN4vllm18Fp8KVCacheDataTypeE1EDF16_Li16ELi64ELi256ELb1ELi5EEvPKT_PKT0_S7_ifPKiS9_S9_iPKfiiiPfSC_PS2_PT2_iSB_SB_: ; @_Z39paged_attention_ll4mi_QKV_mfma16_kernelIDF16_hLN4vllm18Fp8KVCacheDataTypeE1EDF16_Li16ELi64ELi256ELb1ELi5EEvPKT_PKT0_S7_ifPKiS9_S9_iPKfiiiPfSC_PS2_PT2_iSB_SB_
; %bb.0:
	s_get_pc_i64 s[2:3]
	s_add_nc_u64 s[2:3], s[2:3], __PRETTY_FUNCTION__._Z39paged_attention_ll4mi_QKV_mfma16_kernelIDF16_hLN4vllm18Fp8KVCacheDataTypeE1EDF16_Li16ELi64ELi256ELb1ELi5EEvPKT_PKT0_S7_ifPKiS9_S9_iPKfiiiPfSC_PS2_PT2_iSB_SB_@rel64+4
	s_delay_alu instid0(SALU_CYCLE_1)
	v_dual_mov_b32 v0, 0xbb3 :: v_dual_mov_b32 v1, s2
	v_mov_b32_e32 v2, s3
	s_add_nc_u64 s[8:9], s[0:1], 0x90
	s_get_pc_i64 s[0:1]
	s_add_nc_u64 s[0:1], s[0:1], __assert_fail@rel64+4
	s_mov_b32 s32, 0
	s_swap_pc_i64 s[30:31], s[0:1]
	.section	.rodata,"a",@progbits
	.p2align	6, 0x0
	.amdhsa_kernel _Z39paged_attention_ll4mi_QKV_mfma16_kernelIDF16_hLN4vllm18Fp8KVCacheDataTypeE1EDF16_Li16ELi64ELi256ELb1ELi5EEvPKT_PKT0_S7_ifPKiS9_S9_iPKfiiiPfSC_PS2_PT2_iSB_SB_
		.amdhsa_group_segment_fixed_size 0
		.amdhsa_private_segment_fixed_size 64
		.amdhsa_kernarg_size 400
		.amdhsa_user_sgpr_count 2
		.amdhsa_user_sgpr_dispatch_ptr 0
		.amdhsa_user_sgpr_queue_ptr 0
		.amdhsa_user_sgpr_kernarg_segment_ptr 1
		.amdhsa_user_sgpr_dispatch_id 0
		.amdhsa_user_sgpr_kernarg_preload_length 0
		.amdhsa_user_sgpr_kernarg_preload_offset 0
		.amdhsa_user_sgpr_private_segment_size 0
		.amdhsa_wavefront_size32 1
		.amdhsa_uses_dynamic_stack 0
		.amdhsa_enable_private_segment 1
		.amdhsa_system_sgpr_workgroup_id_x 1
		.amdhsa_system_sgpr_workgroup_id_y 0
		.amdhsa_system_sgpr_workgroup_id_z 0
		.amdhsa_system_sgpr_workgroup_info 0
		.amdhsa_system_vgpr_workitem_id 0
		.amdhsa_next_free_vgpr 51
		.amdhsa_next_free_sgpr 34
		.amdhsa_named_barrier_count 0
		.amdhsa_reserve_vcc 1
		.amdhsa_float_round_mode_32 0
		.amdhsa_float_round_mode_16_64 0
		.amdhsa_float_denorm_mode_32 3
		.amdhsa_float_denorm_mode_16_64 3
		.amdhsa_fp16_overflow 0
		.amdhsa_memory_ordered 1
		.amdhsa_forward_progress 1
		.amdhsa_inst_pref_size 1
		.amdhsa_round_robin_scheduling 0
		.amdhsa_exception_fp_ieee_invalid_op 0
		.amdhsa_exception_fp_denorm_src 0
		.amdhsa_exception_fp_ieee_div_zero 0
		.amdhsa_exception_fp_ieee_overflow 0
		.amdhsa_exception_fp_ieee_underflow 0
		.amdhsa_exception_fp_ieee_inexact 0
		.amdhsa_exception_int_div_zero 0
	.end_amdhsa_kernel
	.section	.text._Z39paged_attention_ll4mi_QKV_mfma16_kernelIDF16_hLN4vllm18Fp8KVCacheDataTypeE1EDF16_Li16ELi64ELi256ELb1ELi5EEvPKT_PKT0_S7_ifPKiS9_S9_iPKfiiiPfSC_PS2_PT2_iSB_SB_,"axG",@progbits,_Z39paged_attention_ll4mi_QKV_mfma16_kernelIDF16_hLN4vllm18Fp8KVCacheDataTypeE1EDF16_Li16ELi64ELi256ELb1ELi5EEvPKT_PKT0_S7_ifPKiS9_S9_iPKfiiiPfSC_PS2_PT2_iSB_SB_,comdat
.Lfunc_end814:
	.size	_Z39paged_attention_ll4mi_QKV_mfma16_kernelIDF16_hLN4vllm18Fp8KVCacheDataTypeE1EDF16_Li16ELi64ELi256ELb1ELi5EEvPKT_PKT0_S7_ifPKiS9_S9_iPKfiiiPfSC_PS2_PT2_iSB_SB_, .Lfunc_end814-_Z39paged_attention_ll4mi_QKV_mfma16_kernelIDF16_hLN4vllm18Fp8KVCacheDataTypeE1EDF16_Li16ELi64ELi256ELb1ELi5EEvPKT_PKT0_S7_ifPKiS9_S9_iPKfiiiPfSC_PS2_PT2_iSB_SB_
                                        ; -- End function
	.set _Z39paged_attention_ll4mi_QKV_mfma16_kernelIDF16_hLN4vllm18Fp8KVCacheDataTypeE1EDF16_Li16ELi64ELi256ELb1ELi5EEvPKT_PKT0_S7_ifPKiS9_S9_iPKfiiiPfSC_PS2_PT2_iSB_SB_.num_vgpr, max(3, .L__assert_fail.num_vgpr)
	.set _Z39paged_attention_ll4mi_QKV_mfma16_kernelIDF16_hLN4vllm18Fp8KVCacheDataTypeE1EDF16_Li16ELi64ELi256ELb1ELi5EEvPKT_PKT0_S7_ifPKiS9_S9_iPKfiiiPfSC_PS2_PT2_iSB_SB_.num_agpr, max(0, .L__assert_fail.num_agpr)
	.set _Z39paged_attention_ll4mi_QKV_mfma16_kernelIDF16_hLN4vllm18Fp8KVCacheDataTypeE1EDF16_Li16ELi64ELi256ELb1ELi5EEvPKT_PKT0_S7_ifPKiS9_S9_iPKfiiiPfSC_PS2_PT2_iSB_SB_.numbered_sgpr, max(33, .L__assert_fail.numbered_sgpr)
	.set _Z39paged_attention_ll4mi_QKV_mfma16_kernelIDF16_hLN4vllm18Fp8KVCacheDataTypeE1EDF16_Li16ELi64ELi256ELb1ELi5EEvPKT_PKT0_S7_ifPKiS9_S9_iPKfiiiPfSC_PS2_PT2_iSB_SB_.num_named_barrier, max(0, .L__assert_fail.num_named_barrier)
	.set _Z39paged_attention_ll4mi_QKV_mfma16_kernelIDF16_hLN4vllm18Fp8KVCacheDataTypeE1EDF16_Li16ELi64ELi256ELb1ELi5EEvPKT_PKT0_S7_ifPKiS9_S9_iPKfiiiPfSC_PS2_PT2_iSB_SB_.private_seg_size, 0+max(.L__assert_fail.private_seg_size)
	.set _Z39paged_attention_ll4mi_QKV_mfma16_kernelIDF16_hLN4vllm18Fp8KVCacheDataTypeE1EDF16_Li16ELi64ELi256ELb1ELi5EEvPKT_PKT0_S7_ifPKiS9_S9_iPKfiiiPfSC_PS2_PT2_iSB_SB_.uses_vcc, or(1, .L__assert_fail.uses_vcc)
	.set _Z39paged_attention_ll4mi_QKV_mfma16_kernelIDF16_hLN4vllm18Fp8KVCacheDataTypeE1EDF16_Li16ELi64ELi256ELb1ELi5EEvPKT_PKT0_S7_ifPKiS9_S9_iPKfiiiPfSC_PS2_PT2_iSB_SB_.uses_flat_scratch, or(0, .L__assert_fail.uses_flat_scratch)
	.set _Z39paged_attention_ll4mi_QKV_mfma16_kernelIDF16_hLN4vllm18Fp8KVCacheDataTypeE1EDF16_Li16ELi64ELi256ELb1ELi5EEvPKT_PKT0_S7_ifPKiS9_S9_iPKfiiiPfSC_PS2_PT2_iSB_SB_.has_dyn_sized_stack, or(0, .L__assert_fail.has_dyn_sized_stack)
	.set _Z39paged_attention_ll4mi_QKV_mfma16_kernelIDF16_hLN4vllm18Fp8KVCacheDataTypeE1EDF16_Li16ELi64ELi256ELb1ELi5EEvPKT_PKT0_S7_ifPKiS9_S9_iPKfiiiPfSC_PS2_PT2_iSB_SB_.has_recursion, or(0, .L__assert_fail.has_recursion)
	.set _Z39paged_attention_ll4mi_QKV_mfma16_kernelIDF16_hLN4vllm18Fp8KVCacheDataTypeE1EDF16_Li16ELi64ELi256ELb1ELi5EEvPKT_PKT0_S7_ifPKiS9_S9_iPKfiiiPfSC_PS2_PT2_iSB_SB_.has_indirect_call, or(0, .L__assert_fail.has_indirect_call)
	.section	.AMDGPU.csdata,"",@progbits
; Kernel info:
; codeLenInByte = 68
; TotalNumSgprs: 36
; NumVgprs: 51
; ScratchSize: 64
; MemoryBound: 0
; FloatMode: 240
; IeeeMode: 1
; LDSByteSize: 0 bytes/workgroup (compile time only)
; SGPRBlocks: 0
; VGPRBlocks: 3
; NumSGPRsForWavesPerEU: 36
; NumVGPRsForWavesPerEU: 51
; NamedBarCnt: 0
; Occupancy: 16
; WaveLimiterHint : 1
; COMPUTE_PGM_RSRC2:SCRATCH_EN: 1
; COMPUTE_PGM_RSRC2:USER_SGPR: 2
; COMPUTE_PGM_RSRC2:TRAP_HANDLER: 0
; COMPUTE_PGM_RSRC2:TGID_X_EN: 1
; COMPUTE_PGM_RSRC2:TGID_Y_EN: 0
; COMPUTE_PGM_RSRC2:TGID_Z_EN: 0
; COMPUTE_PGM_RSRC2:TIDIG_COMP_CNT: 0
	.section	.text._Z39paged_attention_ll4mi_QKV_mfma16_kernelIDF16_hLN4vllm18Fp8KVCacheDataTypeE1EDF16_Li16ELi64ELi256ELb1ELi6EEvPKT_PKT0_S7_ifPKiS9_S9_iPKfiiiPfSC_PS2_PT2_iSB_SB_,"axG",@progbits,_Z39paged_attention_ll4mi_QKV_mfma16_kernelIDF16_hLN4vllm18Fp8KVCacheDataTypeE1EDF16_Li16ELi64ELi256ELb1ELi6EEvPKT_PKT0_S7_ifPKiS9_S9_iPKfiiiPfSC_PS2_PT2_iSB_SB_,comdat
	.protected	_Z39paged_attention_ll4mi_QKV_mfma16_kernelIDF16_hLN4vllm18Fp8KVCacheDataTypeE1EDF16_Li16ELi64ELi256ELb1ELi6EEvPKT_PKT0_S7_ifPKiS9_S9_iPKfiiiPfSC_PS2_PT2_iSB_SB_ ; -- Begin function _Z39paged_attention_ll4mi_QKV_mfma16_kernelIDF16_hLN4vllm18Fp8KVCacheDataTypeE1EDF16_Li16ELi64ELi256ELb1ELi6EEvPKT_PKT0_S7_ifPKiS9_S9_iPKfiiiPfSC_PS2_PT2_iSB_SB_
	.globl	_Z39paged_attention_ll4mi_QKV_mfma16_kernelIDF16_hLN4vllm18Fp8KVCacheDataTypeE1EDF16_Li16ELi64ELi256ELb1ELi6EEvPKT_PKT0_S7_ifPKiS9_S9_iPKfiiiPfSC_PS2_PT2_iSB_SB_
	.p2align	8
	.type	_Z39paged_attention_ll4mi_QKV_mfma16_kernelIDF16_hLN4vllm18Fp8KVCacheDataTypeE1EDF16_Li16ELi64ELi256ELb1ELi6EEvPKT_PKT0_S7_ifPKiS9_S9_iPKfiiiPfSC_PS2_PT2_iSB_SB_,@function
_Z39paged_attention_ll4mi_QKV_mfma16_kernelIDF16_hLN4vllm18Fp8KVCacheDataTypeE1EDF16_Li16ELi64ELi256ELb1ELi6EEvPKT_PKT0_S7_ifPKiS9_S9_iPKfiiiPfSC_PS2_PT2_iSB_SB_: ; @_Z39paged_attention_ll4mi_QKV_mfma16_kernelIDF16_hLN4vllm18Fp8KVCacheDataTypeE1EDF16_Li16ELi64ELi256ELb1ELi6EEvPKT_PKT0_S7_ifPKiS9_S9_iPKfiiiPfSC_PS2_PT2_iSB_SB_
; %bb.0:
	s_get_pc_i64 s[2:3]
	s_add_nc_u64 s[2:3], s[2:3], __PRETTY_FUNCTION__._Z39paged_attention_ll4mi_QKV_mfma16_kernelIDF16_hLN4vllm18Fp8KVCacheDataTypeE1EDF16_Li16ELi64ELi256ELb1ELi6EEvPKT_PKT0_S7_ifPKiS9_S9_iPKfiiiPfSC_PS2_PT2_iSB_SB_@rel64+4
	s_delay_alu instid0(SALU_CYCLE_1)
	v_dual_mov_b32 v0, 0xbb3 :: v_dual_mov_b32 v1, s2
	v_mov_b32_e32 v2, s3
	s_add_nc_u64 s[8:9], s[0:1], 0x90
	s_get_pc_i64 s[0:1]
	s_add_nc_u64 s[0:1], s[0:1], __assert_fail@rel64+4
	s_mov_b32 s32, 0
	s_swap_pc_i64 s[30:31], s[0:1]
	.section	.rodata,"a",@progbits
	.p2align	6, 0x0
	.amdhsa_kernel _Z39paged_attention_ll4mi_QKV_mfma16_kernelIDF16_hLN4vllm18Fp8KVCacheDataTypeE1EDF16_Li16ELi64ELi256ELb1ELi6EEvPKT_PKT0_S7_ifPKiS9_S9_iPKfiiiPfSC_PS2_PT2_iSB_SB_
		.amdhsa_group_segment_fixed_size 0
		.amdhsa_private_segment_fixed_size 64
		.amdhsa_kernarg_size 400
		.amdhsa_user_sgpr_count 2
		.amdhsa_user_sgpr_dispatch_ptr 0
		.amdhsa_user_sgpr_queue_ptr 0
		.amdhsa_user_sgpr_kernarg_segment_ptr 1
		.amdhsa_user_sgpr_dispatch_id 0
		.amdhsa_user_sgpr_kernarg_preload_length 0
		.amdhsa_user_sgpr_kernarg_preload_offset 0
		.amdhsa_user_sgpr_private_segment_size 0
		.amdhsa_wavefront_size32 1
		.amdhsa_uses_dynamic_stack 0
		.amdhsa_enable_private_segment 1
		.amdhsa_system_sgpr_workgroup_id_x 1
		.amdhsa_system_sgpr_workgroup_id_y 0
		.amdhsa_system_sgpr_workgroup_id_z 0
		.amdhsa_system_sgpr_workgroup_info 0
		.amdhsa_system_vgpr_workitem_id 0
		.amdhsa_next_free_vgpr 51
		.amdhsa_next_free_sgpr 34
		.amdhsa_named_barrier_count 0
		.amdhsa_reserve_vcc 1
		.amdhsa_float_round_mode_32 0
		.amdhsa_float_round_mode_16_64 0
		.amdhsa_float_denorm_mode_32 3
		.amdhsa_float_denorm_mode_16_64 3
		.amdhsa_fp16_overflow 0
		.amdhsa_memory_ordered 1
		.amdhsa_forward_progress 1
		.amdhsa_inst_pref_size 1
		.amdhsa_round_robin_scheduling 0
		.amdhsa_exception_fp_ieee_invalid_op 0
		.amdhsa_exception_fp_denorm_src 0
		.amdhsa_exception_fp_ieee_div_zero 0
		.amdhsa_exception_fp_ieee_overflow 0
		.amdhsa_exception_fp_ieee_underflow 0
		.amdhsa_exception_fp_ieee_inexact 0
		.amdhsa_exception_int_div_zero 0
	.end_amdhsa_kernel
	.section	.text._Z39paged_attention_ll4mi_QKV_mfma16_kernelIDF16_hLN4vllm18Fp8KVCacheDataTypeE1EDF16_Li16ELi64ELi256ELb1ELi6EEvPKT_PKT0_S7_ifPKiS9_S9_iPKfiiiPfSC_PS2_PT2_iSB_SB_,"axG",@progbits,_Z39paged_attention_ll4mi_QKV_mfma16_kernelIDF16_hLN4vllm18Fp8KVCacheDataTypeE1EDF16_Li16ELi64ELi256ELb1ELi6EEvPKT_PKT0_S7_ifPKiS9_S9_iPKfiiiPfSC_PS2_PT2_iSB_SB_,comdat
.Lfunc_end815:
	.size	_Z39paged_attention_ll4mi_QKV_mfma16_kernelIDF16_hLN4vllm18Fp8KVCacheDataTypeE1EDF16_Li16ELi64ELi256ELb1ELi6EEvPKT_PKT0_S7_ifPKiS9_S9_iPKfiiiPfSC_PS2_PT2_iSB_SB_, .Lfunc_end815-_Z39paged_attention_ll4mi_QKV_mfma16_kernelIDF16_hLN4vllm18Fp8KVCacheDataTypeE1EDF16_Li16ELi64ELi256ELb1ELi6EEvPKT_PKT0_S7_ifPKiS9_S9_iPKfiiiPfSC_PS2_PT2_iSB_SB_
                                        ; -- End function
	.set _Z39paged_attention_ll4mi_QKV_mfma16_kernelIDF16_hLN4vllm18Fp8KVCacheDataTypeE1EDF16_Li16ELi64ELi256ELb1ELi6EEvPKT_PKT0_S7_ifPKiS9_S9_iPKfiiiPfSC_PS2_PT2_iSB_SB_.num_vgpr, max(3, .L__assert_fail.num_vgpr)
	.set _Z39paged_attention_ll4mi_QKV_mfma16_kernelIDF16_hLN4vllm18Fp8KVCacheDataTypeE1EDF16_Li16ELi64ELi256ELb1ELi6EEvPKT_PKT0_S7_ifPKiS9_S9_iPKfiiiPfSC_PS2_PT2_iSB_SB_.num_agpr, max(0, .L__assert_fail.num_agpr)
	.set _Z39paged_attention_ll4mi_QKV_mfma16_kernelIDF16_hLN4vllm18Fp8KVCacheDataTypeE1EDF16_Li16ELi64ELi256ELb1ELi6EEvPKT_PKT0_S7_ifPKiS9_S9_iPKfiiiPfSC_PS2_PT2_iSB_SB_.numbered_sgpr, max(33, .L__assert_fail.numbered_sgpr)
	.set _Z39paged_attention_ll4mi_QKV_mfma16_kernelIDF16_hLN4vllm18Fp8KVCacheDataTypeE1EDF16_Li16ELi64ELi256ELb1ELi6EEvPKT_PKT0_S7_ifPKiS9_S9_iPKfiiiPfSC_PS2_PT2_iSB_SB_.num_named_barrier, max(0, .L__assert_fail.num_named_barrier)
	.set _Z39paged_attention_ll4mi_QKV_mfma16_kernelIDF16_hLN4vllm18Fp8KVCacheDataTypeE1EDF16_Li16ELi64ELi256ELb1ELi6EEvPKT_PKT0_S7_ifPKiS9_S9_iPKfiiiPfSC_PS2_PT2_iSB_SB_.private_seg_size, 0+max(.L__assert_fail.private_seg_size)
	.set _Z39paged_attention_ll4mi_QKV_mfma16_kernelIDF16_hLN4vllm18Fp8KVCacheDataTypeE1EDF16_Li16ELi64ELi256ELb1ELi6EEvPKT_PKT0_S7_ifPKiS9_S9_iPKfiiiPfSC_PS2_PT2_iSB_SB_.uses_vcc, or(1, .L__assert_fail.uses_vcc)
	.set _Z39paged_attention_ll4mi_QKV_mfma16_kernelIDF16_hLN4vllm18Fp8KVCacheDataTypeE1EDF16_Li16ELi64ELi256ELb1ELi6EEvPKT_PKT0_S7_ifPKiS9_S9_iPKfiiiPfSC_PS2_PT2_iSB_SB_.uses_flat_scratch, or(0, .L__assert_fail.uses_flat_scratch)
	.set _Z39paged_attention_ll4mi_QKV_mfma16_kernelIDF16_hLN4vllm18Fp8KVCacheDataTypeE1EDF16_Li16ELi64ELi256ELb1ELi6EEvPKT_PKT0_S7_ifPKiS9_S9_iPKfiiiPfSC_PS2_PT2_iSB_SB_.has_dyn_sized_stack, or(0, .L__assert_fail.has_dyn_sized_stack)
	.set _Z39paged_attention_ll4mi_QKV_mfma16_kernelIDF16_hLN4vllm18Fp8KVCacheDataTypeE1EDF16_Li16ELi64ELi256ELb1ELi6EEvPKT_PKT0_S7_ifPKiS9_S9_iPKfiiiPfSC_PS2_PT2_iSB_SB_.has_recursion, or(0, .L__assert_fail.has_recursion)
	.set _Z39paged_attention_ll4mi_QKV_mfma16_kernelIDF16_hLN4vllm18Fp8KVCacheDataTypeE1EDF16_Li16ELi64ELi256ELb1ELi6EEvPKT_PKT0_S7_ifPKiS9_S9_iPKfiiiPfSC_PS2_PT2_iSB_SB_.has_indirect_call, or(0, .L__assert_fail.has_indirect_call)
	.section	.AMDGPU.csdata,"",@progbits
; Kernel info:
; codeLenInByte = 68
; TotalNumSgprs: 36
; NumVgprs: 51
; ScratchSize: 64
; MemoryBound: 0
; FloatMode: 240
; IeeeMode: 1
; LDSByteSize: 0 bytes/workgroup (compile time only)
; SGPRBlocks: 0
; VGPRBlocks: 3
; NumSGPRsForWavesPerEU: 36
; NumVGPRsForWavesPerEU: 51
; NamedBarCnt: 0
; Occupancy: 16
; WaveLimiterHint : 1
; COMPUTE_PGM_RSRC2:SCRATCH_EN: 1
; COMPUTE_PGM_RSRC2:USER_SGPR: 2
; COMPUTE_PGM_RSRC2:TRAP_HANDLER: 0
; COMPUTE_PGM_RSRC2:TGID_X_EN: 1
; COMPUTE_PGM_RSRC2:TGID_Y_EN: 0
; COMPUTE_PGM_RSRC2:TGID_Z_EN: 0
; COMPUTE_PGM_RSRC2:TIDIG_COMP_CNT: 0
	.section	.text._Z39paged_attention_ll4mi_QKV_mfma16_kernelIDF16_hLN4vllm18Fp8KVCacheDataTypeE1EDF16_Li16ELi64ELi256ELb1ELi7EEvPKT_PKT0_S7_ifPKiS9_S9_iPKfiiiPfSC_PS2_PT2_iSB_SB_,"axG",@progbits,_Z39paged_attention_ll4mi_QKV_mfma16_kernelIDF16_hLN4vllm18Fp8KVCacheDataTypeE1EDF16_Li16ELi64ELi256ELb1ELi7EEvPKT_PKT0_S7_ifPKiS9_S9_iPKfiiiPfSC_PS2_PT2_iSB_SB_,comdat
	.protected	_Z39paged_attention_ll4mi_QKV_mfma16_kernelIDF16_hLN4vllm18Fp8KVCacheDataTypeE1EDF16_Li16ELi64ELi256ELb1ELi7EEvPKT_PKT0_S7_ifPKiS9_S9_iPKfiiiPfSC_PS2_PT2_iSB_SB_ ; -- Begin function _Z39paged_attention_ll4mi_QKV_mfma16_kernelIDF16_hLN4vllm18Fp8KVCacheDataTypeE1EDF16_Li16ELi64ELi256ELb1ELi7EEvPKT_PKT0_S7_ifPKiS9_S9_iPKfiiiPfSC_PS2_PT2_iSB_SB_
	.globl	_Z39paged_attention_ll4mi_QKV_mfma16_kernelIDF16_hLN4vllm18Fp8KVCacheDataTypeE1EDF16_Li16ELi64ELi256ELb1ELi7EEvPKT_PKT0_S7_ifPKiS9_S9_iPKfiiiPfSC_PS2_PT2_iSB_SB_
	.p2align	8
	.type	_Z39paged_attention_ll4mi_QKV_mfma16_kernelIDF16_hLN4vllm18Fp8KVCacheDataTypeE1EDF16_Li16ELi64ELi256ELb1ELi7EEvPKT_PKT0_S7_ifPKiS9_S9_iPKfiiiPfSC_PS2_PT2_iSB_SB_,@function
_Z39paged_attention_ll4mi_QKV_mfma16_kernelIDF16_hLN4vllm18Fp8KVCacheDataTypeE1EDF16_Li16ELi64ELi256ELb1ELi7EEvPKT_PKT0_S7_ifPKiS9_S9_iPKfiiiPfSC_PS2_PT2_iSB_SB_: ; @_Z39paged_attention_ll4mi_QKV_mfma16_kernelIDF16_hLN4vllm18Fp8KVCacheDataTypeE1EDF16_Li16ELi64ELi256ELb1ELi7EEvPKT_PKT0_S7_ifPKiS9_S9_iPKfiiiPfSC_PS2_PT2_iSB_SB_
; %bb.0:
	s_get_pc_i64 s[2:3]
	s_add_nc_u64 s[2:3], s[2:3], __PRETTY_FUNCTION__._Z39paged_attention_ll4mi_QKV_mfma16_kernelIDF16_hLN4vllm18Fp8KVCacheDataTypeE1EDF16_Li16ELi64ELi256ELb1ELi7EEvPKT_PKT0_S7_ifPKiS9_S9_iPKfiiiPfSC_PS2_PT2_iSB_SB_@rel64+4
	s_delay_alu instid0(SALU_CYCLE_1)
	v_dual_mov_b32 v0, 0xbb3 :: v_dual_mov_b32 v1, s2
	v_mov_b32_e32 v2, s3
	s_add_nc_u64 s[8:9], s[0:1], 0x90
	s_get_pc_i64 s[0:1]
	s_add_nc_u64 s[0:1], s[0:1], __assert_fail@rel64+4
	s_mov_b32 s32, 0
	s_swap_pc_i64 s[30:31], s[0:1]
	.section	.rodata,"a",@progbits
	.p2align	6, 0x0
	.amdhsa_kernel _Z39paged_attention_ll4mi_QKV_mfma16_kernelIDF16_hLN4vllm18Fp8KVCacheDataTypeE1EDF16_Li16ELi64ELi256ELb1ELi7EEvPKT_PKT0_S7_ifPKiS9_S9_iPKfiiiPfSC_PS2_PT2_iSB_SB_
		.amdhsa_group_segment_fixed_size 0
		.amdhsa_private_segment_fixed_size 64
		.amdhsa_kernarg_size 400
		.amdhsa_user_sgpr_count 2
		.amdhsa_user_sgpr_dispatch_ptr 0
		.amdhsa_user_sgpr_queue_ptr 0
		.amdhsa_user_sgpr_kernarg_segment_ptr 1
		.amdhsa_user_sgpr_dispatch_id 0
		.amdhsa_user_sgpr_kernarg_preload_length 0
		.amdhsa_user_sgpr_kernarg_preload_offset 0
		.amdhsa_user_sgpr_private_segment_size 0
		.amdhsa_wavefront_size32 1
		.amdhsa_uses_dynamic_stack 0
		.amdhsa_enable_private_segment 1
		.amdhsa_system_sgpr_workgroup_id_x 1
		.amdhsa_system_sgpr_workgroup_id_y 0
		.amdhsa_system_sgpr_workgroup_id_z 0
		.amdhsa_system_sgpr_workgroup_info 0
		.amdhsa_system_vgpr_workitem_id 0
		.amdhsa_next_free_vgpr 51
		.amdhsa_next_free_sgpr 34
		.amdhsa_named_barrier_count 0
		.amdhsa_reserve_vcc 1
		.amdhsa_float_round_mode_32 0
		.amdhsa_float_round_mode_16_64 0
		.amdhsa_float_denorm_mode_32 3
		.amdhsa_float_denorm_mode_16_64 3
		.amdhsa_fp16_overflow 0
		.amdhsa_memory_ordered 1
		.amdhsa_forward_progress 1
		.amdhsa_inst_pref_size 1
		.amdhsa_round_robin_scheduling 0
		.amdhsa_exception_fp_ieee_invalid_op 0
		.amdhsa_exception_fp_denorm_src 0
		.amdhsa_exception_fp_ieee_div_zero 0
		.amdhsa_exception_fp_ieee_overflow 0
		.amdhsa_exception_fp_ieee_underflow 0
		.amdhsa_exception_fp_ieee_inexact 0
		.amdhsa_exception_int_div_zero 0
	.end_amdhsa_kernel
	.section	.text._Z39paged_attention_ll4mi_QKV_mfma16_kernelIDF16_hLN4vllm18Fp8KVCacheDataTypeE1EDF16_Li16ELi64ELi256ELb1ELi7EEvPKT_PKT0_S7_ifPKiS9_S9_iPKfiiiPfSC_PS2_PT2_iSB_SB_,"axG",@progbits,_Z39paged_attention_ll4mi_QKV_mfma16_kernelIDF16_hLN4vllm18Fp8KVCacheDataTypeE1EDF16_Li16ELi64ELi256ELb1ELi7EEvPKT_PKT0_S7_ifPKiS9_S9_iPKfiiiPfSC_PS2_PT2_iSB_SB_,comdat
.Lfunc_end816:
	.size	_Z39paged_attention_ll4mi_QKV_mfma16_kernelIDF16_hLN4vllm18Fp8KVCacheDataTypeE1EDF16_Li16ELi64ELi256ELb1ELi7EEvPKT_PKT0_S7_ifPKiS9_S9_iPKfiiiPfSC_PS2_PT2_iSB_SB_, .Lfunc_end816-_Z39paged_attention_ll4mi_QKV_mfma16_kernelIDF16_hLN4vllm18Fp8KVCacheDataTypeE1EDF16_Li16ELi64ELi256ELb1ELi7EEvPKT_PKT0_S7_ifPKiS9_S9_iPKfiiiPfSC_PS2_PT2_iSB_SB_
                                        ; -- End function
	.set _Z39paged_attention_ll4mi_QKV_mfma16_kernelIDF16_hLN4vllm18Fp8KVCacheDataTypeE1EDF16_Li16ELi64ELi256ELb1ELi7EEvPKT_PKT0_S7_ifPKiS9_S9_iPKfiiiPfSC_PS2_PT2_iSB_SB_.num_vgpr, max(3, .L__assert_fail.num_vgpr)
	.set _Z39paged_attention_ll4mi_QKV_mfma16_kernelIDF16_hLN4vllm18Fp8KVCacheDataTypeE1EDF16_Li16ELi64ELi256ELb1ELi7EEvPKT_PKT0_S7_ifPKiS9_S9_iPKfiiiPfSC_PS2_PT2_iSB_SB_.num_agpr, max(0, .L__assert_fail.num_agpr)
	.set _Z39paged_attention_ll4mi_QKV_mfma16_kernelIDF16_hLN4vllm18Fp8KVCacheDataTypeE1EDF16_Li16ELi64ELi256ELb1ELi7EEvPKT_PKT0_S7_ifPKiS9_S9_iPKfiiiPfSC_PS2_PT2_iSB_SB_.numbered_sgpr, max(33, .L__assert_fail.numbered_sgpr)
	.set _Z39paged_attention_ll4mi_QKV_mfma16_kernelIDF16_hLN4vllm18Fp8KVCacheDataTypeE1EDF16_Li16ELi64ELi256ELb1ELi7EEvPKT_PKT0_S7_ifPKiS9_S9_iPKfiiiPfSC_PS2_PT2_iSB_SB_.num_named_barrier, max(0, .L__assert_fail.num_named_barrier)
	.set _Z39paged_attention_ll4mi_QKV_mfma16_kernelIDF16_hLN4vllm18Fp8KVCacheDataTypeE1EDF16_Li16ELi64ELi256ELb1ELi7EEvPKT_PKT0_S7_ifPKiS9_S9_iPKfiiiPfSC_PS2_PT2_iSB_SB_.private_seg_size, 0+max(.L__assert_fail.private_seg_size)
	.set _Z39paged_attention_ll4mi_QKV_mfma16_kernelIDF16_hLN4vllm18Fp8KVCacheDataTypeE1EDF16_Li16ELi64ELi256ELb1ELi7EEvPKT_PKT0_S7_ifPKiS9_S9_iPKfiiiPfSC_PS2_PT2_iSB_SB_.uses_vcc, or(1, .L__assert_fail.uses_vcc)
	.set _Z39paged_attention_ll4mi_QKV_mfma16_kernelIDF16_hLN4vllm18Fp8KVCacheDataTypeE1EDF16_Li16ELi64ELi256ELb1ELi7EEvPKT_PKT0_S7_ifPKiS9_S9_iPKfiiiPfSC_PS2_PT2_iSB_SB_.uses_flat_scratch, or(0, .L__assert_fail.uses_flat_scratch)
	.set _Z39paged_attention_ll4mi_QKV_mfma16_kernelIDF16_hLN4vllm18Fp8KVCacheDataTypeE1EDF16_Li16ELi64ELi256ELb1ELi7EEvPKT_PKT0_S7_ifPKiS9_S9_iPKfiiiPfSC_PS2_PT2_iSB_SB_.has_dyn_sized_stack, or(0, .L__assert_fail.has_dyn_sized_stack)
	.set _Z39paged_attention_ll4mi_QKV_mfma16_kernelIDF16_hLN4vllm18Fp8KVCacheDataTypeE1EDF16_Li16ELi64ELi256ELb1ELi7EEvPKT_PKT0_S7_ifPKiS9_S9_iPKfiiiPfSC_PS2_PT2_iSB_SB_.has_recursion, or(0, .L__assert_fail.has_recursion)
	.set _Z39paged_attention_ll4mi_QKV_mfma16_kernelIDF16_hLN4vllm18Fp8KVCacheDataTypeE1EDF16_Li16ELi64ELi256ELb1ELi7EEvPKT_PKT0_S7_ifPKiS9_S9_iPKfiiiPfSC_PS2_PT2_iSB_SB_.has_indirect_call, or(0, .L__assert_fail.has_indirect_call)
	.section	.AMDGPU.csdata,"",@progbits
; Kernel info:
; codeLenInByte = 68
; TotalNumSgprs: 36
; NumVgprs: 51
; ScratchSize: 64
; MemoryBound: 0
; FloatMode: 240
; IeeeMode: 1
; LDSByteSize: 0 bytes/workgroup (compile time only)
; SGPRBlocks: 0
; VGPRBlocks: 3
; NumSGPRsForWavesPerEU: 36
; NumVGPRsForWavesPerEU: 51
; NamedBarCnt: 0
; Occupancy: 16
; WaveLimiterHint : 1
; COMPUTE_PGM_RSRC2:SCRATCH_EN: 1
; COMPUTE_PGM_RSRC2:USER_SGPR: 2
; COMPUTE_PGM_RSRC2:TRAP_HANDLER: 0
; COMPUTE_PGM_RSRC2:TGID_X_EN: 1
; COMPUTE_PGM_RSRC2:TGID_Y_EN: 0
; COMPUTE_PGM_RSRC2:TGID_Z_EN: 0
; COMPUTE_PGM_RSRC2:TIDIG_COMP_CNT: 0
	.section	.text._Z39paged_attention_ll4mi_QKV_mfma16_kernelIDF16_hLN4vllm18Fp8KVCacheDataTypeE1EDF16_Li16ELi64ELi256ELb1ELi8EEvPKT_PKT0_S7_ifPKiS9_S9_iPKfiiiPfSC_PS2_PT2_iSB_SB_,"axG",@progbits,_Z39paged_attention_ll4mi_QKV_mfma16_kernelIDF16_hLN4vllm18Fp8KVCacheDataTypeE1EDF16_Li16ELi64ELi256ELb1ELi8EEvPKT_PKT0_S7_ifPKiS9_S9_iPKfiiiPfSC_PS2_PT2_iSB_SB_,comdat
	.protected	_Z39paged_attention_ll4mi_QKV_mfma16_kernelIDF16_hLN4vllm18Fp8KVCacheDataTypeE1EDF16_Li16ELi64ELi256ELb1ELi8EEvPKT_PKT0_S7_ifPKiS9_S9_iPKfiiiPfSC_PS2_PT2_iSB_SB_ ; -- Begin function _Z39paged_attention_ll4mi_QKV_mfma16_kernelIDF16_hLN4vllm18Fp8KVCacheDataTypeE1EDF16_Li16ELi64ELi256ELb1ELi8EEvPKT_PKT0_S7_ifPKiS9_S9_iPKfiiiPfSC_PS2_PT2_iSB_SB_
	.globl	_Z39paged_attention_ll4mi_QKV_mfma16_kernelIDF16_hLN4vllm18Fp8KVCacheDataTypeE1EDF16_Li16ELi64ELi256ELb1ELi8EEvPKT_PKT0_S7_ifPKiS9_S9_iPKfiiiPfSC_PS2_PT2_iSB_SB_
	.p2align	8
	.type	_Z39paged_attention_ll4mi_QKV_mfma16_kernelIDF16_hLN4vllm18Fp8KVCacheDataTypeE1EDF16_Li16ELi64ELi256ELb1ELi8EEvPKT_PKT0_S7_ifPKiS9_S9_iPKfiiiPfSC_PS2_PT2_iSB_SB_,@function
_Z39paged_attention_ll4mi_QKV_mfma16_kernelIDF16_hLN4vllm18Fp8KVCacheDataTypeE1EDF16_Li16ELi64ELi256ELb1ELi8EEvPKT_PKT0_S7_ifPKiS9_S9_iPKfiiiPfSC_PS2_PT2_iSB_SB_: ; @_Z39paged_attention_ll4mi_QKV_mfma16_kernelIDF16_hLN4vllm18Fp8KVCacheDataTypeE1EDF16_Li16ELi64ELi256ELb1ELi8EEvPKT_PKT0_S7_ifPKiS9_S9_iPKfiiiPfSC_PS2_PT2_iSB_SB_
; %bb.0:
	s_get_pc_i64 s[2:3]
	s_add_nc_u64 s[2:3], s[2:3], __PRETTY_FUNCTION__._Z39paged_attention_ll4mi_QKV_mfma16_kernelIDF16_hLN4vllm18Fp8KVCacheDataTypeE1EDF16_Li16ELi64ELi256ELb1ELi8EEvPKT_PKT0_S7_ifPKiS9_S9_iPKfiiiPfSC_PS2_PT2_iSB_SB_@rel64+4
	s_delay_alu instid0(SALU_CYCLE_1)
	v_dual_mov_b32 v0, 0xbb3 :: v_dual_mov_b32 v1, s2
	v_mov_b32_e32 v2, s3
	s_add_nc_u64 s[8:9], s[0:1], 0x90
	s_get_pc_i64 s[0:1]
	s_add_nc_u64 s[0:1], s[0:1], __assert_fail@rel64+4
	s_mov_b32 s32, 0
	s_swap_pc_i64 s[30:31], s[0:1]
	.section	.rodata,"a",@progbits
	.p2align	6, 0x0
	.amdhsa_kernel _Z39paged_attention_ll4mi_QKV_mfma16_kernelIDF16_hLN4vllm18Fp8KVCacheDataTypeE1EDF16_Li16ELi64ELi256ELb1ELi8EEvPKT_PKT0_S7_ifPKiS9_S9_iPKfiiiPfSC_PS2_PT2_iSB_SB_
		.amdhsa_group_segment_fixed_size 0
		.amdhsa_private_segment_fixed_size 64
		.amdhsa_kernarg_size 400
		.amdhsa_user_sgpr_count 2
		.amdhsa_user_sgpr_dispatch_ptr 0
		.amdhsa_user_sgpr_queue_ptr 0
		.amdhsa_user_sgpr_kernarg_segment_ptr 1
		.amdhsa_user_sgpr_dispatch_id 0
		.amdhsa_user_sgpr_kernarg_preload_length 0
		.amdhsa_user_sgpr_kernarg_preload_offset 0
		.amdhsa_user_sgpr_private_segment_size 0
		.amdhsa_wavefront_size32 1
		.amdhsa_uses_dynamic_stack 0
		.amdhsa_enable_private_segment 1
		.amdhsa_system_sgpr_workgroup_id_x 1
		.amdhsa_system_sgpr_workgroup_id_y 0
		.amdhsa_system_sgpr_workgroup_id_z 0
		.amdhsa_system_sgpr_workgroup_info 0
		.amdhsa_system_vgpr_workitem_id 0
		.amdhsa_next_free_vgpr 51
		.amdhsa_next_free_sgpr 34
		.amdhsa_named_barrier_count 0
		.amdhsa_reserve_vcc 1
		.amdhsa_float_round_mode_32 0
		.amdhsa_float_round_mode_16_64 0
		.amdhsa_float_denorm_mode_32 3
		.amdhsa_float_denorm_mode_16_64 3
		.amdhsa_fp16_overflow 0
		.amdhsa_memory_ordered 1
		.amdhsa_forward_progress 1
		.amdhsa_inst_pref_size 1
		.amdhsa_round_robin_scheduling 0
		.amdhsa_exception_fp_ieee_invalid_op 0
		.amdhsa_exception_fp_denorm_src 0
		.amdhsa_exception_fp_ieee_div_zero 0
		.amdhsa_exception_fp_ieee_overflow 0
		.amdhsa_exception_fp_ieee_underflow 0
		.amdhsa_exception_fp_ieee_inexact 0
		.amdhsa_exception_int_div_zero 0
	.end_amdhsa_kernel
	.section	.text._Z39paged_attention_ll4mi_QKV_mfma16_kernelIDF16_hLN4vllm18Fp8KVCacheDataTypeE1EDF16_Li16ELi64ELi256ELb1ELi8EEvPKT_PKT0_S7_ifPKiS9_S9_iPKfiiiPfSC_PS2_PT2_iSB_SB_,"axG",@progbits,_Z39paged_attention_ll4mi_QKV_mfma16_kernelIDF16_hLN4vllm18Fp8KVCacheDataTypeE1EDF16_Li16ELi64ELi256ELb1ELi8EEvPKT_PKT0_S7_ifPKiS9_S9_iPKfiiiPfSC_PS2_PT2_iSB_SB_,comdat
.Lfunc_end817:
	.size	_Z39paged_attention_ll4mi_QKV_mfma16_kernelIDF16_hLN4vllm18Fp8KVCacheDataTypeE1EDF16_Li16ELi64ELi256ELb1ELi8EEvPKT_PKT0_S7_ifPKiS9_S9_iPKfiiiPfSC_PS2_PT2_iSB_SB_, .Lfunc_end817-_Z39paged_attention_ll4mi_QKV_mfma16_kernelIDF16_hLN4vllm18Fp8KVCacheDataTypeE1EDF16_Li16ELi64ELi256ELb1ELi8EEvPKT_PKT0_S7_ifPKiS9_S9_iPKfiiiPfSC_PS2_PT2_iSB_SB_
                                        ; -- End function
	.set _Z39paged_attention_ll4mi_QKV_mfma16_kernelIDF16_hLN4vllm18Fp8KVCacheDataTypeE1EDF16_Li16ELi64ELi256ELb1ELi8EEvPKT_PKT0_S7_ifPKiS9_S9_iPKfiiiPfSC_PS2_PT2_iSB_SB_.num_vgpr, max(3, .L__assert_fail.num_vgpr)
	.set _Z39paged_attention_ll4mi_QKV_mfma16_kernelIDF16_hLN4vllm18Fp8KVCacheDataTypeE1EDF16_Li16ELi64ELi256ELb1ELi8EEvPKT_PKT0_S7_ifPKiS9_S9_iPKfiiiPfSC_PS2_PT2_iSB_SB_.num_agpr, max(0, .L__assert_fail.num_agpr)
	.set _Z39paged_attention_ll4mi_QKV_mfma16_kernelIDF16_hLN4vllm18Fp8KVCacheDataTypeE1EDF16_Li16ELi64ELi256ELb1ELi8EEvPKT_PKT0_S7_ifPKiS9_S9_iPKfiiiPfSC_PS2_PT2_iSB_SB_.numbered_sgpr, max(33, .L__assert_fail.numbered_sgpr)
	.set _Z39paged_attention_ll4mi_QKV_mfma16_kernelIDF16_hLN4vllm18Fp8KVCacheDataTypeE1EDF16_Li16ELi64ELi256ELb1ELi8EEvPKT_PKT0_S7_ifPKiS9_S9_iPKfiiiPfSC_PS2_PT2_iSB_SB_.num_named_barrier, max(0, .L__assert_fail.num_named_barrier)
	.set _Z39paged_attention_ll4mi_QKV_mfma16_kernelIDF16_hLN4vllm18Fp8KVCacheDataTypeE1EDF16_Li16ELi64ELi256ELb1ELi8EEvPKT_PKT0_S7_ifPKiS9_S9_iPKfiiiPfSC_PS2_PT2_iSB_SB_.private_seg_size, 0+max(.L__assert_fail.private_seg_size)
	.set _Z39paged_attention_ll4mi_QKV_mfma16_kernelIDF16_hLN4vllm18Fp8KVCacheDataTypeE1EDF16_Li16ELi64ELi256ELb1ELi8EEvPKT_PKT0_S7_ifPKiS9_S9_iPKfiiiPfSC_PS2_PT2_iSB_SB_.uses_vcc, or(1, .L__assert_fail.uses_vcc)
	.set _Z39paged_attention_ll4mi_QKV_mfma16_kernelIDF16_hLN4vllm18Fp8KVCacheDataTypeE1EDF16_Li16ELi64ELi256ELb1ELi8EEvPKT_PKT0_S7_ifPKiS9_S9_iPKfiiiPfSC_PS2_PT2_iSB_SB_.uses_flat_scratch, or(0, .L__assert_fail.uses_flat_scratch)
	.set _Z39paged_attention_ll4mi_QKV_mfma16_kernelIDF16_hLN4vllm18Fp8KVCacheDataTypeE1EDF16_Li16ELi64ELi256ELb1ELi8EEvPKT_PKT0_S7_ifPKiS9_S9_iPKfiiiPfSC_PS2_PT2_iSB_SB_.has_dyn_sized_stack, or(0, .L__assert_fail.has_dyn_sized_stack)
	.set _Z39paged_attention_ll4mi_QKV_mfma16_kernelIDF16_hLN4vllm18Fp8KVCacheDataTypeE1EDF16_Li16ELi64ELi256ELb1ELi8EEvPKT_PKT0_S7_ifPKiS9_S9_iPKfiiiPfSC_PS2_PT2_iSB_SB_.has_recursion, or(0, .L__assert_fail.has_recursion)
	.set _Z39paged_attention_ll4mi_QKV_mfma16_kernelIDF16_hLN4vllm18Fp8KVCacheDataTypeE1EDF16_Li16ELi64ELi256ELb1ELi8EEvPKT_PKT0_S7_ifPKiS9_S9_iPKfiiiPfSC_PS2_PT2_iSB_SB_.has_indirect_call, or(0, .L__assert_fail.has_indirect_call)
	.section	.AMDGPU.csdata,"",@progbits
; Kernel info:
; codeLenInByte = 68
; TotalNumSgprs: 36
; NumVgprs: 51
; ScratchSize: 64
; MemoryBound: 0
; FloatMode: 240
; IeeeMode: 1
; LDSByteSize: 0 bytes/workgroup (compile time only)
; SGPRBlocks: 0
; VGPRBlocks: 3
; NumSGPRsForWavesPerEU: 36
; NumVGPRsForWavesPerEU: 51
; NamedBarCnt: 0
; Occupancy: 16
; WaveLimiterHint : 1
; COMPUTE_PGM_RSRC2:SCRATCH_EN: 1
; COMPUTE_PGM_RSRC2:USER_SGPR: 2
; COMPUTE_PGM_RSRC2:TRAP_HANDLER: 0
; COMPUTE_PGM_RSRC2:TGID_X_EN: 1
; COMPUTE_PGM_RSRC2:TGID_Y_EN: 0
; COMPUTE_PGM_RSRC2:TGID_Z_EN: 0
; COMPUTE_PGM_RSRC2:TIDIG_COMP_CNT: 0
	.section	.text._Z39paged_attention_ll4mi_QKV_mfma16_kernelIDF16_hLN4vllm18Fp8KVCacheDataTypeE1EDF16_Li16ELi64ELi256ELb1ELi9EEvPKT_PKT0_S7_ifPKiS9_S9_iPKfiiiPfSC_PS2_PT2_iSB_SB_,"axG",@progbits,_Z39paged_attention_ll4mi_QKV_mfma16_kernelIDF16_hLN4vllm18Fp8KVCacheDataTypeE1EDF16_Li16ELi64ELi256ELb1ELi9EEvPKT_PKT0_S7_ifPKiS9_S9_iPKfiiiPfSC_PS2_PT2_iSB_SB_,comdat
	.protected	_Z39paged_attention_ll4mi_QKV_mfma16_kernelIDF16_hLN4vllm18Fp8KVCacheDataTypeE1EDF16_Li16ELi64ELi256ELb1ELi9EEvPKT_PKT0_S7_ifPKiS9_S9_iPKfiiiPfSC_PS2_PT2_iSB_SB_ ; -- Begin function _Z39paged_attention_ll4mi_QKV_mfma16_kernelIDF16_hLN4vllm18Fp8KVCacheDataTypeE1EDF16_Li16ELi64ELi256ELb1ELi9EEvPKT_PKT0_S7_ifPKiS9_S9_iPKfiiiPfSC_PS2_PT2_iSB_SB_
	.globl	_Z39paged_attention_ll4mi_QKV_mfma16_kernelIDF16_hLN4vllm18Fp8KVCacheDataTypeE1EDF16_Li16ELi64ELi256ELb1ELi9EEvPKT_PKT0_S7_ifPKiS9_S9_iPKfiiiPfSC_PS2_PT2_iSB_SB_
	.p2align	8
	.type	_Z39paged_attention_ll4mi_QKV_mfma16_kernelIDF16_hLN4vllm18Fp8KVCacheDataTypeE1EDF16_Li16ELi64ELi256ELb1ELi9EEvPKT_PKT0_S7_ifPKiS9_S9_iPKfiiiPfSC_PS2_PT2_iSB_SB_,@function
_Z39paged_attention_ll4mi_QKV_mfma16_kernelIDF16_hLN4vllm18Fp8KVCacheDataTypeE1EDF16_Li16ELi64ELi256ELb1ELi9EEvPKT_PKT0_S7_ifPKiS9_S9_iPKfiiiPfSC_PS2_PT2_iSB_SB_: ; @_Z39paged_attention_ll4mi_QKV_mfma16_kernelIDF16_hLN4vllm18Fp8KVCacheDataTypeE1EDF16_Li16ELi64ELi256ELb1ELi9EEvPKT_PKT0_S7_ifPKiS9_S9_iPKfiiiPfSC_PS2_PT2_iSB_SB_
; %bb.0:
	s_get_pc_i64 s[2:3]
	s_add_nc_u64 s[2:3], s[2:3], __PRETTY_FUNCTION__._Z39paged_attention_ll4mi_QKV_mfma16_kernelIDF16_hLN4vllm18Fp8KVCacheDataTypeE1EDF16_Li16ELi64ELi256ELb1ELi9EEvPKT_PKT0_S7_ifPKiS9_S9_iPKfiiiPfSC_PS2_PT2_iSB_SB_@rel64+4
	s_delay_alu instid0(SALU_CYCLE_1)
	v_dual_mov_b32 v0, 0xbb3 :: v_dual_mov_b32 v1, s2
	v_mov_b32_e32 v2, s3
	s_add_nc_u64 s[8:9], s[0:1], 0x90
	s_get_pc_i64 s[0:1]
	s_add_nc_u64 s[0:1], s[0:1], __assert_fail@rel64+4
	s_mov_b32 s32, 0
	s_swap_pc_i64 s[30:31], s[0:1]
	.section	.rodata,"a",@progbits
	.p2align	6, 0x0
	.amdhsa_kernel _Z39paged_attention_ll4mi_QKV_mfma16_kernelIDF16_hLN4vllm18Fp8KVCacheDataTypeE1EDF16_Li16ELi64ELi256ELb1ELi9EEvPKT_PKT0_S7_ifPKiS9_S9_iPKfiiiPfSC_PS2_PT2_iSB_SB_
		.amdhsa_group_segment_fixed_size 0
		.amdhsa_private_segment_fixed_size 64
		.amdhsa_kernarg_size 400
		.amdhsa_user_sgpr_count 2
		.amdhsa_user_sgpr_dispatch_ptr 0
		.amdhsa_user_sgpr_queue_ptr 0
		.amdhsa_user_sgpr_kernarg_segment_ptr 1
		.amdhsa_user_sgpr_dispatch_id 0
		.amdhsa_user_sgpr_kernarg_preload_length 0
		.amdhsa_user_sgpr_kernarg_preload_offset 0
		.amdhsa_user_sgpr_private_segment_size 0
		.amdhsa_wavefront_size32 1
		.amdhsa_uses_dynamic_stack 0
		.amdhsa_enable_private_segment 1
		.amdhsa_system_sgpr_workgroup_id_x 1
		.amdhsa_system_sgpr_workgroup_id_y 0
		.amdhsa_system_sgpr_workgroup_id_z 0
		.amdhsa_system_sgpr_workgroup_info 0
		.amdhsa_system_vgpr_workitem_id 0
		.amdhsa_next_free_vgpr 51
		.amdhsa_next_free_sgpr 34
		.amdhsa_named_barrier_count 0
		.amdhsa_reserve_vcc 1
		.amdhsa_float_round_mode_32 0
		.amdhsa_float_round_mode_16_64 0
		.amdhsa_float_denorm_mode_32 3
		.amdhsa_float_denorm_mode_16_64 3
		.amdhsa_fp16_overflow 0
		.amdhsa_memory_ordered 1
		.amdhsa_forward_progress 1
		.amdhsa_inst_pref_size 1
		.amdhsa_round_robin_scheduling 0
		.amdhsa_exception_fp_ieee_invalid_op 0
		.amdhsa_exception_fp_denorm_src 0
		.amdhsa_exception_fp_ieee_div_zero 0
		.amdhsa_exception_fp_ieee_overflow 0
		.amdhsa_exception_fp_ieee_underflow 0
		.amdhsa_exception_fp_ieee_inexact 0
		.amdhsa_exception_int_div_zero 0
	.end_amdhsa_kernel
	.section	.text._Z39paged_attention_ll4mi_QKV_mfma16_kernelIDF16_hLN4vllm18Fp8KVCacheDataTypeE1EDF16_Li16ELi64ELi256ELb1ELi9EEvPKT_PKT0_S7_ifPKiS9_S9_iPKfiiiPfSC_PS2_PT2_iSB_SB_,"axG",@progbits,_Z39paged_attention_ll4mi_QKV_mfma16_kernelIDF16_hLN4vllm18Fp8KVCacheDataTypeE1EDF16_Li16ELi64ELi256ELb1ELi9EEvPKT_PKT0_S7_ifPKiS9_S9_iPKfiiiPfSC_PS2_PT2_iSB_SB_,comdat
.Lfunc_end818:
	.size	_Z39paged_attention_ll4mi_QKV_mfma16_kernelIDF16_hLN4vllm18Fp8KVCacheDataTypeE1EDF16_Li16ELi64ELi256ELb1ELi9EEvPKT_PKT0_S7_ifPKiS9_S9_iPKfiiiPfSC_PS2_PT2_iSB_SB_, .Lfunc_end818-_Z39paged_attention_ll4mi_QKV_mfma16_kernelIDF16_hLN4vllm18Fp8KVCacheDataTypeE1EDF16_Li16ELi64ELi256ELb1ELi9EEvPKT_PKT0_S7_ifPKiS9_S9_iPKfiiiPfSC_PS2_PT2_iSB_SB_
                                        ; -- End function
	.set _Z39paged_attention_ll4mi_QKV_mfma16_kernelIDF16_hLN4vllm18Fp8KVCacheDataTypeE1EDF16_Li16ELi64ELi256ELb1ELi9EEvPKT_PKT0_S7_ifPKiS9_S9_iPKfiiiPfSC_PS2_PT2_iSB_SB_.num_vgpr, max(3, .L__assert_fail.num_vgpr)
	.set _Z39paged_attention_ll4mi_QKV_mfma16_kernelIDF16_hLN4vllm18Fp8KVCacheDataTypeE1EDF16_Li16ELi64ELi256ELb1ELi9EEvPKT_PKT0_S7_ifPKiS9_S9_iPKfiiiPfSC_PS2_PT2_iSB_SB_.num_agpr, max(0, .L__assert_fail.num_agpr)
	.set _Z39paged_attention_ll4mi_QKV_mfma16_kernelIDF16_hLN4vllm18Fp8KVCacheDataTypeE1EDF16_Li16ELi64ELi256ELb1ELi9EEvPKT_PKT0_S7_ifPKiS9_S9_iPKfiiiPfSC_PS2_PT2_iSB_SB_.numbered_sgpr, max(33, .L__assert_fail.numbered_sgpr)
	.set _Z39paged_attention_ll4mi_QKV_mfma16_kernelIDF16_hLN4vllm18Fp8KVCacheDataTypeE1EDF16_Li16ELi64ELi256ELb1ELi9EEvPKT_PKT0_S7_ifPKiS9_S9_iPKfiiiPfSC_PS2_PT2_iSB_SB_.num_named_barrier, max(0, .L__assert_fail.num_named_barrier)
	.set _Z39paged_attention_ll4mi_QKV_mfma16_kernelIDF16_hLN4vllm18Fp8KVCacheDataTypeE1EDF16_Li16ELi64ELi256ELb1ELi9EEvPKT_PKT0_S7_ifPKiS9_S9_iPKfiiiPfSC_PS2_PT2_iSB_SB_.private_seg_size, 0+max(.L__assert_fail.private_seg_size)
	.set _Z39paged_attention_ll4mi_QKV_mfma16_kernelIDF16_hLN4vllm18Fp8KVCacheDataTypeE1EDF16_Li16ELi64ELi256ELb1ELi9EEvPKT_PKT0_S7_ifPKiS9_S9_iPKfiiiPfSC_PS2_PT2_iSB_SB_.uses_vcc, or(1, .L__assert_fail.uses_vcc)
	.set _Z39paged_attention_ll4mi_QKV_mfma16_kernelIDF16_hLN4vllm18Fp8KVCacheDataTypeE1EDF16_Li16ELi64ELi256ELb1ELi9EEvPKT_PKT0_S7_ifPKiS9_S9_iPKfiiiPfSC_PS2_PT2_iSB_SB_.uses_flat_scratch, or(0, .L__assert_fail.uses_flat_scratch)
	.set _Z39paged_attention_ll4mi_QKV_mfma16_kernelIDF16_hLN4vllm18Fp8KVCacheDataTypeE1EDF16_Li16ELi64ELi256ELb1ELi9EEvPKT_PKT0_S7_ifPKiS9_S9_iPKfiiiPfSC_PS2_PT2_iSB_SB_.has_dyn_sized_stack, or(0, .L__assert_fail.has_dyn_sized_stack)
	.set _Z39paged_attention_ll4mi_QKV_mfma16_kernelIDF16_hLN4vllm18Fp8KVCacheDataTypeE1EDF16_Li16ELi64ELi256ELb1ELi9EEvPKT_PKT0_S7_ifPKiS9_S9_iPKfiiiPfSC_PS2_PT2_iSB_SB_.has_recursion, or(0, .L__assert_fail.has_recursion)
	.set _Z39paged_attention_ll4mi_QKV_mfma16_kernelIDF16_hLN4vllm18Fp8KVCacheDataTypeE1EDF16_Li16ELi64ELi256ELb1ELi9EEvPKT_PKT0_S7_ifPKiS9_S9_iPKfiiiPfSC_PS2_PT2_iSB_SB_.has_indirect_call, or(0, .L__assert_fail.has_indirect_call)
	.section	.AMDGPU.csdata,"",@progbits
; Kernel info:
; codeLenInByte = 68
; TotalNumSgprs: 36
; NumVgprs: 51
; ScratchSize: 64
; MemoryBound: 0
; FloatMode: 240
; IeeeMode: 1
; LDSByteSize: 0 bytes/workgroup (compile time only)
; SGPRBlocks: 0
; VGPRBlocks: 3
; NumSGPRsForWavesPerEU: 36
; NumVGPRsForWavesPerEU: 51
; NamedBarCnt: 0
; Occupancy: 16
; WaveLimiterHint : 1
; COMPUTE_PGM_RSRC2:SCRATCH_EN: 1
; COMPUTE_PGM_RSRC2:USER_SGPR: 2
; COMPUTE_PGM_RSRC2:TRAP_HANDLER: 0
; COMPUTE_PGM_RSRC2:TGID_X_EN: 1
; COMPUTE_PGM_RSRC2:TGID_Y_EN: 0
; COMPUTE_PGM_RSRC2:TGID_Z_EN: 0
; COMPUTE_PGM_RSRC2:TIDIG_COMP_CNT: 0
	.section	.text._Z39paged_attention_ll4mi_QKV_mfma16_kernelIDF16_hLN4vllm18Fp8KVCacheDataTypeE1EDF16_Li16ELi64ELi256ELb1ELi10EEvPKT_PKT0_S7_ifPKiS9_S9_iPKfiiiPfSC_PS2_PT2_iSB_SB_,"axG",@progbits,_Z39paged_attention_ll4mi_QKV_mfma16_kernelIDF16_hLN4vllm18Fp8KVCacheDataTypeE1EDF16_Li16ELi64ELi256ELb1ELi10EEvPKT_PKT0_S7_ifPKiS9_S9_iPKfiiiPfSC_PS2_PT2_iSB_SB_,comdat
	.protected	_Z39paged_attention_ll4mi_QKV_mfma16_kernelIDF16_hLN4vllm18Fp8KVCacheDataTypeE1EDF16_Li16ELi64ELi256ELb1ELi10EEvPKT_PKT0_S7_ifPKiS9_S9_iPKfiiiPfSC_PS2_PT2_iSB_SB_ ; -- Begin function _Z39paged_attention_ll4mi_QKV_mfma16_kernelIDF16_hLN4vllm18Fp8KVCacheDataTypeE1EDF16_Li16ELi64ELi256ELb1ELi10EEvPKT_PKT0_S7_ifPKiS9_S9_iPKfiiiPfSC_PS2_PT2_iSB_SB_
	.globl	_Z39paged_attention_ll4mi_QKV_mfma16_kernelIDF16_hLN4vllm18Fp8KVCacheDataTypeE1EDF16_Li16ELi64ELi256ELb1ELi10EEvPKT_PKT0_S7_ifPKiS9_S9_iPKfiiiPfSC_PS2_PT2_iSB_SB_
	.p2align	8
	.type	_Z39paged_attention_ll4mi_QKV_mfma16_kernelIDF16_hLN4vllm18Fp8KVCacheDataTypeE1EDF16_Li16ELi64ELi256ELb1ELi10EEvPKT_PKT0_S7_ifPKiS9_S9_iPKfiiiPfSC_PS2_PT2_iSB_SB_,@function
_Z39paged_attention_ll4mi_QKV_mfma16_kernelIDF16_hLN4vllm18Fp8KVCacheDataTypeE1EDF16_Li16ELi64ELi256ELb1ELi10EEvPKT_PKT0_S7_ifPKiS9_S9_iPKfiiiPfSC_PS2_PT2_iSB_SB_: ; @_Z39paged_attention_ll4mi_QKV_mfma16_kernelIDF16_hLN4vllm18Fp8KVCacheDataTypeE1EDF16_Li16ELi64ELi256ELb1ELi10EEvPKT_PKT0_S7_ifPKiS9_S9_iPKfiiiPfSC_PS2_PT2_iSB_SB_
; %bb.0:
	s_get_pc_i64 s[2:3]
	s_add_nc_u64 s[2:3], s[2:3], __PRETTY_FUNCTION__._Z39paged_attention_ll4mi_QKV_mfma16_kernelIDF16_hLN4vllm18Fp8KVCacheDataTypeE1EDF16_Li16ELi64ELi256ELb1ELi10EEvPKT_PKT0_S7_ifPKiS9_S9_iPKfiiiPfSC_PS2_PT2_iSB_SB_@rel64+4
	s_delay_alu instid0(SALU_CYCLE_1)
	v_dual_mov_b32 v0, 0xbb3 :: v_dual_mov_b32 v1, s2
	v_mov_b32_e32 v2, s3
	s_add_nc_u64 s[8:9], s[0:1], 0x90
	s_get_pc_i64 s[0:1]
	s_add_nc_u64 s[0:1], s[0:1], __assert_fail@rel64+4
	s_mov_b32 s32, 0
	s_swap_pc_i64 s[30:31], s[0:1]
	.section	.rodata,"a",@progbits
	.p2align	6, 0x0
	.amdhsa_kernel _Z39paged_attention_ll4mi_QKV_mfma16_kernelIDF16_hLN4vllm18Fp8KVCacheDataTypeE1EDF16_Li16ELi64ELi256ELb1ELi10EEvPKT_PKT0_S7_ifPKiS9_S9_iPKfiiiPfSC_PS2_PT2_iSB_SB_
		.amdhsa_group_segment_fixed_size 0
		.amdhsa_private_segment_fixed_size 64
		.amdhsa_kernarg_size 400
		.amdhsa_user_sgpr_count 2
		.amdhsa_user_sgpr_dispatch_ptr 0
		.amdhsa_user_sgpr_queue_ptr 0
		.amdhsa_user_sgpr_kernarg_segment_ptr 1
		.amdhsa_user_sgpr_dispatch_id 0
		.amdhsa_user_sgpr_kernarg_preload_length 0
		.amdhsa_user_sgpr_kernarg_preload_offset 0
		.amdhsa_user_sgpr_private_segment_size 0
		.amdhsa_wavefront_size32 1
		.amdhsa_uses_dynamic_stack 0
		.amdhsa_enable_private_segment 1
		.amdhsa_system_sgpr_workgroup_id_x 1
		.amdhsa_system_sgpr_workgroup_id_y 0
		.amdhsa_system_sgpr_workgroup_id_z 0
		.amdhsa_system_sgpr_workgroup_info 0
		.amdhsa_system_vgpr_workitem_id 0
		.amdhsa_next_free_vgpr 51
		.amdhsa_next_free_sgpr 34
		.amdhsa_named_barrier_count 0
		.amdhsa_reserve_vcc 1
		.amdhsa_float_round_mode_32 0
		.amdhsa_float_round_mode_16_64 0
		.amdhsa_float_denorm_mode_32 3
		.amdhsa_float_denorm_mode_16_64 3
		.amdhsa_fp16_overflow 0
		.amdhsa_memory_ordered 1
		.amdhsa_forward_progress 1
		.amdhsa_inst_pref_size 1
		.amdhsa_round_robin_scheduling 0
		.amdhsa_exception_fp_ieee_invalid_op 0
		.amdhsa_exception_fp_denorm_src 0
		.amdhsa_exception_fp_ieee_div_zero 0
		.amdhsa_exception_fp_ieee_overflow 0
		.amdhsa_exception_fp_ieee_underflow 0
		.amdhsa_exception_fp_ieee_inexact 0
		.amdhsa_exception_int_div_zero 0
	.end_amdhsa_kernel
	.section	.text._Z39paged_attention_ll4mi_QKV_mfma16_kernelIDF16_hLN4vllm18Fp8KVCacheDataTypeE1EDF16_Li16ELi64ELi256ELb1ELi10EEvPKT_PKT0_S7_ifPKiS9_S9_iPKfiiiPfSC_PS2_PT2_iSB_SB_,"axG",@progbits,_Z39paged_attention_ll4mi_QKV_mfma16_kernelIDF16_hLN4vllm18Fp8KVCacheDataTypeE1EDF16_Li16ELi64ELi256ELb1ELi10EEvPKT_PKT0_S7_ifPKiS9_S9_iPKfiiiPfSC_PS2_PT2_iSB_SB_,comdat
.Lfunc_end819:
	.size	_Z39paged_attention_ll4mi_QKV_mfma16_kernelIDF16_hLN4vllm18Fp8KVCacheDataTypeE1EDF16_Li16ELi64ELi256ELb1ELi10EEvPKT_PKT0_S7_ifPKiS9_S9_iPKfiiiPfSC_PS2_PT2_iSB_SB_, .Lfunc_end819-_Z39paged_attention_ll4mi_QKV_mfma16_kernelIDF16_hLN4vllm18Fp8KVCacheDataTypeE1EDF16_Li16ELi64ELi256ELb1ELi10EEvPKT_PKT0_S7_ifPKiS9_S9_iPKfiiiPfSC_PS2_PT2_iSB_SB_
                                        ; -- End function
	.set _Z39paged_attention_ll4mi_QKV_mfma16_kernelIDF16_hLN4vllm18Fp8KVCacheDataTypeE1EDF16_Li16ELi64ELi256ELb1ELi10EEvPKT_PKT0_S7_ifPKiS9_S9_iPKfiiiPfSC_PS2_PT2_iSB_SB_.num_vgpr, max(3, .L__assert_fail.num_vgpr)
	.set _Z39paged_attention_ll4mi_QKV_mfma16_kernelIDF16_hLN4vllm18Fp8KVCacheDataTypeE1EDF16_Li16ELi64ELi256ELb1ELi10EEvPKT_PKT0_S7_ifPKiS9_S9_iPKfiiiPfSC_PS2_PT2_iSB_SB_.num_agpr, max(0, .L__assert_fail.num_agpr)
	.set _Z39paged_attention_ll4mi_QKV_mfma16_kernelIDF16_hLN4vllm18Fp8KVCacheDataTypeE1EDF16_Li16ELi64ELi256ELb1ELi10EEvPKT_PKT0_S7_ifPKiS9_S9_iPKfiiiPfSC_PS2_PT2_iSB_SB_.numbered_sgpr, max(33, .L__assert_fail.numbered_sgpr)
	.set _Z39paged_attention_ll4mi_QKV_mfma16_kernelIDF16_hLN4vllm18Fp8KVCacheDataTypeE1EDF16_Li16ELi64ELi256ELb1ELi10EEvPKT_PKT0_S7_ifPKiS9_S9_iPKfiiiPfSC_PS2_PT2_iSB_SB_.num_named_barrier, max(0, .L__assert_fail.num_named_barrier)
	.set _Z39paged_attention_ll4mi_QKV_mfma16_kernelIDF16_hLN4vllm18Fp8KVCacheDataTypeE1EDF16_Li16ELi64ELi256ELb1ELi10EEvPKT_PKT0_S7_ifPKiS9_S9_iPKfiiiPfSC_PS2_PT2_iSB_SB_.private_seg_size, 0+max(.L__assert_fail.private_seg_size)
	.set _Z39paged_attention_ll4mi_QKV_mfma16_kernelIDF16_hLN4vllm18Fp8KVCacheDataTypeE1EDF16_Li16ELi64ELi256ELb1ELi10EEvPKT_PKT0_S7_ifPKiS9_S9_iPKfiiiPfSC_PS2_PT2_iSB_SB_.uses_vcc, or(1, .L__assert_fail.uses_vcc)
	.set _Z39paged_attention_ll4mi_QKV_mfma16_kernelIDF16_hLN4vllm18Fp8KVCacheDataTypeE1EDF16_Li16ELi64ELi256ELb1ELi10EEvPKT_PKT0_S7_ifPKiS9_S9_iPKfiiiPfSC_PS2_PT2_iSB_SB_.uses_flat_scratch, or(0, .L__assert_fail.uses_flat_scratch)
	.set _Z39paged_attention_ll4mi_QKV_mfma16_kernelIDF16_hLN4vllm18Fp8KVCacheDataTypeE1EDF16_Li16ELi64ELi256ELb1ELi10EEvPKT_PKT0_S7_ifPKiS9_S9_iPKfiiiPfSC_PS2_PT2_iSB_SB_.has_dyn_sized_stack, or(0, .L__assert_fail.has_dyn_sized_stack)
	.set _Z39paged_attention_ll4mi_QKV_mfma16_kernelIDF16_hLN4vllm18Fp8KVCacheDataTypeE1EDF16_Li16ELi64ELi256ELb1ELi10EEvPKT_PKT0_S7_ifPKiS9_S9_iPKfiiiPfSC_PS2_PT2_iSB_SB_.has_recursion, or(0, .L__assert_fail.has_recursion)
	.set _Z39paged_attention_ll4mi_QKV_mfma16_kernelIDF16_hLN4vllm18Fp8KVCacheDataTypeE1EDF16_Li16ELi64ELi256ELb1ELi10EEvPKT_PKT0_S7_ifPKiS9_S9_iPKfiiiPfSC_PS2_PT2_iSB_SB_.has_indirect_call, or(0, .L__assert_fail.has_indirect_call)
	.section	.AMDGPU.csdata,"",@progbits
; Kernel info:
; codeLenInByte = 68
; TotalNumSgprs: 36
; NumVgprs: 51
; ScratchSize: 64
; MemoryBound: 0
; FloatMode: 240
; IeeeMode: 1
; LDSByteSize: 0 bytes/workgroup (compile time only)
; SGPRBlocks: 0
; VGPRBlocks: 3
; NumSGPRsForWavesPerEU: 36
; NumVGPRsForWavesPerEU: 51
; NamedBarCnt: 0
; Occupancy: 16
; WaveLimiterHint : 1
; COMPUTE_PGM_RSRC2:SCRATCH_EN: 1
; COMPUTE_PGM_RSRC2:USER_SGPR: 2
; COMPUTE_PGM_RSRC2:TRAP_HANDLER: 0
; COMPUTE_PGM_RSRC2:TGID_X_EN: 1
; COMPUTE_PGM_RSRC2:TGID_Y_EN: 0
; COMPUTE_PGM_RSRC2:TGID_Z_EN: 0
; COMPUTE_PGM_RSRC2:TIDIG_COMP_CNT: 0
	.section	.text._Z39paged_attention_ll4mi_QKV_mfma16_kernelIDF16_hLN4vllm18Fp8KVCacheDataTypeE1EDF16_Li16ELi64ELi256ELb1ELi11EEvPKT_PKT0_S7_ifPKiS9_S9_iPKfiiiPfSC_PS2_PT2_iSB_SB_,"axG",@progbits,_Z39paged_attention_ll4mi_QKV_mfma16_kernelIDF16_hLN4vllm18Fp8KVCacheDataTypeE1EDF16_Li16ELi64ELi256ELb1ELi11EEvPKT_PKT0_S7_ifPKiS9_S9_iPKfiiiPfSC_PS2_PT2_iSB_SB_,comdat
	.protected	_Z39paged_attention_ll4mi_QKV_mfma16_kernelIDF16_hLN4vllm18Fp8KVCacheDataTypeE1EDF16_Li16ELi64ELi256ELb1ELi11EEvPKT_PKT0_S7_ifPKiS9_S9_iPKfiiiPfSC_PS2_PT2_iSB_SB_ ; -- Begin function _Z39paged_attention_ll4mi_QKV_mfma16_kernelIDF16_hLN4vllm18Fp8KVCacheDataTypeE1EDF16_Li16ELi64ELi256ELb1ELi11EEvPKT_PKT0_S7_ifPKiS9_S9_iPKfiiiPfSC_PS2_PT2_iSB_SB_
	.globl	_Z39paged_attention_ll4mi_QKV_mfma16_kernelIDF16_hLN4vllm18Fp8KVCacheDataTypeE1EDF16_Li16ELi64ELi256ELb1ELi11EEvPKT_PKT0_S7_ifPKiS9_S9_iPKfiiiPfSC_PS2_PT2_iSB_SB_
	.p2align	8
	.type	_Z39paged_attention_ll4mi_QKV_mfma16_kernelIDF16_hLN4vllm18Fp8KVCacheDataTypeE1EDF16_Li16ELi64ELi256ELb1ELi11EEvPKT_PKT0_S7_ifPKiS9_S9_iPKfiiiPfSC_PS2_PT2_iSB_SB_,@function
_Z39paged_attention_ll4mi_QKV_mfma16_kernelIDF16_hLN4vllm18Fp8KVCacheDataTypeE1EDF16_Li16ELi64ELi256ELb1ELi11EEvPKT_PKT0_S7_ifPKiS9_S9_iPKfiiiPfSC_PS2_PT2_iSB_SB_: ; @_Z39paged_attention_ll4mi_QKV_mfma16_kernelIDF16_hLN4vllm18Fp8KVCacheDataTypeE1EDF16_Li16ELi64ELi256ELb1ELi11EEvPKT_PKT0_S7_ifPKiS9_S9_iPKfiiiPfSC_PS2_PT2_iSB_SB_
; %bb.0:
	s_get_pc_i64 s[2:3]
	s_add_nc_u64 s[2:3], s[2:3], __PRETTY_FUNCTION__._Z39paged_attention_ll4mi_QKV_mfma16_kernelIDF16_hLN4vllm18Fp8KVCacheDataTypeE1EDF16_Li16ELi64ELi256ELb1ELi11EEvPKT_PKT0_S7_ifPKiS9_S9_iPKfiiiPfSC_PS2_PT2_iSB_SB_@rel64+4
	s_delay_alu instid0(SALU_CYCLE_1)
	v_dual_mov_b32 v0, 0xbb3 :: v_dual_mov_b32 v1, s2
	v_mov_b32_e32 v2, s3
	s_add_nc_u64 s[8:9], s[0:1], 0x90
	s_get_pc_i64 s[0:1]
	s_add_nc_u64 s[0:1], s[0:1], __assert_fail@rel64+4
	s_mov_b32 s32, 0
	s_swap_pc_i64 s[30:31], s[0:1]
	.section	.rodata,"a",@progbits
	.p2align	6, 0x0
	.amdhsa_kernel _Z39paged_attention_ll4mi_QKV_mfma16_kernelIDF16_hLN4vllm18Fp8KVCacheDataTypeE1EDF16_Li16ELi64ELi256ELb1ELi11EEvPKT_PKT0_S7_ifPKiS9_S9_iPKfiiiPfSC_PS2_PT2_iSB_SB_
		.amdhsa_group_segment_fixed_size 0
		.amdhsa_private_segment_fixed_size 64
		.amdhsa_kernarg_size 400
		.amdhsa_user_sgpr_count 2
		.amdhsa_user_sgpr_dispatch_ptr 0
		.amdhsa_user_sgpr_queue_ptr 0
		.amdhsa_user_sgpr_kernarg_segment_ptr 1
		.amdhsa_user_sgpr_dispatch_id 0
		.amdhsa_user_sgpr_kernarg_preload_length 0
		.amdhsa_user_sgpr_kernarg_preload_offset 0
		.amdhsa_user_sgpr_private_segment_size 0
		.amdhsa_wavefront_size32 1
		.amdhsa_uses_dynamic_stack 0
		.amdhsa_enable_private_segment 1
		.amdhsa_system_sgpr_workgroup_id_x 1
		.amdhsa_system_sgpr_workgroup_id_y 0
		.amdhsa_system_sgpr_workgroup_id_z 0
		.amdhsa_system_sgpr_workgroup_info 0
		.amdhsa_system_vgpr_workitem_id 0
		.amdhsa_next_free_vgpr 51
		.amdhsa_next_free_sgpr 34
		.amdhsa_named_barrier_count 0
		.amdhsa_reserve_vcc 1
		.amdhsa_float_round_mode_32 0
		.amdhsa_float_round_mode_16_64 0
		.amdhsa_float_denorm_mode_32 3
		.amdhsa_float_denorm_mode_16_64 3
		.amdhsa_fp16_overflow 0
		.amdhsa_memory_ordered 1
		.amdhsa_forward_progress 1
		.amdhsa_inst_pref_size 1
		.amdhsa_round_robin_scheduling 0
		.amdhsa_exception_fp_ieee_invalid_op 0
		.amdhsa_exception_fp_denorm_src 0
		.amdhsa_exception_fp_ieee_div_zero 0
		.amdhsa_exception_fp_ieee_overflow 0
		.amdhsa_exception_fp_ieee_underflow 0
		.amdhsa_exception_fp_ieee_inexact 0
		.amdhsa_exception_int_div_zero 0
	.end_amdhsa_kernel
	.section	.text._Z39paged_attention_ll4mi_QKV_mfma16_kernelIDF16_hLN4vllm18Fp8KVCacheDataTypeE1EDF16_Li16ELi64ELi256ELb1ELi11EEvPKT_PKT0_S7_ifPKiS9_S9_iPKfiiiPfSC_PS2_PT2_iSB_SB_,"axG",@progbits,_Z39paged_attention_ll4mi_QKV_mfma16_kernelIDF16_hLN4vllm18Fp8KVCacheDataTypeE1EDF16_Li16ELi64ELi256ELb1ELi11EEvPKT_PKT0_S7_ifPKiS9_S9_iPKfiiiPfSC_PS2_PT2_iSB_SB_,comdat
.Lfunc_end820:
	.size	_Z39paged_attention_ll4mi_QKV_mfma16_kernelIDF16_hLN4vllm18Fp8KVCacheDataTypeE1EDF16_Li16ELi64ELi256ELb1ELi11EEvPKT_PKT0_S7_ifPKiS9_S9_iPKfiiiPfSC_PS2_PT2_iSB_SB_, .Lfunc_end820-_Z39paged_attention_ll4mi_QKV_mfma16_kernelIDF16_hLN4vllm18Fp8KVCacheDataTypeE1EDF16_Li16ELi64ELi256ELb1ELi11EEvPKT_PKT0_S7_ifPKiS9_S9_iPKfiiiPfSC_PS2_PT2_iSB_SB_
                                        ; -- End function
	.set _Z39paged_attention_ll4mi_QKV_mfma16_kernelIDF16_hLN4vllm18Fp8KVCacheDataTypeE1EDF16_Li16ELi64ELi256ELb1ELi11EEvPKT_PKT0_S7_ifPKiS9_S9_iPKfiiiPfSC_PS2_PT2_iSB_SB_.num_vgpr, max(3, .L__assert_fail.num_vgpr)
	.set _Z39paged_attention_ll4mi_QKV_mfma16_kernelIDF16_hLN4vllm18Fp8KVCacheDataTypeE1EDF16_Li16ELi64ELi256ELb1ELi11EEvPKT_PKT0_S7_ifPKiS9_S9_iPKfiiiPfSC_PS2_PT2_iSB_SB_.num_agpr, max(0, .L__assert_fail.num_agpr)
	.set _Z39paged_attention_ll4mi_QKV_mfma16_kernelIDF16_hLN4vllm18Fp8KVCacheDataTypeE1EDF16_Li16ELi64ELi256ELb1ELi11EEvPKT_PKT0_S7_ifPKiS9_S9_iPKfiiiPfSC_PS2_PT2_iSB_SB_.numbered_sgpr, max(33, .L__assert_fail.numbered_sgpr)
	.set _Z39paged_attention_ll4mi_QKV_mfma16_kernelIDF16_hLN4vllm18Fp8KVCacheDataTypeE1EDF16_Li16ELi64ELi256ELb1ELi11EEvPKT_PKT0_S7_ifPKiS9_S9_iPKfiiiPfSC_PS2_PT2_iSB_SB_.num_named_barrier, max(0, .L__assert_fail.num_named_barrier)
	.set _Z39paged_attention_ll4mi_QKV_mfma16_kernelIDF16_hLN4vllm18Fp8KVCacheDataTypeE1EDF16_Li16ELi64ELi256ELb1ELi11EEvPKT_PKT0_S7_ifPKiS9_S9_iPKfiiiPfSC_PS2_PT2_iSB_SB_.private_seg_size, 0+max(.L__assert_fail.private_seg_size)
	.set _Z39paged_attention_ll4mi_QKV_mfma16_kernelIDF16_hLN4vllm18Fp8KVCacheDataTypeE1EDF16_Li16ELi64ELi256ELb1ELi11EEvPKT_PKT0_S7_ifPKiS9_S9_iPKfiiiPfSC_PS2_PT2_iSB_SB_.uses_vcc, or(1, .L__assert_fail.uses_vcc)
	.set _Z39paged_attention_ll4mi_QKV_mfma16_kernelIDF16_hLN4vllm18Fp8KVCacheDataTypeE1EDF16_Li16ELi64ELi256ELb1ELi11EEvPKT_PKT0_S7_ifPKiS9_S9_iPKfiiiPfSC_PS2_PT2_iSB_SB_.uses_flat_scratch, or(0, .L__assert_fail.uses_flat_scratch)
	.set _Z39paged_attention_ll4mi_QKV_mfma16_kernelIDF16_hLN4vllm18Fp8KVCacheDataTypeE1EDF16_Li16ELi64ELi256ELb1ELi11EEvPKT_PKT0_S7_ifPKiS9_S9_iPKfiiiPfSC_PS2_PT2_iSB_SB_.has_dyn_sized_stack, or(0, .L__assert_fail.has_dyn_sized_stack)
	.set _Z39paged_attention_ll4mi_QKV_mfma16_kernelIDF16_hLN4vllm18Fp8KVCacheDataTypeE1EDF16_Li16ELi64ELi256ELb1ELi11EEvPKT_PKT0_S7_ifPKiS9_S9_iPKfiiiPfSC_PS2_PT2_iSB_SB_.has_recursion, or(0, .L__assert_fail.has_recursion)
	.set _Z39paged_attention_ll4mi_QKV_mfma16_kernelIDF16_hLN4vllm18Fp8KVCacheDataTypeE1EDF16_Li16ELi64ELi256ELb1ELi11EEvPKT_PKT0_S7_ifPKiS9_S9_iPKfiiiPfSC_PS2_PT2_iSB_SB_.has_indirect_call, or(0, .L__assert_fail.has_indirect_call)
	.section	.AMDGPU.csdata,"",@progbits
; Kernel info:
; codeLenInByte = 68
; TotalNumSgprs: 36
; NumVgprs: 51
; ScratchSize: 64
; MemoryBound: 0
; FloatMode: 240
; IeeeMode: 1
; LDSByteSize: 0 bytes/workgroup (compile time only)
; SGPRBlocks: 0
; VGPRBlocks: 3
; NumSGPRsForWavesPerEU: 36
; NumVGPRsForWavesPerEU: 51
; NamedBarCnt: 0
; Occupancy: 16
; WaveLimiterHint : 1
; COMPUTE_PGM_RSRC2:SCRATCH_EN: 1
; COMPUTE_PGM_RSRC2:USER_SGPR: 2
; COMPUTE_PGM_RSRC2:TRAP_HANDLER: 0
; COMPUTE_PGM_RSRC2:TGID_X_EN: 1
; COMPUTE_PGM_RSRC2:TGID_Y_EN: 0
; COMPUTE_PGM_RSRC2:TGID_Z_EN: 0
; COMPUTE_PGM_RSRC2:TIDIG_COMP_CNT: 0
	.section	.text._Z39paged_attention_ll4mi_QKV_mfma16_kernelIDF16_hLN4vllm18Fp8KVCacheDataTypeE1EDF16_Li16ELi64ELi256ELb1ELi12EEvPKT_PKT0_S7_ifPKiS9_S9_iPKfiiiPfSC_PS2_PT2_iSB_SB_,"axG",@progbits,_Z39paged_attention_ll4mi_QKV_mfma16_kernelIDF16_hLN4vllm18Fp8KVCacheDataTypeE1EDF16_Li16ELi64ELi256ELb1ELi12EEvPKT_PKT0_S7_ifPKiS9_S9_iPKfiiiPfSC_PS2_PT2_iSB_SB_,comdat
	.protected	_Z39paged_attention_ll4mi_QKV_mfma16_kernelIDF16_hLN4vllm18Fp8KVCacheDataTypeE1EDF16_Li16ELi64ELi256ELb1ELi12EEvPKT_PKT0_S7_ifPKiS9_S9_iPKfiiiPfSC_PS2_PT2_iSB_SB_ ; -- Begin function _Z39paged_attention_ll4mi_QKV_mfma16_kernelIDF16_hLN4vllm18Fp8KVCacheDataTypeE1EDF16_Li16ELi64ELi256ELb1ELi12EEvPKT_PKT0_S7_ifPKiS9_S9_iPKfiiiPfSC_PS2_PT2_iSB_SB_
	.globl	_Z39paged_attention_ll4mi_QKV_mfma16_kernelIDF16_hLN4vllm18Fp8KVCacheDataTypeE1EDF16_Li16ELi64ELi256ELb1ELi12EEvPKT_PKT0_S7_ifPKiS9_S9_iPKfiiiPfSC_PS2_PT2_iSB_SB_
	.p2align	8
	.type	_Z39paged_attention_ll4mi_QKV_mfma16_kernelIDF16_hLN4vllm18Fp8KVCacheDataTypeE1EDF16_Li16ELi64ELi256ELb1ELi12EEvPKT_PKT0_S7_ifPKiS9_S9_iPKfiiiPfSC_PS2_PT2_iSB_SB_,@function
_Z39paged_attention_ll4mi_QKV_mfma16_kernelIDF16_hLN4vllm18Fp8KVCacheDataTypeE1EDF16_Li16ELi64ELi256ELb1ELi12EEvPKT_PKT0_S7_ifPKiS9_S9_iPKfiiiPfSC_PS2_PT2_iSB_SB_: ; @_Z39paged_attention_ll4mi_QKV_mfma16_kernelIDF16_hLN4vllm18Fp8KVCacheDataTypeE1EDF16_Li16ELi64ELi256ELb1ELi12EEvPKT_PKT0_S7_ifPKiS9_S9_iPKfiiiPfSC_PS2_PT2_iSB_SB_
; %bb.0:
	s_get_pc_i64 s[2:3]
	s_add_nc_u64 s[2:3], s[2:3], __PRETTY_FUNCTION__._Z39paged_attention_ll4mi_QKV_mfma16_kernelIDF16_hLN4vllm18Fp8KVCacheDataTypeE1EDF16_Li16ELi64ELi256ELb1ELi12EEvPKT_PKT0_S7_ifPKiS9_S9_iPKfiiiPfSC_PS2_PT2_iSB_SB_@rel64+4
	s_delay_alu instid0(SALU_CYCLE_1)
	v_dual_mov_b32 v0, 0xbb3 :: v_dual_mov_b32 v1, s2
	v_mov_b32_e32 v2, s3
	s_add_nc_u64 s[8:9], s[0:1], 0x90
	s_get_pc_i64 s[0:1]
	s_add_nc_u64 s[0:1], s[0:1], __assert_fail@rel64+4
	s_mov_b32 s32, 0
	s_swap_pc_i64 s[30:31], s[0:1]
	.section	.rodata,"a",@progbits
	.p2align	6, 0x0
	.amdhsa_kernel _Z39paged_attention_ll4mi_QKV_mfma16_kernelIDF16_hLN4vllm18Fp8KVCacheDataTypeE1EDF16_Li16ELi64ELi256ELb1ELi12EEvPKT_PKT0_S7_ifPKiS9_S9_iPKfiiiPfSC_PS2_PT2_iSB_SB_
		.amdhsa_group_segment_fixed_size 0
		.amdhsa_private_segment_fixed_size 64
		.amdhsa_kernarg_size 400
		.amdhsa_user_sgpr_count 2
		.amdhsa_user_sgpr_dispatch_ptr 0
		.amdhsa_user_sgpr_queue_ptr 0
		.amdhsa_user_sgpr_kernarg_segment_ptr 1
		.amdhsa_user_sgpr_dispatch_id 0
		.amdhsa_user_sgpr_kernarg_preload_length 0
		.amdhsa_user_sgpr_kernarg_preload_offset 0
		.amdhsa_user_sgpr_private_segment_size 0
		.amdhsa_wavefront_size32 1
		.amdhsa_uses_dynamic_stack 0
		.amdhsa_enable_private_segment 1
		.amdhsa_system_sgpr_workgroup_id_x 1
		.amdhsa_system_sgpr_workgroup_id_y 0
		.amdhsa_system_sgpr_workgroup_id_z 0
		.amdhsa_system_sgpr_workgroup_info 0
		.amdhsa_system_vgpr_workitem_id 0
		.amdhsa_next_free_vgpr 51
		.amdhsa_next_free_sgpr 34
		.amdhsa_named_barrier_count 0
		.amdhsa_reserve_vcc 1
		.amdhsa_float_round_mode_32 0
		.amdhsa_float_round_mode_16_64 0
		.amdhsa_float_denorm_mode_32 3
		.amdhsa_float_denorm_mode_16_64 3
		.amdhsa_fp16_overflow 0
		.amdhsa_memory_ordered 1
		.amdhsa_forward_progress 1
		.amdhsa_inst_pref_size 1
		.amdhsa_round_robin_scheduling 0
		.amdhsa_exception_fp_ieee_invalid_op 0
		.amdhsa_exception_fp_denorm_src 0
		.amdhsa_exception_fp_ieee_div_zero 0
		.amdhsa_exception_fp_ieee_overflow 0
		.amdhsa_exception_fp_ieee_underflow 0
		.amdhsa_exception_fp_ieee_inexact 0
		.amdhsa_exception_int_div_zero 0
	.end_amdhsa_kernel
	.section	.text._Z39paged_attention_ll4mi_QKV_mfma16_kernelIDF16_hLN4vllm18Fp8KVCacheDataTypeE1EDF16_Li16ELi64ELi256ELb1ELi12EEvPKT_PKT0_S7_ifPKiS9_S9_iPKfiiiPfSC_PS2_PT2_iSB_SB_,"axG",@progbits,_Z39paged_attention_ll4mi_QKV_mfma16_kernelIDF16_hLN4vllm18Fp8KVCacheDataTypeE1EDF16_Li16ELi64ELi256ELb1ELi12EEvPKT_PKT0_S7_ifPKiS9_S9_iPKfiiiPfSC_PS2_PT2_iSB_SB_,comdat
.Lfunc_end821:
	.size	_Z39paged_attention_ll4mi_QKV_mfma16_kernelIDF16_hLN4vllm18Fp8KVCacheDataTypeE1EDF16_Li16ELi64ELi256ELb1ELi12EEvPKT_PKT0_S7_ifPKiS9_S9_iPKfiiiPfSC_PS2_PT2_iSB_SB_, .Lfunc_end821-_Z39paged_attention_ll4mi_QKV_mfma16_kernelIDF16_hLN4vllm18Fp8KVCacheDataTypeE1EDF16_Li16ELi64ELi256ELb1ELi12EEvPKT_PKT0_S7_ifPKiS9_S9_iPKfiiiPfSC_PS2_PT2_iSB_SB_
                                        ; -- End function
	.set _Z39paged_attention_ll4mi_QKV_mfma16_kernelIDF16_hLN4vllm18Fp8KVCacheDataTypeE1EDF16_Li16ELi64ELi256ELb1ELi12EEvPKT_PKT0_S7_ifPKiS9_S9_iPKfiiiPfSC_PS2_PT2_iSB_SB_.num_vgpr, max(3, .L__assert_fail.num_vgpr)
	.set _Z39paged_attention_ll4mi_QKV_mfma16_kernelIDF16_hLN4vllm18Fp8KVCacheDataTypeE1EDF16_Li16ELi64ELi256ELb1ELi12EEvPKT_PKT0_S7_ifPKiS9_S9_iPKfiiiPfSC_PS2_PT2_iSB_SB_.num_agpr, max(0, .L__assert_fail.num_agpr)
	.set _Z39paged_attention_ll4mi_QKV_mfma16_kernelIDF16_hLN4vllm18Fp8KVCacheDataTypeE1EDF16_Li16ELi64ELi256ELb1ELi12EEvPKT_PKT0_S7_ifPKiS9_S9_iPKfiiiPfSC_PS2_PT2_iSB_SB_.numbered_sgpr, max(33, .L__assert_fail.numbered_sgpr)
	.set _Z39paged_attention_ll4mi_QKV_mfma16_kernelIDF16_hLN4vllm18Fp8KVCacheDataTypeE1EDF16_Li16ELi64ELi256ELb1ELi12EEvPKT_PKT0_S7_ifPKiS9_S9_iPKfiiiPfSC_PS2_PT2_iSB_SB_.num_named_barrier, max(0, .L__assert_fail.num_named_barrier)
	.set _Z39paged_attention_ll4mi_QKV_mfma16_kernelIDF16_hLN4vllm18Fp8KVCacheDataTypeE1EDF16_Li16ELi64ELi256ELb1ELi12EEvPKT_PKT0_S7_ifPKiS9_S9_iPKfiiiPfSC_PS2_PT2_iSB_SB_.private_seg_size, 0+max(.L__assert_fail.private_seg_size)
	.set _Z39paged_attention_ll4mi_QKV_mfma16_kernelIDF16_hLN4vllm18Fp8KVCacheDataTypeE1EDF16_Li16ELi64ELi256ELb1ELi12EEvPKT_PKT0_S7_ifPKiS9_S9_iPKfiiiPfSC_PS2_PT2_iSB_SB_.uses_vcc, or(1, .L__assert_fail.uses_vcc)
	.set _Z39paged_attention_ll4mi_QKV_mfma16_kernelIDF16_hLN4vllm18Fp8KVCacheDataTypeE1EDF16_Li16ELi64ELi256ELb1ELi12EEvPKT_PKT0_S7_ifPKiS9_S9_iPKfiiiPfSC_PS2_PT2_iSB_SB_.uses_flat_scratch, or(0, .L__assert_fail.uses_flat_scratch)
	.set _Z39paged_attention_ll4mi_QKV_mfma16_kernelIDF16_hLN4vllm18Fp8KVCacheDataTypeE1EDF16_Li16ELi64ELi256ELb1ELi12EEvPKT_PKT0_S7_ifPKiS9_S9_iPKfiiiPfSC_PS2_PT2_iSB_SB_.has_dyn_sized_stack, or(0, .L__assert_fail.has_dyn_sized_stack)
	.set _Z39paged_attention_ll4mi_QKV_mfma16_kernelIDF16_hLN4vllm18Fp8KVCacheDataTypeE1EDF16_Li16ELi64ELi256ELb1ELi12EEvPKT_PKT0_S7_ifPKiS9_S9_iPKfiiiPfSC_PS2_PT2_iSB_SB_.has_recursion, or(0, .L__assert_fail.has_recursion)
	.set _Z39paged_attention_ll4mi_QKV_mfma16_kernelIDF16_hLN4vllm18Fp8KVCacheDataTypeE1EDF16_Li16ELi64ELi256ELb1ELi12EEvPKT_PKT0_S7_ifPKiS9_S9_iPKfiiiPfSC_PS2_PT2_iSB_SB_.has_indirect_call, or(0, .L__assert_fail.has_indirect_call)
	.section	.AMDGPU.csdata,"",@progbits
; Kernel info:
; codeLenInByte = 68
; TotalNumSgprs: 36
; NumVgprs: 51
; ScratchSize: 64
; MemoryBound: 0
; FloatMode: 240
; IeeeMode: 1
; LDSByteSize: 0 bytes/workgroup (compile time only)
; SGPRBlocks: 0
; VGPRBlocks: 3
; NumSGPRsForWavesPerEU: 36
; NumVGPRsForWavesPerEU: 51
; NamedBarCnt: 0
; Occupancy: 16
; WaveLimiterHint : 1
; COMPUTE_PGM_RSRC2:SCRATCH_EN: 1
; COMPUTE_PGM_RSRC2:USER_SGPR: 2
; COMPUTE_PGM_RSRC2:TRAP_HANDLER: 0
; COMPUTE_PGM_RSRC2:TGID_X_EN: 1
; COMPUTE_PGM_RSRC2:TGID_Y_EN: 0
; COMPUTE_PGM_RSRC2:TGID_Z_EN: 0
; COMPUTE_PGM_RSRC2:TIDIG_COMP_CNT: 0
	.section	.text._Z39paged_attention_ll4mi_QKV_mfma16_kernelIDF16_hLN4vllm18Fp8KVCacheDataTypeE1EDF16_Li16ELi64ELi256ELb1ELi13EEvPKT_PKT0_S7_ifPKiS9_S9_iPKfiiiPfSC_PS2_PT2_iSB_SB_,"axG",@progbits,_Z39paged_attention_ll4mi_QKV_mfma16_kernelIDF16_hLN4vllm18Fp8KVCacheDataTypeE1EDF16_Li16ELi64ELi256ELb1ELi13EEvPKT_PKT0_S7_ifPKiS9_S9_iPKfiiiPfSC_PS2_PT2_iSB_SB_,comdat
	.protected	_Z39paged_attention_ll4mi_QKV_mfma16_kernelIDF16_hLN4vllm18Fp8KVCacheDataTypeE1EDF16_Li16ELi64ELi256ELb1ELi13EEvPKT_PKT0_S7_ifPKiS9_S9_iPKfiiiPfSC_PS2_PT2_iSB_SB_ ; -- Begin function _Z39paged_attention_ll4mi_QKV_mfma16_kernelIDF16_hLN4vllm18Fp8KVCacheDataTypeE1EDF16_Li16ELi64ELi256ELb1ELi13EEvPKT_PKT0_S7_ifPKiS9_S9_iPKfiiiPfSC_PS2_PT2_iSB_SB_
	.globl	_Z39paged_attention_ll4mi_QKV_mfma16_kernelIDF16_hLN4vllm18Fp8KVCacheDataTypeE1EDF16_Li16ELi64ELi256ELb1ELi13EEvPKT_PKT0_S7_ifPKiS9_S9_iPKfiiiPfSC_PS2_PT2_iSB_SB_
	.p2align	8
	.type	_Z39paged_attention_ll4mi_QKV_mfma16_kernelIDF16_hLN4vllm18Fp8KVCacheDataTypeE1EDF16_Li16ELi64ELi256ELb1ELi13EEvPKT_PKT0_S7_ifPKiS9_S9_iPKfiiiPfSC_PS2_PT2_iSB_SB_,@function
_Z39paged_attention_ll4mi_QKV_mfma16_kernelIDF16_hLN4vllm18Fp8KVCacheDataTypeE1EDF16_Li16ELi64ELi256ELb1ELi13EEvPKT_PKT0_S7_ifPKiS9_S9_iPKfiiiPfSC_PS2_PT2_iSB_SB_: ; @_Z39paged_attention_ll4mi_QKV_mfma16_kernelIDF16_hLN4vllm18Fp8KVCacheDataTypeE1EDF16_Li16ELi64ELi256ELb1ELi13EEvPKT_PKT0_S7_ifPKiS9_S9_iPKfiiiPfSC_PS2_PT2_iSB_SB_
; %bb.0:
	s_get_pc_i64 s[2:3]
	s_add_nc_u64 s[2:3], s[2:3], __PRETTY_FUNCTION__._Z39paged_attention_ll4mi_QKV_mfma16_kernelIDF16_hLN4vllm18Fp8KVCacheDataTypeE1EDF16_Li16ELi64ELi256ELb1ELi13EEvPKT_PKT0_S7_ifPKiS9_S9_iPKfiiiPfSC_PS2_PT2_iSB_SB_@rel64+4
	s_delay_alu instid0(SALU_CYCLE_1)
	v_dual_mov_b32 v0, 0xbb3 :: v_dual_mov_b32 v1, s2
	v_mov_b32_e32 v2, s3
	s_add_nc_u64 s[8:9], s[0:1], 0x90
	s_get_pc_i64 s[0:1]
	s_add_nc_u64 s[0:1], s[0:1], __assert_fail@rel64+4
	s_mov_b32 s32, 0
	s_swap_pc_i64 s[30:31], s[0:1]
	.section	.rodata,"a",@progbits
	.p2align	6, 0x0
	.amdhsa_kernel _Z39paged_attention_ll4mi_QKV_mfma16_kernelIDF16_hLN4vllm18Fp8KVCacheDataTypeE1EDF16_Li16ELi64ELi256ELb1ELi13EEvPKT_PKT0_S7_ifPKiS9_S9_iPKfiiiPfSC_PS2_PT2_iSB_SB_
		.amdhsa_group_segment_fixed_size 0
		.amdhsa_private_segment_fixed_size 64
		.amdhsa_kernarg_size 400
		.amdhsa_user_sgpr_count 2
		.amdhsa_user_sgpr_dispatch_ptr 0
		.amdhsa_user_sgpr_queue_ptr 0
		.amdhsa_user_sgpr_kernarg_segment_ptr 1
		.amdhsa_user_sgpr_dispatch_id 0
		.amdhsa_user_sgpr_kernarg_preload_length 0
		.amdhsa_user_sgpr_kernarg_preload_offset 0
		.amdhsa_user_sgpr_private_segment_size 0
		.amdhsa_wavefront_size32 1
		.amdhsa_uses_dynamic_stack 0
		.amdhsa_enable_private_segment 1
		.amdhsa_system_sgpr_workgroup_id_x 1
		.amdhsa_system_sgpr_workgroup_id_y 0
		.amdhsa_system_sgpr_workgroup_id_z 0
		.amdhsa_system_sgpr_workgroup_info 0
		.amdhsa_system_vgpr_workitem_id 0
		.amdhsa_next_free_vgpr 51
		.amdhsa_next_free_sgpr 34
		.amdhsa_named_barrier_count 0
		.amdhsa_reserve_vcc 1
		.amdhsa_float_round_mode_32 0
		.amdhsa_float_round_mode_16_64 0
		.amdhsa_float_denorm_mode_32 3
		.amdhsa_float_denorm_mode_16_64 3
		.amdhsa_fp16_overflow 0
		.amdhsa_memory_ordered 1
		.amdhsa_forward_progress 1
		.amdhsa_inst_pref_size 1
		.amdhsa_round_robin_scheduling 0
		.amdhsa_exception_fp_ieee_invalid_op 0
		.amdhsa_exception_fp_denorm_src 0
		.amdhsa_exception_fp_ieee_div_zero 0
		.amdhsa_exception_fp_ieee_overflow 0
		.amdhsa_exception_fp_ieee_underflow 0
		.amdhsa_exception_fp_ieee_inexact 0
		.amdhsa_exception_int_div_zero 0
	.end_amdhsa_kernel
	.section	.text._Z39paged_attention_ll4mi_QKV_mfma16_kernelIDF16_hLN4vllm18Fp8KVCacheDataTypeE1EDF16_Li16ELi64ELi256ELb1ELi13EEvPKT_PKT0_S7_ifPKiS9_S9_iPKfiiiPfSC_PS2_PT2_iSB_SB_,"axG",@progbits,_Z39paged_attention_ll4mi_QKV_mfma16_kernelIDF16_hLN4vllm18Fp8KVCacheDataTypeE1EDF16_Li16ELi64ELi256ELb1ELi13EEvPKT_PKT0_S7_ifPKiS9_S9_iPKfiiiPfSC_PS2_PT2_iSB_SB_,comdat
.Lfunc_end822:
	.size	_Z39paged_attention_ll4mi_QKV_mfma16_kernelIDF16_hLN4vllm18Fp8KVCacheDataTypeE1EDF16_Li16ELi64ELi256ELb1ELi13EEvPKT_PKT0_S7_ifPKiS9_S9_iPKfiiiPfSC_PS2_PT2_iSB_SB_, .Lfunc_end822-_Z39paged_attention_ll4mi_QKV_mfma16_kernelIDF16_hLN4vllm18Fp8KVCacheDataTypeE1EDF16_Li16ELi64ELi256ELb1ELi13EEvPKT_PKT0_S7_ifPKiS9_S9_iPKfiiiPfSC_PS2_PT2_iSB_SB_
                                        ; -- End function
	.set _Z39paged_attention_ll4mi_QKV_mfma16_kernelIDF16_hLN4vllm18Fp8KVCacheDataTypeE1EDF16_Li16ELi64ELi256ELb1ELi13EEvPKT_PKT0_S7_ifPKiS9_S9_iPKfiiiPfSC_PS2_PT2_iSB_SB_.num_vgpr, max(3, .L__assert_fail.num_vgpr)
	.set _Z39paged_attention_ll4mi_QKV_mfma16_kernelIDF16_hLN4vllm18Fp8KVCacheDataTypeE1EDF16_Li16ELi64ELi256ELb1ELi13EEvPKT_PKT0_S7_ifPKiS9_S9_iPKfiiiPfSC_PS2_PT2_iSB_SB_.num_agpr, max(0, .L__assert_fail.num_agpr)
	.set _Z39paged_attention_ll4mi_QKV_mfma16_kernelIDF16_hLN4vllm18Fp8KVCacheDataTypeE1EDF16_Li16ELi64ELi256ELb1ELi13EEvPKT_PKT0_S7_ifPKiS9_S9_iPKfiiiPfSC_PS2_PT2_iSB_SB_.numbered_sgpr, max(33, .L__assert_fail.numbered_sgpr)
	.set _Z39paged_attention_ll4mi_QKV_mfma16_kernelIDF16_hLN4vllm18Fp8KVCacheDataTypeE1EDF16_Li16ELi64ELi256ELb1ELi13EEvPKT_PKT0_S7_ifPKiS9_S9_iPKfiiiPfSC_PS2_PT2_iSB_SB_.num_named_barrier, max(0, .L__assert_fail.num_named_barrier)
	.set _Z39paged_attention_ll4mi_QKV_mfma16_kernelIDF16_hLN4vllm18Fp8KVCacheDataTypeE1EDF16_Li16ELi64ELi256ELb1ELi13EEvPKT_PKT0_S7_ifPKiS9_S9_iPKfiiiPfSC_PS2_PT2_iSB_SB_.private_seg_size, 0+max(.L__assert_fail.private_seg_size)
	.set _Z39paged_attention_ll4mi_QKV_mfma16_kernelIDF16_hLN4vllm18Fp8KVCacheDataTypeE1EDF16_Li16ELi64ELi256ELb1ELi13EEvPKT_PKT0_S7_ifPKiS9_S9_iPKfiiiPfSC_PS2_PT2_iSB_SB_.uses_vcc, or(1, .L__assert_fail.uses_vcc)
	.set _Z39paged_attention_ll4mi_QKV_mfma16_kernelIDF16_hLN4vllm18Fp8KVCacheDataTypeE1EDF16_Li16ELi64ELi256ELb1ELi13EEvPKT_PKT0_S7_ifPKiS9_S9_iPKfiiiPfSC_PS2_PT2_iSB_SB_.uses_flat_scratch, or(0, .L__assert_fail.uses_flat_scratch)
	.set _Z39paged_attention_ll4mi_QKV_mfma16_kernelIDF16_hLN4vllm18Fp8KVCacheDataTypeE1EDF16_Li16ELi64ELi256ELb1ELi13EEvPKT_PKT0_S7_ifPKiS9_S9_iPKfiiiPfSC_PS2_PT2_iSB_SB_.has_dyn_sized_stack, or(0, .L__assert_fail.has_dyn_sized_stack)
	.set _Z39paged_attention_ll4mi_QKV_mfma16_kernelIDF16_hLN4vllm18Fp8KVCacheDataTypeE1EDF16_Li16ELi64ELi256ELb1ELi13EEvPKT_PKT0_S7_ifPKiS9_S9_iPKfiiiPfSC_PS2_PT2_iSB_SB_.has_recursion, or(0, .L__assert_fail.has_recursion)
	.set _Z39paged_attention_ll4mi_QKV_mfma16_kernelIDF16_hLN4vllm18Fp8KVCacheDataTypeE1EDF16_Li16ELi64ELi256ELb1ELi13EEvPKT_PKT0_S7_ifPKiS9_S9_iPKfiiiPfSC_PS2_PT2_iSB_SB_.has_indirect_call, or(0, .L__assert_fail.has_indirect_call)
	.section	.AMDGPU.csdata,"",@progbits
; Kernel info:
; codeLenInByte = 68
; TotalNumSgprs: 36
; NumVgprs: 51
; ScratchSize: 64
; MemoryBound: 0
; FloatMode: 240
; IeeeMode: 1
; LDSByteSize: 0 bytes/workgroup (compile time only)
; SGPRBlocks: 0
; VGPRBlocks: 3
; NumSGPRsForWavesPerEU: 36
; NumVGPRsForWavesPerEU: 51
; NamedBarCnt: 0
; Occupancy: 16
; WaveLimiterHint : 1
; COMPUTE_PGM_RSRC2:SCRATCH_EN: 1
; COMPUTE_PGM_RSRC2:USER_SGPR: 2
; COMPUTE_PGM_RSRC2:TRAP_HANDLER: 0
; COMPUTE_PGM_RSRC2:TGID_X_EN: 1
; COMPUTE_PGM_RSRC2:TGID_Y_EN: 0
; COMPUTE_PGM_RSRC2:TGID_Z_EN: 0
; COMPUTE_PGM_RSRC2:TIDIG_COMP_CNT: 0
	.section	.text._Z39paged_attention_ll4mi_QKV_mfma16_kernelIDF16_hLN4vllm18Fp8KVCacheDataTypeE1EDF16_Li16ELi64ELi256ELb1ELi14EEvPKT_PKT0_S7_ifPKiS9_S9_iPKfiiiPfSC_PS2_PT2_iSB_SB_,"axG",@progbits,_Z39paged_attention_ll4mi_QKV_mfma16_kernelIDF16_hLN4vllm18Fp8KVCacheDataTypeE1EDF16_Li16ELi64ELi256ELb1ELi14EEvPKT_PKT0_S7_ifPKiS9_S9_iPKfiiiPfSC_PS2_PT2_iSB_SB_,comdat
	.protected	_Z39paged_attention_ll4mi_QKV_mfma16_kernelIDF16_hLN4vllm18Fp8KVCacheDataTypeE1EDF16_Li16ELi64ELi256ELb1ELi14EEvPKT_PKT0_S7_ifPKiS9_S9_iPKfiiiPfSC_PS2_PT2_iSB_SB_ ; -- Begin function _Z39paged_attention_ll4mi_QKV_mfma16_kernelIDF16_hLN4vllm18Fp8KVCacheDataTypeE1EDF16_Li16ELi64ELi256ELb1ELi14EEvPKT_PKT0_S7_ifPKiS9_S9_iPKfiiiPfSC_PS2_PT2_iSB_SB_
	.globl	_Z39paged_attention_ll4mi_QKV_mfma16_kernelIDF16_hLN4vllm18Fp8KVCacheDataTypeE1EDF16_Li16ELi64ELi256ELb1ELi14EEvPKT_PKT0_S7_ifPKiS9_S9_iPKfiiiPfSC_PS2_PT2_iSB_SB_
	.p2align	8
	.type	_Z39paged_attention_ll4mi_QKV_mfma16_kernelIDF16_hLN4vllm18Fp8KVCacheDataTypeE1EDF16_Li16ELi64ELi256ELb1ELi14EEvPKT_PKT0_S7_ifPKiS9_S9_iPKfiiiPfSC_PS2_PT2_iSB_SB_,@function
_Z39paged_attention_ll4mi_QKV_mfma16_kernelIDF16_hLN4vllm18Fp8KVCacheDataTypeE1EDF16_Li16ELi64ELi256ELb1ELi14EEvPKT_PKT0_S7_ifPKiS9_S9_iPKfiiiPfSC_PS2_PT2_iSB_SB_: ; @_Z39paged_attention_ll4mi_QKV_mfma16_kernelIDF16_hLN4vllm18Fp8KVCacheDataTypeE1EDF16_Li16ELi64ELi256ELb1ELi14EEvPKT_PKT0_S7_ifPKiS9_S9_iPKfiiiPfSC_PS2_PT2_iSB_SB_
; %bb.0:
	s_get_pc_i64 s[2:3]
	s_add_nc_u64 s[2:3], s[2:3], __PRETTY_FUNCTION__._Z39paged_attention_ll4mi_QKV_mfma16_kernelIDF16_hLN4vllm18Fp8KVCacheDataTypeE1EDF16_Li16ELi64ELi256ELb1ELi14EEvPKT_PKT0_S7_ifPKiS9_S9_iPKfiiiPfSC_PS2_PT2_iSB_SB_@rel64+4
	s_delay_alu instid0(SALU_CYCLE_1)
	v_dual_mov_b32 v0, 0xbb3 :: v_dual_mov_b32 v1, s2
	v_mov_b32_e32 v2, s3
	s_add_nc_u64 s[8:9], s[0:1], 0x90
	s_get_pc_i64 s[0:1]
	s_add_nc_u64 s[0:1], s[0:1], __assert_fail@rel64+4
	s_mov_b32 s32, 0
	s_swap_pc_i64 s[30:31], s[0:1]
	.section	.rodata,"a",@progbits
	.p2align	6, 0x0
	.amdhsa_kernel _Z39paged_attention_ll4mi_QKV_mfma16_kernelIDF16_hLN4vllm18Fp8KVCacheDataTypeE1EDF16_Li16ELi64ELi256ELb1ELi14EEvPKT_PKT0_S7_ifPKiS9_S9_iPKfiiiPfSC_PS2_PT2_iSB_SB_
		.amdhsa_group_segment_fixed_size 0
		.amdhsa_private_segment_fixed_size 64
		.amdhsa_kernarg_size 400
		.amdhsa_user_sgpr_count 2
		.amdhsa_user_sgpr_dispatch_ptr 0
		.amdhsa_user_sgpr_queue_ptr 0
		.amdhsa_user_sgpr_kernarg_segment_ptr 1
		.amdhsa_user_sgpr_dispatch_id 0
		.amdhsa_user_sgpr_kernarg_preload_length 0
		.amdhsa_user_sgpr_kernarg_preload_offset 0
		.amdhsa_user_sgpr_private_segment_size 0
		.amdhsa_wavefront_size32 1
		.amdhsa_uses_dynamic_stack 0
		.amdhsa_enable_private_segment 1
		.amdhsa_system_sgpr_workgroup_id_x 1
		.amdhsa_system_sgpr_workgroup_id_y 0
		.amdhsa_system_sgpr_workgroup_id_z 0
		.amdhsa_system_sgpr_workgroup_info 0
		.amdhsa_system_vgpr_workitem_id 0
		.amdhsa_next_free_vgpr 51
		.amdhsa_next_free_sgpr 34
		.amdhsa_named_barrier_count 0
		.amdhsa_reserve_vcc 1
		.amdhsa_float_round_mode_32 0
		.amdhsa_float_round_mode_16_64 0
		.amdhsa_float_denorm_mode_32 3
		.amdhsa_float_denorm_mode_16_64 3
		.amdhsa_fp16_overflow 0
		.amdhsa_memory_ordered 1
		.amdhsa_forward_progress 1
		.amdhsa_inst_pref_size 1
		.amdhsa_round_robin_scheduling 0
		.amdhsa_exception_fp_ieee_invalid_op 0
		.amdhsa_exception_fp_denorm_src 0
		.amdhsa_exception_fp_ieee_div_zero 0
		.amdhsa_exception_fp_ieee_overflow 0
		.amdhsa_exception_fp_ieee_underflow 0
		.amdhsa_exception_fp_ieee_inexact 0
		.amdhsa_exception_int_div_zero 0
	.end_amdhsa_kernel
	.section	.text._Z39paged_attention_ll4mi_QKV_mfma16_kernelIDF16_hLN4vllm18Fp8KVCacheDataTypeE1EDF16_Li16ELi64ELi256ELb1ELi14EEvPKT_PKT0_S7_ifPKiS9_S9_iPKfiiiPfSC_PS2_PT2_iSB_SB_,"axG",@progbits,_Z39paged_attention_ll4mi_QKV_mfma16_kernelIDF16_hLN4vllm18Fp8KVCacheDataTypeE1EDF16_Li16ELi64ELi256ELb1ELi14EEvPKT_PKT0_S7_ifPKiS9_S9_iPKfiiiPfSC_PS2_PT2_iSB_SB_,comdat
.Lfunc_end823:
	.size	_Z39paged_attention_ll4mi_QKV_mfma16_kernelIDF16_hLN4vllm18Fp8KVCacheDataTypeE1EDF16_Li16ELi64ELi256ELb1ELi14EEvPKT_PKT0_S7_ifPKiS9_S9_iPKfiiiPfSC_PS2_PT2_iSB_SB_, .Lfunc_end823-_Z39paged_attention_ll4mi_QKV_mfma16_kernelIDF16_hLN4vllm18Fp8KVCacheDataTypeE1EDF16_Li16ELi64ELi256ELb1ELi14EEvPKT_PKT0_S7_ifPKiS9_S9_iPKfiiiPfSC_PS2_PT2_iSB_SB_
                                        ; -- End function
	.set _Z39paged_attention_ll4mi_QKV_mfma16_kernelIDF16_hLN4vllm18Fp8KVCacheDataTypeE1EDF16_Li16ELi64ELi256ELb1ELi14EEvPKT_PKT0_S7_ifPKiS9_S9_iPKfiiiPfSC_PS2_PT2_iSB_SB_.num_vgpr, max(3, .L__assert_fail.num_vgpr)
	.set _Z39paged_attention_ll4mi_QKV_mfma16_kernelIDF16_hLN4vllm18Fp8KVCacheDataTypeE1EDF16_Li16ELi64ELi256ELb1ELi14EEvPKT_PKT0_S7_ifPKiS9_S9_iPKfiiiPfSC_PS2_PT2_iSB_SB_.num_agpr, max(0, .L__assert_fail.num_agpr)
	.set _Z39paged_attention_ll4mi_QKV_mfma16_kernelIDF16_hLN4vllm18Fp8KVCacheDataTypeE1EDF16_Li16ELi64ELi256ELb1ELi14EEvPKT_PKT0_S7_ifPKiS9_S9_iPKfiiiPfSC_PS2_PT2_iSB_SB_.numbered_sgpr, max(33, .L__assert_fail.numbered_sgpr)
	.set _Z39paged_attention_ll4mi_QKV_mfma16_kernelIDF16_hLN4vllm18Fp8KVCacheDataTypeE1EDF16_Li16ELi64ELi256ELb1ELi14EEvPKT_PKT0_S7_ifPKiS9_S9_iPKfiiiPfSC_PS2_PT2_iSB_SB_.num_named_barrier, max(0, .L__assert_fail.num_named_barrier)
	.set _Z39paged_attention_ll4mi_QKV_mfma16_kernelIDF16_hLN4vllm18Fp8KVCacheDataTypeE1EDF16_Li16ELi64ELi256ELb1ELi14EEvPKT_PKT0_S7_ifPKiS9_S9_iPKfiiiPfSC_PS2_PT2_iSB_SB_.private_seg_size, 0+max(.L__assert_fail.private_seg_size)
	.set _Z39paged_attention_ll4mi_QKV_mfma16_kernelIDF16_hLN4vllm18Fp8KVCacheDataTypeE1EDF16_Li16ELi64ELi256ELb1ELi14EEvPKT_PKT0_S7_ifPKiS9_S9_iPKfiiiPfSC_PS2_PT2_iSB_SB_.uses_vcc, or(1, .L__assert_fail.uses_vcc)
	.set _Z39paged_attention_ll4mi_QKV_mfma16_kernelIDF16_hLN4vllm18Fp8KVCacheDataTypeE1EDF16_Li16ELi64ELi256ELb1ELi14EEvPKT_PKT0_S7_ifPKiS9_S9_iPKfiiiPfSC_PS2_PT2_iSB_SB_.uses_flat_scratch, or(0, .L__assert_fail.uses_flat_scratch)
	.set _Z39paged_attention_ll4mi_QKV_mfma16_kernelIDF16_hLN4vllm18Fp8KVCacheDataTypeE1EDF16_Li16ELi64ELi256ELb1ELi14EEvPKT_PKT0_S7_ifPKiS9_S9_iPKfiiiPfSC_PS2_PT2_iSB_SB_.has_dyn_sized_stack, or(0, .L__assert_fail.has_dyn_sized_stack)
	.set _Z39paged_attention_ll4mi_QKV_mfma16_kernelIDF16_hLN4vllm18Fp8KVCacheDataTypeE1EDF16_Li16ELi64ELi256ELb1ELi14EEvPKT_PKT0_S7_ifPKiS9_S9_iPKfiiiPfSC_PS2_PT2_iSB_SB_.has_recursion, or(0, .L__assert_fail.has_recursion)
	.set _Z39paged_attention_ll4mi_QKV_mfma16_kernelIDF16_hLN4vllm18Fp8KVCacheDataTypeE1EDF16_Li16ELi64ELi256ELb1ELi14EEvPKT_PKT0_S7_ifPKiS9_S9_iPKfiiiPfSC_PS2_PT2_iSB_SB_.has_indirect_call, or(0, .L__assert_fail.has_indirect_call)
	.section	.AMDGPU.csdata,"",@progbits
; Kernel info:
; codeLenInByte = 68
; TotalNumSgprs: 36
; NumVgprs: 51
; ScratchSize: 64
; MemoryBound: 0
; FloatMode: 240
; IeeeMode: 1
; LDSByteSize: 0 bytes/workgroup (compile time only)
; SGPRBlocks: 0
; VGPRBlocks: 3
; NumSGPRsForWavesPerEU: 36
; NumVGPRsForWavesPerEU: 51
; NamedBarCnt: 0
; Occupancy: 16
; WaveLimiterHint : 1
; COMPUTE_PGM_RSRC2:SCRATCH_EN: 1
; COMPUTE_PGM_RSRC2:USER_SGPR: 2
; COMPUTE_PGM_RSRC2:TRAP_HANDLER: 0
; COMPUTE_PGM_RSRC2:TGID_X_EN: 1
; COMPUTE_PGM_RSRC2:TGID_Y_EN: 0
; COMPUTE_PGM_RSRC2:TGID_Z_EN: 0
; COMPUTE_PGM_RSRC2:TIDIG_COMP_CNT: 0
	.section	.text._Z39paged_attention_ll4mi_QKV_mfma16_kernelIDF16_hLN4vllm18Fp8KVCacheDataTypeE1EDF16_Li16ELi64ELi256ELb1ELi15EEvPKT_PKT0_S7_ifPKiS9_S9_iPKfiiiPfSC_PS2_PT2_iSB_SB_,"axG",@progbits,_Z39paged_attention_ll4mi_QKV_mfma16_kernelIDF16_hLN4vllm18Fp8KVCacheDataTypeE1EDF16_Li16ELi64ELi256ELb1ELi15EEvPKT_PKT0_S7_ifPKiS9_S9_iPKfiiiPfSC_PS2_PT2_iSB_SB_,comdat
	.protected	_Z39paged_attention_ll4mi_QKV_mfma16_kernelIDF16_hLN4vllm18Fp8KVCacheDataTypeE1EDF16_Li16ELi64ELi256ELb1ELi15EEvPKT_PKT0_S7_ifPKiS9_S9_iPKfiiiPfSC_PS2_PT2_iSB_SB_ ; -- Begin function _Z39paged_attention_ll4mi_QKV_mfma16_kernelIDF16_hLN4vllm18Fp8KVCacheDataTypeE1EDF16_Li16ELi64ELi256ELb1ELi15EEvPKT_PKT0_S7_ifPKiS9_S9_iPKfiiiPfSC_PS2_PT2_iSB_SB_
	.globl	_Z39paged_attention_ll4mi_QKV_mfma16_kernelIDF16_hLN4vllm18Fp8KVCacheDataTypeE1EDF16_Li16ELi64ELi256ELb1ELi15EEvPKT_PKT0_S7_ifPKiS9_S9_iPKfiiiPfSC_PS2_PT2_iSB_SB_
	.p2align	8
	.type	_Z39paged_attention_ll4mi_QKV_mfma16_kernelIDF16_hLN4vllm18Fp8KVCacheDataTypeE1EDF16_Li16ELi64ELi256ELb1ELi15EEvPKT_PKT0_S7_ifPKiS9_S9_iPKfiiiPfSC_PS2_PT2_iSB_SB_,@function
_Z39paged_attention_ll4mi_QKV_mfma16_kernelIDF16_hLN4vllm18Fp8KVCacheDataTypeE1EDF16_Li16ELi64ELi256ELb1ELi15EEvPKT_PKT0_S7_ifPKiS9_S9_iPKfiiiPfSC_PS2_PT2_iSB_SB_: ; @_Z39paged_attention_ll4mi_QKV_mfma16_kernelIDF16_hLN4vllm18Fp8KVCacheDataTypeE1EDF16_Li16ELi64ELi256ELb1ELi15EEvPKT_PKT0_S7_ifPKiS9_S9_iPKfiiiPfSC_PS2_PT2_iSB_SB_
; %bb.0:
	s_get_pc_i64 s[2:3]
	s_add_nc_u64 s[2:3], s[2:3], __PRETTY_FUNCTION__._Z39paged_attention_ll4mi_QKV_mfma16_kernelIDF16_hLN4vllm18Fp8KVCacheDataTypeE1EDF16_Li16ELi64ELi256ELb1ELi15EEvPKT_PKT0_S7_ifPKiS9_S9_iPKfiiiPfSC_PS2_PT2_iSB_SB_@rel64+4
	s_delay_alu instid0(SALU_CYCLE_1)
	v_dual_mov_b32 v0, 0xbb3 :: v_dual_mov_b32 v1, s2
	v_mov_b32_e32 v2, s3
	s_add_nc_u64 s[8:9], s[0:1], 0x90
	s_get_pc_i64 s[0:1]
	s_add_nc_u64 s[0:1], s[0:1], __assert_fail@rel64+4
	s_mov_b32 s32, 0
	s_swap_pc_i64 s[30:31], s[0:1]
	.section	.rodata,"a",@progbits
	.p2align	6, 0x0
	.amdhsa_kernel _Z39paged_attention_ll4mi_QKV_mfma16_kernelIDF16_hLN4vllm18Fp8KVCacheDataTypeE1EDF16_Li16ELi64ELi256ELb1ELi15EEvPKT_PKT0_S7_ifPKiS9_S9_iPKfiiiPfSC_PS2_PT2_iSB_SB_
		.amdhsa_group_segment_fixed_size 0
		.amdhsa_private_segment_fixed_size 64
		.amdhsa_kernarg_size 400
		.amdhsa_user_sgpr_count 2
		.amdhsa_user_sgpr_dispatch_ptr 0
		.amdhsa_user_sgpr_queue_ptr 0
		.amdhsa_user_sgpr_kernarg_segment_ptr 1
		.amdhsa_user_sgpr_dispatch_id 0
		.amdhsa_user_sgpr_kernarg_preload_length 0
		.amdhsa_user_sgpr_kernarg_preload_offset 0
		.amdhsa_user_sgpr_private_segment_size 0
		.amdhsa_wavefront_size32 1
		.amdhsa_uses_dynamic_stack 0
		.amdhsa_enable_private_segment 1
		.amdhsa_system_sgpr_workgroup_id_x 1
		.amdhsa_system_sgpr_workgroup_id_y 0
		.amdhsa_system_sgpr_workgroup_id_z 0
		.amdhsa_system_sgpr_workgroup_info 0
		.amdhsa_system_vgpr_workitem_id 0
		.amdhsa_next_free_vgpr 51
		.amdhsa_next_free_sgpr 34
		.amdhsa_named_barrier_count 0
		.amdhsa_reserve_vcc 1
		.amdhsa_float_round_mode_32 0
		.amdhsa_float_round_mode_16_64 0
		.amdhsa_float_denorm_mode_32 3
		.amdhsa_float_denorm_mode_16_64 3
		.amdhsa_fp16_overflow 0
		.amdhsa_memory_ordered 1
		.amdhsa_forward_progress 1
		.amdhsa_inst_pref_size 1
		.amdhsa_round_robin_scheduling 0
		.amdhsa_exception_fp_ieee_invalid_op 0
		.amdhsa_exception_fp_denorm_src 0
		.amdhsa_exception_fp_ieee_div_zero 0
		.amdhsa_exception_fp_ieee_overflow 0
		.amdhsa_exception_fp_ieee_underflow 0
		.amdhsa_exception_fp_ieee_inexact 0
		.amdhsa_exception_int_div_zero 0
	.end_amdhsa_kernel
	.section	.text._Z39paged_attention_ll4mi_QKV_mfma16_kernelIDF16_hLN4vllm18Fp8KVCacheDataTypeE1EDF16_Li16ELi64ELi256ELb1ELi15EEvPKT_PKT0_S7_ifPKiS9_S9_iPKfiiiPfSC_PS2_PT2_iSB_SB_,"axG",@progbits,_Z39paged_attention_ll4mi_QKV_mfma16_kernelIDF16_hLN4vllm18Fp8KVCacheDataTypeE1EDF16_Li16ELi64ELi256ELb1ELi15EEvPKT_PKT0_S7_ifPKiS9_S9_iPKfiiiPfSC_PS2_PT2_iSB_SB_,comdat
.Lfunc_end824:
	.size	_Z39paged_attention_ll4mi_QKV_mfma16_kernelIDF16_hLN4vllm18Fp8KVCacheDataTypeE1EDF16_Li16ELi64ELi256ELb1ELi15EEvPKT_PKT0_S7_ifPKiS9_S9_iPKfiiiPfSC_PS2_PT2_iSB_SB_, .Lfunc_end824-_Z39paged_attention_ll4mi_QKV_mfma16_kernelIDF16_hLN4vllm18Fp8KVCacheDataTypeE1EDF16_Li16ELi64ELi256ELb1ELi15EEvPKT_PKT0_S7_ifPKiS9_S9_iPKfiiiPfSC_PS2_PT2_iSB_SB_
                                        ; -- End function
	.set _Z39paged_attention_ll4mi_QKV_mfma16_kernelIDF16_hLN4vllm18Fp8KVCacheDataTypeE1EDF16_Li16ELi64ELi256ELb1ELi15EEvPKT_PKT0_S7_ifPKiS9_S9_iPKfiiiPfSC_PS2_PT2_iSB_SB_.num_vgpr, max(3, .L__assert_fail.num_vgpr)
	.set _Z39paged_attention_ll4mi_QKV_mfma16_kernelIDF16_hLN4vllm18Fp8KVCacheDataTypeE1EDF16_Li16ELi64ELi256ELb1ELi15EEvPKT_PKT0_S7_ifPKiS9_S9_iPKfiiiPfSC_PS2_PT2_iSB_SB_.num_agpr, max(0, .L__assert_fail.num_agpr)
	.set _Z39paged_attention_ll4mi_QKV_mfma16_kernelIDF16_hLN4vllm18Fp8KVCacheDataTypeE1EDF16_Li16ELi64ELi256ELb1ELi15EEvPKT_PKT0_S7_ifPKiS9_S9_iPKfiiiPfSC_PS2_PT2_iSB_SB_.numbered_sgpr, max(33, .L__assert_fail.numbered_sgpr)
	.set _Z39paged_attention_ll4mi_QKV_mfma16_kernelIDF16_hLN4vllm18Fp8KVCacheDataTypeE1EDF16_Li16ELi64ELi256ELb1ELi15EEvPKT_PKT0_S7_ifPKiS9_S9_iPKfiiiPfSC_PS2_PT2_iSB_SB_.num_named_barrier, max(0, .L__assert_fail.num_named_barrier)
	.set _Z39paged_attention_ll4mi_QKV_mfma16_kernelIDF16_hLN4vllm18Fp8KVCacheDataTypeE1EDF16_Li16ELi64ELi256ELb1ELi15EEvPKT_PKT0_S7_ifPKiS9_S9_iPKfiiiPfSC_PS2_PT2_iSB_SB_.private_seg_size, 0+max(.L__assert_fail.private_seg_size)
	.set _Z39paged_attention_ll4mi_QKV_mfma16_kernelIDF16_hLN4vllm18Fp8KVCacheDataTypeE1EDF16_Li16ELi64ELi256ELb1ELi15EEvPKT_PKT0_S7_ifPKiS9_S9_iPKfiiiPfSC_PS2_PT2_iSB_SB_.uses_vcc, or(1, .L__assert_fail.uses_vcc)
	.set _Z39paged_attention_ll4mi_QKV_mfma16_kernelIDF16_hLN4vllm18Fp8KVCacheDataTypeE1EDF16_Li16ELi64ELi256ELb1ELi15EEvPKT_PKT0_S7_ifPKiS9_S9_iPKfiiiPfSC_PS2_PT2_iSB_SB_.uses_flat_scratch, or(0, .L__assert_fail.uses_flat_scratch)
	.set _Z39paged_attention_ll4mi_QKV_mfma16_kernelIDF16_hLN4vllm18Fp8KVCacheDataTypeE1EDF16_Li16ELi64ELi256ELb1ELi15EEvPKT_PKT0_S7_ifPKiS9_S9_iPKfiiiPfSC_PS2_PT2_iSB_SB_.has_dyn_sized_stack, or(0, .L__assert_fail.has_dyn_sized_stack)
	.set _Z39paged_attention_ll4mi_QKV_mfma16_kernelIDF16_hLN4vllm18Fp8KVCacheDataTypeE1EDF16_Li16ELi64ELi256ELb1ELi15EEvPKT_PKT0_S7_ifPKiS9_S9_iPKfiiiPfSC_PS2_PT2_iSB_SB_.has_recursion, or(0, .L__assert_fail.has_recursion)
	.set _Z39paged_attention_ll4mi_QKV_mfma16_kernelIDF16_hLN4vllm18Fp8KVCacheDataTypeE1EDF16_Li16ELi64ELi256ELb1ELi15EEvPKT_PKT0_S7_ifPKiS9_S9_iPKfiiiPfSC_PS2_PT2_iSB_SB_.has_indirect_call, or(0, .L__assert_fail.has_indirect_call)
	.section	.AMDGPU.csdata,"",@progbits
; Kernel info:
; codeLenInByte = 68
; TotalNumSgprs: 36
; NumVgprs: 51
; ScratchSize: 64
; MemoryBound: 0
; FloatMode: 240
; IeeeMode: 1
; LDSByteSize: 0 bytes/workgroup (compile time only)
; SGPRBlocks: 0
; VGPRBlocks: 3
; NumSGPRsForWavesPerEU: 36
; NumVGPRsForWavesPerEU: 51
; NamedBarCnt: 0
; Occupancy: 16
; WaveLimiterHint : 1
; COMPUTE_PGM_RSRC2:SCRATCH_EN: 1
; COMPUTE_PGM_RSRC2:USER_SGPR: 2
; COMPUTE_PGM_RSRC2:TRAP_HANDLER: 0
; COMPUTE_PGM_RSRC2:TGID_X_EN: 1
; COMPUTE_PGM_RSRC2:TGID_Y_EN: 0
; COMPUTE_PGM_RSRC2:TGID_Z_EN: 0
; COMPUTE_PGM_RSRC2:TIDIG_COMP_CNT: 0
	.section	.text._Z39paged_attention_ll4mi_QKV_mfma16_kernelIDF16_hLN4vllm18Fp8KVCacheDataTypeE1EDF16_Li16ELi64ELi256ELb1ELi16EEvPKT_PKT0_S7_ifPKiS9_S9_iPKfiiiPfSC_PS2_PT2_iSB_SB_,"axG",@progbits,_Z39paged_attention_ll4mi_QKV_mfma16_kernelIDF16_hLN4vllm18Fp8KVCacheDataTypeE1EDF16_Li16ELi64ELi256ELb1ELi16EEvPKT_PKT0_S7_ifPKiS9_S9_iPKfiiiPfSC_PS2_PT2_iSB_SB_,comdat
	.protected	_Z39paged_attention_ll4mi_QKV_mfma16_kernelIDF16_hLN4vllm18Fp8KVCacheDataTypeE1EDF16_Li16ELi64ELi256ELb1ELi16EEvPKT_PKT0_S7_ifPKiS9_S9_iPKfiiiPfSC_PS2_PT2_iSB_SB_ ; -- Begin function _Z39paged_attention_ll4mi_QKV_mfma16_kernelIDF16_hLN4vllm18Fp8KVCacheDataTypeE1EDF16_Li16ELi64ELi256ELb1ELi16EEvPKT_PKT0_S7_ifPKiS9_S9_iPKfiiiPfSC_PS2_PT2_iSB_SB_
	.globl	_Z39paged_attention_ll4mi_QKV_mfma16_kernelIDF16_hLN4vllm18Fp8KVCacheDataTypeE1EDF16_Li16ELi64ELi256ELb1ELi16EEvPKT_PKT0_S7_ifPKiS9_S9_iPKfiiiPfSC_PS2_PT2_iSB_SB_
	.p2align	8
	.type	_Z39paged_attention_ll4mi_QKV_mfma16_kernelIDF16_hLN4vllm18Fp8KVCacheDataTypeE1EDF16_Li16ELi64ELi256ELb1ELi16EEvPKT_PKT0_S7_ifPKiS9_S9_iPKfiiiPfSC_PS2_PT2_iSB_SB_,@function
_Z39paged_attention_ll4mi_QKV_mfma16_kernelIDF16_hLN4vllm18Fp8KVCacheDataTypeE1EDF16_Li16ELi64ELi256ELb1ELi16EEvPKT_PKT0_S7_ifPKiS9_S9_iPKfiiiPfSC_PS2_PT2_iSB_SB_: ; @_Z39paged_attention_ll4mi_QKV_mfma16_kernelIDF16_hLN4vllm18Fp8KVCacheDataTypeE1EDF16_Li16ELi64ELi256ELb1ELi16EEvPKT_PKT0_S7_ifPKiS9_S9_iPKfiiiPfSC_PS2_PT2_iSB_SB_
; %bb.0:
	s_get_pc_i64 s[2:3]
	s_add_nc_u64 s[2:3], s[2:3], __PRETTY_FUNCTION__._Z39paged_attention_ll4mi_QKV_mfma16_kernelIDF16_hLN4vllm18Fp8KVCacheDataTypeE1EDF16_Li16ELi64ELi256ELb1ELi16EEvPKT_PKT0_S7_ifPKiS9_S9_iPKfiiiPfSC_PS2_PT2_iSB_SB_@rel64+4
	s_delay_alu instid0(SALU_CYCLE_1)
	v_dual_mov_b32 v0, 0xbb3 :: v_dual_mov_b32 v1, s2
	v_mov_b32_e32 v2, s3
	s_add_nc_u64 s[8:9], s[0:1], 0x90
	s_get_pc_i64 s[0:1]
	s_add_nc_u64 s[0:1], s[0:1], __assert_fail@rel64+4
	s_mov_b32 s32, 0
	s_swap_pc_i64 s[30:31], s[0:1]
	.section	.rodata,"a",@progbits
	.p2align	6, 0x0
	.amdhsa_kernel _Z39paged_attention_ll4mi_QKV_mfma16_kernelIDF16_hLN4vllm18Fp8KVCacheDataTypeE1EDF16_Li16ELi64ELi256ELb1ELi16EEvPKT_PKT0_S7_ifPKiS9_S9_iPKfiiiPfSC_PS2_PT2_iSB_SB_
		.amdhsa_group_segment_fixed_size 0
		.amdhsa_private_segment_fixed_size 64
		.amdhsa_kernarg_size 400
		.amdhsa_user_sgpr_count 2
		.amdhsa_user_sgpr_dispatch_ptr 0
		.amdhsa_user_sgpr_queue_ptr 0
		.amdhsa_user_sgpr_kernarg_segment_ptr 1
		.amdhsa_user_sgpr_dispatch_id 0
		.amdhsa_user_sgpr_kernarg_preload_length 0
		.amdhsa_user_sgpr_kernarg_preload_offset 0
		.amdhsa_user_sgpr_private_segment_size 0
		.amdhsa_wavefront_size32 1
		.amdhsa_uses_dynamic_stack 0
		.amdhsa_enable_private_segment 1
		.amdhsa_system_sgpr_workgroup_id_x 1
		.amdhsa_system_sgpr_workgroup_id_y 0
		.amdhsa_system_sgpr_workgroup_id_z 0
		.amdhsa_system_sgpr_workgroup_info 0
		.amdhsa_system_vgpr_workitem_id 0
		.amdhsa_next_free_vgpr 51
		.amdhsa_next_free_sgpr 34
		.amdhsa_named_barrier_count 0
		.amdhsa_reserve_vcc 1
		.amdhsa_float_round_mode_32 0
		.amdhsa_float_round_mode_16_64 0
		.amdhsa_float_denorm_mode_32 3
		.amdhsa_float_denorm_mode_16_64 3
		.amdhsa_fp16_overflow 0
		.amdhsa_memory_ordered 1
		.amdhsa_forward_progress 1
		.amdhsa_inst_pref_size 1
		.amdhsa_round_robin_scheduling 0
		.amdhsa_exception_fp_ieee_invalid_op 0
		.amdhsa_exception_fp_denorm_src 0
		.amdhsa_exception_fp_ieee_div_zero 0
		.amdhsa_exception_fp_ieee_overflow 0
		.amdhsa_exception_fp_ieee_underflow 0
		.amdhsa_exception_fp_ieee_inexact 0
		.amdhsa_exception_int_div_zero 0
	.end_amdhsa_kernel
	.section	.text._Z39paged_attention_ll4mi_QKV_mfma16_kernelIDF16_hLN4vllm18Fp8KVCacheDataTypeE1EDF16_Li16ELi64ELi256ELb1ELi16EEvPKT_PKT0_S7_ifPKiS9_S9_iPKfiiiPfSC_PS2_PT2_iSB_SB_,"axG",@progbits,_Z39paged_attention_ll4mi_QKV_mfma16_kernelIDF16_hLN4vllm18Fp8KVCacheDataTypeE1EDF16_Li16ELi64ELi256ELb1ELi16EEvPKT_PKT0_S7_ifPKiS9_S9_iPKfiiiPfSC_PS2_PT2_iSB_SB_,comdat
.Lfunc_end825:
	.size	_Z39paged_attention_ll4mi_QKV_mfma16_kernelIDF16_hLN4vllm18Fp8KVCacheDataTypeE1EDF16_Li16ELi64ELi256ELb1ELi16EEvPKT_PKT0_S7_ifPKiS9_S9_iPKfiiiPfSC_PS2_PT2_iSB_SB_, .Lfunc_end825-_Z39paged_attention_ll4mi_QKV_mfma16_kernelIDF16_hLN4vllm18Fp8KVCacheDataTypeE1EDF16_Li16ELi64ELi256ELb1ELi16EEvPKT_PKT0_S7_ifPKiS9_S9_iPKfiiiPfSC_PS2_PT2_iSB_SB_
                                        ; -- End function
	.set _Z39paged_attention_ll4mi_QKV_mfma16_kernelIDF16_hLN4vllm18Fp8KVCacheDataTypeE1EDF16_Li16ELi64ELi256ELb1ELi16EEvPKT_PKT0_S7_ifPKiS9_S9_iPKfiiiPfSC_PS2_PT2_iSB_SB_.num_vgpr, max(3, .L__assert_fail.num_vgpr)
	.set _Z39paged_attention_ll4mi_QKV_mfma16_kernelIDF16_hLN4vllm18Fp8KVCacheDataTypeE1EDF16_Li16ELi64ELi256ELb1ELi16EEvPKT_PKT0_S7_ifPKiS9_S9_iPKfiiiPfSC_PS2_PT2_iSB_SB_.num_agpr, max(0, .L__assert_fail.num_agpr)
	.set _Z39paged_attention_ll4mi_QKV_mfma16_kernelIDF16_hLN4vllm18Fp8KVCacheDataTypeE1EDF16_Li16ELi64ELi256ELb1ELi16EEvPKT_PKT0_S7_ifPKiS9_S9_iPKfiiiPfSC_PS2_PT2_iSB_SB_.numbered_sgpr, max(33, .L__assert_fail.numbered_sgpr)
	.set _Z39paged_attention_ll4mi_QKV_mfma16_kernelIDF16_hLN4vllm18Fp8KVCacheDataTypeE1EDF16_Li16ELi64ELi256ELb1ELi16EEvPKT_PKT0_S7_ifPKiS9_S9_iPKfiiiPfSC_PS2_PT2_iSB_SB_.num_named_barrier, max(0, .L__assert_fail.num_named_barrier)
	.set _Z39paged_attention_ll4mi_QKV_mfma16_kernelIDF16_hLN4vllm18Fp8KVCacheDataTypeE1EDF16_Li16ELi64ELi256ELb1ELi16EEvPKT_PKT0_S7_ifPKiS9_S9_iPKfiiiPfSC_PS2_PT2_iSB_SB_.private_seg_size, 0+max(.L__assert_fail.private_seg_size)
	.set _Z39paged_attention_ll4mi_QKV_mfma16_kernelIDF16_hLN4vllm18Fp8KVCacheDataTypeE1EDF16_Li16ELi64ELi256ELb1ELi16EEvPKT_PKT0_S7_ifPKiS9_S9_iPKfiiiPfSC_PS2_PT2_iSB_SB_.uses_vcc, or(1, .L__assert_fail.uses_vcc)
	.set _Z39paged_attention_ll4mi_QKV_mfma16_kernelIDF16_hLN4vllm18Fp8KVCacheDataTypeE1EDF16_Li16ELi64ELi256ELb1ELi16EEvPKT_PKT0_S7_ifPKiS9_S9_iPKfiiiPfSC_PS2_PT2_iSB_SB_.uses_flat_scratch, or(0, .L__assert_fail.uses_flat_scratch)
	.set _Z39paged_attention_ll4mi_QKV_mfma16_kernelIDF16_hLN4vllm18Fp8KVCacheDataTypeE1EDF16_Li16ELi64ELi256ELb1ELi16EEvPKT_PKT0_S7_ifPKiS9_S9_iPKfiiiPfSC_PS2_PT2_iSB_SB_.has_dyn_sized_stack, or(0, .L__assert_fail.has_dyn_sized_stack)
	.set _Z39paged_attention_ll4mi_QKV_mfma16_kernelIDF16_hLN4vllm18Fp8KVCacheDataTypeE1EDF16_Li16ELi64ELi256ELb1ELi16EEvPKT_PKT0_S7_ifPKiS9_S9_iPKfiiiPfSC_PS2_PT2_iSB_SB_.has_recursion, or(0, .L__assert_fail.has_recursion)
	.set _Z39paged_attention_ll4mi_QKV_mfma16_kernelIDF16_hLN4vllm18Fp8KVCacheDataTypeE1EDF16_Li16ELi64ELi256ELb1ELi16EEvPKT_PKT0_S7_ifPKiS9_S9_iPKfiiiPfSC_PS2_PT2_iSB_SB_.has_indirect_call, or(0, .L__assert_fail.has_indirect_call)
	.section	.AMDGPU.csdata,"",@progbits
; Kernel info:
; codeLenInByte = 68
; TotalNumSgprs: 36
; NumVgprs: 51
; ScratchSize: 64
; MemoryBound: 0
; FloatMode: 240
; IeeeMode: 1
; LDSByteSize: 0 bytes/workgroup (compile time only)
; SGPRBlocks: 0
; VGPRBlocks: 3
; NumSGPRsForWavesPerEU: 36
; NumVGPRsForWavesPerEU: 51
; NamedBarCnt: 0
; Occupancy: 16
; WaveLimiterHint : 1
; COMPUTE_PGM_RSRC2:SCRATCH_EN: 1
; COMPUTE_PGM_RSRC2:USER_SGPR: 2
; COMPUTE_PGM_RSRC2:TRAP_HANDLER: 0
; COMPUTE_PGM_RSRC2:TGID_X_EN: 1
; COMPUTE_PGM_RSRC2:TGID_Y_EN: 0
; COMPUTE_PGM_RSRC2:TGID_Z_EN: 0
; COMPUTE_PGM_RSRC2:TIDIG_COMP_CNT: 0
	.section	.text._Z39paged_attention_ll4mi_QKV_mfma16_kernelIDF16_hLN4vllm18Fp8KVCacheDataTypeE1EDF16_Li16ELi64ELi256ELb1ELi1EEvPKT_PKT0_S7_ifPKiS9_S9_iPKfiiiPfSC_PS2_PT2_iSB_SB_,"axG",@progbits,_Z39paged_attention_ll4mi_QKV_mfma16_kernelIDF16_hLN4vllm18Fp8KVCacheDataTypeE1EDF16_Li16ELi64ELi256ELb1ELi1EEvPKT_PKT0_S7_ifPKiS9_S9_iPKfiiiPfSC_PS2_PT2_iSB_SB_,comdat
	.protected	_Z39paged_attention_ll4mi_QKV_mfma16_kernelIDF16_hLN4vllm18Fp8KVCacheDataTypeE1EDF16_Li16ELi64ELi256ELb1ELi1EEvPKT_PKT0_S7_ifPKiS9_S9_iPKfiiiPfSC_PS2_PT2_iSB_SB_ ; -- Begin function _Z39paged_attention_ll4mi_QKV_mfma16_kernelIDF16_hLN4vllm18Fp8KVCacheDataTypeE1EDF16_Li16ELi64ELi256ELb1ELi1EEvPKT_PKT0_S7_ifPKiS9_S9_iPKfiiiPfSC_PS2_PT2_iSB_SB_
	.globl	_Z39paged_attention_ll4mi_QKV_mfma16_kernelIDF16_hLN4vllm18Fp8KVCacheDataTypeE1EDF16_Li16ELi64ELi256ELb1ELi1EEvPKT_PKT0_S7_ifPKiS9_S9_iPKfiiiPfSC_PS2_PT2_iSB_SB_
	.p2align	8
	.type	_Z39paged_attention_ll4mi_QKV_mfma16_kernelIDF16_hLN4vllm18Fp8KVCacheDataTypeE1EDF16_Li16ELi64ELi256ELb1ELi1EEvPKT_PKT0_S7_ifPKiS9_S9_iPKfiiiPfSC_PS2_PT2_iSB_SB_,@function
_Z39paged_attention_ll4mi_QKV_mfma16_kernelIDF16_hLN4vllm18Fp8KVCacheDataTypeE1EDF16_Li16ELi64ELi256ELb1ELi1EEvPKT_PKT0_S7_ifPKiS9_S9_iPKfiiiPfSC_PS2_PT2_iSB_SB_: ; @_Z39paged_attention_ll4mi_QKV_mfma16_kernelIDF16_hLN4vllm18Fp8KVCacheDataTypeE1EDF16_Li16ELi64ELi256ELb1ELi1EEvPKT_PKT0_S7_ifPKiS9_S9_iPKfiiiPfSC_PS2_PT2_iSB_SB_
; %bb.0:
	s_get_pc_i64 s[2:3]
	s_add_nc_u64 s[2:3], s[2:3], __PRETTY_FUNCTION__._Z39paged_attention_ll4mi_QKV_mfma16_kernelIDF16_hLN4vllm18Fp8KVCacheDataTypeE1EDF16_Li16ELi64ELi256ELb1ELi1EEvPKT_PKT0_S7_ifPKiS9_S9_iPKfiiiPfSC_PS2_PT2_iSB_SB_@rel64+4
	s_delay_alu instid0(SALU_CYCLE_1)
	v_dual_mov_b32 v0, 0xbb3 :: v_dual_mov_b32 v1, s2
	v_mov_b32_e32 v2, s3
	s_add_nc_u64 s[8:9], s[0:1], 0x90
	s_get_pc_i64 s[0:1]
	s_add_nc_u64 s[0:1], s[0:1], __assert_fail@rel64+4
	s_mov_b32 s32, 0
	s_swap_pc_i64 s[30:31], s[0:1]
	.section	.rodata,"a",@progbits
	.p2align	6, 0x0
	.amdhsa_kernel _Z39paged_attention_ll4mi_QKV_mfma16_kernelIDF16_hLN4vllm18Fp8KVCacheDataTypeE1EDF16_Li16ELi64ELi256ELb1ELi1EEvPKT_PKT0_S7_ifPKiS9_S9_iPKfiiiPfSC_PS2_PT2_iSB_SB_
		.amdhsa_group_segment_fixed_size 0
		.amdhsa_private_segment_fixed_size 64
		.amdhsa_kernarg_size 400
		.amdhsa_user_sgpr_count 2
		.amdhsa_user_sgpr_dispatch_ptr 0
		.amdhsa_user_sgpr_queue_ptr 0
		.amdhsa_user_sgpr_kernarg_segment_ptr 1
		.amdhsa_user_sgpr_dispatch_id 0
		.amdhsa_user_sgpr_kernarg_preload_length 0
		.amdhsa_user_sgpr_kernarg_preload_offset 0
		.amdhsa_user_sgpr_private_segment_size 0
		.amdhsa_wavefront_size32 1
		.amdhsa_uses_dynamic_stack 0
		.amdhsa_enable_private_segment 1
		.amdhsa_system_sgpr_workgroup_id_x 1
		.amdhsa_system_sgpr_workgroup_id_y 0
		.amdhsa_system_sgpr_workgroup_id_z 0
		.amdhsa_system_sgpr_workgroup_info 0
		.amdhsa_system_vgpr_workitem_id 0
		.amdhsa_next_free_vgpr 51
		.amdhsa_next_free_sgpr 34
		.amdhsa_named_barrier_count 0
		.amdhsa_reserve_vcc 1
		.amdhsa_float_round_mode_32 0
		.amdhsa_float_round_mode_16_64 0
		.amdhsa_float_denorm_mode_32 3
		.amdhsa_float_denorm_mode_16_64 3
		.amdhsa_fp16_overflow 0
		.amdhsa_memory_ordered 1
		.amdhsa_forward_progress 1
		.amdhsa_inst_pref_size 1
		.amdhsa_round_robin_scheduling 0
		.amdhsa_exception_fp_ieee_invalid_op 0
		.amdhsa_exception_fp_denorm_src 0
		.amdhsa_exception_fp_ieee_div_zero 0
		.amdhsa_exception_fp_ieee_overflow 0
		.amdhsa_exception_fp_ieee_underflow 0
		.amdhsa_exception_fp_ieee_inexact 0
		.amdhsa_exception_int_div_zero 0
	.end_amdhsa_kernel
	.section	.text._Z39paged_attention_ll4mi_QKV_mfma16_kernelIDF16_hLN4vllm18Fp8KVCacheDataTypeE1EDF16_Li16ELi64ELi256ELb1ELi1EEvPKT_PKT0_S7_ifPKiS9_S9_iPKfiiiPfSC_PS2_PT2_iSB_SB_,"axG",@progbits,_Z39paged_attention_ll4mi_QKV_mfma16_kernelIDF16_hLN4vllm18Fp8KVCacheDataTypeE1EDF16_Li16ELi64ELi256ELb1ELi1EEvPKT_PKT0_S7_ifPKiS9_S9_iPKfiiiPfSC_PS2_PT2_iSB_SB_,comdat
.Lfunc_end826:
	.size	_Z39paged_attention_ll4mi_QKV_mfma16_kernelIDF16_hLN4vllm18Fp8KVCacheDataTypeE1EDF16_Li16ELi64ELi256ELb1ELi1EEvPKT_PKT0_S7_ifPKiS9_S9_iPKfiiiPfSC_PS2_PT2_iSB_SB_, .Lfunc_end826-_Z39paged_attention_ll4mi_QKV_mfma16_kernelIDF16_hLN4vllm18Fp8KVCacheDataTypeE1EDF16_Li16ELi64ELi256ELb1ELi1EEvPKT_PKT0_S7_ifPKiS9_S9_iPKfiiiPfSC_PS2_PT2_iSB_SB_
                                        ; -- End function
	.set _Z39paged_attention_ll4mi_QKV_mfma16_kernelIDF16_hLN4vllm18Fp8KVCacheDataTypeE1EDF16_Li16ELi64ELi256ELb1ELi1EEvPKT_PKT0_S7_ifPKiS9_S9_iPKfiiiPfSC_PS2_PT2_iSB_SB_.num_vgpr, max(3, .L__assert_fail.num_vgpr)
	.set _Z39paged_attention_ll4mi_QKV_mfma16_kernelIDF16_hLN4vllm18Fp8KVCacheDataTypeE1EDF16_Li16ELi64ELi256ELb1ELi1EEvPKT_PKT0_S7_ifPKiS9_S9_iPKfiiiPfSC_PS2_PT2_iSB_SB_.num_agpr, max(0, .L__assert_fail.num_agpr)
	.set _Z39paged_attention_ll4mi_QKV_mfma16_kernelIDF16_hLN4vllm18Fp8KVCacheDataTypeE1EDF16_Li16ELi64ELi256ELb1ELi1EEvPKT_PKT0_S7_ifPKiS9_S9_iPKfiiiPfSC_PS2_PT2_iSB_SB_.numbered_sgpr, max(33, .L__assert_fail.numbered_sgpr)
	.set _Z39paged_attention_ll4mi_QKV_mfma16_kernelIDF16_hLN4vllm18Fp8KVCacheDataTypeE1EDF16_Li16ELi64ELi256ELb1ELi1EEvPKT_PKT0_S7_ifPKiS9_S9_iPKfiiiPfSC_PS2_PT2_iSB_SB_.num_named_barrier, max(0, .L__assert_fail.num_named_barrier)
	.set _Z39paged_attention_ll4mi_QKV_mfma16_kernelIDF16_hLN4vllm18Fp8KVCacheDataTypeE1EDF16_Li16ELi64ELi256ELb1ELi1EEvPKT_PKT0_S7_ifPKiS9_S9_iPKfiiiPfSC_PS2_PT2_iSB_SB_.private_seg_size, 0+max(.L__assert_fail.private_seg_size)
	.set _Z39paged_attention_ll4mi_QKV_mfma16_kernelIDF16_hLN4vllm18Fp8KVCacheDataTypeE1EDF16_Li16ELi64ELi256ELb1ELi1EEvPKT_PKT0_S7_ifPKiS9_S9_iPKfiiiPfSC_PS2_PT2_iSB_SB_.uses_vcc, or(1, .L__assert_fail.uses_vcc)
	.set _Z39paged_attention_ll4mi_QKV_mfma16_kernelIDF16_hLN4vllm18Fp8KVCacheDataTypeE1EDF16_Li16ELi64ELi256ELb1ELi1EEvPKT_PKT0_S7_ifPKiS9_S9_iPKfiiiPfSC_PS2_PT2_iSB_SB_.uses_flat_scratch, or(0, .L__assert_fail.uses_flat_scratch)
	.set _Z39paged_attention_ll4mi_QKV_mfma16_kernelIDF16_hLN4vllm18Fp8KVCacheDataTypeE1EDF16_Li16ELi64ELi256ELb1ELi1EEvPKT_PKT0_S7_ifPKiS9_S9_iPKfiiiPfSC_PS2_PT2_iSB_SB_.has_dyn_sized_stack, or(0, .L__assert_fail.has_dyn_sized_stack)
	.set _Z39paged_attention_ll4mi_QKV_mfma16_kernelIDF16_hLN4vllm18Fp8KVCacheDataTypeE1EDF16_Li16ELi64ELi256ELb1ELi1EEvPKT_PKT0_S7_ifPKiS9_S9_iPKfiiiPfSC_PS2_PT2_iSB_SB_.has_recursion, or(0, .L__assert_fail.has_recursion)
	.set _Z39paged_attention_ll4mi_QKV_mfma16_kernelIDF16_hLN4vllm18Fp8KVCacheDataTypeE1EDF16_Li16ELi64ELi256ELb1ELi1EEvPKT_PKT0_S7_ifPKiS9_S9_iPKfiiiPfSC_PS2_PT2_iSB_SB_.has_indirect_call, or(0, .L__assert_fail.has_indirect_call)
	.section	.AMDGPU.csdata,"",@progbits
; Kernel info:
; codeLenInByte = 68
; TotalNumSgprs: 36
; NumVgprs: 51
; ScratchSize: 64
; MemoryBound: 0
; FloatMode: 240
; IeeeMode: 1
; LDSByteSize: 0 bytes/workgroup (compile time only)
; SGPRBlocks: 0
; VGPRBlocks: 3
; NumSGPRsForWavesPerEU: 36
; NumVGPRsForWavesPerEU: 51
; NamedBarCnt: 0
; Occupancy: 16
; WaveLimiterHint : 1
; COMPUTE_PGM_RSRC2:SCRATCH_EN: 1
; COMPUTE_PGM_RSRC2:USER_SGPR: 2
; COMPUTE_PGM_RSRC2:TRAP_HANDLER: 0
; COMPUTE_PGM_RSRC2:TGID_X_EN: 1
; COMPUTE_PGM_RSRC2:TGID_Y_EN: 0
; COMPUTE_PGM_RSRC2:TGID_Z_EN: 0
; COMPUTE_PGM_RSRC2:TIDIG_COMP_CNT: 0
	.section	.text._Z39paged_attention_ll4mi_QKV_mfma16_kernelIDF16_hLN4vllm18Fp8KVCacheDataTypeE1EDF16_Li16ELi64ELi256ELb1ELi2EEvPKT_PKT0_S7_ifPKiS9_S9_iPKfiiiPfSC_PS2_PT2_iSB_SB_,"axG",@progbits,_Z39paged_attention_ll4mi_QKV_mfma16_kernelIDF16_hLN4vllm18Fp8KVCacheDataTypeE1EDF16_Li16ELi64ELi256ELb1ELi2EEvPKT_PKT0_S7_ifPKiS9_S9_iPKfiiiPfSC_PS2_PT2_iSB_SB_,comdat
	.protected	_Z39paged_attention_ll4mi_QKV_mfma16_kernelIDF16_hLN4vllm18Fp8KVCacheDataTypeE1EDF16_Li16ELi64ELi256ELb1ELi2EEvPKT_PKT0_S7_ifPKiS9_S9_iPKfiiiPfSC_PS2_PT2_iSB_SB_ ; -- Begin function _Z39paged_attention_ll4mi_QKV_mfma16_kernelIDF16_hLN4vllm18Fp8KVCacheDataTypeE1EDF16_Li16ELi64ELi256ELb1ELi2EEvPKT_PKT0_S7_ifPKiS9_S9_iPKfiiiPfSC_PS2_PT2_iSB_SB_
	.globl	_Z39paged_attention_ll4mi_QKV_mfma16_kernelIDF16_hLN4vllm18Fp8KVCacheDataTypeE1EDF16_Li16ELi64ELi256ELb1ELi2EEvPKT_PKT0_S7_ifPKiS9_S9_iPKfiiiPfSC_PS2_PT2_iSB_SB_
	.p2align	8
	.type	_Z39paged_attention_ll4mi_QKV_mfma16_kernelIDF16_hLN4vllm18Fp8KVCacheDataTypeE1EDF16_Li16ELi64ELi256ELb1ELi2EEvPKT_PKT0_S7_ifPKiS9_S9_iPKfiiiPfSC_PS2_PT2_iSB_SB_,@function
_Z39paged_attention_ll4mi_QKV_mfma16_kernelIDF16_hLN4vllm18Fp8KVCacheDataTypeE1EDF16_Li16ELi64ELi256ELb1ELi2EEvPKT_PKT0_S7_ifPKiS9_S9_iPKfiiiPfSC_PS2_PT2_iSB_SB_: ; @_Z39paged_attention_ll4mi_QKV_mfma16_kernelIDF16_hLN4vllm18Fp8KVCacheDataTypeE1EDF16_Li16ELi64ELi256ELb1ELi2EEvPKT_PKT0_S7_ifPKiS9_S9_iPKfiiiPfSC_PS2_PT2_iSB_SB_
; %bb.0:
	s_get_pc_i64 s[2:3]
	s_add_nc_u64 s[2:3], s[2:3], __PRETTY_FUNCTION__._Z39paged_attention_ll4mi_QKV_mfma16_kernelIDF16_hLN4vllm18Fp8KVCacheDataTypeE1EDF16_Li16ELi64ELi256ELb1ELi2EEvPKT_PKT0_S7_ifPKiS9_S9_iPKfiiiPfSC_PS2_PT2_iSB_SB_@rel64+4
	s_delay_alu instid0(SALU_CYCLE_1)
	v_dual_mov_b32 v0, 0xbb3 :: v_dual_mov_b32 v1, s2
	v_mov_b32_e32 v2, s3
	s_add_nc_u64 s[8:9], s[0:1], 0x90
	s_get_pc_i64 s[0:1]
	s_add_nc_u64 s[0:1], s[0:1], __assert_fail@rel64+4
	s_mov_b32 s32, 0
	s_swap_pc_i64 s[30:31], s[0:1]
	.section	.rodata,"a",@progbits
	.p2align	6, 0x0
	.amdhsa_kernel _Z39paged_attention_ll4mi_QKV_mfma16_kernelIDF16_hLN4vllm18Fp8KVCacheDataTypeE1EDF16_Li16ELi64ELi256ELb1ELi2EEvPKT_PKT0_S7_ifPKiS9_S9_iPKfiiiPfSC_PS2_PT2_iSB_SB_
		.amdhsa_group_segment_fixed_size 0
		.amdhsa_private_segment_fixed_size 64
		.amdhsa_kernarg_size 400
		.amdhsa_user_sgpr_count 2
		.amdhsa_user_sgpr_dispatch_ptr 0
		.amdhsa_user_sgpr_queue_ptr 0
		.amdhsa_user_sgpr_kernarg_segment_ptr 1
		.amdhsa_user_sgpr_dispatch_id 0
		.amdhsa_user_sgpr_kernarg_preload_length 0
		.amdhsa_user_sgpr_kernarg_preload_offset 0
		.amdhsa_user_sgpr_private_segment_size 0
		.amdhsa_wavefront_size32 1
		.amdhsa_uses_dynamic_stack 0
		.amdhsa_enable_private_segment 1
		.amdhsa_system_sgpr_workgroup_id_x 1
		.amdhsa_system_sgpr_workgroup_id_y 0
		.amdhsa_system_sgpr_workgroup_id_z 0
		.amdhsa_system_sgpr_workgroup_info 0
		.amdhsa_system_vgpr_workitem_id 0
		.amdhsa_next_free_vgpr 51
		.amdhsa_next_free_sgpr 34
		.amdhsa_named_barrier_count 0
		.amdhsa_reserve_vcc 1
		.amdhsa_float_round_mode_32 0
		.amdhsa_float_round_mode_16_64 0
		.amdhsa_float_denorm_mode_32 3
		.amdhsa_float_denorm_mode_16_64 3
		.amdhsa_fp16_overflow 0
		.amdhsa_memory_ordered 1
		.amdhsa_forward_progress 1
		.amdhsa_inst_pref_size 1
		.amdhsa_round_robin_scheduling 0
		.amdhsa_exception_fp_ieee_invalid_op 0
		.amdhsa_exception_fp_denorm_src 0
		.amdhsa_exception_fp_ieee_div_zero 0
		.amdhsa_exception_fp_ieee_overflow 0
		.amdhsa_exception_fp_ieee_underflow 0
		.amdhsa_exception_fp_ieee_inexact 0
		.amdhsa_exception_int_div_zero 0
	.end_amdhsa_kernel
	.section	.text._Z39paged_attention_ll4mi_QKV_mfma16_kernelIDF16_hLN4vllm18Fp8KVCacheDataTypeE1EDF16_Li16ELi64ELi256ELb1ELi2EEvPKT_PKT0_S7_ifPKiS9_S9_iPKfiiiPfSC_PS2_PT2_iSB_SB_,"axG",@progbits,_Z39paged_attention_ll4mi_QKV_mfma16_kernelIDF16_hLN4vllm18Fp8KVCacheDataTypeE1EDF16_Li16ELi64ELi256ELb1ELi2EEvPKT_PKT0_S7_ifPKiS9_S9_iPKfiiiPfSC_PS2_PT2_iSB_SB_,comdat
.Lfunc_end827:
	.size	_Z39paged_attention_ll4mi_QKV_mfma16_kernelIDF16_hLN4vllm18Fp8KVCacheDataTypeE1EDF16_Li16ELi64ELi256ELb1ELi2EEvPKT_PKT0_S7_ifPKiS9_S9_iPKfiiiPfSC_PS2_PT2_iSB_SB_, .Lfunc_end827-_Z39paged_attention_ll4mi_QKV_mfma16_kernelIDF16_hLN4vllm18Fp8KVCacheDataTypeE1EDF16_Li16ELi64ELi256ELb1ELi2EEvPKT_PKT0_S7_ifPKiS9_S9_iPKfiiiPfSC_PS2_PT2_iSB_SB_
                                        ; -- End function
	.set _Z39paged_attention_ll4mi_QKV_mfma16_kernelIDF16_hLN4vllm18Fp8KVCacheDataTypeE1EDF16_Li16ELi64ELi256ELb1ELi2EEvPKT_PKT0_S7_ifPKiS9_S9_iPKfiiiPfSC_PS2_PT2_iSB_SB_.num_vgpr, max(3, .L__assert_fail.num_vgpr)
	.set _Z39paged_attention_ll4mi_QKV_mfma16_kernelIDF16_hLN4vllm18Fp8KVCacheDataTypeE1EDF16_Li16ELi64ELi256ELb1ELi2EEvPKT_PKT0_S7_ifPKiS9_S9_iPKfiiiPfSC_PS2_PT2_iSB_SB_.num_agpr, max(0, .L__assert_fail.num_agpr)
	.set _Z39paged_attention_ll4mi_QKV_mfma16_kernelIDF16_hLN4vllm18Fp8KVCacheDataTypeE1EDF16_Li16ELi64ELi256ELb1ELi2EEvPKT_PKT0_S7_ifPKiS9_S9_iPKfiiiPfSC_PS2_PT2_iSB_SB_.numbered_sgpr, max(33, .L__assert_fail.numbered_sgpr)
	.set _Z39paged_attention_ll4mi_QKV_mfma16_kernelIDF16_hLN4vllm18Fp8KVCacheDataTypeE1EDF16_Li16ELi64ELi256ELb1ELi2EEvPKT_PKT0_S7_ifPKiS9_S9_iPKfiiiPfSC_PS2_PT2_iSB_SB_.num_named_barrier, max(0, .L__assert_fail.num_named_barrier)
	.set _Z39paged_attention_ll4mi_QKV_mfma16_kernelIDF16_hLN4vllm18Fp8KVCacheDataTypeE1EDF16_Li16ELi64ELi256ELb1ELi2EEvPKT_PKT0_S7_ifPKiS9_S9_iPKfiiiPfSC_PS2_PT2_iSB_SB_.private_seg_size, 0+max(.L__assert_fail.private_seg_size)
	.set _Z39paged_attention_ll4mi_QKV_mfma16_kernelIDF16_hLN4vllm18Fp8KVCacheDataTypeE1EDF16_Li16ELi64ELi256ELb1ELi2EEvPKT_PKT0_S7_ifPKiS9_S9_iPKfiiiPfSC_PS2_PT2_iSB_SB_.uses_vcc, or(1, .L__assert_fail.uses_vcc)
	.set _Z39paged_attention_ll4mi_QKV_mfma16_kernelIDF16_hLN4vllm18Fp8KVCacheDataTypeE1EDF16_Li16ELi64ELi256ELb1ELi2EEvPKT_PKT0_S7_ifPKiS9_S9_iPKfiiiPfSC_PS2_PT2_iSB_SB_.uses_flat_scratch, or(0, .L__assert_fail.uses_flat_scratch)
	.set _Z39paged_attention_ll4mi_QKV_mfma16_kernelIDF16_hLN4vllm18Fp8KVCacheDataTypeE1EDF16_Li16ELi64ELi256ELb1ELi2EEvPKT_PKT0_S7_ifPKiS9_S9_iPKfiiiPfSC_PS2_PT2_iSB_SB_.has_dyn_sized_stack, or(0, .L__assert_fail.has_dyn_sized_stack)
	.set _Z39paged_attention_ll4mi_QKV_mfma16_kernelIDF16_hLN4vllm18Fp8KVCacheDataTypeE1EDF16_Li16ELi64ELi256ELb1ELi2EEvPKT_PKT0_S7_ifPKiS9_S9_iPKfiiiPfSC_PS2_PT2_iSB_SB_.has_recursion, or(0, .L__assert_fail.has_recursion)
	.set _Z39paged_attention_ll4mi_QKV_mfma16_kernelIDF16_hLN4vllm18Fp8KVCacheDataTypeE1EDF16_Li16ELi64ELi256ELb1ELi2EEvPKT_PKT0_S7_ifPKiS9_S9_iPKfiiiPfSC_PS2_PT2_iSB_SB_.has_indirect_call, or(0, .L__assert_fail.has_indirect_call)
	.section	.AMDGPU.csdata,"",@progbits
; Kernel info:
; codeLenInByte = 68
; TotalNumSgprs: 36
; NumVgprs: 51
; ScratchSize: 64
; MemoryBound: 0
; FloatMode: 240
; IeeeMode: 1
; LDSByteSize: 0 bytes/workgroup (compile time only)
; SGPRBlocks: 0
; VGPRBlocks: 3
; NumSGPRsForWavesPerEU: 36
; NumVGPRsForWavesPerEU: 51
; NamedBarCnt: 0
; Occupancy: 16
; WaveLimiterHint : 1
; COMPUTE_PGM_RSRC2:SCRATCH_EN: 1
; COMPUTE_PGM_RSRC2:USER_SGPR: 2
; COMPUTE_PGM_RSRC2:TRAP_HANDLER: 0
; COMPUTE_PGM_RSRC2:TGID_X_EN: 1
; COMPUTE_PGM_RSRC2:TGID_Y_EN: 0
; COMPUTE_PGM_RSRC2:TGID_Z_EN: 0
; COMPUTE_PGM_RSRC2:TIDIG_COMP_CNT: 0
	.section	.text._Z39paged_attention_ll4mi_QKV_mfma16_kernelIDF16_hLN4vllm18Fp8KVCacheDataTypeE1EDF16_Li16ELi64ELi256ELb1ELi3EEvPKT_PKT0_S7_ifPKiS9_S9_iPKfiiiPfSC_PS2_PT2_iSB_SB_,"axG",@progbits,_Z39paged_attention_ll4mi_QKV_mfma16_kernelIDF16_hLN4vllm18Fp8KVCacheDataTypeE1EDF16_Li16ELi64ELi256ELb1ELi3EEvPKT_PKT0_S7_ifPKiS9_S9_iPKfiiiPfSC_PS2_PT2_iSB_SB_,comdat
	.protected	_Z39paged_attention_ll4mi_QKV_mfma16_kernelIDF16_hLN4vllm18Fp8KVCacheDataTypeE1EDF16_Li16ELi64ELi256ELb1ELi3EEvPKT_PKT0_S7_ifPKiS9_S9_iPKfiiiPfSC_PS2_PT2_iSB_SB_ ; -- Begin function _Z39paged_attention_ll4mi_QKV_mfma16_kernelIDF16_hLN4vllm18Fp8KVCacheDataTypeE1EDF16_Li16ELi64ELi256ELb1ELi3EEvPKT_PKT0_S7_ifPKiS9_S9_iPKfiiiPfSC_PS2_PT2_iSB_SB_
	.globl	_Z39paged_attention_ll4mi_QKV_mfma16_kernelIDF16_hLN4vllm18Fp8KVCacheDataTypeE1EDF16_Li16ELi64ELi256ELb1ELi3EEvPKT_PKT0_S7_ifPKiS9_S9_iPKfiiiPfSC_PS2_PT2_iSB_SB_
	.p2align	8
	.type	_Z39paged_attention_ll4mi_QKV_mfma16_kernelIDF16_hLN4vllm18Fp8KVCacheDataTypeE1EDF16_Li16ELi64ELi256ELb1ELi3EEvPKT_PKT0_S7_ifPKiS9_S9_iPKfiiiPfSC_PS2_PT2_iSB_SB_,@function
_Z39paged_attention_ll4mi_QKV_mfma16_kernelIDF16_hLN4vllm18Fp8KVCacheDataTypeE1EDF16_Li16ELi64ELi256ELb1ELi3EEvPKT_PKT0_S7_ifPKiS9_S9_iPKfiiiPfSC_PS2_PT2_iSB_SB_: ; @_Z39paged_attention_ll4mi_QKV_mfma16_kernelIDF16_hLN4vllm18Fp8KVCacheDataTypeE1EDF16_Li16ELi64ELi256ELb1ELi3EEvPKT_PKT0_S7_ifPKiS9_S9_iPKfiiiPfSC_PS2_PT2_iSB_SB_
; %bb.0:
	s_get_pc_i64 s[2:3]
	s_add_nc_u64 s[2:3], s[2:3], __PRETTY_FUNCTION__._Z39paged_attention_ll4mi_QKV_mfma16_kernelIDF16_hLN4vllm18Fp8KVCacheDataTypeE1EDF16_Li16ELi64ELi256ELb1ELi3EEvPKT_PKT0_S7_ifPKiS9_S9_iPKfiiiPfSC_PS2_PT2_iSB_SB_@rel64+4
	s_delay_alu instid0(SALU_CYCLE_1)
	v_dual_mov_b32 v0, 0xbb3 :: v_dual_mov_b32 v1, s2
	v_mov_b32_e32 v2, s3
	s_add_nc_u64 s[8:9], s[0:1], 0x90
	s_get_pc_i64 s[0:1]
	s_add_nc_u64 s[0:1], s[0:1], __assert_fail@rel64+4
	s_mov_b32 s32, 0
	s_swap_pc_i64 s[30:31], s[0:1]
	.section	.rodata,"a",@progbits
	.p2align	6, 0x0
	.amdhsa_kernel _Z39paged_attention_ll4mi_QKV_mfma16_kernelIDF16_hLN4vllm18Fp8KVCacheDataTypeE1EDF16_Li16ELi64ELi256ELb1ELi3EEvPKT_PKT0_S7_ifPKiS9_S9_iPKfiiiPfSC_PS2_PT2_iSB_SB_
		.amdhsa_group_segment_fixed_size 0
		.amdhsa_private_segment_fixed_size 64
		.amdhsa_kernarg_size 400
		.amdhsa_user_sgpr_count 2
		.amdhsa_user_sgpr_dispatch_ptr 0
		.amdhsa_user_sgpr_queue_ptr 0
		.amdhsa_user_sgpr_kernarg_segment_ptr 1
		.amdhsa_user_sgpr_dispatch_id 0
		.amdhsa_user_sgpr_kernarg_preload_length 0
		.amdhsa_user_sgpr_kernarg_preload_offset 0
		.amdhsa_user_sgpr_private_segment_size 0
		.amdhsa_wavefront_size32 1
		.amdhsa_uses_dynamic_stack 0
		.amdhsa_enable_private_segment 1
		.amdhsa_system_sgpr_workgroup_id_x 1
		.amdhsa_system_sgpr_workgroup_id_y 0
		.amdhsa_system_sgpr_workgroup_id_z 0
		.amdhsa_system_sgpr_workgroup_info 0
		.amdhsa_system_vgpr_workitem_id 0
		.amdhsa_next_free_vgpr 51
		.amdhsa_next_free_sgpr 34
		.amdhsa_named_barrier_count 0
		.amdhsa_reserve_vcc 1
		.amdhsa_float_round_mode_32 0
		.amdhsa_float_round_mode_16_64 0
		.amdhsa_float_denorm_mode_32 3
		.amdhsa_float_denorm_mode_16_64 3
		.amdhsa_fp16_overflow 0
		.amdhsa_memory_ordered 1
		.amdhsa_forward_progress 1
		.amdhsa_inst_pref_size 1
		.amdhsa_round_robin_scheduling 0
		.amdhsa_exception_fp_ieee_invalid_op 0
		.amdhsa_exception_fp_denorm_src 0
		.amdhsa_exception_fp_ieee_div_zero 0
		.amdhsa_exception_fp_ieee_overflow 0
		.amdhsa_exception_fp_ieee_underflow 0
		.amdhsa_exception_fp_ieee_inexact 0
		.amdhsa_exception_int_div_zero 0
	.end_amdhsa_kernel
	.section	.text._Z39paged_attention_ll4mi_QKV_mfma16_kernelIDF16_hLN4vllm18Fp8KVCacheDataTypeE1EDF16_Li16ELi64ELi256ELb1ELi3EEvPKT_PKT0_S7_ifPKiS9_S9_iPKfiiiPfSC_PS2_PT2_iSB_SB_,"axG",@progbits,_Z39paged_attention_ll4mi_QKV_mfma16_kernelIDF16_hLN4vllm18Fp8KVCacheDataTypeE1EDF16_Li16ELi64ELi256ELb1ELi3EEvPKT_PKT0_S7_ifPKiS9_S9_iPKfiiiPfSC_PS2_PT2_iSB_SB_,comdat
.Lfunc_end828:
	.size	_Z39paged_attention_ll4mi_QKV_mfma16_kernelIDF16_hLN4vllm18Fp8KVCacheDataTypeE1EDF16_Li16ELi64ELi256ELb1ELi3EEvPKT_PKT0_S7_ifPKiS9_S9_iPKfiiiPfSC_PS2_PT2_iSB_SB_, .Lfunc_end828-_Z39paged_attention_ll4mi_QKV_mfma16_kernelIDF16_hLN4vllm18Fp8KVCacheDataTypeE1EDF16_Li16ELi64ELi256ELb1ELi3EEvPKT_PKT0_S7_ifPKiS9_S9_iPKfiiiPfSC_PS2_PT2_iSB_SB_
                                        ; -- End function
	.set _Z39paged_attention_ll4mi_QKV_mfma16_kernelIDF16_hLN4vllm18Fp8KVCacheDataTypeE1EDF16_Li16ELi64ELi256ELb1ELi3EEvPKT_PKT0_S7_ifPKiS9_S9_iPKfiiiPfSC_PS2_PT2_iSB_SB_.num_vgpr, max(3, .L__assert_fail.num_vgpr)
	.set _Z39paged_attention_ll4mi_QKV_mfma16_kernelIDF16_hLN4vllm18Fp8KVCacheDataTypeE1EDF16_Li16ELi64ELi256ELb1ELi3EEvPKT_PKT0_S7_ifPKiS9_S9_iPKfiiiPfSC_PS2_PT2_iSB_SB_.num_agpr, max(0, .L__assert_fail.num_agpr)
	.set _Z39paged_attention_ll4mi_QKV_mfma16_kernelIDF16_hLN4vllm18Fp8KVCacheDataTypeE1EDF16_Li16ELi64ELi256ELb1ELi3EEvPKT_PKT0_S7_ifPKiS9_S9_iPKfiiiPfSC_PS2_PT2_iSB_SB_.numbered_sgpr, max(33, .L__assert_fail.numbered_sgpr)
	.set _Z39paged_attention_ll4mi_QKV_mfma16_kernelIDF16_hLN4vllm18Fp8KVCacheDataTypeE1EDF16_Li16ELi64ELi256ELb1ELi3EEvPKT_PKT0_S7_ifPKiS9_S9_iPKfiiiPfSC_PS2_PT2_iSB_SB_.num_named_barrier, max(0, .L__assert_fail.num_named_barrier)
	.set _Z39paged_attention_ll4mi_QKV_mfma16_kernelIDF16_hLN4vllm18Fp8KVCacheDataTypeE1EDF16_Li16ELi64ELi256ELb1ELi3EEvPKT_PKT0_S7_ifPKiS9_S9_iPKfiiiPfSC_PS2_PT2_iSB_SB_.private_seg_size, 0+max(.L__assert_fail.private_seg_size)
	.set _Z39paged_attention_ll4mi_QKV_mfma16_kernelIDF16_hLN4vllm18Fp8KVCacheDataTypeE1EDF16_Li16ELi64ELi256ELb1ELi3EEvPKT_PKT0_S7_ifPKiS9_S9_iPKfiiiPfSC_PS2_PT2_iSB_SB_.uses_vcc, or(1, .L__assert_fail.uses_vcc)
	.set _Z39paged_attention_ll4mi_QKV_mfma16_kernelIDF16_hLN4vllm18Fp8KVCacheDataTypeE1EDF16_Li16ELi64ELi256ELb1ELi3EEvPKT_PKT0_S7_ifPKiS9_S9_iPKfiiiPfSC_PS2_PT2_iSB_SB_.uses_flat_scratch, or(0, .L__assert_fail.uses_flat_scratch)
	.set _Z39paged_attention_ll4mi_QKV_mfma16_kernelIDF16_hLN4vllm18Fp8KVCacheDataTypeE1EDF16_Li16ELi64ELi256ELb1ELi3EEvPKT_PKT0_S7_ifPKiS9_S9_iPKfiiiPfSC_PS2_PT2_iSB_SB_.has_dyn_sized_stack, or(0, .L__assert_fail.has_dyn_sized_stack)
	.set _Z39paged_attention_ll4mi_QKV_mfma16_kernelIDF16_hLN4vllm18Fp8KVCacheDataTypeE1EDF16_Li16ELi64ELi256ELb1ELi3EEvPKT_PKT0_S7_ifPKiS9_S9_iPKfiiiPfSC_PS2_PT2_iSB_SB_.has_recursion, or(0, .L__assert_fail.has_recursion)
	.set _Z39paged_attention_ll4mi_QKV_mfma16_kernelIDF16_hLN4vllm18Fp8KVCacheDataTypeE1EDF16_Li16ELi64ELi256ELb1ELi3EEvPKT_PKT0_S7_ifPKiS9_S9_iPKfiiiPfSC_PS2_PT2_iSB_SB_.has_indirect_call, or(0, .L__assert_fail.has_indirect_call)
	.section	.AMDGPU.csdata,"",@progbits
; Kernel info:
; codeLenInByte = 68
; TotalNumSgprs: 36
; NumVgprs: 51
; ScratchSize: 64
; MemoryBound: 0
; FloatMode: 240
; IeeeMode: 1
; LDSByteSize: 0 bytes/workgroup (compile time only)
; SGPRBlocks: 0
; VGPRBlocks: 3
; NumSGPRsForWavesPerEU: 36
; NumVGPRsForWavesPerEU: 51
; NamedBarCnt: 0
; Occupancy: 16
; WaveLimiterHint : 1
; COMPUTE_PGM_RSRC2:SCRATCH_EN: 1
; COMPUTE_PGM_RSRC2:USER_SGPR: 2
; COMPUTE_PGM_RSRC2:TRAP_HANDLER: 0
; COMPUTE_PGM_RSRC2:TGID_X_EN: 1
; COMPUTE_PGM_RSRC2:TGID_Y_EN: 0
; COMPUTE_PGM_RSRC2:TGID_Z_EN: 0
; COMPUTE_PGM_RSRC2:TIDIG_COMP_CNT: 0
	.section	.text._Z39paged_attention_ll4mi_QKV_mfma16_kernelIDF16_hLN4vllm18Fp8KVCacheDataTypeE1EDF16_Li16ELi64ELi256ELb1ELi4EEvPKT_PKT0_S7_ifPKiS9_S9_iPKfiiiPfSC_PS2_PT2_iSB_SB_,"axG",@progbits,_Z39paged_attention_ll4mi_QKV_mfma16_kernelIDF16_hLN4vllm18Fp8KVCacheDataTypeE1EDF16_Li16ELi64ELi256ELb1ELi4EEvPKT_PKT0_S7_ifPKiS9_S9_iPKfiiiPfSC_PS2_PT2_iSB_SB_,comdat
	.protected	_Z39paged_attention_ll4mi_QKV_mfma16_kernelIDF16_hLN4vllm18Fp8KVCacheDataTypeE1EDF16_Li16ELi64ELi256ELb1ELi4EEvPKT_PKT0_S7_ifPKiS9_S9_iPKfiiiPfSC_PS2_PT2_iSB_SB_ ; -- Begin function _Z39paged_attention_ll4mi_QKV_mfma16_kernelIDF16_hLN4vllm18Fp8KVCacheDataTypeE1EDF16_Li16ELi64ELi256ELb1ELi4EEvPKT_PKT0_S7_ifPKiS9_S9_iPKfiiiPfSC_PS2_PT2_iSB_SB_
	.globl	_Z39paged_attention_ll4mi_QKV_mfma16_kernelIDF16_hLN4vllm18Fp8KVCacheDataTypeE1EDF16_Li16ELi64ELi256ELb1ELi4EEvPKT_PKT0_S7_ifPKiS9_S9_iPKfiiiPfSC_PS2_PT2_iSB_SB_
	.p2align	8
	.type	_Z39paged_attention_ll4mi_QKV_mfma16_kernelIDF16_hLN4vllm18Fp8KVCacheDataTypeE1EDF16_Li16ELi64ELi256ELb1ELi4EEvPKT_PKT0_S7_ifPKiS9_S9_iPKfiiiPfSC_PS2_PT2_iSB_SB_,@function
_Z39paged_attention_ll4mi_QKV_mfma16_kernelIDF16_hLN4vllm18Fp8KVCacheDataTypeE1EDF16_Li16ELi64ELi256ELb1ELi4EEvPKT_PKT0_S7_ifPKiS9_S9_iPKfiiiPfSC_PS2_PT2_iSB_SB_: ; @_Z39paged_attention_ll4mi_QKV_mfma16_kernelIDF16_hLN4vllm18Fp8KVCacheDataTypeE1EDF16_Li16ELi64ELi256ELb1ELi4EEvPKT_PKT0_S7_ifPKiS9_S9_iPKfiiiPfSC_PS2_PT2_iSB_SB_
; %bb.0:
	s_get_pc_i64 s[2:3]
	s_add_nc_u64 s[2:3], s[2:3], __PRETTY_FUNCTION__._Z39paged_attention_ll4mi_QKV_mfma16_kernelIDF16_hLN4vllm18Fp8KVCacheDataTypeE1EDF16_Li16ELi64ELi256ELb1ELi4EEvPKT_PKT0_S7_ifPKiS9_S9_iPKfiiiPfSC_PS2_PT2_iSB_SB_@rel64+4
	s_delay_alu instid0(SALU_CYCLE_1)
	v_dual_mov_b32 v0, 0xbb3 :: v_dual_mov_b32 v1, s2
	v_mov_b32_e32 v2, s3
	s_add_nc_u64 s[8:9], s[0:1], 0x90
	s_get_pc_i64 s[0:1]
	s_add_nc_u64 s[0:1], s[0:1], __assert_fail@rel64+4
	s_mov_b32 s32, 0
	s_swap_pc_i64 s[30:31], s[0:1]
	.section	.rodata,"a",@progbits
	.p2align	6, 0x0
	.amdhsa_kernel _Z39paged_attention_ll4mi_QKV_mfma16_kernelIDF16_hLN4vllm18Fp8KVCacheDataTypeE1EDF16_Li16ELi64ELi256ELb1ELi4EEvPKT_PKT0_S7_ifPKiS9_S9_iPKfiiiPfSC_PS2_PT2_iSB_SB_
		.amdhsa_group_segment_fixed_size 0
		.amdhsa_private_segment_fixed_size 64
		.amdhsa_kernarg_size 400
		.amdhsa_user_sgpr_count 2
		.amdhsa_user_sgpr_dispatch_ptr 0
		.amdhsa_user_sgpr_queue_ptr 0
		.amdhsa_user_sgpr_kernarg_segment_ptr 1
		.amdhsa_user_sgpr_dispatch_id 0
		.amdhsa_user_sgpr_kernarg_preload_length 0
		.amdhsa_user_sgpr_kernarg_preload_offset 0
		.amdhsa_user_sgpr_private_segment_size 0
		.amdhsa_wavefront_size32 1
		.amdhsa_uses_dynamic_stack 0
		.amdhsa_enable_private_segment 1
		.amdhsa_system_sgpr_workgroup_id_x 1
		.amdhsa_system_sgpr_workgroup_id_y 0
		.amdhsa_system_sgpr_workgroup_id_z 0
		.amdhsa_system_sgpr_workgroup_info 0
		.amdhsa_system_vgpr_workitem_id 0
		.amdhsa_next_free_vgpr 51
		.amdhsa_next_free_sgpr 34
		.amdhsa_named_barrier_count 0
		.amdhsa_reserve_vcc 1
		.amdhsa_float_round_mode_32 0
		.amdhsa_float_round_mode_16_64 0
		.amdhsa_float_denorm_mode_32 3
		.amdhsa_float_denorm_mode_16_64 3
		.amdhsa_fp16_overflow 0
		.amdhsa_memory_ordered 1
		.amdhsa_forward_progress 1
		.amdhsa_inst_pref_size 1
		.amdhsa_round_robin_scheduling 0
		.amdhsa_exception_fp_ieee_invalid_op 0
		.amdhsa_exception_fp_denorm_src 0
		.amdhsa_exception_fp_ieee_div_zero 0
		.amdhsa_exception_fp_ieee_overflow 0
		.amdhsa_exception_fp_ieee_underflow 0
		.amdhsa_exception_fp_ieee_inexact 0
		.amdhsa_exception_int_div_zero 0
	.end_amdhsa_kernel
	.section	.text._Z39paged_attention_ll4mi_QKV_mfma16_kernelIDF16_hLN4vllm18Fp8KVCacheDataTypeE1EDF16_Li16ELi64ELi256ELb1ELi4EEvPKT_PKT0_S7_ifPKiS9_S9_iPKfiiiPfSC_PS2_PT2_iSB_SB_,"axG",@progbits,_Z39paged_attention_ll4mi_QKV_mfma16_kernelIDF16_hLN4vllm18Fp8KVCacheDataTypeE1EDF16_Li16ELi64ELi256ELb1ELi4EEvPKT_PKT0_S7_ifPKiS9_S9_iPKfiiiPfSC_PS2_PT2_iSB_SB_,comdat
.Lfunc_end829:
	.size	_Z39paged_attention_ll4mi_QKV_mfma16_kernelIDF16_hLN4vllm18Fp8KVCacheDataTypeE1EDF16_Li16ELi64ELi256ELb1ELi4EEvPKT_PKT0_S7_ifPKiS9_S9_iPKfiiiPfSC_PS2_PT2_iSB_SB_, .Lfunc_end829-_Z39paged_attention_ll4mi_QKV_mfma16_kernelIDF16_hLN4vllm18Fp8KVCacheDataTypeE1EDF16_Li16ELi64ELi256ELb1ELi4EEvPKT_PKT0_S7_ifPKiS9_S9_iPKfiiiPfSC_PS2_PT2_iSB_SB_
                                        ; -- End function
	.set _Z39paged_attention_ll4mi_QKV_mfma16_kernelIDF16_hLN4vllm18Fp8KVCacheDataTypeE1EDF16_Li16ELi64ELi256ELb1ELi4EEvPKT_PKT0_S7_ifPKiS9_S9_iPKfiiiPfSC_PS2_PT2_iSB_SB_.num_vgpr, max(3, .L__assert_fail.num_vgpr)
	.set _Z39paged_attention_ll4mi_QKV_mfma16_kernelIDF16_hLN4vllm18Fp8KVCacheDataTypeE1EDF16_Li16ELi64ELi256ELb1ELi4EEvPKT_PKT0_S7_ifPKiS9_S9_iPKfiiiPfSC_PS2_PT2_iSB_SB_.num_agpr, max(0, .L__assert_fail.num_agpr)
	.set _Z39paged_attention_ll4mi_QKV_mfma16_kernelIDF16_hLN4vllm18Fp8KVCacheDataTypeE1EDF16_Li16ELi64ELi256ELb1ELi4EEvPKT_PKT0_S7_ifPKiS9_S9_iPKfiiiPfSC_PS2_PT2_iSB_SB_.numbered_sgpr, max(33, .L__assert_fail.numbered_sgpr)
	.set _Z39paged_attention_ll4mi_QKV_mfma16_kernelIDF16_hLN4vllm18Fp8KVCacheDataTypeE1EDF16_Li16ELi64ELi256ELb1ELi4EEvPKT_PKT0_S7_ifPKiS9_S9_iPKfiiiPfSC_PS2_PT2_iSB_SB_.num_named_barrier, max(0, .L__assert_fail.num_named_barrier)
	.set _Z39paged_attention_ll4mi_QKV_mfma16_kernelIDF16_hLN4vllm18Fp8KVCacheDataTypeE1EDF16_Li16ELi64ELi256ELb1ELi4EEvPKT_PKT0_S7_ifPKiS9_S9_iPKfiiiPfSC_PS2_PT2_iSB_SB_.private_seg_size, 0+max(.L__assert_fail.private_seg_size)
	.set _Z39paged_attention_ll4mi_QKV_mfma16_kernelIDF16_hLN4vllm18Fp8KVCacheDataTypeE1EDF16_Li16ELi64ELi256ELb1ELi4EEvPKT_PKT0_S7_ifPKiS9_S9_iPKfiiiPfSC_PS2_PT2_iSB_SB_.uses_vcc, or(1, .L__assert_fail.uses_vcc)
	.set _Z39paged_attention_ll4mi_QKV_mfma16_kernelIDF16_hLN4vllm18Fp8KVCacheDataTypeE1EDF16_Li16ELi64ELi256ELb1ELi4EEvPKT_PKT0_S7_ifPKiS9_S9_iPKfiiiPfSC_PS2_PT2_iSB_SB_.uses_flat_scratch, or(0, .L__assert_fail.uses_flat_scratch)
	.set _Z39paged_attention_ll4mi_QKV_mfma16_kernelIDF16_hLN4vllm18Fp8KVCacheDataTypeE1EDF16_Li16ELi64ELi256ELb1ELi4EEvPKT_PKT0_S7_ifPKiS9_S9_iPKfiiiPfSC_PS2_PT2_iSB_SB_.has_dyn_sized_stack, or(0, .L__assert_fail.has_dyn_sized_stack)
	.set _Z39paged_attention_ll4mi_QKV_mfma16_kernelIDF16_hLN4vllm18Fp8KVCacheDataTypeE1EDF16_Li16ELi64ELi256ELb1ELi4EEvPKT_PKT0_S7_ifPKiS9_S9_iPKfiiiPfSC_PS2_PT2_iSB_SB_.has_recursion, or(0, .L__assert_fail.has_recursion)
	.set _Z39paged_attention_ll4mi_QKV_mfma16_kernelIDF16_hLN4vllm18Fp8KVCacheDataTypeE1EDF16_Li16ELi64ELi256ELb1ELi4EEvPKT_PKT0_S7_ifPKiS9_S9_iPKfiiiPfSC_PS2_PT2_iSB_SB_.has_indirect_call, or(0, .L__assert_fail.has_indirect_call)
	.section	.AMDGPU.csdata,"",@progbits
; Kernel info:
; codeLenInByte = 68
; TotalNumSgprs: 36
; NumVgprs: 51
; ScratchSize: 64
; MemoryBound: 0
; FloatMode: 240
; IeeeMode: 1
; LDSByteSize: 0 bytes/workgroup (compile time only)
; SGPRBlocks: 0
; VGPRBlocks: 3
; NumSGPRsForWavesPerEU: 36
; NumVGPRsForWavesPerEU: 51
; NamedBarCnt: 0
; Occupancy: 16
; WaveLimiterHint : 1
; COMPUTE_PGM_RSRC2:SCRATCH_EN: 1
; COMPUTE_PGM_RSRC2:USER_SGPR: 2
; COMPUTE_PGM_RSRC2:TRAP_HANDLER: 0
; COMPUTE_PGM_RSRC2:TGID_X_EN: 1
; COMPUTE_PGM_RSRC2:TGID_Y_EN: 0
; COMPUTE_PGM_RSRC2:TGID_Z_EN: 0
; COMPUTE_PGM_RSRC2:TIDIG_COMP_CNT: 0
	.section	.text._Z38paged_attention_ll4mi_QKV_mfma4_kernelIDF16_hLN4vllm18Fp8KVCacheDataTypeE1EDF16_Li16ELi64ELi256ELb0ELi1EEvPKT_PKT0_S7_ifPKiS9_S9_iPKfiiiPfSC_PS2_PT2_iSB_SB_,"axG",@progbits,_Z38paged_attention_ll4mi_QKV_mfma4_kernelIDF16_hLN4vllm18Fp8KVCacheDataTypeE1EDF16_Li16ELi64ELi256ELb0ELi1EEvPKT_PKT0_S7_ifPKiS9_S9_iPKfiiiPfSC_PS2_PT2_iSB_SB_,comdat
	.protected	_Z38paged_attention_ll4mi_QKV_mfma4_kernelIDF16_hLN4vllm18Fp8KVCacheDataTypeE1EDF16_Li16ELi64ELi256ELb0ELi1EEvPKT_PKT0_S7_ifPKiS9_S9_iPKfiiiPfSC_PS2_PT2_iSB_SB_ ; -- Begin function _Z38paged_attention_ll4mi_QKV_mfma4_kernelIDF16_hLN4vllm18Fp8KVCacheDataTypeE1EDF16_Li16ELi64ELi256ELb0ELi1EEvPKT_PKT0_S7_ifPKiS9_S9_iPKfiiiPfSC_PS2_PT2_iSB_SB_
	.globl	_Z38paged_attention_ll4mi_QKV_mfma4_kernelIDF16_hLN4vllm18Fp8KVCacheDataTypeE1EDF16_Li16ELi64ELi256ELb0ELi1EEvPKT_PKT0_S7_ifPKiS9_S9_iPKfiiiPfSC_PS2_PT2_iSB_SB_
	.p2align	8
	.type	_Z38paged_attention_ll4mi_QKV_mfma4_kernelIDF16_hLN4vllm18Fp8KVCacheDataTypeE1EDF16_Li16ELi64ELi256ELb0ELi1EEvPKT_PKT0_S7_ifPKiS9_S9_iPKfiiiPfSC_PS2_PT2_iSB_SB_,@function
_Z38paged_attention_ll4mi_QKV_mfma4_kernelIDF16_hLN4vllm18Fp8KVCacheDataTypeE1EDF16_Li16ELi64ELi256ELb0ELi1EEvPKT_PKT0_S7_ifPKiS9_S9_iPKfiiiPfSC_PS2_PT2_iSB_SB_: ; @_Z38paged_attention_ll4mi_QKV_mfma4_kernelIDF16_hLN4vllm18Fp8KVCacheDataTypeE1EDF16_Li16ELi64ELi256ELb0ELi1EEvPKT_PKT0_S7_ifPKiS9_S9_iPKfiiiPfSC_PS2_PT2_iSB_SB_
; %bb.0:
	s_get_pc_i64 s[2:3]
	s_add_nc_u64 s[2:3], s[2:3], __PRETTY_FUNCTION__._Z38paged_attention_ll4mi_QKV_mfma4_kernelIDF16_hLN4vllm18Fp8KVCacheDataTypeE1EDF16_Li16ELi64ELi256ELb0ELi1EEvPKT_PKT0_S7_ifPKiS9_S9_iPKfiiiPfSC_PS2_PT2_iSB_SB_@rel64+4
	s_delay_alu instid0(SALU_CYCLE_1)
	v_dual_mov_b32 v0, 0xbce :: v_dual_mov_b32 v1, s2
	v_mov_b32_e32 v2, s3
	s_add_nc_u64 s[8:9], s[0:1], 0x90
	s_get_pc_i64 s[0:1]
	s_add_nc_u64 s[0:1], s[0:1], __assert_fail@rel64+4
	s_mov_b32 s32, 0
	s_swap_pc_i64 s[30:31], s[0:1]
	.section	.rodata,"a",@progbits
	.p2align	6, 0x0
	.amdhsa_kernel _Z38paged_attention_ll4mi_QKV_mfma4_kernelIDF16_hLN4vllm18Fp8KVCacheDataTypeE1EDF16_Li16ELi64ELi256ELb0ELi1EEvPKT_PKT0_S7_ifPKiS9_S9_iPKfiiiPfSC_PS2_PT2_iSB_SB_
		.amdhsa_group_segment_fixed_size 0
		.amdhsa_private_segment_fixed_size 64
		.amdhsa_kernarg_size 400
		.amdhsa_user_sgpr_count 2
		.amdhsa_user_sgpr_dispatch_ptr 0
		.amdhsa_user_sgpr_queue_ptr 0
		.amdhsa_user_sgpr_kernarg_segment_ptr 1
		.amdhsa_user_sgpr_dispatch_id 0
		.amdhsa_user_sgpr_kernarg_preload_length 0
		.amdhsa_user_sgpr_kernarg_preload_offset 0
		.amdhsa_user_sgpr_private_segment_size 0
		.amdhsa_wavefront_size32 1
		.amdhsa_uses_dynamic_stack 0
		.amdhsa_enable_private_segment 1
		.amdhsa_system_sgpr_workgroup_id_x 1
		.amdhsa_system_sgpr_workgroup_id_y 0
		.amdhsa_system_sgpr_workgroup_id_z 0
		.amdhsa_system_sgpr_workgroup_info 0
		.amdhsa_system_vgpr_workitem_id 0
		.amdhsa_next_free_vgpr 51
		.amdhsa_next_free_sgpr 34
		.amdhsa_named_barrier_count 0
		.amdhsa_reserve_vcc 1
		.amdhsa_float_round_mode_32 0
		.amdhsa_float_round_mode_16_64 0
		.amdhsa_float_denorm_mode_32 3
		.amdhsa_float_denorm_mode_16_64 3
		.amdhsa_fp16_overflow 0
		.amdhsa_memory_ordered 1
		.amdhsa_forward_progress 1
		.amdhsa_inst_pref_size 1
		.amdhsa_round_robin_scheduling 0
		.amdhsa_exception_fp_ieee_invalid_op 0
		.amdhsa_exception_fp_denorm_src 0
		.amdhsa_exception_fp_ieee_div_zero 0
		.amdhsa_exception_fp_ieee_overflow 0
		.amdhsa_exception_fp_ieee_underflow 0
		.amdhsa_exception_fp_ieee_inexact 0
		.amdhsa_exception_int_div_zero 0
	.end_amdhsa_kernel
	.section	.text._Z38paged_attention_ll4mi_QKV_mfma4_kernelIDF16_hLN4vllm18Fp8KVCacheDataTypeE1EDF16_Li16ELi64ELi256ELb0ELi1EEvPKT_PKT0_S7_ifPKiS9_S9_iPKfiiiPfSC_PS2_PT2_iSB_SB_,"axG",@progbits,_Z38paged_attention_ll4mi_QKV_mfma4_kernelIDF16_hLN4vllm18Fp8KVCacheDataTypeE1EDF16_Li16ELi64ELi256ELb0ELi1EEvPKT_PKT0_S7_ifPKiS9_S9_iPKfiiiPfSC_PS2_PT2_iSB_SB_,comdat
.Lfunc_end830:
	.size	_Z38paged_attention_ll4mi_QKV_mfma4_kernelIDF16_hLN4vllm18Fp8KVCacheDataTypeE1EDF16_Li16ELi64ELi256ELb0ELi1EEvPKT_PKT0_S7_ifPKiS9_S9_iPKfiiiPfSC_PS2_PT2_iSB_SB_, .Lfunc_end830-_Z38paged_attention_ll4mi_QKV_mfma4_kernelIDF16_hLN4vllm18Fp8KVCacheDataTypeE1EDF16_Li16ELi64ELi256ELb0ELi1EEvPKT_PKT0_S7_ifPKiS9_S9_iPKfiiiPfSC_PS2_PT2_iSB_SB_
                                        ; -- End function
	.set _Z38paged_attention_ll4mi_QKV_mfma4_kernelIDF16_hLN4vllm18Fp8KVCacheDataTypeE1EDF16_Li16ELi64ELi256ELb0ELi1EEvPKT_PKT0_S7_ifPKiS9_S9_iPKfiiiPfSC_PS2_PT2_iSB_SB_.num_vgpr, max(3, .L__assert_fail.num_vgpr)
	.set _Z38paged_attention_ll4mi_QKV_mfma4_kernelIDF16_hLN4vllm18Fp8KVCacheDataTypeE1EDF16_Li16ELi64ELi256ELb0ELi1EEvPKT_PKT0_S7_ifPKiS9_S9_iPKfiiiPfSC_PS2_PT2_iSB_SB_.num_agpr, max(0, .L__assert_fail.num_agpr)
	.set _Z38paged_attention_ll4mi_QKV_mfma4_kernelIDF16_hLN4vllm18Fp8KVCacheDataTypeE1EDF16_Li16ELi64ELi256ELb0ELi1EEvPKT_PKT0_S7_ifPKiS9_S9_iPKfiiiPfSC_PS2_PT2_iSB_SB_.numbered_sgpr, max(33, .L__assert_fail.numbered_sgpr)
	.set _Z38paged_attention_ll4mi_QKV_mfma4_kernelIDF16_hLN4vllm18Fp8KVCacheDataTypeE1EDF16_Li16ELi64ELi256ELb0ELi1EEvPKT_PKT0_S7_ifPKiS9_S9_iPKfiiiPfSC_PS2_PT2_iSB_SB_.num_named_barrier, max(0, .L__assert_fail.num_named_barrier)
	.set _Z38paged_attention_ll4mi_QKV_mfma4_kernelIDF16_hLN4vllm18Fp8KVCacheDataTypeE1EDF16_Li16ELi64ELi256ELb0ELi1EEvPKT_PKT0_S7_ifPKiS9_S9_iPKfiiiPfSC_PS2_PT2_iSB_SB_.private_seg_size, 0+max(.L__assert_fail.private_seg_size)
	.set _Z38paged_attention_ll4mi_QKV_mfma4_kernelIDF16_hLN4vllm18Fp8KVCacheDataTypeE1EDF16_Li16ELi64ELi256ELb0ELi1EEvPKT_PKT0_S7_ifPKiS9_S9_iPKfiiiPfSC_PS2_PT2_iSB_SB_.uses_vcc, or(1, .L__assert_fail.uses_vcc)
	.set _Z38paged_attention_ll4mi_QKV_mfma4_kernelIDF16_hLN4vllm18Fp8KVCacheDataTypeE1EDF16_Li16ELi64ELi256ELb0ELi1EEvPKT_PKT0_S7_ifPKiS9_S9_iPKfiiiPfSC_PS2_PT2_iSB_SB_.uses_flat_scratch, or(0, .L__assert_fail.uses_flat_scratch)
	.set _Z38paged_attention_ll4mi_QKV_mfma4_kernelIDF16_hLN4vllm18Fp8KVCacheDataTypeE1EDF16_Li16ELi64ELi256ELb0ELi1EEvPKT_PKT0_S7_ifPKiS9_S9_iPKfiiiPfSC_PS2_PT2_iSB_SB_.has_dyn_sized_stack, or(0, .L__assert_fail.has_dyn_sized_stack)
	.set _Z38paged_attention_ll4mi_QKV_mfma4_kernelIDF16_hLN4vllm18Fp8KVCacheDataTypeE1EDF16_Li16ELi64ELi256ELb0ELi1EEvPKT_PKT0_S7_ifPKiS9_S9_iPKfiiiPfSC_PS2_PT2_iSB_SB_.has_recursion, or(0, .L__assert_fail.has_recursion)
	.set _Z38paged_attention_ll4mi_QKV_mfma4_kernelIDF16_hLN4vllm18Fp8KVCacheDataTypeE1EDF16_Li16ELi64ELi256ELb0ELi1EEvPKT_PKT0_S7_ifPKiS9_S9_iPKfiiiPfSC_PS2_PT2_iSB_SB_.has_indirect_call, or(0, .L__assert_fail.has_indirect_call)
	.section	.AMDGPU.csdata,"",@progbits
; Kernel info:
; codeLenInByte = 68
; TotalNumSgprs: 36
; NumVgprs: 51
; ScratchSize: 64
; MemoryBound: 0
; FloatMode: 240
; IeeeMode: 1
; LDSByteSize: 0 bytes/workgroup (compile time only)
; SGPRBlocks: 0
; VGPRBlocks: 3
; NumSGPRsForWavesPerEU: 36
; NumVGPRsForWavesPerEU: 51
; NamedBarCnt: 0
; Occupancy: 16
; WaveLimiterHint : 1
; COMPUTE_PGM_RSRC2:SCRATCH_EN: 1
; COMPUTE_PGM_RSRC2:USER_SGPR: 2
; COMPUTE_PGM_RSRC2:TRAP_HANDLER: 0
; COMPUTE_PGM_RSRC2:TGID_X_EN: 1
; COMPUTE_PGM_RSRC2:TGID_Y_EN: 0
; COMPUTE_PGM_RSRC2:TGID_Z_EN: 0
; COMPUTE_PGM_RSRC2:TIDIG_COMP_CNT: 0
	.section	.text._Z38paged_attention_ll4mi_QKV_mfma4_kernelIDF16_hLN4vllm18Fp8KVCacheDataTypeE1EDF16_Li16ELi64ELi256ELb0ELi2EEvPKT_PKT0_S7_ifPKiS9_S9_iPKfiiiPfSC_PS2_PT2_iSB_SB_,"axG",@progbits,_Z38paged_attention_ll4mi_QKV_mfma4_kernelIDF16_hLN4vllm18Fp8KVCacheDataTypeE1EDF16_Li16ELi64ELi256ELb0ELi2EEvPKT_PKT0_S7_ifPKiS9_S9_iPKfiiiPfSC_PS2_PT2_iSB_SB_,comdat
	.protected	_Z38paged_attention_ll4mi_QKV_mfma4_kernelIDF16_hLN4vllm18Fp8KVCacheDataTypeE1EDF16_Li16ELi64ELi256ELb0ELi2EEvPKT_PKT0_S7_ifPKiS9_S9_iPKfiiiPfSC_PS2_PT2_iSB_SB_ ; -- Begin function _Z38paged_attention_ll4mi_QKV_mfma4_kernelIDF16_hLN4vllm18Fp8KVCacheDataTypeE1EDF16_Li16ELi64ELi256ELb0ELi2EEvPKT_PKT0_S7_ifPKiS9_S9_iPKfiiiPfSC_PS2_PT2_iSB_SB_
	.globl	_Z38paged_attention_ll4mi_QKV_mfma4_kernelIDF16_hLN4vllm18Fp8KVCacheDataTypeE1EDF16_Li16ELi64ELi256ELb0ELi2EEvPKT_PKT0_S7_ifPKiS9_S9_iPKfiiiPfSC_PS2_PT2_iSB_SB_
	.p2align	8
	.type	_Z38paged_attention_ll4mi_QKV_mfma4_kernelIDF16_hLN4vllm18Fp8KVCacheDataTypeE1EDF16_Li16ELi64ELi256ELb0ELi2EEvPKT_PKT0_S7_ifPKiS9_S9_iPKfiiiPfSC_PS2_PT2_iSB_SB_,@function
_Z38paged_attention_ll4mi_QKV_mfma4_kernelIDF16_hLN4vllm18Fp8KVCacheDataTypeE1EDF16_Li16ELi64ELi256ELb0ELi2EEvPKT_PKT0_S7_ifPKiS9_S9_iPKfiiiPfSC_PS2_PT2_iSB_SB_: ; @_Z38paged_attention_ll4mi_QKV_mfma4_kernelIDF16_hLN4vllm18Fp8KVCacheDataTypeE1EDF16_Li16ELi64ELi256ELb0ELi2EEvPKT_PKT0_S7_ifPKiS9_S9_iPKfiiiPfSC_PS2_PT2_iSB_SB_
; %bb.0:
	s_get_pc_i64 s[2:3]
	s_add_nc_u64 s[2:3], s[2:3], __PRETTY_FUNCTION__._Z38paged_attention_ll4mi_QKV_mfma4_kernelIDF16_hLN4vllm18Fp8KVCacheDataTypeE1EDF16_Li16ELi64ELi256ELb0ELi2EEvPKT_PKT0_S7_ifPKiS9_S9_iPKfiiiPfSC_PS2_PT2_iSB_SB_@rel64+4
	s_delay_alu instid0(SALU_CYCLE_1)
	v_dual_mov_b32 v0, 0xbce :: v_dual_mov_b32 v1, s2
	v_mov_b32_e32 v2, s3
	s_add_nc_u64 s[8:9], s[0:1], 0x90
	s_get_pc_i64 s[0:1]
	s_add_nc_u64 s[0:1], s[0:1], __assert_fail@rel64+4
	s_mov_b32 s32, 0
	s_swap_pc_i64 s[30:31], s[0:1]
	.section	.rodata,"a",@progbits
	.p2align	6, 0x0
	.amdhsa_kernel _Z38paged_attention_ll4mi_QKV_mfma4_kernelIDF16_hLN4vllm18Fp8KVCacheDataTypeE1EDF16_Li16ELi64ELi256ELb0ELi2EEvPKT_PKT0_S7_ifPKiS9_S9_iPKfiiiPfSC_PS2_PT2_iSB_SB_
		.amdhsa_group_segment_fixed_size 0
		.amdhsa_private_segment_fixed_size 64
		.amdhsa_kernarg_size 400
		.amdhsa_user_sgpr_count 2
		.amdhsa_user_sgpr_dispatch_ptr 0
		.amdhsa_user_sgpr_queue_ptr 0
		.amdhsa_user_sgpr_kernarg_segment_ptr 1
		.amdhsa_user_sgpr_dispatch_id 0
		.amdhsa_user_sgpr_kernarg_preload_length 0
		.amdhsa_user_sgpr_kernarg_preload_offset 0
		.amdhsa_user_sgpr_private_segment_size 0
		.amdhsa_wavefront_size32 1
		.amdhsa_uses_dynamic_stack 0
		.amdhsa_enable_private_segment 1
		.amdhsa_system_sgpr_workgroup_id_x 1
		.amdhsa_system_sgpr_workgroup_id_y 0
		.amdhsa_system_sgpr_workgroup_id_z 0
		.amdhsa_system_sgpr_workgroup_info 0
		.amdhsa_system_vgpr_workitem_id 0
		.amdhsa_next_free_vgpr 51
		.amdhsa_next_free_sgpr 34
		.amdhsa_named_barrier_count 0
		.amdhsa_reserve_vcc 1
		.amdhsa_float_round_mode_32 0
		.amdhsa_float_round_mode_16_64 0
		.amdhsa_float_denorm_mode_32 3
		.amdhsa_float_denorm_mode_16_64 3
		.amdhsa_fp16_overflow 0
		.amdhsa_memory_ordered 1
		.amdhsa_forward_progress 1
		.amdhsa_inst_pref_size 1
		.amdhsa_round_robin_scheduling 0
		.amdhsa_exception_fp_ieee_invalid_op 0
		.amdhsa_exception_fp_denorm_src 0
		.amdhsa_exception_fp_ieee_div_zero 0
		.amdhsa_exception_fp_ieee_overflow 0
		.amdhsa_exception_fp_ieee_underflow 0
		.amdhsa_exception_fp_ieee_inexact 0
		.amdhsa_exception_int_div_zero 0
	.end_amdhsa_kernel
	.section	.text._Z38paged_attention_ll4mi_QKV_mfma4_kernelIDF16_hLN4vllm18Fp8KVCacheDataTypeE1EDF16_Li16ELi64ELi256ELb0ELi2EEvPKT_PKT0_S7_ifPKiS9_S9_iPKfiiiPfSC_PS2_PT2_iSB_SB_,"axG",@progbits,_Z38paged_attention_ll4mi_QKV_mfma4_kernelIDF16_hLN4vllm18Fp8KVCacheDataTypeE1EDF16_Li16ELi64ELi256ELb0ELi2EEvPKT_PKT0_S7_ifPKiS9_S9_iPKfiiiPfSC_PS2_PT2_iSB_SB_,comdat
.Lfunc_end831:
	.size	_Z38paged_attention_ll4mi_QKV_mfma4_kernelIDF16_hLN4vllm18Fp8KVCacheDataTypeE1EDF16_Li16ELi64ELi256ELb0ELi2EEvPKT_PKT0_S7_ifPKiS9_S9_iPKfiiiPfSC_PS2_PT2_iSB_SB_, .Lfunc_end831-_Z38paged_attention_ll4mi_QKV_mfma4_kernelIDF16_hLN4vllm18Fp8KVCacheDataTypeE1EDF16_Li16ELi64ELi256ELb0ELi2EEvPKT_PKT0_S7_ifPKiS9_S9_iPKfiiiPfSC_PS2_PT2_iSB_SB_
                                        ; -- End function
	.set _Z38paged_attention_ll4mi_QKV_mfma4_kernelIDF16_hLN4vllm18Fp8KVCacheDataTypeE1EDF16_Li16ELi64ELi256ELb0ELi2EEvPKT_PKT0_S7_ifPKiS9_S9_iPKfiiiPfSC_PS2_PT2_iSB_SB_.num_vgpr, max(3, .L__assert_fail.num_vgpr)
	.set _Z38paged_attention_ll4mi_QKV_mfma4_kernelIDF16_hLN4vllm18Fp8KVCacheDataTypeE1EDF16_Li16ELi64ELi256ELb0ELi2EEvPKT_PKT0_S7_ifPKiS9_S9_iPKfiiiPfSC_PS2_PT2_iSB_SB_.num_agpr, max(0, .L__assert_fail.num_agpr)
	.set _Z38paged_attention_ll4mi_QKV_mfma4_kernelIDF16_hLN4vllm18Fp8KVCacheDataTypeE1EDF16_Li16ELi64ELi256ELb0ELi2EEvPKT_PKT0_S7_ifPKiS9_S9_iPKfiiiPfSC_PS2_PT2_iSB_SB_.numbered_sgpr, max(33, .L__assert_fail.numbered_sgpr)
	.set _Z38paged_attention_ll4mi_QKV_mfma4_kernelIDF16_hLN4vllm18Fp8KVCacheDataTypeE1EDF16_Li16ELi64ELi256ELb0ELi2EEvPKT_PKT0_S7_ifPKiS9_S9_iPKfiiiPfSC_PS2_PT2_iSB_SB_.num_named_barrier, max(0, .L__assert_fail.num_named_barrier)
	.set _Z38paged_attention_ll4mi_QKV_mfma4_kernelIDF16_hLN4vllm18Fp8KVCacheDataTypeE1EDF16_Li16ELi64ELi256ELb0ELi2EEvPKT_PKT0_S7_ifPKiS9_S9_iPKfiiiPfSC_PS2_PT2_iSB_SB_.private_seg_size, 0+max(.L__assert_fail.private_seg_size)
	.set _Z38paged_attention_ll4mi_QKV_mfma4_kernelIDF16_hLN4vllm18Fp8KVCacheDataTypeE1EDF16_Li16ELi64ELi256ELb0ELi2EEvPKT_PKT0_S7_ifPKiS9_S9_iPKfiiiPfSC_PS2_PT2_iSB_SB_.uses_vcc, or(1, .L__assert_fail.uses_vcc)
	.set _Z38paged_attention_ll4mi_QKV_mfma4_kernelIDF16_hLN4vllm18Fp8KVCacheDataTypeE1EDF16_Li16ELi64ELi256ELb0ELi2EEvPKT_PKT0_S7_ifPKiS9_S9_iPKfiiiPfSC_PS2_PT2_iSB_SB_.uses_flat_scratch, or(0, .L__assert_fail.uses_flat_scratch)
	.set _Z38paged_attention_ll4mi_QKV_mfma4_kernelIDF16_hLN4vllm18Fp8KVCacheDataTypeE1EDF16_Li16ELi64ELi256ELb0ELi2EEvPKT_PKT0_S7_ifPKiS9_S9_iPKfiiiPfSC_PS2_PT2_iSB_SB_.has_dyn_sized_stack, or(0, .L__assert_fail.has_dyn_sized_stack)
	.set _Z38paged_attention_ll4mi_QKV_mfma4_kernelIDF16_hLN4vllm18Fp8KVCacheDataTypeE1EDF16_Li16ELi64ELi256ELb0ELi2EEvPKT_PKT0_S7_ifPKiS9_S9_iPKfiiiPfSC_PS2_PT2_iSB_SB_.has_recursion, or(0, .L__assert_fail.has_recursion)
	.set _Z38paged_attention_ll4mi_QKV_mfma4_kernelIDF16_hLN4vllm18Fp8KVCacheDataTypeE1EDF16_Li16ELi64ELi256ELb0ELi2EEvPKT_PKT0_S7_ifPKiS9_S9_iPKfiiiPfSC_PS2_PT2_iSB_SB_.has_indirect_call, or(0, .L__assert_fail.has_indirect_call)
	.section	.AMDGPU.csdata,"",@progbits
; Kernel info:
; codeLenInByte = 68
; TotalNumSgprs: 36
; NumVgprs: 51
; ScratchSize: 64
; MemoryBound: 0
; FloatMode: 240
; IeeeMode: 1
; LDSByteSize: 0 bytes/workgroup (compile time only)
; SGPRBlocks: 0
; VGPRBlocks: 3
; NumSGPRsForWavesPerEU: 36
; NumVGPRsForWavesPerEU: 51
; NamedBarCnt: 0
; Occupancy: 16
; WaveLimiterHint : 1
; COMPUTE_PGM_RSRC2:SCRATCH_EN: 1
; COMPUTE_PGM_RSRC2:USER_SGPR: 2
; COMPUTE_PGM_RSRC2:TRAP_HANDLER: 0
; COMPUTE_PGM_RSRC2:TGID_X_EN: 1
; COMPUTE_PGM_RSRC2:TGID_Y_EN: 0
; COMPUTE_PGM_RSRC2:TGID_Z_EN: 0
; COMPUTE_PGM_RSRC2:TIDIG_COMP_CNT: 0
	.section	.text._Z38paged_attention_ll4mi_QKV_mfma4_kernelIDF16_hLN4vllm18Fp8KVCacheDataTypeE1EDF16_Li16ELi64ELi256ELb0ELi3EEvPKT_PKT0_S7_ifPKiS9_S9_iPKfiiiPfSC_PS2_PT2_iSB_SB_,"axG",@progbits,_Z38paged_attention_ll4mi_QKV_mfma4_kernelIDF16_hLN4vllm18Fp8KVCacheDataTypeE1EDF16_Li16ELi64ELi256ELb0ELi3EEvPKT_PKT0_S7_ifPKiS9_S9_iPKfiiiPfSC_PS2_PT2_iSB_SB_,comdat
	.protected	_Z38paged_attention_ll4mi_QKV_mfma4_kernelIDF16_hLN4vllm18Fp8KVCacheDataTypeE1EDF16_Li16ELi64ELi256ELb0ELi3EEvPKT_PKT0_S7_ifPKiS9_S9_iPKfiiiPfSC_PS2_PT2_iSB_SB_ ; -- Begin function _Z38paged_attention_ll4mi_QKV_mfma4_kernelIDF16_hLN4vllm18Fp8KVCacheDataTypeE1EDF16_Li16ELi64ELi256ELb0ELi3EEvPKT_PKT0_S7_ifPKiS9_S9_iPKfiiiPfSC_PS2_PT2_iSB_SB_
	.globl	_Z38paged_attention_ll4mi_QKV_mfma4_kernelIDF16_hLN4vllm18Fp8KVCacheDataTypeE1EDF16_Li16ELi64ELi256ELb0ELi3EEvPKT_PKT0_S7_ifPKiS9_S9_iPKfiiiPfSC_PS2_PT2_iSB_SB_
	.p2align	8
	.type	_Z38paged_attention_ll4mi_QKV_mfma4_kernelIDF16_hLN4vllm18Fp8KVCacheDataTypeE1EDF16_Li16ELi64ELi256ELb0ELi3EEvPKT_PKT0_S7_ifPKiS9_S9_iPKfiiiPfSC_PS2_PT2_iSB_SB_,@function
_Z38paged_attention_ll4mi_QKV_mfma4_kernelIDF16_hLN4vllm18Fp8KVCacheDataTypeE1EDF16_Li16ELi64ELi256ELb0ELi3EEvPKT_PKT0_S7_ifPKiS9_S9_iPKfiiiPfSC_PS2_PT2_iSB_SB_: ; @_Z38paged_attention_ll4mi_QKV_mfma4_kernelIDF16_hLN4vllm18Fp8KVCacheDataTypeE1EDF16_Li16ELi64ELi256ELb0ELi3EEvPKT_PKT0_S7_ifPKiS9_S9_iPKfiiiPfSC_PS2_PT2_iSB_SB_
; %bb.0:
	s_get_pc_i64 s[2:3]
	s_add_nc_u64 s[2:3], s[2:3], __PRETTY_FUNCTION__._Z38paged_attention_ll4mi_QKV_mfma4_kernelIDF16_hLN4vllm18Fp8KVCacheDataTypeE1EDF16_Li16ELi64ELi256ELb0ELi3EEvPKT_PKT0_S7_ifPKiS9_S9_iPKfiiiPfSC_PS2_PT2_iSB_SB_@rel64+4
	s_delay_alu instid0(SALU_CYCLE_1)
	v_dual_mov_b32 v0, 0xbce :: v_dual_mov_b32 v1, s2
	v_mov_b32_e32 v2, s3
	s_add_nc_u64 s[8:9], s[0:1], 0x90
	s_get_pc_i64 s[0:1]
	s_add_nc_u64 s[0:1], s[0:1], __assert_fail@rel64+4
	s_mov_b32 s32, 0
	s_swap_pc_i64 s[30:31], s[0:1]
	.section	.rodata,"a",@progbits
	.p2align	6, 0x0
	.amdhsa_kernel _Z38paged_attention_ll4mi_QKV_mfma4_kernelIDF16_hLN4vllm18Fp8KVCacheDataTypeE1EDF16_Li16ELi64ELi256ELb0ELi3EEvPKT_PKT0_S7_ifPKiS9_S9_iPKfiiiPfSC_PS2_PT2_iSB_SB_
		.amdhsa_group_segment_fixed_size 0
		.amdhsa_private_segment_fixed_size 64
		.amdhsa_kernarg_size 400
		.amdhsa_user_sgpr_count 2
		.amdhsa_user_sgpr_dispatch_ptr 0
		.amdhsa_user_sgpr_queue_ptr 0
		.amdhsa_user_sgpr_kernarg_segment_ptr 1
		.amdhsa_user_sgpr_dispatch_id 0
		.amdhsa_user_sgpr_kernarg_preload_length 0
		.amdhsa_user_sgpr_kernarg_preload_offset 0
		.amdhsa_user_sgpr_private_segment_size 0
		.amdhsa_wavefront_size32 1
		.amdhsa_uses_dynamic_stack 0
		.amdhsa_enable_private_segment 1
		.amdhsa_system_sgpr_workgroup_id_x 1
		.amdhsa_system_sgpr_workgroup_id_y 0
		.amdhsa_system_sgpr_workgroup_id_z 0
		.amdhsa_system_sgpr_workgroup_info 0
		.amdhsa_system_vgpr_workitem_id 0
		.amdhsa_next_free_vgpr 51
		.amdhsa_next_free_sgpr 34
		.amdhsa_named_barrier_count 0
		.amdhsa_reserve_vcc 1
		.amdhsa_float_round_mode_32 0
		.amdhsa_float_round_mode_16_64 0
		.amdhsa_float_denorm_mode_32 3
		.amdhsa_float_denorm_mode_16_64 3
		.amdhsa_fp16_overflow 0
		.amdhsa_memory_ordered 1
		.amdhsa_forward_progress 1
		.amdhsa_inst_pref_size 1
		.amdhsa_round_robin_scheduling 0
		.amdhsa_exception_fp_ieee_invalid_op 0
		.amdhsa_exception_fp_denorm_src 0
		.amdhsa_exception_fp_ieee_div_zero 0
		.amdhsa_exception_fp_ieee_overflow 0
		.amdhsa_exception_fp_ieee_underflow 0
		.amdhsa_exception_fp_ieee_inexact 0
		.amdhsa_exception_int_div_zero 0
	.end_amdhsa_kernel
	.section	.text._Z38paged_attention_ll4mi_QKV_mfma4_kernelIDF16_hLN4vllm18Fp8KVCacheDataTypeE1EDF16_Li16ELi64ELi256ELb0ELi3EEvPKT_PKT0_S7_ifPKiS9_S9_iPKfiiiPfSC_PS2_PT2_iSB_SB_,"axG",@progbits,_Z38paged_attention_ll4mi_QKV_mfma4_kernelIDF16_hLN4vllm18Fp8KVCacheDataTypeE1EDF16_Li16ELi64ELi256ELb0ELi3EEvPKT_PKT0_S7_ifPKiS9_S9_iPKfiiiPfSC_PS2_PT2_iSB_SB_,comdat
.Lfunc_end832:
	.size	_Z38paged_attention_ll4mi_QKV_mfma4_kernelIDF16_hLN4vllm18Fp8KVCacheDataTypeE1EDF16_Li16ELi64ELi256ELb0ELi3EEvPKT_PKT0_S7_ifPKiS9_S9_iPKfiiiPfSC_PS2_PT2_iSB_SB_, .Lfunc_end832-_Z38paged_attention_ll4mi_QKV_mfma4_kernelIDF16_hLN4vllm18Fp8KVCacheDataTypeE1EDF16_Li16ELi64ELi256ELb0ELi3EEvPKT_PKT0_S7_ifPKiS9_S9_iPKfiiiPfSC_PS2_PT2_iSB_SB_
                                        ; -- End function
	.set _Z38paged_attention_ll4mi_QKV_mfma4_kernelIDF16_hLN4vllm18Fp8KVCacheDataTypeE1EDF16_Li16ELi64ELi256ELb0ELi3EEvPKT_PKT0_S7_ifPKiS9_S9_iPKfiiiPfSC_PS2_PT2_iSB_SB_.num_vgpr, max(3, .L__assert_fail.num_vgpr)
	.set _Z38paged_attention_ll4mi_QKV_mfma4_kernelIDF16_hLN4vllm18Fp8KVCacheDataTypeE1EDF16_Li16ELi64ELi256ELb0ELi3EEvPKT_PKT0_S7_ifPKiS9_S9_iPKfiiiPfSC_PS2_PT2_iSB_SB_.num_agpr, max(0, .L__assert_fail.num_agpr)
	.set _Z38paged_attention_ll4mi_QKV_mfma4_kernelIDF16_hLN4vllm18Fp8KVCacheDataTypeE1EDF16_Li16ELi64ELi256ELb0ELi3EEvPKT_PKT0_S7_ifPKiS9_S9_iPKfiiiPfSC_PS2_PT2_iSB_SB_.numbered_sgpr, max(33, .L__assert_fail.numbered_sgpr)
	.set _Z38paged_attention_ll4mi_QKV_mfma4_kernelIDF16_hLN4vllm18Fp8KVCacheDataTypeE1EDF16_Li16ELi64ELi256ELb0ELi3EEvPKT_PKT0_S7_ifPKiS9_S9_iPKfiiiPfSC_PS2_PT2_iSB_SB_.num_named_barrier, max(0, .L__assert_fail.num_named_barrier)
	.set _Z38paged_attention_ll4mi_QKV_mfma4_kernelIDF16_hLN4vllm18Fp8KVCacheDataTypeE1EDF16_Li16ELi64ELi256ELb0ELi3EEvPKT_PKT0_S7_ifPKiS9_S9_iPKfiiiPfSC_PS2_PT2_iSB_SB_.private_seg_size, 0+max(.L__assert_fail.private_seg_size)
	.set _Z38paged_attention_ll4mi_QKV_mfma4_kernelIDF16_hLN4vllm18Fp8KVCacheDataTypeE1EDF16_Li16ELi64ELi256ELb0ELi3EEvPKT_PKT0_S7_ifPKiS9_S9_iPKfiiiPfSC_PS2_PT2_iSB_SB_.uses_vcc, or(1, .L__assert_fail.uses_vcc)
	.set _Z38paged_attention_ll4mi_QKV_mfma4_kernelIDF16_hLN4vllm18Fp8KVCacheDataTypeE1EDF16_Li16ELi64ELi256ELb0ELi3EEvPKT_PKT0_S7_ifPKiS9_S9_iPKfiiiPfSC_PS2_PT2_iSB_SB_.uses_flat_scratch, or(0, .L__assert_fail.uses_flat_scratch)
	.set _Z38paged_attention_ll4mi_QKV_mfma4_kernelIDF16_hLN4vllm18Fp8KVCacheDataTypeE1EDF16_Li16ELi64ELi256ELb0ELi3EEvPKT_PKT0_S7_ifPKiS9_S9_iPKfiiiPfSC_PS2_PT2_iSB_SB_.has_dyn_sized_stack, or(0, .L__assert_fail.has_dyn_sized_stack)
	.set _Z38paged_attention_ll4mi_QKV_mfma4_kernelIDF16_hLN4vllm18Fp8KVCacheDataTypeE1EDF16_Li16ELi64ELi256ELb0ELi3EEvPKT_PKT0_S7_ifPKiS9_S9_iPKfiiiPfSC_PS2_PT2_iSB_SB_.has_recursion, or(0, .L__assert_fail.has_recursion)
	.set _Z38paged_attention_ll4mi_QKV_mfma4_kernelIDF16_hLN4vllm18Fp8KVCacheDataTypeE1EDF16_Li16ELi64ELi256ELb0ELi3EEvPKT_PKT0_S7_ifPKiS9_S9_iPKfiiiPfSC_PS2_PT2_iSB_SB_.has_indirect_call, or(0, .L__assert_fail.has_indirect_call)
	.section	.AMDGPU.csdata,"",@progbits
; Kernel info:
; codeLenInByte = 68
; TotalNumSgprs: 36
; NumVgprs: 51
; ScratchSize: 64
; MemoryBound: 0
; FloatMode: 240
; IeeeMode: 1
; LDSByteSize: 0 bytes/workgroup (compile time only)
; SGPRBlocks: 0
; VGPRBlocks: 3
; NumSGPRsForWavesPerEU: 36
; NumVGPRsForWavesPerEU: 51
; NamedBarCnt: 0
; Occupancy: 16
; WaveLimiterHint : 1
; COMPUTE_PGM_RSRC2:SCRATCH_EN: 1
; COMPUTE_PGM_RSRC2:USER_SGPR: 2
; COMPUTE_PGM_RSRC2:TRAP_HANDLER: 0
; COMPUTE_PGM_RSRC2:TGID_X_EN: 1
; COMPUTE_PGM_RSRC2:TGID_Y_EN: 0
; COMPUTE_PGM_RSRC2:TGID_Z_EN: 0
; COMPUTE_PGM_RSRC2:TIDIG_COMP_CNT: 0
	.section	.text._Z38paged_attention_ll4mi_QKV_mfma4_kernelIDF16_hLN4vllm18Fp8KVCacheDataTypeE1EDF16_Li16ELi64ELi256ELb0ELi4EEvPKT_PKT0_S7_ifPKiS9_S9_iPKfiiiPfSC_PS2_PT2_iSB_SB_,"axG",@progbits,_Z38paged_attention_ll4mi_QKV_mfma4_kernelIDF16_hLN4vllm18Fp8KVCacheDataTypeE1EDF16_Li16ELi64ELi256ELb0ELi4EEvPKT_PKT0_S7_ifPKiS9_S9_iPKfiiiPfSC_PS2_PT2_iSB_SB_,comdat
	.protected	_Z38paged_attention_ll4mi_QKV_mfma4_kernelIDF16_hLN4vllm18Fp8KVCacheDataTypeE1EDF16_Li16ELi64ELi256ELb0ELi4EEvPKT_PKT0_S7_ifPKiS9_S9_iPKfiiiPfSC_PS2_PT2_iSB_SB_ ; -- Begin function _Z38paged_attention_ll4mi_QKV_mfma4_kernelIDF16_hLN4vllm18Fp8KVCacheDataTypeE1EDF16_Li16ELi64ELi256ELb0ELi4EEvPKT_PKT0_S7_ifPKiS9_S9_iPKfiiiPfSC_PS2_PT2_iSB_SB_
	.globl	_Z38paged_attention_ll4mi_QKV_mfma4_kernelIDF16_hLN4vllm18Fp8KVCacheDataTypeE1EDF16_Li16ELi64ELi256ELb0ELi4EEvPKT_PKT0_S7_ifPKiS9_S9_iPKfiiiPfSC_PS2_PT2_iSB_SB_
	.p2align	8
	.type	_Z38paged_attention_ll4mi_QKV_mfma4_kernelIDF16_hLN4vllm18Fp8KVCacheDataTypeE1EDF16_Li16ELi64ELi256ELb0ELi4EEvPKT_PKT0_S7_ifPKiS9_S9_iPKfiiiPfSC_PS2_PT2_iSB_SB_,@function
_Z38paged_attention_ll4mi_QKV_mfma4_kernelIDF16_hLN4vllm18Fp8KVCacheDataTypeE1EDF16_Li16ELi64ELi256ELb0ELi4EEvPKT_PKT0_S7_ifPKiS9_S9_iPKfiiiPfSC_PS2_PT2_iSB_SB_: ; @_Z38paged_attention_ll4mi_QKV_mfma4_kernelIDF16_hLN4vllm18Fp8KVCacheDataTypeE1EDF16_Li16ELi64ELi256ELb0ELi4EEvPKT_PKT0_S7_ifPKiS9_S9_iPKfiiiPfSC_PS2_PT2_iSB_SB_
; %bb.0:
	s_get_pc_i64 s[2:3]
	s_add_nc_u64 s[2:3], s[2:3], __PRETTY_FUNCTION__._Z38paged_attention_ll4mi_QKV_mfma4_kernelIDF16_hLN4vllm18Fp8KVCacheDataTypeE1EDF16_Li16ELi64ELi256ELb0ELi4EEvPKT_PKT0_S7_ifPKiS9_S9_iPKfiiiPfSC_PS2_PT2_iSB_SB_@rel64+4
	s_delay_alu instid0(SALU_CYCLE_1)
	v_dual_mov_b32 v0, 0xbce :: v_dual_mov_b32 v1, s2
	v_mov_b32_e32 v2, s3
	s_add_nc_u64 s[8:9], s[0:1], 0x90
	s_get_pc_i64 s[0:1]
	s_add_nc_u64 s[0:1], s[0:1], __assert_fail@rel64+4
	s_mov_b32 s32, 0
	s_swap_pc_i64 s[30:31], s[0:1]
	.section	.rodata,"a",@progbits
	.p2align	6, 0x0
	.amdhsa_kernel _Z38paged_attention_ll4mi_QKV_mfma4_kernelIDF16_hLN4vllm18Fp8KVCacheDataTypeE1EDF16_Li16ELi64ELi256ELb0ELi4EEvPKT_PKT0_S7_ifPKiS9_S9_iPKfiiiPfSC_PS2_PT2_iSB_SB_
		.amdhsa_group_segment_fixed_size 0
		.amdhsa_private_segment_fixed_size 64
		.amdhsa_kernarg_size 400
		.amdhsa_user_sgpr_count 2
		.amdhsa_user_sgpr_dispatch_ptr 0
		.amdhsa_user_sgpr_queue_ptr 0
		.amdhsa_user_sgpr_kernarg_segment_ptr 1
		.amdhsa_user_sgpr_dispatch_id 0
		.amdhsa_user_sgpr_kernarg_preload_length 0
		.amdhsa_user_sgpr_kernarg_preload_offset 0
		.amdhsa_user_sgpr_private_segment_size 0
		.amdhsa_wavefront_size32 1
		.amdhsa_uses_dynamic_stack 0
		.amdhsa_enable_private_segment 1
		.amdhsa_system_sgpr_workgroup_id_x 1
		.amdhsa_system_sgpr_workgroup_id_y 0
		.amdhsa_system_sgpr_workgroup_id_z 0
		.amdhsa_system_sgpr_workgroup_info 0
		.amdhsa_system_vgpr_workitem_id 0
		.amdhsa_next_free_vgpr 51
		.amdhsa_next_free_sgpr 34
		.amdhsa_named_barrier_count 0
		.amdhsa_reserve_vcc 1
		.amdhsa_float_round_mode_32 0
		.amdhsa_float_round_mode_16_64 0
		.amdhsa_float_denorm_mode_32 3
		.amdhsa_float_denorm_mode_16_64 3
		.amdhsa_fp16_overflow 0
		.amdhsa_memory_ordered 1
		.amdhsa_forward_progress 1
		.amdhsa_inst_pref_size 1
		.amdhsa_round_robin_scheduling 0
		.amdhsa_exception_fp_ieee_invalid_op 0
		.amdhsa_exception_fp_denorm_src 0
		.amdhsa_exception_fp_ieee_div_zero 0
		.amdhsa_exception_fp_ieee_overflow 0
		.amdhsa_exception_fp_ieee_underflow 0
		.amdhsa_exception_fp_ieee_inexact 0
		.amdhsa_exception_int_div_zero 0
	.end_amdhsa_kernel
	.section	.text._Z38paged_attention_ll4mi_QKV_mfma4_kernelIDF16_hLN4vllm18Fp8KVCacheDataTypeE1EDF16_Li16ELi64ELi256ELb0ELi4EEvPKT_PKT0_S7_ifPKiS9_S9_iPKfiiiPfSC_PS2_PT2_iSB_SB_,"axG",@progbits,_Z38paged_attention_ll4mi_QKV_mfma4_kernelIDF16_hLN4vllm18Fp8KVCacheDataTypeE1EDF16_Li16ELi64ELi256ELb0ELi4EEvPKT_PKT0_S7_ifPKiS9_S9_iPKfiiiPfSC_PS2_PT2_iSB_SB_,comdat
.Lfunc_end833:
	.size	_Z38paged_attention_ll4mi_QKV_mfma4_kernelIDF16_hLN4vllm18Fp8KVCacheDataTypeE1EDF16_Li16ELi64ELi256ELb0ELi4EEvPKT_PKT0_S7_ifPKiS9_S9_iPKfiiiPfSC_PS2_PT2_iSB_SB_, .Lfunc_end833-_Z38paged_attention_ll4mi_QKV_mfma4_kernelIDF16_hLN4vllm18Fp8KVCacheDataTypeE1EDF16_Li16ELi64ELi256ELb0ELi4EEvPKT_PKT0_S7_ifPKiS9_S9_iPKfiiiPfSC_PS2_PT2_iSB_SB_
                                        ; -- End function
	.set _Z38paged_attention_ll4mi_QKV_mfma4_kernelIDF16_hLN4vllm18Fp8KVCacheDataTypeE1EDF16_Li16ELi64ELi256ELb0ELi4EEvPKT_PKT0_S7_ifPKiS9_S9_iPKfiiiPfSC_PS2_PT2_iSB_SB_.num_vgpr, max(3, .L__assert_fail.num_vgpr)
	.set _Z38paged_attention_ll4mi_QKV_mfma4_kernelIDF16_hLN4vllm18Fp8KVCacheDataTypeE1EDF16_Li16ELi64ELi256ELb0ELi4EEvPKT_PKT0_S7_ifPKiS9_S9_iPKfiiiPfSC_PS2_PT2_iSB_SB_.num_agpr, max(0, .L__assert_fail.num_agpr)
	.set _Z38paged_attention_ll4mi_QKV_mfma4_kernelIDF16_hLN4vllm18Fp8KVCacheDataTypeE1EDF16_Li16ELi64ELi256ELb0ELi4EEvPKT_PKT0_S7_ifPKiS9_S9_iPKfiiiPfSC_PS2_PT2_iSB_SB_.numbered_sgpr, max(33, .L__assert_fail.numbered_sgpr)
	.set _Z38paged_attention_ll4mi_QKV_mfma4_kernelIDF16_hLN4vllm18Fp8KVCacheDataTypeE1EDF16_Li16ELi64ELi256ELb0ELi4EEvPKT_PKT0_S7_ifPKiS9_S9_iPKfiiiPfSC_PS2_PT2_iSB_SB_.num_named_barrier, max(0, .L__assert_fail.num_named_barrier)
	.set _Z38paged_attention_ll4mi_QKV_mfma4_kernelIDF16_hLN4vllm18Fp8KVCacheDataTypeE1EDF16_Li16ELi64ELi256ELb0ELi4EEvPKT_PKT0_S7_ifPKiS9_S9_iPKfiiiPfSC_PS2_PT2_iSB_SB_.private_seg_size, 0+max(.L__assert_fail.private_seg_size)
	.set _Z38paged_attention_ll4mi_QKV_mfma4_kernelIDF16_hLN4vllm18Fp8KVCacheDataTypeE1EDF16_Li16ELi64ELi256ELb0ELi4EEvPKT_PKT0_S7_ifPKiS9_S9_iPKfiiiPfSC_PS2_PT2_iSB_SB_.uses_vcc, or(1, .L__assert_fail.uses_vcc)
	.set _Z38paged_attention_ll4mi_QKV_mfma4_kernelIDF16_hLN4vllm18Fp8KVCacheDataTypeE1EDF16_Li16ELi64ELi256ELb0ELi4EEvPKT_PKT0_S7_ifPKiS9_S9_iPKfiiiPfSC_PS2_PT2_iSB_SB_.uses_flat_scratch, or(0, .L__assert_fail.uses_flat_scratch)
	.set _Z38paged_attention_ll4mi_QKV_mfma4_kernelIDF16_hLN4vllm18Fp8KVCacheDataTypeE1EDF16_Li16ELi64ELi256ELb0ELi4EEvPKT_PKT0_S7_ifPKiS9_S9_iPKfiiiPfSC_PS2_PT2_iSB_SB_.has_dyn_sized_stack, or(0, .L__assert_fail.has_dyn_sized_stack)
	.set _Z38paged_attention_ll4mi_QKV_mfma4_kernelIDF16_hLN4vllm18Fp8KVCacheDataTypeE1EDF16_Li16ELi64ELi256ELb0ELi4EEvPKT_PKT0_S7_ifPKiS9_S9_iPKfiiiPfSC_PS2_PT2_iSB_SB_.has_recursion, or(0, .L__assert_fail.has_recursion)
	.set _Z38paged_attention_ll4mi_QKV_mfma4_kernelIDF16_hLN4vllm18Fp8KVCacheDataTypeE1EDF16_Li16ELi64ELi256ELb0ELi4EEvPKT_PKT0_S7_ifPKiS9_S9_iPKfiiiPfSC_PS2_PT2_iSB_SB_.has_indirect_call, or(0, .L__assert_fail.has_indirect_call)
	.section	.AMDGPU.csdata,"",@progbits
; Kernel info:
; codeLenInByte = 68
; TotalNumSgprs: 36
; NumVgprs: 51
; ScratchSize: 64
; MemoryBound: 0
; FloatMode: 240
; IeeeMode: 1
; LDSByteSize: 0 bytes/workgroup (compile time only)
; SGPRBlocks: 0
; VGPRBlocks: 3
; NumSGPRsForWavesPerEU: 36
; NumVGPRsForWavesPerEU: 51
; NamedBarCnt: 0
; Occupancy: 16
; WaveLimiterHint : 1
; COMPUTE_PGM_RSRC2:SCRATCH_EN: 1
; COMPUTE_PGM_RSRC2:USER_SGPR: 2
; COMPUTE_PGM_RSRC2:TRAP_HANDLER: 0
; COMPUTE_PGM_RSRC2:TGID_X_EN: 1
; COMPUTE_PGM_RSRC2:TGID_Y_EN: 0
; COMPUTE_PGM_RSRC2:TGID_Z_EN: 0
; COMPUTE_PGM_RSRC2:TIDIG_COMP_CNT: 0
	.section	.text._Z39paged_attention_ll4mi_QKV_mfma16_kernelIDF16_hLN4vllm18Fp8KVCacheDataTypeE1EDF16_Li16ELi64ELi256ELb0ELi5EEvPKT_PKT0_S7_ifPKiS9_S9_iPKfiiiPfSC_PS2_PT2_iSB_SB_,"axG",@progbits,_Z39paged_attention_ll4mi_QKV_mfma16_kernelIDF16_hLN4vllm18Fp8KVCacheDataTypeE1EDF16_Li16ELi64ELi256ELb0ELi5EEvPKT_PKT0_S7_ifPKiS9_S9_iPKfiiiPfSC_PS2_PT2_iSB_SB_,comdat
	.protected	_Z39paged_attention_ll4mi_QKV_mfma16_kernelIDF16_hLN4vllm18Fp8KVCacheDataTypeE1EDF16_Li16ELi64ELi256ELb0ELi5EEvPKT_PKT0_S7_ifPKiS9_S9_iPKfiiiPfSC_PS2_PT2_iSB_SB_ ; -- Begin function _Z39paged_attention_ll4mi_QKV_mfma16_kernelIDF16_hLN4vllm18Fp8KVCacheDataTypeE1EDF16_Li16ELi64ELi256ELb0ELi5EEvPKT_PKT0_S7_ifPKiS9_S9_iPKfiiiPfSC_PS2_PT2_iSB_SB_
	.globl	_Z39paged_attention_ll4mi_QKV_mfma16_kernelIDF16_hLN4vllm18Fp8KVCacheDataTypeE1EDF16_Li16ELi64ELi256ELb0ELi5EEvPKT_PKT0_S7_ifPKiS9_S9_iPKfiiiPfSC_PS2_PT2_iSB_SB_
	.p2align	8
	.type	_Z39paged_attention_ll4mi_QKV_mfma16_kernelIDF16_hLN4vllm18Fp8KVCacheDataTypeE1EDF16_Li16ELi64ELi256ELb0ELi5EEvPKT_PKT0_S7_ifPKiS9_S9_iPKfiiiPfSC_PS2_PT2_iSB_SB_,@function
_Z39paged_attention_ll4mi_QKV_mfma16_kernelIDF16_hLN4vllm18Fp8KVCacheDataTypeE1EDF16_Li16ELi64ELi256ELb0ELi5EEvPKT_PKT0_S7_ifPKiS9_S9_iPKfiiiPfSC_PS2_PT2_iSB_SB_: ; @_Z39paged_attention_ll4mi_QKV_mfma16_kernelIDF16_hLN4vllm18Fp8KVCacheDataTypeE1EDF16_Li16ELi64ELi256ELb0ELi5EEvPKT_PKT0_S7_ifPKiS9_S9_iPKfiiiPfSC_PS2_PT2_iSB_SB_
; %bb.0:
	s_get_pc_i64 s[2:3]
	s_add_nc_u64 s[2:3], s[2:3], __PRETTY_FUNCTION__._Z39paged_attention_ll4mi_QKV_mfma16_kernelIDF16_hLN4vllm18Fp8KVCacheDataTypeE1EDF16_Li16ELi64ELi256ELb0ELi5EEvPKT_PKT0_S7_ifPKiS9_S9_iPKfiiiPfSC_PS2_PT2_iSB_SB_@rel64+4
	s_delay_alu instid0(SALU_CYCLE_1)
	v_dual_mov_b32 v0, 0xbb3 :: v_dual_mov_b32 v1, s2
	v_mov_b32_e32 v2, s3
	s_add_nc_u64 s[8:9], s[0:1], 0x90
	s_get_pc_i64 s[0:1]
	s_add_nc_u64 s[0:1], s[0:1], __assert_fail@rel64+4
	s_mov_b32 s32, 0
	s_swap_pc_i64 s[30:31], s[0:1]
	.section	.rodata,"a",@progbits
	.p2align	6, 0x0
	.amdhsa_kernel _Z39paged_attention_ll4mi_QKV_mfma16_kernelIDF16_hLN4vllm18Fp8KVCacheDataTypeE1EDF16_Li16ELi64ELi256ELb0ELi5EEvPKT_PKT0_S7_ifPKiS9_S9_iPKfiiiPfSC_PS2_PT2_iSB_SB_
		.amdhsa_group_segment_fixed_size 0
		.amdhsa_private_segment_fixed_size 64
		.amdhsa_kernarg_size 400
		.amdhsa_user_sgpr_count 2
		.amdhsa_user_sgpr_dispatch_ptr 0
		.amdhsa_user_sgpr_queue_ptr 0
		.amdhsa_user_sgpr_kernarg_segment_ptr 1
		.amdhsa_user_sgpr_dispatch_id 0
		.amdhsa_user_sgpr_kernarg_preload_length 0
		.amdhsa_user_sgpr_kernarg_preload_offset 0
		.amdhsa_user_sgpr_private_segment_size 0
		.amdhsa_wavefront_size32 1
		.amdhsa_uses_dynamic_stack 0
		.amdhsa_enable_private_segment 1
		.amdhsa_system_sgpr_workgroup_id_x 1
		.amdhsa_system_sgpr_workgroup_id_y 0
		.amdhsa_system_sgpr_workgroup_id_z 0
		.amdhsa_system_sgpr_workgroup_info 0
		.amdhsa_system_vgpr_workitem_id 0
		.amdhsa_next_free_vgpr 51
		.amdhsa_next_free_sgpr 34
		.amdhsa_named_barrier_count 0
		.amdhsa_reserve_vcc 1
		.amdhsa_float_round_mode_32 0
		.amdhsa_float_round_mode_16_64 0
		.amdhsa_float_denorm_mode_32 3
		.amdhsa_float_denorm_mode_16_64 3
		.amdhsa_fp16_overflow 0
		.amdhsa_memory_ordered 1
		.amdhsa_forward_progress 1
		.amdhsa_inst_pref_size 1
		.amdhsa_round_robin_scheduling 0
		.amdhsa_exception_fp_ieee_invalid_op 0
		.amdhsa_exception_fp_denorm_src 0
		.amdhsa_exception_fp_ieee_div_zero 0
		.amdhsa_exception_fp_ieee_overflow 0
		.amdhsa_exception_fp_ieee_underflow 0
		.amdhsa_exception_fp_ieee_inexact 0
		.amdhsa_exception_int_div_zero 0
	.end_amdhsa_kernel
	.section	.text._Z39paged_attention_ll4mi_QKV_mfma16_kernelIDF16_hLN4vllm18Fp8KVCacheDataTypeE1EDF16_Li16ELi64ELi256ELb0ELi5EEvPKT_PKT0_S7_ifPKiS9_S9_iPKfiiiPfSC_PS2_PT2_iSB_SB_,"axG",@progbits,_Z39paged_attention_ll4mi_QKV_mfma16_kernelIDF16_hLN4vllm18Fp8KVCacheDataTypeE1EDF16_Li16ELi64ELi256ELb0ELi5EEvPKT_PKT0_S7_ifPKiS9_S9_iPKfiiiPfSC_PS2_PT2_iSB_SB_,comdat
.Lfunc_end834:
	.size	_Z39paged_attention_ll4mi_QKV_mfma16_kernelIDF16_hLN4vllm18Fp8KVCacheDataTypeE1EDF16_Li16ELi64ELi256ELb0ELi5EEvPKT_PKT0_S7_ifPKiS9_S9_iPKfiiiPfSC_PS2_PT2_iSB_SB_, .Lfunc_end834-_Z39paged_attention_ll4mi_QKV_mfma16_kernelIDF16_hLN4vllm18Fp8KVCacheDataTypeE1EDF16_Li16ELi64ELi256ELb0ELi5EEvPKT_PKT0_S7_ifPKiS9_S9_iPKfiiiPfSC_PS2_PT2_iSB_SB_
                                        ; -- End function
	.set _Z39paged_attention_ll4mi_QKV_mfma16_kernelIDF16_hLN4vllm18Fp8KVCacheDataTypeE1EDF16_Li16ELi64ELi256ELb0ELi5EEvPKT_PKT0_S7_ifPKiS9_S9_iPKfiiiPfSC_PS2_PT2_iSB_SB_.num_vgpr, max(3, .L__assert_fail.num_vgpr)
	.set _Z39paged_attention_ll4mi_QKV_mfma16_kernelIDF16_hLN4vllm18Fp8KVCacheDataTypeE1EDF16_Li16ELi64ELi256ELb0ELi5EEvPKT_PKT0_S7_ifPKiS9_S9_iPKfiiiPfSC_PS2_PT2_iSB_SB_.num_agpr, max(0, .L__assert_fail.num_agpr)
	.set _Z39paged_attention_ll4mi_QKV_mfma16_kernelIDF16_hLN4vllm18Fp8KVCacheDataTypeE1EDF16_Li16ELi64ELi256ELb0ELi5EEvPKT_PKT0_S7_ifPKiS9_S9_iPKfiiiPfSC_PS2_PT2_iSB_SB_.numbered_sgpr, max(33, .L__assert_fail.numbered_sgpr)
	.set _Z39paged_attention_ll4mi_QKV_mfma16_kernelIDF16_hLN4vllm18Fp8KVCacheDataTypeE1EDF16_Li16ELi64ELi256ELb0ELi5EEvPKT_PKT0_S7_ifPKiS9_S9_iPKfiiiPfSC_PS2_PT2_iSB_SB_.num_named_barrier, max(0, .L__assert_fail.num_named_barrier)
	.set _Z39paged_attention_ll4mi_QKV_mfma16_kernelIDF16_hLN4vllm18Fp8KVCacheDataTypeE1EDF16_Li16ELi64ELi256ELb0ELi5EEvPKT_PKT0_S7_ifPKiS9_S9_iPKfiiiPfSC_PS2_PT2_iSB_SB_.private_seg_size, 0+max(.L__assert_fail.private_seg_size)
	.set _Z39paged_attention_ll4mi_QKV_mfma16_kernelIDF16_hLN4vllm18Fp8KVCacheDataTypeE1EDF16_Li16ELi64ELi256ELb0ELi5EEvPKT_PKT0_S7_ifPKiS9_S9_iPKfiiiPfSC_PS2_PT2_iSB_SB_.uses_vcc, or(1, .L__assert_fail.uses_vcc)
	.set _Z39paged_attention_ll4mi_QKV_mfma16_kernelIDF16_hLN4vllm18Fp8KVCacheDataTypeE1EDF16_Li16ELi64ELi256ELb0ELi5EEvPKT_PKT0_S7_ifPKiS9_S9_iPKfiiiPfSC_PS2_PT2_iSB_SB_.uses_flat_scratch, or(0, .L__assert_fail.uses_flat_scratch)
	.set _Z39paged_attention_ll4mi_QKV_mfma16_kernelIDF16_hLN4vllm18Fp8KVCacheDataTypeE1EDF16_Li16ELi64ELi256ELb0ELi5EEvPKT_PKT0_S7_ifPKiS9_S9_iPKfiiiPfSC_PS2_PT2_iSB_SB_.has_dyn_sized_stack, or(0, .L__assert_fail.has_dyn_sized_stack)
	.set _Z39paged_attention_ll4mi_QKV_mfma16_kernelIDF16_hLN4vllm18Fp8KVCacheDataTypeE1EDF16_Li16ELi64ELi256ELb0ELi5EEvPKT_PKT0_S7_ifPKiS9_S9_iPKfiiiPfSC_PS2_PT2_iSB_SB_.has_recursion, or(0, .L__assert_fail.has_recursion)
	.set _Z39paged_attention_ll4mi_QKV_mfma16_kernelIDF16_hLN4vllm18Fp8KVCacheDataTypeE1EDF16_Li16ELi64ELi256ELb0ELi5EEvPKT_PKT0_S7_ifPKiS9_S9_iPKfiiiPfSC_PS2_PT2_iSB_SB_.has_indirect_call, or(0, .L__assert_fail.has_indirect_call)
	.section	.AMDGPU.csdata,"",@progbits
; Kernel info:
; codeLenInByte = 68
; TotalNumSgprs: 36
; NumVgprs: 51
; ScratchSize: 64
; MemoryBound: 0
; FloatMode: 240
; IeeeMode: 1
; LDSByteSize: 0 bytes/workgroup (compile time only)
; SGPRBlocks: 0
; VGPRBlocks: 3
; NumSGPRsForWavesPerEU: 36
; NumVGPRsForWavesPerEU: 51
; NamedBarCnt: 0
; Occupancy: 16
; WaveLimiterHint : 1
; COMPUTE_PGM_RSRC2:SCRATCH_EN: 1
; COMPUTE_PGM_RSRC2:USER_SGPR: 2
; COMPUTE_PGM_RSRC2:TRAP_HANDLER: 0
; COMPUTE_PGM_RSRC2:TGID_X_EN: 1
; COMPUTE_PGM_RSRC2:TGID_Y_EN: 0
; COMPUTE_PGM_RSRC2:TGID_Z_EN: 0
; COMPUTE_PGM_RSRC2:TIDIG_COMP_CNT: 0
	.section	.text._Z39paged_attention_ll4mi_QKV_mfma16_kernelIDF16_hLN4vllm18Fp8KVCacheDataTypeE1EDF16_Li16ELi64ELi256ELb0ELi6EEvPKT_PKT0_S7_ifPKiS9_S9_iPKfiiiPfSC_PS2_PT2_iSB_SB_,"axG",@progbits,_Z39paged_attention_ll4mi_QKV_mfma16_kernelIDF16_hLN4vllm18Fp8KVCacheDataTypeE1EDF16_Li16ELi64ELi256ELb0ELi6EEvPKT_PKT0_S7_ifPKiS9_S9_iPKfiiiPfSC_PS2_PT2_iSB_SB_,comdat
	.protected	_Z39paged_attention_ll4mi_QKV_mfma16_kernelIDF16_hLN4vllm18Fp8KVCacheDataTypeE1EDF16_Li16ELi64ELi256ELb0ELi6EEvPKT_PKT0_S7_ifPKiS9_S9_iPKfiiiPfSC_PS2_PT2_iSB_SB_ ; -- Begin function _Z39paged_attention_ll4mi_QKV_mfma16_kernelIDF16_hLN4vllm18Fp8KVCacheDataTypeE1EDF16_Li16ELi64ELi256ELb0ELi6EEvPKT_PKT0_S7_ifPKiS9_S9_iPKfiiiPfSC_PS2_PT2_iSB_SB_
	.globl	_Z39paged_attention_ll4mi_QKV_mfma16_kernelIDF16_hLN4vllm18Fp8KVCacheDataTypeE1EDF16_Li16ELi64ELi256ELb0ELi6EEvPKT_PKT0_S7_ifPKiS9_S9_iPKfiiiPfSC_PS2_PT2_iSB_SB_
	.p2align	8
	.type	_Z39paged_attention_ll4mi_QKV_mfma16_kernelIDF16_hLN4vllm18Fp8KVCacheDataTypeE1EDF16_Li16ELi64ELi256ELb0ELi6EEvPKT_PKT0_S7_ifPKiS9_S9_iPKfiiiPfSC_PS2_PT2_iSB_SB_,@function
_Z39paged_attention_ll4mi_QKV_mfma16_kernelIDF16_hLN4vllm18Fp8KVCacheDataTypeE1EDF16_Li16ELi64ELi256ELb0ELi6EEvPKT_PKT0_S7_ifPKiS9_S9_iPKfiiiPfSC_PS2_PT2_iSB_SB_: ; @_Z39paged_attention_ll4mi_QKV_mfma16_kernelIDF16_hLN4vllm18Fp8KVCacheDataTypeE1EDF16_Li16ELi64ELi256ELb0ELi6EEvPKT_PKT0_S7_ifPKiS9_S9_iPKfiiiPfSC_PS2_PT2_iSB_SB_
; %bb.0:
	s_get_pc_i64 s[2:3]
	s_add_nc_u64 s[2:3], s[2:3], __PRETTY_FUNCTION__._Z39paged_attention_ll4mi_QKV_mfma16_kernelIDF16_hLN4vllm18Fp8KVCacheDataTypeE1EDF16_Li16ELi64ELi256ELb0ELi6EEvPKT_PKT0_S7_ifPKiS9_S9_iPKfiiiPfSC_PS2_PT2_iSB_SB_@rel64+4
	s_delay_alu instid0(SALU_CYCLE_1)
	v_dual_mov_b32 v0, 0xbb3 :: v_dual_mov_b32 v1, s2
	v_mov_b32_e32 v2, s3
	s_add_nc_u64 s[8:9], s[0:1], 0x90
	s_get_pc_i64 s[0:1]
	s_add_nc_u64 s[0:1], s[0:1], __assert_fail@rel64+4
	s_mov_b32 s32, 0
	s_swap_pc_i64 s[30:31], s[0:1]
	.section	.rodata,"a",@progbits
	.p2align	6, 0x0
	.amdhsa_kernel _Z39paged_attention_ll4mi_QKV_mfma16_kernelIDF16_hLN4vllm18Fp8KVCacheDataTypeE1EDF16_Li16ELi64ELi256ELb0ELi6EEvPKT_PKT0_S7_ifPKiS9_S9_iPKfiiiPfSC_PS2_PT2_iSB_SB_
		.amdhsa_group_segment_fixed_size 0
		.amdhsa_private_segment_fixed_size 64
		.amdhsa_kernarg_size 400
		.amdhsa_user_sgpr_count 2
		.amdhsa_user_sgpr_dispatch_ptr 0
		.amdhsa_user_sgpr_queue_ptr 0
		.amdhsa_user_sgpr_kernarg_segment_ptr 1
		.amdhsa_user_sgpr_dispatch_id 0
		.amdhsa_user_sgpr_kernarg_preload_length 0
		.amdhsa_user_sgpr_kernarg_preload_offset 0
		.amdhsa_user_sgpr_private_segment_size 0
		.amdhsa_wavefront_size32 1
		.amdhsa_uses_dynamic_stack 0
		.amdhsa_enable_private_segment 1
		.amdhsa_system_sgpr_workgroup_id_x 1
		.amdhsa_system_sgpr_workgroup_id_y 0
		.amdhsa_system_sgpr_workgroup_id_z 0
		.amdhsa_system_sgpr_workgroup_info 0
		.amdhsa_system_vgpr_workitem_id 0
		.amdhsa_next_free_vgpr 51
		.amdhsa_next_free_sgpr 34
		.amdhsa_named_barrier_count 0
		.amdhsa_reserve_vcc 1
		.amdhsa_float_round_mode_32 0
		.amdhsa_float_round_mode_16_64 0
		.amdhsa_float_denorm_mode_32 3
		.amdhsa_float_denorm_mode_16_64 3
		.amdhsa_fp16_overflow 0
		.amdhsa_memory_ordered 1
		.amdhsa_forward_progress 1
		.amdhsa_inst_pref_size 1
		.amdhsa_round_robin_scheduling 0
		.amdhsa_exception_fp_ieee_invalid_op 0
		.amdhsa_exception_fp_denorm_src 0
		.amdhsa_exception_fp_ieee_div_zero 0
		.amdhsa_exception_fp_ieee_overflow 0
		.amdhsa_exception_fp_ieee_underflow 0
		.amdhsa_exception_fp_ieee_inexact 0
		.amdhsa_exception_int_div_zero 0
	.end_amdhsa_kernel
	.section	.text._Z39paged_attention_ll4mi_QKV_mfma16_kernelIDF16_hLN4vllm18Fp8KVCacheDataTypeE1EDF16_Li16ELi64ELi256ELb0ELi6EEvPKT_PKT0_S7_ifPKiS9_S9_iPKfiiiPfSC_PS2_PT2_iSB_SB_,"axG",@progbits,_Z39paged_attention_ll4mi_QKV_mfma16_kernelIDF16_hLN4vllm18Fp8KVCacheDataTypeE1EDF16_Li16ELi64ELi256ELb0ELi6EEvPKT_PKT0_S7_ifPKiS9_S9_iPKfiiiPfSC_PS2_PT2_iSB_SB_,comdat
.Lfunc_end835:
	.size	_Z39paged_attention_ll4mi_QKV_mfma16_kernelIDF16_hLN4vllm18Fp8KVCacheDataTypeE1EDF16_Li16ELi64ELi256ELb0ELi6EEvPKT_PKT0_S7_ifPKiS9_S9_iPKfiiiPfSC_PS2_PT2_iSB_SB_, .Lfunc_end835-_Z39paged_attention_ll4mi_QKV_mfma16_kernelIDF16_hLN4vllm18Fp8KVCacheDataTypeE1EDF16_Li16ELi64ELi256ELb0ELi6EEvPKT_PKT0_S7_ifPKiS9_S9_iPKfiiiPfSC_PS2_PT2_iSB_SB_
                                        ; -- End function
	.set _Z39paged_attention_ll4mi_QKV_mfma16_kernelIDF16_hLN4vllm18Fp8KVCacheDataTypeE1EDF16_Li16ELi64ELi256ELb0ELi6EEvPKT_PKT0_S7_ifPKiS9_S9_iPKfiiiPfSC_PS2_PT2_iSB_SB_.num_vgpr, max(3, .L__assert_fail.num_vgpr)
	.set _Z39paged_attention_ll4mi_QKV_mfma16_kernelIDF16_hLN4vllm18Fp8KVCacheDataTypeE1EDF16_Li16ELi64ELi256ELb0ELi6EEvPKT_PKT0_S7_ifPKiS9_S9_iPKfiiiPfSC_PS2_PT2_iSB_SB_.num_agpr, max(0, .L__assert_fail.num_agpr)
	.set _Z39paged_attention_ll4mi_QKV_mfma16_kernelIDF16_hLN4vllm18Fp8KVCacheDataTypeE1EDF16_Li16ELi64ELi256ELb0ELi6EEvPKT_PKT0_S7_ifPKiS9_S9_iPKfiiiPfSC_PS2_PT2_iSB_SB_.numbered_sgpr, max(33, .L__assert_fail.numbered_sgpr)
	.set _Z39paged_attention_ll4mi_QKV_mfma16_kernelIDF16_hLN4vllm18Fp8KVCacheDataTypeE1EDF16_Li16ELi64ELi256ELb0ELi6EEvPKT_PKT0_S7_ifPKiS9_S9_iPKfiiiPfSC_PS2_PT2_iSB_SB_.num_named_barrier, max(0, .L__assert_fail.num_named_barrier)
	.set _Z39paged_attention_ll4mi_QKV_mfma16_kernelIDF16_hLN4vllm18Fp8KVCacheDataTypeE1EDF16_Li16ELi64ELi256ELb0ELi6EEvPKT_PKT0_S7_ifPKiS9_S9_iPKfiiiPfSC_PS2_PT2_iSB_SB_.private_seg_size, 0+max(.L__assert_fail.private_seg_size)
	.set _Z39paged_attention_ll4mi_QKV_mfma16_kernelIDF16_hLN4vllm18Fp8KVCacheDataTypeE1EDF16_Li16ELi64ELi256ELb0ELi6EEvPKT_PKT0_S7_ifPKiS9_S9_iPKfiiiPfSC_PS2_PT2_iSB_SB_.uses_vcc, or(1, .L__assert_fail.uses_vcc)
	.set _Z39paged_attention_ll4mi_QKV_mfma16_kernelIDF16_hLN4vllm18Fp8KVCacheDataTypeE1EDF16_Li16ELi64ELi256ELb0ELi6EEvPKT_PKT0_S7_ifPKiS9_S9_iPKfiiiPfSC_PS2_PT2_iSB_SB_.uses_flat_scratch, or(0, .L__assert_fail.uses_flat_scratch)
	.set _Z39paged_attention_ll4mi_QKV_mfma16_kernelIDF16_hLN4vllm18Fp8KVCacheDataTypeE1EDF16_Li16ELi64ELi256ELb0ELi6EEvPKT_PKT0_S7_ifPKiS9_S9_iPKfiiiPfSC_PS2_PT2_iSB_SB_.has_dyn_sized_stack, or(0, .L__assert_fail.has_dyn_sized_stack)
	.set _Z39paged_attention_ll4mi_QKV_mfma16_kernelIDF16_hLN4vllm18Fp8KVCacheDataTypeE1EDF16_Li16ELi64ELi256ELb0ELi6EEvPKT_PKT0_S7_ifPKiS9_S9_iPKfiiiPfSC_PS2_PT2_iSB_SB_.has_recursion, or(0, .L__assert_fail.has_recursion)
	.set _Z39paged_attention_ll4mi_QKV_mfma16_kernelIDF16_hLN4vllm18Fp8KVCacheDataTypeE1EDF16_Li16ELi64ELi256ELb0ELi6EEvPKT_PKT0_S7_ifPKiS9_S9_iPKfiiiPfSC_PS2_PT2_iSB_SB_.has_indirect_call, or(0, .L__assert_fail.has_indirect_call)
	.section	.AMDGPU.csdata,"",@progbits
; Kernel info:
; codeLenInByte = 68
; TotalNumSgprs: 36
; NumVgprs: 51
; ScratchSize: 64
; MemoryBound: 0
; FloatMode: 240
; IeeeMode: 1
; LDSByteSize: 0 bytes/workgroup (compile time only)
; SGPRBlocks: 0
; VGPRBlocks: 3
; NumSGPRsForWavesPerEU: 36
; NumVGPRsForWavesPerEU: 51
; NamedBarCnt: 0
; Occupancy: 16
; WaveLimiterHint : 1
; COMPUTE_PGM_RSRC2:SCRATCH_EN: 1
; COMPUTE_PGM_RSRC2:USER_SGPR: 2
; COMPUTE_PGM_RSRC2:TRAP_HANDLER: 0
; COMPUTE_PGM_RSRC2:TGID_X_EN: 1
; COMPUTE_PGM_RSRC2:TGID_Y_EN: 0
; COMPUTE_PGM_RSRC2:TGID_Z_EN: 0
; COMPUTE_PGM_RSRC2:TIDIG_COMP_CNT: 0
	.section	.text._Z39paged_attention_ll4mi_QKV_mfma16_kernelIDF16_hLN4vllm18Fp8KVCacheDataTypeE1EDF16_Li16ELi64ELi256ELb0ELi7EEvPKT_PKT0_S7_ifPKiS9_S9_iPKfiiiPfSC_PS2_PT2_iSB_SB_,"axG",@progbits,_Z39paged_attention_ll4mi_QKV_mfma16_kernelIDF16_hLN4vllm18Fp8KVCacheDataTypeE1EDF16_Li16ELi64ELi256ELb0ELi7EEvPKT_PKT0_S7_ifPKiS9_S9_iPKfiiiPfSC_PS2_PT2_iSB_SB_,comdat
	.protected	_Z39paged_attention_ll4mi_QKV_mfma16_kernelIDF16_hLN4vllm18Fp8KVCacheDataTypeE1EDF16_Li16ELi64ELi256ELb0ELi7EEvPKT_PKT0_S7_ifPKiS9_S9_iPKfiiiPfSC_PS2_PT2_iSB_SB_ ; -- Begin function _Z39paged_attention_ll4mi_QKV_mfma16_kernelIDF16_hLN4vllm18Fp8KVCacheDataTypeE1EDF16_Li16ELi64ELi256ELb0ELi7EEvPKT_PKT0_S7_ifPKiS9_S9_iPKfiiiPfSC_PS2_PT2_iSB_SB_
	.globl	_Z39paged_attention_ll4mi_QKV_mfma16_kernelIDF16_hLN4vllm18Fp8KVCacheDataTypeE1EDF16_Li16ELi64ELi256ELb0ELi7EEvPKT_PKT0_S7_ifPKiS9_S9_iPKfiiiPfSC_PS2_PT2_iSB_SB_
	.p2align	8
	.type	_Z39paged_attention_ll4mi_QKV_mfma16_kernelIDF16_hLN4vllm18Fp8KVCacheDataTypeE1EDF16_Li16ELi64ELi256ELb0ELi7EEvPKT_PKT0_S7_ifPKiS9_S9_iPKfiiiPfSC_PS2_PT2_iSB_SB_,@function
_Z39paged_attention_ll4mi_QKV_mfma16_kernelIDF16_hLN4vllm18Fp8KVCacheDataTypeE1EDF16_Li16ELi64ELi256ELb0ELi7EEvPKT_PKT0_S7_ifPKiS9_S9_iPKfiiiPfSC_PS2_PT2_iSB_SB_: ; @_Z39paged_attention_ll4mi_QKV_mfma16_kernelIDF16_hLN4vllm18Fp8KVCacheDataTypeE1EDF16_Li16ELi64ELi256ELb0ELi7EEvPKT_PKT0_S7_ifPKiS9_S9_iPKfiiiPfSC_PS2_PT2_iSB_SB_
; %bb.0:
	s_get_pc_i64 s[2:3]
	s_add_nc_u64 s[2:3], s[2:3], __PRETTY_FUNCTION__._Z39paged_attention_ll4mi_QKV_mfma16_kernelIDF16_hLN4vllm18Fp8KVCacheDataTypeE1EDF16_Li16ELi64ELi256ELb0ELi7EEvPKT_PKT0_S7_ifPKiS9_S9_iPKfiiiPfSC_PS2_PT2_iSB_SB_@rel64+4
	s_delay_alu instid0(SALU_CYCLE_1)
	v_dual_mov_b32 v0, 0xbb3 :: v_dual_mov_b32 v1, s2
	v_mov_b32_e32 v2, s3
	s_add_nc_u64 s[8:9], s[0:1], 0x90
	s_get_pc_i64 s[0:1]
	s_add_nc_u64 s[0:1], s[0:1], __assert_fail@rel64+4
	s_mov_b32 s32, 0
	s_swap_pc_i64 s[30:31], s[0:1]
	.section	.rodata,"a",@progbits
	.p2align	6, 0x0
	.amdhsa_kernel _Z39paged_attention_ll4mi_QKV_mfma16_kernelIDF16_hLN4vllm18Fp8KVCacheDataTypeE1EDF16_Li16ELi64ELi256ELb0ELi7EEvPKT_PKT0_S7_ifPKiS9_S9_iPKfiiiPfSC_PS2_PT2_iSB_SB_
		.amdhsa_group_segment_fixed_size 0
		.amdhsa_private_segment_fixed_size 64
		.amdhsa_kernarg_size 400
		.amdhsa_user_sgpr_count 2
		.amdhsa_user_sgpr_dispatch_ptr 0
		.amdhsa_user_sgpr_queue_ptr 0
		.amdhsa_user_sgpr_kernarg_segment_ptr 1
		.amdhsa_user_sgpr_dispatch_id 0
		.amdhsa_user_sgpr_kernarg_preload_length 0
		.amdhsa_user_sgpr_kernarg_preload_offset 0
		.amdhsa_user_sgpr_private_segment_size 0
		.amdhsa_wavefront_size32 1
		.amdhsa_uses_dynamic_stack 0
		.amdhsa_enable_private_segment 1
		.amdhsa_system_sgpr_workgroup_id_x 1
		.amdhsa_system_sgpr_workgroup_id_y 0
		.amdhsa_system_sgpr_workgroup_id_z 0
		.amdhsa_system_sgpr_workgroup_info 0
		.amdhsa_system_vgpr_workitem_id 0
		.amdhsa_next_free_vgpr 51
		.amdhsa_next_free_sgpr 34
		.amdhsa_named_barrier_count 0
		.amdhsa_reserve_vcc 1
		.amdhsa_float_round_mode_32 0
		.amdhsa_float_round_mode_16_64 0
		.amdhsa_float_denorm_mode_32 3
		.amdhsa_float_denorm_mode_16_64 3
		.amdhsa_fp16_overflow 0
		.amdhsa_memory_ordered 1
		.amdhsa_forward_progress 1
		.amdhsa_inst_pref_size 1
		.amdhsa_round_robin_scheduling 0
		.amdhsa_exception_fp_ieee_invalid_op 0
		.amdhsa_exception_fp_denorm_src 0
		.amdhsa_exception_fp_ieee_div_zero 0
		.amdhsa_exception_fp_ieee_overflow 0
		.amdhsa_exception_fp_ieee_underflow 0
		.amdhsa_exception_fp_ieee_inexact 0
		.amdhsa_exception_int_div_zero 0
	.end_amdhsa_kernel
	.section	.text._Z39paged_attention_ll4mi_QKV_mfma16_kernelIDF16_hLN4vllm18Fp8KVCacheDataTypeE1EDF16_Li16ELi64ELi256ELb0ELi7EEvPKT_PKT0_S7_ifPKiS9_S9_iPKfiiiPfSC_PS2_PT2_iSB_SB_,"axG",@progbits,_Z39paged_attention_ll4mi_QKV_mfma16_kernelIDF16_hLN4vllm18Fp8KVCacheDataTypeE1EDF16_Li16ELi64ELi256ELb0ELi7EEvPKT_PKT0_S7_ifPKiS9_S9_iPKfiiiPfSC_PS2_PT2_iSB_SB_,comdat
.Lfunc_end836:
	.size	_Z39paged_attention_ll4mi_QKV_mfma16_kernelIDF16_hLN4vllm18Fp8KVCacheDataTypeE1EDF16_Li16ELi64ELi256ELb0ELi7EEvPKT_PKT0_S7_ifPKiS9_S9_iPKfiiiPfSC_PS2_PT2_iSB_SB_, .Lfunc_end836-_Z39paged_attention_ll4mi_QKV_mfma16_kernelIDF16_hLN4vllm18Fp8KVCacheDataTypeE1EDF16_Li16ELi64ELi256ELb0ELi7EEvPKT_PKT0_S7_ifPKiS9_S9_iPKfiiiPfSC_PS2_PT2_iSB_SB_
                                        ; -- End function
	.set _Z39paged_attention_ll4mi_QKV_mfma16_kernelIDF16_hLN4vllm18Fp8KVCacheDataTypeE1EDF16_Li16ELi64ELi256ELb0ELi7EEvPKT_PKT0_S7_ifPKiS9_S9_iPKfiiiPfSC_PS2_PT2_iSB_SB_.num_vgpr, max(3, .L__assert_fail.num_vgpr)
	.set _Z39paged_attention_ll4mi_QKV_mfma16_kernelIDF16_hLN4vllm18Fp8KVCacheDataTypeE1EDF16_Li16ELi64ELi256ELb0ELi7EEvPKT_PKT0_S7_ifPKiS9_S9_iPKfiiiPfSC_PS2_PT2_iSB_SB_.num_agpr, max(0, .L__assert_fail.num_agpr)
	.set _Z39paged_attention_ll4mi_QKV_mfma16_kernelIDF16_hLN4vllm18Fp8KVCacheDataTypeE1EDF16_Li16ELi64ELi256ELb0ELi7EEvPKT_PKT0_S7_ifPKiS9_S9_iPKfiiiPfSC_PS2_PT2_iSB_SB_.numbered_sgpr, max(33, .L__assert_fail.numbered_sgpr)
	.set _Z39paged_attention_ll4mi_QKV_mfma16_kernelIDF16_hLN4vllm18Fp8KVCacheDataTypeE1EDF16_Li16ELi64ELi256ELb0ELi7EEvPKT_PKT0_S7_ifPKiS9_S9_iPKfiiiPfSC_PS2_PT2_iSB_SB_.num_named_barrier, max(0, .L__assert_fail.num_named_barrier)
	.set _Z39paged_attention_ll4mi_QKV_mfma16_kernelIDF16_hLN4vllm18Fp8KVCacheDataTypeE1EDF16_Li16ELi64ELi256ELb0ELi7EEvPKT_PKT0_S7_ifPKiS9_S9_iPKfiiiPfSC_PS2_PT2_iSB_SB_.private_seg_size, 0+max(.L__assert_fail.private_seg_size)
	.set _Z39paged_attention_ll4mi_QKV_mfma16_kernelIDF16_hLN4vllm18Fp8KVCacheDataTypeE1EDF16_Li16ELi64ELi256ELb0ELi7EEvPKT_PKT0_S7_ifPKiS9_S9_iPKfiiiPfSC_PS2_PT2_iSB_SB_.uses_vcc, or(1, .L__assert_fail.uses_vcc)
	.set _Z39paged_attention_ll4mi_QKV_mfma16_kernelIDF16_hLN4vllm18Fp8KVCacheDataTypeE1EDF16_Li16ELi64ELi256ELb0ELi7EEvPKT_PKT0_S7_ifPKiS9_S9_iPKfiiiPfSC_PS2_PT2_iSB_SB_.uses_flat_scratch, or(0, .L__assert_fail.uses_flat_scratch)
	.set _Z39paged_attention_ll4mi_QKV_mfma16_kernelIDF16_hLN4vllm18Fp8KVCacheDataTypeE1EDF16_Li16ELi64ELi256ELb0ELi7EEvPKT_PKT0_S7_ifPKiS9_S9_iPKfiiiPfSC_PS2_PT2_iSB_SB_.has_dyn_sized_stack, or(0, .L__assert_fail.has_dyn_sized_stack)
	.set _Z39paged_attention_ll4mi_QKV_mfma16_kernelIDF16_hLN4vllm18Fp8KVCacheDataTypeE1EDF16_Li16ELi64ELi256ELb0ELi7EEvPKT_PKT0_S7_ifPKiS9_S9_iPKfiiiPfSC_PS2_PT2_iSB_SB_.has_recursion, or(0, .L__assert_fail.has_recursion)
	.set _Z39paged_attention_ll4mi_QKV_mfma16_kernelIDF16_hLN4vllm18Fp8KVCacheDataTypeE1EDF16_Li16ELi64ELi256ELb0ELi7EEvPKT_PKT0_S7_ifPKiS9_S9_iPKfiiiPfSC_PS2_PT2_iSB_SB_.has_indirect_call, or(0, .L__assert_fail.has_indirect_call)
	.section	.AMDGPU.csdata,"",@progbits
; Kernel info:
; codeLenInByte = 68
; TotalNumSgprs: 36
; NumVgprs: 51
; ScratchSize: 64
; MemoryBound: 0
; FloatMode: 240
; IeeeMode: 1
; LDSByteSize: 0 bytes/workgroup (compile time only)
; SGPRBlocks: 0
; VGPRBlocks: 3
; NumSGPRsForWavesPerEU: 36
; NumVGPRsForWavesPerEU: 51
; NamedBarCnt: 0
; Occupancy: 16
; WaveLimiterHint : 1
; COMPUTE_PGM_RSRC2:SCRATCH_EN: 1
; COMPUTE_PGM_RSRC2:USER_SGPR: 2
; COMPUTE_PGM_RSRC2:TRAP_HANDLER: 0
; COMPUTE_PGM_RSRC2:TGID_X_EN: 1
; COMPUTE_PGM_RSRC2:TGID_Y_EN: 0
; COMPUTE_PGM_RSRC2:TGID_Z_EN: 0
; COMPUTE_PGM_RSRC2:TIDIG_COMP_CNT: 0
	.section	.text._Z39paged_attention_ll4mi_QKV_mfma16_kernelIDF16_hLN4vllm18Fp8KVCacheDataTypeE1EDF16_Li16ELi64ELi256ELb0ELi8EEvPKT_PKT0_S7_ifPKiS9_S9_iPKfiiiPfSC_PS2_PT2_iSB_SB_,"axG",@progbits,_Z39paged_attention_ll4mi_QKV_mfma16_kernelIDF16_hLN4vllm18Fp8KVCacheDataTypeE1EDF16_Li16ELi64ELi256ELb0ELi8EEvPKT_PKT0_S7_ifPKiS9_S9_iPKfiiiPfSC_PS2_PT2_iSB_SB_,comdat
	.protected	_Z39paged_attention_ll4mi_QKV_mfma16_kernelIDF16_hLN4vllm18Fp8KVCacheDataTypeE1EDF16_Li16ELi64ELi256ELb0ELi8EEvPKT_PKT0_S7_ifPKiS9_S9_iPKfiiiPfSC_PS2_PT2_iSB_SB_ ; -- Begin function _Z39paged_attention_ll4mi_QKV_mfma16_kernelIDF16_hLN4vllm18Fp8KVCacheDataTypeE1EDF16_Li16ELi64ELi256ELb0ELi8EEvPKT_PKT0_S7_ifPKiS9_S9_iPKfiiiPfSC_PS2_PT2_iSB_SB_
	.globl	_Z39paged_attention_ll4mi_QKV_mfma16_kernelIDF16_hLN4vllm18Fp8KVCacheDataTypeE1EDF16_Li16ELi64ELi256ELb0ELi8EEvPKT_PKT0_S7_ifPKiS9_S9_iPKfiiiPfSC_PS2_PT2_iSB_SB_
	.p2align	8
	.type	_Z39paged_attention_ll4mi_QKV_mfma16_kernelIDF16_hLN4vllm18Fp8KVCacheDataTypeE1EDF16_Li16ELi64ELi256ELb0ELi8EEvPKT_PKT0_S7_ifPKiS9_S9_iPKfiiiPfSC_PS2_PT2_iSB_SB_,@function
_Z39paged_attention_ll4mi_QKV_mfma16_kernelIDF16_hLN4vllm18Fp8KVCacheDataTypeE1EDF16_Li16ELi64ELi256ELb0ELi8EEvPKT_PKT0_S7_ifPKiS9_S9_iPKfiiiPfSC_PS2_PT2_iSB_SB_: ; @_Z39paged_attention_ll4mi_QKV_mfma16_kernelIDF16_hLN4vllm18Fp8KVCacheDataTypeE1EDF16_Li16ELi64ELi256ELb0ELi8EEvPKT_PKT0_S7_ifPKiS9_S9_iPKfiiiPfSC_PS2_PT2_iSB_SB_
; %bb.0:
	s_get_pc_i64 s[2:3]
	s_add_nc_u64 s[2:3], s[2:3], __PRETTY_FUNCTION__._Z39paged_attention_ll4mi_QKV_mfma16_kernelIDF16_hLN4vllm18Fp8KVCacheDataTypeE1EDF16_Li16ELi64ELi256ELb0ELi8EEvPKT_PKT0_S7_ifPKiS9_S9_iPKfiiiPfSC_PS2_PT2_iSB_SB_@rel64+4
	s_delay_alu instid0(SALU_CYCLE_1)
	v_dual_mov_b32 v0, 0xbb3 :: v_dual_mov_b32 v1, s2
	v_mov_b32_e32 v2, s3
	s_add_nc_u64 s[8:9], s[0:1], 0x90
	s_get_pc_i64 s[0:1]
	s_add_nc_u64 s[0:1], s[0:1], __assert_fail@rel64+4
	s_mov_b32 s32, 0
	s_swap_pc_i64 s[30:31], s[0:1]
	.section	.rodata,"a",@progbits
	.p2align	6, 0x0
	.amdhsa_kernel _Z39paged_attention_ll4mi_QKV_mfma16_kernelIDF16_hLN4vllm18Fp8KVCacheDataTypeE1EDF16_Li16ELi64ELi256ELb0ELi8EEvPKT_PKT0_S7_ifPKiS9_S9_iPKfiiiPfSC_PS2_PT2_iSB_SB_
		.amdhsa_group_segment_fixed_size 0
		.amdhsa_private_segment_fixed_size 64
		.amdhsa_kernarg_size 400
		.amdhsa_user_sgpr_count 2
		.amdhsa_user_sgpr_dispatch_ptr 0
		.amdhsa_user_sgpr_queue_ptr 0
		.amdhsa_user_sgpr_kernarg_segment_ptr 1
		.amdhsa_user_sgpr_dispatch_id 0
		.amdhsa_user_sgpr_kernarg_preload_length 0
		.amdhsa_user_sgpr_kernarg_preload_offset 0
		.amdhsa_user_sgpr_private_segment_size 0
		.amdhsa_wavefront_size32 1
		.amdhsa_uses_dynamic_stack 0
		.amdhsa_enable_private_segment 1
		.amdhsa_system_sgpr_workgroup_id_x 1
		.amdhsa_system_sgpr_workgroup_id_y 0
		.amdhsa_system_sgpr_workgroup_id_z 0
		.amdhsa_system_sgpr_workgroup_info 0
		.amdhsa_system_vgpr_workitem_id 0
		.amdhsa_next_free_vgpr 51
		.amdhsa_next_free_sgpr 34
		.amdhsa_named_barrier_count 0
		.amdhsa_reserve_vcc 1
		.amdhsa_float_round_mode_32 0
		.amdhsa_float_round_mode_16_64 0
		.amdhsa_float_denorm_mode_32 3
		.amdhsa_float_denorm_mode_16_64 3
		.amdhsa_fp16_overflow 0
		.amdhsa_memory_ordered 1
		.amdhsa_forward_progress 1
		.amdhsa_inst_pref_size 1
		.amdhsa_round_robin_scheduling 0
		.amdhsa_exception_fp_ieee_invalid_op 0
		.amdhsa_exception_fp_denorm_src 0
		.amdhsa_exception_fp_ieee_div_zero 0
		.amdhsa_exception_fp_ieee_overflow 0
		.amdhsa_exception_fp_ieee_underflow 0
		.amdhsa_exception_fp_ieee_inexact 0
		.amdhsa_exception_int_div_zero 0
	.end_amdhsa_kernel
	.section	.text._Z39paged_attention_ll4mi_QKV_mfma16_kernelIDF16_hLN4vllm18Fp8KVCacheDataTypeE1EDF16_Li16ELi64ELi256ELb0ELi8EEvPKT_PKT0_S7_ifPKiS9_S9_iPKfiiiPfSC_PS2_PT2_iSB_SB_,"axG",@progbits,_Z39paged_attention_ll4mi_QKV_mfma16_kernelIDF16_hLN4vllm18Fp8KVCacheDataTypeE1EDF16_Li16ELi64ELi256ELb0ELi8EEvPKT_PKT0_S7_ifPKiS9_S9_iPKfiiiPfSC_PS2_PT2_iSB_SB_,comdat
.Lfunc_end837:
	.size	_Z39paged_attention_ll4mi_QKV_mfma16_kernelIDF16_hLN4vllm18Fp8KVCacheDataTypeE1EDF16_Li16ELi64ELi256ELb0ELi8EEvPKT_PKT0_S7_ifPKiS9_S9_iPKfiiiPfSC_PS2_PT2_iSB_SB_, .Lfunc_end837-_Z39paged_attention_ll4mi_QKV_mfma16_kernelIDF16_hLN4vllm18Fp8KVCacheDataTypeE1EDF16_Li16ELi64ELi256ELb0ELi8EEvPKT_PKT0_S7_ifPKiS9_S9_iPKfiiiPfSC_PS2_PT2_iSB_SB_
                                        ; -- End function
	.set _Z39paged_attention_ll4mi_QKV_mfma16_kernelIDF16_hLN4vllm18Fp8KVCacheDataTypeE1EDF16_Li16ELi64ELi256ELb0ELi8EEvPKT_PKT0_S7_ifPKiS9_S9_iPKfiiiPfSC_PS2_PT2_iSB_SB_.num_vgpr, max(3, .L__assert_fail.num_vgpr)
	.set _Z39paged_attention_ll4mi_QKV_mfma16_kernelIDF16_hLN4vllm18Fp8KVCacheDataTypeE1EDF16_Li16ELi64ELi256ELb0ELi8EEvPKT_PKT0_S7_ifPKiS9_S9_iPKfiiiPfSC_PS2_PT2_iSB_SB_.num_agpr, max(0, .L__assert_fail.num_agpr)
	.set _Z39paged_attention_ll4mi_QKV_mfma16_kernelIDF16_hLN4vllm18Fp8KVCacheDataTypeE1EDF16_Li16ELi64ELi256ELb0ELi8EEvPKT_PKT0_S7_ifPKiS9_S9_iPKfiiiPfSC_PS2_PT2_iSB_SB_.numbered_sgpr, max(33, .L__assert_fail.numbered_sgpr)
	.set _Z39paged_attention_ll4mi_QKV_mfma16_kernelIDF16_hLN4vllm18Fp8KVCacheDataTypeE1EDF16_Li16ELi64ELi256ELb0ELi8EEvPKT_PKT0_S7_ifPKiS9_S9_iPKfiiiPfSC_PS2_PT2_iSB_SB_.num_named_barrier, max(0, .L__assert_fail.num_named_barrier)
	.set _Z39paged_attention_ll4mi_QKV_mfma16_kernelIDF16_hLN4vllm18Fp8KVCacheDataTypeE1EDF16_Li16ELi64ELi256ELb0ELi8EEvPKT_PKT0_S7_ifPKiS9_S9_iPKfiiiPfSC_PS2_PT2_iSB_SB_.private_seg_size, 0+max(.L__assert_fail.private_seg_size)
	.set _Z39paged_attention_ll4mi_QKV_mfma16_kernelIDF16_hLN4vllm18Fp8KVCacheDataTypeE1EDF16_Li16ELi64ELi256ELb0ELi8EEvPKT_PKT0_S7_ifPKiS9_S9_iPKfiiiPfSC_PS2_PT2_iSB_SB_.uses_vcc, or(1, .L__assert_fail.uses_vcc)
	.set _Z39paged_attention_ll4mi_QKV_mfma16_kernelIDF16_hLN4vllm18Fp8KVCacheDataTypeE1EDF16_Li16ELi64ELi256ELb0ELi8EEvPKT_PKT0_S7_ifPKiS9_S9_iPKfiiiPfSC_PS2_PT2_iSB_SB_.uses_flat_scratch, or(0, .L__assert_fail.uses_flat_scratch)
	.set _Z39paged_attention_ll4mi_QKV_mfma16_kernelIDF16_hLN4vllm18Fp8KVCacheDataTypeE1EDF16_Li16ELi64ELi256ELb0ELi8EEvPKT_PKT0_S7_ifPKiS9_S9_iPKfiiiPfSC_PS2_PT2_iSB_SB_.has_dyn_sized_stack, or(0, .L__assert_fail.has_dyn_sized_stack)
	.set _Z39paged_attention_ll4mi_QKV_mfma16_kernelIDF16_hLN4vllm18Fp8KVCacheDataTypeE1EDF16_Li16ELi64ELi256ELb0ELi8EEvPKT_PKT0_S7_ifPKiS9_S9_iPKfiiiPfSC_PS2_PT2_iSB_SB_.has_recursion, or(0, .L__assert_fail.has_recursion)
	.set _Z39paged_attention_ll4mi_QKV_mfma16_kernelIDF16_hLN4vllm18Fp8KVCacheDataTypeE1EDF16_Li16ELi64ELi256ELb0ELi8EEvPKT_PKT0_S7_ifPKiS9_S9_iPKfiiiPfSC_PS2_PT2_iSB_SB_.has_indirect_call, or(0, .L__assert_fail.has_indirect_call)
	.section	.AMDGPU.csdata,"",@progbits
; Kernel info:
; codeLenInByte = 68
; TotalNumSgprs: 36
; NumVgprs: 51
; ScratchSize: 64
; MemoryBound: 0
; FloatMode: 240
; IeeeMode: 1
; LDSByteSize: 0 bytes/workgroup (compile time only)
; SGPRBlocks: 0
; VGPRBlocks: 3
; NumSGPRsForWavesPerEU: 36
; NumVGPRsForWavesPerEU: 51
; NamedBarCnt: 0
; Occupancy: 16
; WaveLimiterHint : 1
; COMPUTE_PGM_RSRC2:SCRATCH_EN: 1
; COMPUTE_PGM_RSRC2:USER_SGPR: 2
; COMPUTE_PGM_RSRC2:TRAP_HANDLER: 0
; COMPUTE_PGM_RSRC2:TGID_X_EN: 1
; COMPUTE_PGM_RSRC2:TGID_Y_EN: 0
; COMPUTE_PGM_RSRC2:TGID_Z_EN: 0
; COMPUTE_PGM_RSRC2:TIDIG_COMP_CNT: 0
	.section	.text._Z39paged_attention_ll4mi_QKV_mfma16_kernelIDF16_hLN4vllm18Fp8KVCacheDataTypeE1EDF16_Li16ELi64ELi256ELb0ELi9EEvPKT_PKT0_S7_ifPKiS9_S9_iPKfiiiPfSC_PS2_PT2_iSB_SB_,"axG",@progbits,_Z39paged_attention_ll4mi_QKV_mfma16_kernelIDF16_hLN4vllm18Fp8KVCacheDataTypeE1EDF16_Li16ELi64ELi256ELb0ELi9EEvPKT_PKT0_S7_ifPKiS9_S9_iPKfiiiPfSC_PS2_PT2_iSB_SB_,comdat
	.protected	_Z39paged_attention_ll4mi_QKV_mfma16_kernelIDF16_hLN4vllm18Fp8KVCacheDataTypeE1EDF16_Li16ELi64ELi256ELb0ELi9EEvPKT_PKT0_S7_ifPKiS9_S9_iPKfiiiPfSC_PS2_PT2_iSB_SB_ ; -- Begin function _Z39paged_attention_ll4mi_QKV_mfma16_kernelIDF16_hLN4vllm18Fp8KVCacheDataTypeE1EDF16_Li16ELi64ELi256ELb0ELi9EEvPKT_PKT0_S7_ifPKiS9_S9_iPKfiiiPfSC_PS2_PT2_iSB_SB_
	.globl	_Z39paged_attention_ll4mi_QKV_mfma16_kernelIDF16_hLN4vllm18Fp8KVCacheDataTypeE1EDF16_Li16ELi64ELi256ELb0ELi9EEvPKT_PKT0_S7_ifPKiS9_S9_iPKfiiiPfSC_PS2_PT2_iSB_SB_
	.p2align	8
	.type	_Z39paged_attention_ll4mi_QKV_mfma16_kernelIDF16_hLN4vllm18Fp8KVCacheDataTypeE1EDF16_Li16ELi64ELi256ELb0ELi9EEvPKT_PKT0_S7_ifPKiS9_S9_iPKfiiiPfSC_PS2_PT2_iSB_SB_,@function
_Z39paged_attention_ll4mi_QKV_mfma16_kernelIDF16_hLN4vllm18Fp8KVCacheDataTypeE1EDF16_Li16ELi64ELi256ELb0ELi9EEvPKT_PKT0_S7_ifPKiS9_S9_iPKfiiiPfSC_PS2_PT2_iSB_SB_: ; @_Z39paged_attention_ll4mi_QKV_mfma16_kernelIDF16_hLN4vllm18Fp8KVCacheDataTypeE1EDF16_Li16ELi64ELi256ELb0ELi9EEvPKT_PKT0_S7_ifPKiS9_S9_iPKfiiiPfSC_PS2_PT2_iSB_SB_
; %bb.0:
	s_get_pc_i64 s[2:3]
	s_add_nc_u64 s[2:3], s[2:3], __PRETTY_FUNCTION__._Z39paged_attention_ll4mi_QKV_mfma16_kernelIDF16_hLN4vllm18Fp8KVCacheDataTypeE1EDF16_Li16ELi64ELi256ELb0ELi9EEvPKT_PKT0_S7_ifPKiS9_S9_iPKfiiiPfSC_PS2_PT2_iSB_SB_@rel64+4
	s_delay_alu instid0(SALU_CYCLE_1)
	v_dual_mov_b32 v0, 0xbb3 :: v_dual_mov_b32 v1, s2
	v_mov_b32_e32 v2, s3
	s_add_nc_u64 s[8:9], s[0:1], 0x90
	s_get_pc_i64 s[0:1]
	s_add_nc_u64 s[0:1], s[0:1], __assert_fail@rel64+4
	s_mov_b32 s32, 0
	s_swap_pc_i64 s[30:31], s[0:1]
	.section	.rodata,"a",@progbits
	.p2align	6, 0x0
	.amdhsa_kernel _Z39paged_attention_ll4mi_QKV_mfma16_kernelIDF16_hLN4vllm18Fp8KVCacheDataTypeE1EDF16_Li16ELi64ELi256ELb0ELi9EEvPKT_PKT0_S7_ifPKiS9_S9_iPKfiiiPfSC_PS2_PT2_iSB_SB_
		.amdhsa_group_segment_fixed_size 0
		.amdhsa_private_segment_fixed_size 64
		.amdhsa_kernarg_size 400
		.amdhsa_user_sgpr_count 2
		.amdhsa_user_sgpr_dispatch_ptr 0
		.amdhsa_user_sgpr_queue_ptr 0
		.amdhsa_user_sgpr_kernarg_segment_ptr 1
		.amdhsa_user_sgpr_dispatch_id 0
		.amdhsa_user_sgpr_kernarg_preload_length 0
		.amdhsa_user_sgpr_kernarg_preload_offset 0
		.amdhsa_user_sgpr_private_segment_size 0
		.amdhsa_wavefront_size32 1
		.amdhsa_uses_dynamic_stack 0
		.amdhsa_enable_private_segment 1
		.amdhsa_system_sgpr_workgroup_id_x 1
		.amdhsa_system_sgpr_workgroup_id_y 0
		.amdhsa_system_sgpr_workgroup_id_z 0
		.amdhsa_system_sgpr_workgroup_info 0
		.amdhsa_system_vgpr_workitem_id 0
		.amdhsa_next_free_vgpr 51
		.amdhsa_next_free_sgpr 34
		.amdhsa_named_barrier_count 0
		.amdhsa_reserve_vcc 1
		.amdhsa_float_round_mode_32 0
		.amdhsa_float_round_mode_16_64 0
		.amdhsa_float_denorm_mode_32 3
		.amdhsa_float_denorm_mode_16_64 3
		.amdhsa_fp16_overflow 0
		.amdhsa_memory_ordered 1
		.amdhsa_forward_progress 1
		.amdhsa_inst_pref_size 1
		.amdhsa_round_robin_scheduling 0
		.amdhsa_exception_fp_ieee_invalid_op 0
		.amdhsa_exception_fp_denorm_src 0
		.amdhsa_exception_fp_ieee_div_zero 0
		.amdhsa_exception_fp_ieee_overflow 0
		.amdhsa_exception_fp_ieee_underflow 0
		.amdhsa_exception_fp_ieee_inexact 0
		.amdhsa_exception_int_div_zero 0
	.end_amdhsa_kernel
	.section	.text._Z39paged_attention_ll4mi_QKV_mfma16_kernelIDF16_hLN4vllm18Fp8KVCacheDataTypeE1EDF16_Li16ELi64ELi256ELb0ELi9EEvPKT_PKT0_S7_ifPKiS9_S9_iPKfiiiPfSC_PS2_PT2_iSB_SB_,"axG",@progbits,_Z39paged_attention_ll4mi_QKV_mfma16_kernelIDF16_hLN4vllm18Fp8KVCacheDataTypeE1EDF16_Li16ELi64ELi256ELb0ELi9EEvPKT_PKT0_S7_ifPKiS9_S9_iPKfiiiPfSC_PS2_PT2_iSB_SB_,comdat
.Lfunc_end838:
	.size	_Z39paged_attention_ll4mi_QKV_mfma16_kernelIDF16_hLN4vllm18Fp8KVCacheDataTypeE1EDF16_Li16ELi64ELi256ELb0ELi9EEvPKT_PKT0_S7_ifPKiS9_S9_iPKfiiiPfSC_PS2_PT2_iSB_SB_, .Lfunc_end838-_Z39paged_attention_ll4mi_QKV_mfma16_kernelIDF16_hLN4vllm18Fp8KVCacheDataTypeE1EDF16_Li16ELi64ELi256ELb0ELi9EEvPKT_PKT0_S7_ifPKiS9_S9_iPKfiiiPfSC_PS2_PT2_iSB_SB_
                                        ; -- End function
	.set _Z39paged_attention_ll4mi_QKV_mfma16_kernelIDF16_hLN4vllm18Fp8KVCacheDataTypeE1EDF16_Li16ELi64ELi256ELb0ELi9EEvPKT_PKT0_S7_ifPKiS9_S9_iPKfiiiPfSC_PS2_PT2_iSB_SB_.num_vgpr, max(3, .L__assert_fail.num_vgpr)
	.set _Z39paged_attention_ll4mi_QKV_mfma16_kernelIDF16_hLN4vllm18Fp8KVCacheDataTypeE1EDF16_Li16ELi64ELi256ELb0ELi9EEvPKT_PKT0_S7_ifPKiS9_S9_iPKfiiiPfSC_PS2_PT2_iSB_SB_.num_agpr, max(0, .L__assert_fail.num_agpr)
	.set _Z39paged_attention_ll4mi_QKV_mfma16_kernelIDF16_hLN4vllm18Fp8KVCacheDataTypeE1EDF16_Li16ELi64ELi256ELb0ELi9EEvPKT_PKT0_S7_ifPKiS9_S9_iPKfiiiPfSC_PS2_PT2_iSB_SB_.numbered_sgpr, max(33, .L__assert_fail.numbered_sgpr)
	.set _Z39paged_attention_ll4mi_QKV_mfma16_kernelIDF16_hLN4vllm18Fp8KVCacheDataTypeE1EDF16_Li16ELi64ELi256ELb0ELi9EEvPKT_PKT0_S7_ifPKiS9_S9_iPKfiiiPfSC_PS2_PT2_iSB_SB_.num_named_barrier, max(0, .L__assert_fail.num_named_barrier)
	.set _Z39paged_attention_ll4mi_QKV_mfma16_kernelIDF16_hLN4vllm18Fp8KVCacheDataTypeE1EDF16_Li16ELi64ELi256ELb0ELi9EEvPKT_PKT0_S7_ifPKiS9_S9_iPKfiiiPfSC_PS2_PT2_iSB_SB_.private_seg_size, 0+max(.L__assert_fail.private_seg_size)
	.set _Z39paged_attention_ll4mi_QKV_mfma16_kernelIDF16_hLN4vllm18Fp8KVCacheDataTypeE1EDF16_Li16ELi64ELi256ELb0ELi9EEvPKT_PKT0_S7_ifPKiS9_S9_iPKfiiiPfSC_PS2_PT2_iSB_SB_.uses_vcc, or(1, .L__assert_fail.uses_vcc)
	.set _Z39paged_attention_ll4mi_QKV_mfma16_kernelIDF16_hLN4vllm18Fp8KVCacheDataTypeE1EDF16_Li16ELi64ELi256ELb0ELi9EEvPKT_PKT0_S7_ifPKiS9_S9_iPKfiiiPfSC_PS2_PT2_iSB_SB_.uses_flat_scratch, or(0, .L__assert_fail.uses_flat_scratch)
	.set _Z39paged_attention_ll4mi_QKV_mfma16_kernelIDF16_hLN4vllm18Fp8KVCacheDataTypeE1EDF16_Li16ELi64ELi256ELb0ELi9EEvPKT_PKT0_S7_ifPKiS9_S9_iPKfiiiPfSC_PS2_PT2_iSB_SB_.has_dyn_sized_stack, or(0, .L__assert_fail.has_dyn_sized_stack)
	.set _Z39paged_attention_ll4mi_QKV_mfma16_kernelIDF16_hLN4vllm18Fp8KVCacheDataTypeE1EDF16_Li16ELi64ELi256ELb0ELi9EEvPKT_PKT0_S7_ifPKiS9_S9_iPKfiiiPfSC_PS2_PT2_iSB_SB_.has_recursion, or(0, .L__assert_fail.has_recursion)
	.set _Z39paged_attention_ll4mi_QKV_mfma16_kernelIDF16_hLN4vllm18Fp8KVCacheDataTypeE1EDF16_Li16ELi64ELi256ELb0ELi9EEvPKT_PKT0_S7_ifPKiS9_S9_iPKfiiiPfSC_PS2_PT2_iSB_SB_.has_indirect_call, or(0, .L__assert_fail.has_indirect_call)
	.section	.AMDGPU.csdata,"",@progbits
; Kernel info:
; codeLenInByte = 68
; TotalNumSgprs: 36
; NumVgprs: 51
; ScratchSize: 64
; MemoryBound: 0
; FloatMode: 240
; IeeeMode: 1
; LDSByteSize: 0 bytes/workgroup (compile time only)
; SGPRBlocks: 0
; VGPRBlocks: 3
; NumSGPRsForWavesPerEU: 36
; NumVGPRsForWavesPerEU: 51
; NamedBarCnt: 0
; Occupancy: 16
; WaveLimiterHint : 1
; COMPUTE_PGM_RSRC2:SCRATCH_EN: 1
; COMPUTE_PGM_RSRC2:USER_SGPR: 2
; COMPUTE_PGM_RSRC2:TRAP_HANDLER: 0
; COMPUTE_PGM_RSRC2:TGID_X_EN: 1
; COMPUTE_PGM_RSRC2:TGID_Y_EN: 0
; COMPUTE_PGM_RSRC2:TGID_Z_EN: 0
; COMPUTE_PGM_RSRC2:TIDIG_COMP_CNT: 0
	.section	.text._Z39paged_attention_ll4mi_QKV_mfma16_kernelIDF16_hLN4vllm18Fp8KVCacheDataTypeE1EDF16_Li16ELi64ELi256ELb0ELi10EEvPKT_PKT0_S7_ifPKiS9_S9_iPKfiiiPfSC_PS2_PT2_iSB_SB_,"axG",@progbits,_Z39paged_attention_ll4mi_QKV_mfma16_kernelIDF16_hLN4vllm18Fp8KVCacheDataTypeE1EDF16_Li16ELi64ELi256ELb0ELi10EEvPKT_PKT0_S7_ifPKiS9_S9_iPKfiiiPfSC_PS2_PT2_iSB_SB_,comdat
	.protected	_Z39paged_attention_ll4mi_QKV_mfma16_kernelIDF16_hLN4vllm18Fp8KVCacheDataTypeE1EDF16_Li16ELi64ELi256ELb0ELi10EEvPKT_PKT0_S7_ifPKiS9_S9_iPKfiiiPfSC_PS2_PT2_iSB_SB_ ; -- Begin function _Z39paged_attention_ll4mi_QKV_mfma16_kernelIDF16_hLN4vllm18Fp8KVCacheDataTypeE1EDF16_Li16ELi64ELi256ELb0ELi10EEvPKT_PKT0_S7_ifPKiS9_S9_iPKfiiiPfSC_PS2_PT2_iSB_SB_
	.globl	_Z39paged_attention_ll4mi_QKV_mfma16_kernelIDF16_hLN4vllm18Fp8KVCacheDataTypeE1EDF16_Li16ELi64ELi256ELb0ELi10EEvPKT_PKT0_S7_ifPKiS9_S9_iPKfiiiPfSC_PS2_PT2_iSB_SB_
	.p2align	8
	.type	_Z39paged_attention_ll4mi_QKV_mfma16_kernelIDF16_hLN4vllm18Fp8KVCacheDataTypeE1EDF16_Li16ELi64ELi256ELb0ELi10EEvPKT_PKT0_S7_ifPKiS9_S9_iPKfiiiPfSC_PS2_PT2_iSB_SB_,@function
_Z39paged_attention_ll4mi_QKV_mfma16_kernelIDF16_hLN4vllm18Fp8KVCacheDataTypeE1EDF16_Li16ELi64ELi256ELb0ELi10EEvPKT_PKT0_S7_ifPKiS9_S9_iPKfiiiPfSC_PS2_PT2_iSB_SB_: ; @_Z39paged_attention_ll4mi_QKV_mfma16_kernelIDF16_hLN4vllm18Fp8KVCacheDataTypeE1EDF16_Li16ELi64ELi256ELb0ELi10EEvPKT_PKT0_S7_ifPKiS9_S9_iPKfiiiPfSC_PS2_PT2_iSB_SB_
; %bb.0:
	s_get_pc_i64 s[2:3]
	s_add_nc_u64 s[2:3], s[2:3], __PRETTY_FUNCTION__._Z39paged_attention_ll4mi_QKV_mfma16_kernelIDF16_hLN4vllm18Fp8KVCacheDataTypeE1EDF16_Li16ELi64ELi256ELb0ELi10EEvPKT_PKT0_S7_ifPKiS9_S9_iPKfiiiPfSC_PS2_PT2_iSB_SB_@rel64+4
	s_delay_alu instid0(SALU_CYCLE_1)
	v_dual_mov_b32 v0, 0xbb3 :: v_dual_mov_b32 v1, s2
	v_mov_b32_e32 v2, s3
	s_add_nc_u64 s[8:9], s[0:1], 0x90
	s_get_pc_i64 s[0:1]
	s_add_nc_u64 s[0:1], s[0:1], __assert_fail@rel64+4
	s_mov_b32 s32, 0
	s_swap_pc_i64 s[30:31], s[0:1]
	.section	.rodata,"a",@progbits
	.p2align	6, 0x0
	.amdhsa_kernel _Z39paged_attention_ll4mi_QKV_mfma16_kernelIDF16_hLN4vllm18Fp8KVCacheDataTypeE1EDF16_Li16ELi64ELi256ELb0ELi10EEvPKT_PKT0_S7_ifPKiS9_S9_iPKfiiiPfSC_PS2_PT2_iSB_SB_
		.amdhsa_group_segment_fixed_size 0
		.amdhsa_private_segment_fixed_size 64
		.amdhsa_kernarg_size 400
		.amdhsa_user_sgpr_count 2
		.amdhsa_user_sgpr_dispatch_ptr 0
		.amdhsa_user_sgpr_queue_ptr 0
		.amdhsa_user_sgpr_kernarg_segment_ptr 1
		.amdhsa_user_sgpr_dispatch_id 0
		.amdhsa_user_sgpr_kernarg_preload_length 0
		.amdhsa_user_sgpr_kernarg_preload_offset 0
		.amdhsa_user_sgpr_private_segment_size 0
		.amdhsa_wavefront_size32 1
		.amdhsa_uses_dynamic_stack 0
		.amdhsa_enable_private_segment 1
		.amdhsa_system_sgpr_workgroup_id_x 1
		.amdhsa_system_sgpr_workgroup_id_y 0
		.amdhsa_system_sgpr_workgroup_id_z 0
		.amdhsa_system_sgpr_workgroup_info 0
		.amdhsa_system_vgpr_workitem_id 0
		.amdhsa_next_free_vgpr 51
		.amdhsa_next_free_sgpr 34
		.amdhsa_named_barrier_count 0
		.amdhsa_reserve_vcc 1
		.amdhsa_float_round_mode_32 0
		.amdhsa_float_round_mode_16_64 0
		.amdhsa_float_denorm_mode_32 3
		.amdhsa_float_denorm_mode_16_64 3
		.amdhsa_fp16_overflow 0
		.amdhsa_memory_ordered 1
		.amdhsa_forward_progress 1
		.amdhsa_inst_pref_size 1
		.amdhsa_round_robin_scheduling 0
		.amdhsa_exception_fp_ieee_invalid_op 0
		.amdhsa_exception_fp_denorm_src 0
		.amdhsa_exception_fp_ieee_div_zero 0
		.amdhsa_exception_fp_ieee_overflow 0
		.amdhsa_exception_fp_ieee_underflow 0
		.amdhsa_exception_fp_ieee_inexact 0
		.amdhsa_exception_int_div_zero 0
	.end_amdhsa_kernel
	.section	.text._Z39paged_attention_ll4mi_QKV_mfma16_kernelIDF16_hLN4vllm18Fp8KVCacheDataTypeE1EDF16_Li16ELi64ELi256ELb0ELi10EEvPKT_PKT0_S7_ifPKiS9_S9_iPKfiiiPfSC_PS2_PT2_iSB_SB_,"axG",@progbits,_Z39paged_attention_ll4mi_QKV_mfma16_kernelIDF16_hLN4vllm18Fp8KVCacheDataTypeE1EDF16_Li16ELi64ELi256ELb0ELi10EEvPKT_PKT0_S7_ifPKiS9_S9_iPKfiiiPfSC_PS2_PT2_iSB_SB_,comdat
.Lfunc_end839:
	.size	_Z39paged_attention_ll4mi_QKV_mfma16_kernelIDF16_hLN4vllm18Fp8KVCacheDataTypeE1EDF16_Li16ELi64ELi256ELb0ELi10EEvPKT_PKT0_S7_ifPKiS9_S9_iPKfiiiPfSC_PS2_PT2_iSB_SB_, .Lfunc_end839-_Z39paged_attention_ll4mi_QKV_mfma16_kernelIDF16_hLN4vllm18Fp8KVCacheDataTypeE1EDF16_Li16ELi64ELi256ELb0ELi10EEvPKT_PKT0_S7_ifPKiS9_S9_iPKfiiiPfSC_PS2_PT2_iSB_SB_
                                        ; -- End function
	.set _Z39paged_attention_ll4mi_QKV_mfma16_kernelIDF16_hLN4vllm18Fp8KVCacheDataTypeE1EDF16_Li16ELi64ELi256ELb0ELi10EEvPKT_PKT0_S7_ifPKiS9_S9_iPKfiiiPfSC_PS2_PT2_iSB_SB_.num_vgpr, max(3, .L__assert_fail.num_vgpr)
	.set _Z39paged_attention_ll4mi_QKV_mfma16_kernelIDF16_hLN4vllm18Fp8KVCacheDataTypeE1EDF16_Li16ELi64ELi256ELb0ELi10EEvPKT_PKT0_S7_ifPKiS9_S9_iPKfiiiPfSC_PS2_PT2_iSB_SB_.num_agpr, max(0, .L__assert_fail.num_agpr)
	.set _Z39paged_attention_ll4mi_QKV_mfma16_kernelIDF16_hLN4vllm18Fp8KVCacheDataTypeE1EDF16_Li16ELi64ELi256ELb0ELi10EEvPKT_PKT0_S7_ifPKiS9_S9_iPKfiiiPfSC_PS2_PT2_iSB_SB_.numbered_sgpr, max(33, .L__assert_fail.numbered_sgpr)
	.set _Z39paged_attention_ll4mi_QKV_mfma16_kernelIDF16_hLN4vllm18Fp8KVCacheDataTypeE1EDF16_Li16ELi64ELi256ELb0ELi10EEvPKT_PKT0_S7_ifPKiS9_S9_iPKfiiiPfSC_PS2_PT2_iSB_SB_.num_named_barrier, max(0, .L__assert_fail.num_named_barrier)
	.set _Z39paged_attention_ll4mi_QKV_mfma16_kernelIDF16_hLN4vllm18Fp8KVCacheDataTypeE1EDF16_Li16ELi64ELi256ELb0ELi10EEvPKT_PKT0_S7_ifPKiS9_S9_iPKfiiiPfSC_PS2_PT2_iSB_SB_.private_seg_size, 0+max(.L__assert_fail.private_seg_size)
	.set _Z39paged_attention_ll4mi_QKV_mfma16_kernelIDF16_hLN4vllm18Fp8KVCacheDataTypeE1EDF16_Li16ELi64ELi256ELb0ELi10EEvPKT_PKT0_S7_ifPKiS9_S9_iPKfiiiPfSC_PS2_PT2_iSB_SB_.uses_vcc, or(1, .L__assert_fail.uses_vcc)
	.set _Z39paged_attention_ll4mi_QKV_mfma16_kernelIDF16_hLN4vllm18Fp8KVCacheDataTypeE1EDF16_Li16ELi64ELi256ELb0ELi10EEvPKT_PKT0_S7_ifPKiS9_S9_iPKfiiiPfSC_PS2_PT2_iSB_SB_.uses_flat_scratch, or(0, .L__assert_fail.uses_flat_scratch)
	.set _Z39paged_attention_ll4mi_QKV_mfma16_kernelIDF16_hLN4vllm18Fp8KVCacheDataTypeE1EDF16_Li16ELi64ELi256ELb0ELi10EEvPKT_PKT0_S7_ifPKiS9_S9_iPKfiiiPfSC_PS2_PT2_iSB_SB_.has_dyn_sized_stack, or(0, .L__assert_fail.has_dyn_sized_stack)
	.set _Z39paged_attention_ll4mi_QKV_mfma16_kernelIDF16_hLN4vllm18Fp8KVCacheDataTypeE1EDF16_Li16ELi64ELi256ELb0ELi10EEvPKT_PKT0_S7_ifPKiS9_S9_iPKfiiiPfSC_PS2_PT2_iSB_SB_.has_recursion, or(0, .L__assert_fail.has_recursion)
	.set _Z39paged_attention_ll4mi_QKV_mfma16_kernelIDF16_hLN4vllm18Fp8KVCacheDataTypeE1EDF16_Li16ELi64ELi256ELb0ELi10EEvPKT_PKT0_S7_ifPKiS9_S9_iPKfiiiPfSC_PS2_PT2_iSB_SB_.has_indirect_call, or(0, .L__assert_fail.has_indirect_call)
	.section	.AMDGPU.csdata,"",@progbits
; Kernel info:
; codeLenInByte = 68
; TotalNumSgprs: 36
; NumVgprs: 51
; ScratchSize: 64
; MemoryBound: 0
; FloatMode: 240
; IeeeMode: 1
; LDSByteSize: 0 bytes/workgroup (compile time only)
; SGPRBlocks: 0
; VGPRBlocks: 3
; NumSGPRsForWavesPerEU: 36
; NumVGPRsForWavesPerEU: 51
; NamedBarCnt: 0
; Occupancy: 16
; WaveLimiterHint : 1
; COMPUTE_PGM_RSRC2:SCRATCH_EN: 1
; COMPUTE_PGM_RSRC2:USER_SGPR: 2
; COMPUTE_PGM_RSRC2:TRAP_HANDLER: 0
; COMPUTE_PGM_RSRC2:TGID_X_EN: 1
; COMPUTE_PGM_RSRC2:TGID_Y_EN: 0
; COMPUTE_PGM_RSRC2:TGID_Z_EN: 0
; COMPUTE_PGM_RSRC2:TIDIG_COMP_CNT: 0
	.section	.text._Z39paged_attention_ll4mi_QKV_mfma16_kernelIDF16_hLN4vllm18Fp8KVCacheDataTypeE1EDF16_Li16ELi64ELi256ELb0ELi11EEvPKT_PKT0_S7_ifPKiS9_S9_iPKfiiiPfSC_PS2_PT2_iSB_SB_,"axG",@progbits,_Z39paged_attention_ll4mi_QKV_mfma16_kernelIDF16_hLN4vllm18Fp8KVCacheDataTypeE1EDF16_Li16ELi64ELi256ELb0ELi11EEvPKT_PKT0_S7_ifPKiS9_S9_iPKfiiiPfSC_PS2_PT2_iSB_SB_,comdat
	.protected	_Z39paged_attention_ll4mi_QKV_mfma16_kernelIDF16_hLN4vllm18Fp8KVCacheDataTypeE1EDF16_Li16ELi64ELi256ELb0ELi11EEvPKT_PKT0_S7_ifPKiS9_S9_iPKfiiiPfSC_PS2_PT2_iSB_SB_ ; -- Begin function _Z39paged_attention_ll4mi_QKV_mfma16_kernelIDF16_hLN4vllm18Fp8KVCacheDataTypeE1EDF16_Li16ELi64ELi256ELb0ELi11EEvPKT_PKT0_S7_ifPKiS9_S9_iPKfiiiPfSC_PS2_PT2_iSB_SB_
	.globl	_Z39paged_attention_ll4mi_QKV_mfma16_kernelIDF16_hLN4vllm18Fp8KVCacheDataTypeE1EDF16_Li16ELi64ELi256ELb0ELi11EEvPKT_PKT0_S7_ifPKiS9_S9_iPKfiiiPfSC_PS2_PT2_iSB_SB_
	.p2align	8
	.type	_Z39paged_attention_ll4mi_QKV_mfma16_kernelIDF16_hLN4vllm18Fp8KVCacheDataTypeE1EDF16_Li16ELi64ELi256ELb0ELi11EEvPKT_PKT0_S7_ifPKiS9_S9_iPKfiiiPfSC_PS2_PT2_iSB_SB_,@function
_Z39paged_attention_ll4mi_QKV_mfma16_kernelIDF16_hLN4vllm18Fp8KVCacheDataTypeE1EDF16_Li16ELi64ELi256ELb0ELi11EEvPKT_PKT0_S7_ifPKiS9_S9_iPKfiiiPfSC_PS2_PT2_iSB_SB_: ; @_Z39paged_attention_ll4mi_QKV_mfma16_kernelIDF16_hLN4vllm18Fp8KVCacheDataTypeE1EDF16_Li16ELi64ELi256ELb0ELi11EEvPKT_PKT0_S7_ifPKiS9_S9_iPKfiiiPfSC_PS2_PT2_iSB_SB_
; %bb.0:
	s_get_pc_i64 s[2:3]
	s_add_nc_u64 s[2:3], s[2:3], __PRETTY_FUNCTION__._Z39paged_attention_ll4mi_QKV_mfma16_kernelIDF16_hLN4vllm18Fp8KVCacheDataTypeE1EDF16_Li16ELi64ELi256ELb0ELi11EEvPKT_PKT0_S7_ifPKiS9_S9_iPKfiiiPfSC_PS2_PT2_iSB_SB_@rel64+4
	s_delay_alu instid0(SALU_CYCLE_1)
	v_dual_mov_b32 v0, 0xbb3 :: v_dual_mov_b32 v1, s2
	v_mov_b32_e32 v2, s3
	s_add_nc_u64 s[8:9], s[0:1], 0x90
	s_get_pc_i64 s[0:1]
	s_add_nc_u64 s[0:1], s[0:1], __assert_fail@rel64+4
	s_mov_b32 s32, 0
	s_swap_pc_i64 s[30:31], s[0:1]
	.section	.rodata,"a",@progbits
	.p2align	6, 0x0
	.amdhsa_kernel _Z39paged_attention_ll4mi_QKV_mfma16_kernelIDF16_hLN4vllm18Fp8KVCacheDataTypeE1EDF16_Li16ELi64ELi256ELb0ELi11EEvPKT_PKT0_S7_ifPKiS9_S9_iPKfiiiPfSC_PS2_PT2_iSB_SB_
		.amdhsa_group_segment_fixed_size 0
		.amdhsa_private_segment_fixed_size 64
		.amdhsa_kernarg_size 400
		.amdhsa_user_sgpr_count 2
		.amdhsa_user_sgpr_dispatch_ptr 0
		.amdhsa_user_sgpr_queue_ptr 0
		.amdhsa_user_sgpr_kernarg_segment_ptr 1
		.amdhsa_user_sgpr_dispatch_id 0
		.amdhsa_user_sgpr_kernarg_preload_length 0
		.amdhsa_user_sgpr_kernarg_preload_offset 0
		.amdhsa_user_sgpr_private_segment_size 0
		.amdhsa_wavefront_size32 1
		.amdhsa_uses_dynamic_stack 0
		.amdhsa_enable_private_segment 1
		.amdhsa_system_sgpr_workgroup_id_x 1
		.amdhsa_system_sgpr_workgroup_id_y 0
		.amdhsa_system_sgpr_workgroup_id_z 0
		.amdhsa_system_sgpr_workgroup_info 0
		.amdhsa_system_vgpr_workitem_id 0
		.amdhsa_next_free_vgpr 51
		.amdhsa_next_free_sgpr 34
		.amdhsa_named_barrier_count 0
		.amdhsa_reserve_vcc 1
		.amdhsa_float_round_mode_32 0
		.amdhsa_float_round_mode_16_64 0
		.amdhsa_float_denorm_mode_32 3
		.amdhsa_float_denorm_mode_16_64 3
		.amdhsa_fp16_overflow 0
		.amdhsa_memory_ordered 1
		.amdhsa_forward_progress 1
		.amdhsa_inst_pref_size 1
		.amdhsa_round_robin_scheduling 0
		.amdhsa_exception_fp_ieee_invalid_op 0
		.amdhsa_exception_fp_denorm_src 0
		.amdhsa_exception_fp_ieee_div_zero 0
		.amdhsa_exception_fp_ieee_overflow 0
		.amdhsa_exception_fp_ieee_underflow 0
		.amdhsa_exception_fp_ieee_inexact 0
		.amdhsa_exception_int_div_zero 0
	.end_amdhsa_kernel
	.section	.text._Z39paged_attention_ll4mi_QKV_mfma16_kernelIDF16_hLN4vllm18Fp8KVCacheDataTypeE1EDF16_Li16ELi64ELi256ELb0ELi11EEvPKT_PKT0_S7_ifPKiS9_S9_iPKfiiiPfSC_PS2_PT2_iSB_SB_,"axG",@progbits,_Z39paged_attention_ll4mi_QKV_mfma16_kernelIDF16_hLN4vllm18Fp8KVCacheDataTypeE1EDF16_Li16ELi64ELi256ELb0ELi11EEvPKT_PKT0_S7_ifPKiS9_S9_iPKfiiiPfSC_PS2_PT2_iSB_SB_,comdat
.Lfunc_end840:
	.size	_Z39paged_attention_ll4mi_QKV_mfma16_kernelIDF16_hLN4vllm18Fp8KVCacheDataTypeE1EDF16_Li16ELi64ELi256ELb0ELi11EEvPKT_PKT0_S7_ifPKiS9_S9_iPKfiiiPfSC_PS2_PT2_iSB_SB_, .Lfunc_end840-_Z39paged_attention_ll4mi_QKV_mfma16_kernelIDF16_hLN4vllm18Fp8KVCacheDataTypeE1EDF16_Li16ELi64ELi256ELb0ELi11EEvPKT_PKT0_S7_ifPKiS9_S9_iPKfiiiPfSC_PS2_PT2_iSB_SB_
                                        ; -- End function
	.set _Z39paged_attention_ll4mi_QKV_mfma16_kernelIDF16_hLN4vllm18Fp8KVCacheDataTypeE1EDF16_Li16ELi64ELi256ELb0ELi11EEvPKT_PKT0_S7_ifPKiS9_S9_iPKfiiiPfSC_PS2_PT2_iSB_SB_.num_vgpr, max(3, .L__assert_fail.num_vgpr)
	.set _Z39paged_attention_ll4mi_QKV_mfma16_kernelIDF16_hLN4vllm18Fp8KVCacheDataTypeE1EDF16_Li16ELi64ELi256ELb0ELi11EEvPKT_PKT0_S7_ifPKiS9_S9_iPKfiiiPfSC_PS2_PT2_iSB_SB_.num_agpr, max(0, .L__assert_fail.num_agpr)
	.set _Z39paged_attention_ll4mi_QKV_mfma16_kernelIDF16_hLN4vllm18Fp8KVCacheDataTypeE1EDF16_Li16ELi64ELi256ELb0ELi11EEvPKT_PKT0_S7_ifPKiS9_S9_iPKfiiiPfSC_PS2_PT2_iSB_SB_.numbered_sgpr, max(33, .L__assert_fail.numbered_sgpr)
	.set _Z39paged_attention_ll4mi_QKV_mfma16_kernelIDF16_hLN4vllm18Fp8KVCacheDataTypeE1EDF16_Li16ELi64ELi256ELb0ELi11EEvPKT_PKT0_S7_ifPKiS9_S9_iPKfiiiPfSC_PS2_PT2_iSB_SB_.num_named_barrier, max(0, .L__assert_fail.num_named_barrier)
	.set _Z39paged_attention_ll4mi_QKV_mfma16_kernelIDF16_hLN4vllm18Fp8KVCacheDataTypeE1EDF16_Li16ELi64ELi256ELb0ELi11EEvPKT_PKT0_S7_ifPKiS9_S9_iPKfiiiPfSC_PS2_PT2_iSB_SB_.private_seg_size, 0+max(.L__assert_fail.private_seg_size)
	.set _Z39paged_attention_ll4mi_QKV_mfma16_kernelIDF16_hLN4vllm18Fp8KVCacheDataTypeE1EDF16_Li16ELi64ELi256ELb0ELi11EEvPKT_PKT0_S7_ifPKiS9_S9_iPKfiiiPfSC_PS2_PT2_iSB_SB_.uses_vcc, or(1, .L__assert_fail.uses_vcc)
	.set _Z39paged_attention_ll4mi_QKV_mfma16_kernelIDF16_hLN4vllm18Fp8KVCacheDataTypeE1EDF16_Li16ELi64ELi256ELb0ELi11EEvPKT_PKT0_S7_ifPKiS9_S9_iPKfiiiPfSC_PS2_PT2_iSB_SB_.uses_flat_scratch, or(0, .L__assert_fail.uses_flat_scratch)
	.set _Z39paged_attention_ll4mi_QKV_mfma16_kernelIDF16_hLN4vllm18Fp8KVCacheDataTypeE1EDF16_Li16ELi64ELi256ELb0ELi11EEvPKT_PKT0_S7_ifPKiS9_S9_iPKfiiiPfSC_PS2_PT2_iSB_SB_.has_dyn_sized_stack, or(0, .L__assert_fail.has_dyn_sized_stack)
	.set _Z39paged_attention_ll4mi_QKV_mfma16_kernelIDF16_hLN4vllm18Fp8KVCacheDataTypeE1EDF16_Li16ELi64ELi256ELb0ELi11EEvPKT_PKT0_S7_ifPKiS9_S9_iPKfiiiPfSC_PS2_PT2_iSB_SB_.has_recursion, or(0, .L__assert_fail.has_recursion)
	.set _Z39paged_attention_ll4mi_QKV_mfma16_kernelIDF16_hLN4vllm18Fp8KVCacheDataTypeE1EDF16_Li16ELi64ELi256ELb0ELi11EEvPKT_PKT0_S7_ifPKiS9_S9_iPKfiiiPfSC_PS2_PT2_iSB_SB_.has_indirect_call, or(0, .L__assert_fail.has_indirect_call)
	.section	.AMDGPU.csdata,"",@progbits
; Kernel info:
; codeLenInByte = 68
; TotalNumSgprs: 36
; NumVgprs: 51
; ScratchSize: 64
; MemoryBound: 0
; FloatMode: 240
; IeeeMode: 1
; LDSByteSize: 0 bytes/workgroup (compile time only)
; SGPRBlocks: 0
; VGPRBlocks: 3
; NumSGPRsForWavesPerEU: 36
; NumVGPRsForWavesPerEU: 51
; NamedBarCnt: 0
; Occupancy: 16
; WaveLimiterHint : 1
; COMPUTE_PGM_RSRC2:SCRATCH_EN: 1
; COMPUTE_PGM_RSRC2:USER_SGPR: 2
; COMPUTE_PGM_RSRC2:TRAP_HANDLER: 0
; COMPUTE_PGM_RSRC2:TGID_X_EN: 1
; COMPUTE_PGM_RSRC2:TGID_Y_EN: 0
; COMPUTE_PGM_RSRC2:TGID_Z_EN: 0
; COMPUTE_PGM_RSRC2:TIDIG_COMP_CNT: 0
	.section	.text._Z39paged_attention_ll4mi_QKV_mfma16_kernelIDF16_hLN4vllm18Fp8KVCacheDataTypeE1EDF16_Li16ELi64ELi256ELb0ELi12EEvPKT_PKT0_S7_ifPKiS9_S9_iPKfiiiPfSC_PS2_PT2_iSB_SB_,"axG",@progbits,_Z39paged_attention_ll4mi_QKV_mfma16_kernelIDF16_hLN4vllm18Fp8KVCacheDataTypeE1EDF16_Li16ELi64ELi256ELb0ELi12EEvPKT_PKT0_S7_ifPKiS9_S9_iPKfiiiPfSC_PS2_PT2_iSB_SB_,comdat
	.protected	_Z39paged_attention_ll4mi_QKV_mfma16_kernelIDF16_hLN4vllm18Fp8KVCacheDataTypeE1EDF16_Li16ELi64ELi256ELb0ELi12EEvPKT_PKT0_S7_ifPKiS9_S9_iPKfiiiPfSC_PS2_PT2_iSB_SB_ ; -- Begin function _Z39paged_attention_ll4mi_QKV_mfma16_kernelIDF16_hLN4vllm18Fp8KVCacheDataTypeE1EDF16_Li16ELi64ELi256ELb0ELi12EEvPKT_PKT0_S7_ifPKiS9_S9_iPKfiiiPfSC_PS2_PT2_iSB_SB_
	.globl	_Z39paged_attention_ll4mi_QKV_mfma16_kernelIDF16_hLN4vllm18Fp8KVCacheDataTypeE1EDF16_Li16ELi64ELi256ELb0ELi12EEvPKT_PKT0_S7_ifPKiS9_S9_iPKfiiiPfSC_PS2_PT2_iSB_SB_
	.p2align	8
	.type	_Z39paged_attention_ll4mi_QKV_mfma16_kernelIDF16_hLN4vllm18Fp8KVCacheDataTypeE1EDF16_Li16ELi64ELi256ELb0ELi12EEvPKT_PKT0_S7_ifPKiS9_S9_iPKfiiiPfSC_PS2_PT2_iSB_SB_,@function
_Z39paged_attention_ll4mi_QKV_mfma16_kernelIDF16_hLN4vllm18Fp8KVCacheDataTypeE1EDF16_Li16ELi64ELi256ELb0ELi12EEvPKT_PKT0_S7_ifPKiS9_S9_iPKfiiiPfSC_PS2_PT2_iSB_SB_: ; @_Z39paged_attention_ll4mi_QKV_mfma16_kernelIDF16_hLN4vllm18Fp8KVCacheDataTypeE1EDF16_Li16ELi64ELi256ELb0ELi12EEvPKT_PKT0_S7_ifPKiS9_S9_iPKfiiiPfSC_PS2_PT2_iSB_SB_
; %bb.0:
	s_get_pc_i64 s[2:3]
	s_add_nc_u64 s[2:3], s[2:3], __PRETTY_FUNCTION__._Z39paged_attention_ll4mi_QKV_mfma16_kernelIDF16_hLN4vllm18Fp8KVCacheDataTypeE1EDF16_Li16ELi64ELi256ELb0ELi12EEvPKT_PKT0_S7_ifPKiS9_S9_iPKfiiiPfSC_PS2_PT2_iSB_SB_@rel64+4
	s_delay_alu instid0(SALU_CYCLE_1)
	v_dual_mov_b32 v0, 0xbb3 :: v_dual_mov_b32 v1, s2
	v_mov_b32_e32 v2, s3
	s_add_nc_u64 s[8:9], s[0:1], 0x90
	s_get_pc_i64 s[0:1]
	s_add_nc_u64 s[0:1], s[0:1], __assert_fail@rel64+4
	s_mov_b32 s32, 0
	s_swap_pc_i64 s[30:31], s[0:1]
	.section	.rodata,"a",@progbits
	.p2align	6, 0x0
	.amdhsa_kernel _Z39paged_attention_ll4mi_QKV_mfma16_kernelIDF16_hLN4vllm18Fp8KVCacheDataTypeE1EDF16_Li16ELi64ELi256ELb0ELi12EEvPKT_PKT0_S7_ifPKiS9_S9_iPKfiiiPfSC_PS2_PT2_iSB_SB_
		.amdhsa_group_segment_fixed_size 0
		.amdhsa_private_segment_fixed_size 64
		.amdhsa_kernarg_size 400
		.amdhsa_user_sgpr_count 2
		.amdhsa_user_sgpr_dispatch_ptr 0
		.amdhsa_user_sgpr_queue_ptr 0
		.amdhsa_user_sgpr_kernarg_segment_ptr 1
		.amdhsa_user_sgpr_dispatch_id 0
		.amdhsa_user_sgpr_kernarg_preload_length 0
		.amdhsa_user_sgpr_kernarg_preload_offset 0
		.amdhsa_user_sgpr_private_segment_size 0
		.amdhsa_wavefront_size32 1
		.amdhsa_uses_dynamic_stack 0
		.amdhsa_enable_private_segment 1
		.amdhsa_system_sgpr_workgroup_id_x 1
		.amdhsa_system_sgpr_workgroup_id_y 0
		.amdhsa_system_sgpr_workgroup_id_z 0
		.amdhsa_system_sgpr_workgroup_info 0
		.amdhsa_system_vgpr_workitem_id 0
		.amdhsa_next_free_vgpr 51
		.amdhsa_next_free_sgpr 34
		.amdhsa_named_barrier_count 0
		.amdhsa_reserve_vcc 1
		.amdhsa_float_round_mode_32 0
		.amdhsa_float_round_mode_16_64 0
		.amdhsa_float_denorm_mode_32 3
		.amdhsa_float_denorm_mode_16_64 3
		.amdhsa_fp16_overflow 0
		.amdhsa_memory_ordered 1
		.amdhsa_forward_progress 1
		.amdhsa_inst_pref_size 1
		.amdhsa_round_robin_scheduling 0
		.amdhsa_exception_fp_ieee_invalid_op 0
		.amdhsa_exception_fp_denorm_src 0
		.amdhsa_exception_fp_ieee_div_zero 0
		.amdhsa_exception_fp_ieee_overflow 0
		.amdhsa_exception_fp_ieee_underflow 0
		.amdhsa_exception_fp_ieee_inexact 0
		.amdhsa_exception_int_div_zero 0
	.end_amdhsa_kernel
	.section	.text._Z39paged_attention_ll4mi_QKV_mfma16_kernelIDF16_hLN4vllm18Fp8KVCacheDataTypeE1EDF16_Li16ELi64ELi256ELb0ELi12EEvPKT_PKT0_S7_ifPKiS9_S9_iPKfiiiPfSC_PS2_PT2_iSB_SB_,"axG",@progbits,_Z39paged_attention_ll4mi_QKV_mfma16_kernelIDF16_hLN4vllm18Fp8KVCacheDataTypeE1EDF16_Li16ELi64ELi256ELb0ELi12EEvPKT_PKT0_S7_ifPKiS9_S9_iPKfiiiPfSC_PS2_PT2_iSB_SB_,comdat
.Lfunc_end841:
	.size	_Z39paged_attention_ll4mi_QKV_mfma16_kernelIDF16_hLN4vllm18Fp8KVCacheDataTypeE1EDF16_Li16ELi64ELi256ELb0ELi12EEvPKT_PKT0_S7_ifPKiS9_S9_iPKfiiiPfSC_PS2_PT2_iSB_SB_, .Lfunc_end841-_Z39paged_attention_ll4mi_QKV_mfma16_kernelIDF16_hLN4vllm18Fp8KVCacheDataTypeE1EDF16_Li16ELi64ELi256ELb0ELi12EEvPKT_PKT0_S7_ifPKiS9_S9_iPKfiiiPfSC_PS2_PT2_iSB_SB_
                                        ; -- End function
	.set _Z39paged_attention_ll4mi_QKV_mfma16_kernelIDF16_hLN4vllm18Fp8KVCacheDataTypeE1EDF16_Li16ELi64ELi256ELb0ELi12EEvPKT_PKT0_S7_ifPKiS9_S9_iPKfiiiPfSC_PS2_PT2_iSB_SB_.num_vgpr, max(3, .L__assert_fail.num_vgpr)
	.set _Z39paged_attention_ll4mi_QKV_mfma16_kernelIDF16_hLN4vllm18Fp8KVCacheDataTypeE1EDF16_Li16ELi64ELi256ELb0ELi12EEvPKT_PKT0_S7_ifPKiS9_S9_iPKfiiiPfSC_PS2_PT2_iSB_SB_.num_agpr, max(0, .L__assert_fail.num_agpr)
	.set _Z39paged_attention_ll4mi_QKV_mfma16_kernelIDF16_hLN4vllm18Fp8KVCacheDataTypeE1EDF16_Li16ELi64ELi256ELb0ELi12EEvPKT_PKT0_S7_ifPKiS9_S9_iPKfiiiPfSC_PS2_PT2_iSB_SB_.numbered_sgpr, max(33, .L__assert_fail.numbered_sgpr)
	.set _Z39paged_attention_ll4mi_QKV_mfma16_kernelIDF16_hLN4vllm18Fp8KVCacheDataTypeE1EDF16_Li16ELi64ELi256ELb0ELi12EEvPKT_PKT0_S7_ifPKiS9_S9_iPKfiiiPfSC_PS2_PT2_iSB_SB_.num_named_barrier, max(0, .L__assert_fail.num_named_barrier)
	.set _Z39paged_attention_ll4mi_QKV_mfma16_kernelIDF16_hLN4vllm18Fp8KVCacheDataTypeE1EDF16_Li16ELi64ELi256ELb0ELi12EEvPKT_PKT0_S7_ifPKiS9_S9_iPKfiiiPfSC_PS2_PT2_iSB_SB_.private_seg_size, 0+max(.L__assert_fail.private_seg_size)
	.set _Z39paged_attention_ll4mi_QKV_mfma16_kernelIDF16_hLN4vllm18Fp8KVCacheDataTypeE1EDF16_Li16ELi64ELi256ELb0ELi12EEvPKT_PKT0_S7_ifPKiS9_S9_iPKfiiiPfSC_PS2_PT2_iSB_SB_.uses_vcc, or(1, .L__assert_fail.uses_vcc)
	.set _Z39paged_attention_ll4mi_QKV_mfma16_kernelIDF16_hLN4vllm18Fp8KVCacheDataTypeE1EDF16_Li16ELi64ELi256ELb0ELi12EEvPKT_PKT0_S7_ifPKiS9_S9_iPKfiiiPfSC_PS2_PT2_iSB_SB_.uses_flat_scratch, or(0, .L__assert_fail.uses_flat_scratch)
	.set _Z39paged_attention_ll4mi_QKV_mfma16_kernelIDF16_hLN4vllm18Fp8KVCacheDataTypeE1EDF16_Li16ELi64ELi256ELb0ELi12EEvPKT_PKT0_S7_ifPKiS9_S9_iPKfiiiPfSC_PS2_PT2_iSB_SB_.has_dyn_sized_stack, or(0, .L__assert_fail.has_dyn_sized_stack)
	.set _Z39paged_attention_ll4mi_QKV_mfma16_kernelIDF16_hLN4vllm18Fp8KVCacheDataTypeE1EDF16_Li16ELi64ELi256ELb0ELi12EEvPKT_PKT0_S7_ifPKiS9_S9_iPKfiiiPfSC_PS2_PT2_iSB_SB_.has_recursion, or(0, .L__assert_fail.has_recursion)
	.set _Z39paged_attention_ll4mi_QKV_mfma16_kernelIDF16_hLN4vllm18Fp8KVCacheDataTypeE1EDF16_Li16ELi64ELi256ELb0ELi12EEvPKT_PKT0_S7_ifPKiS9_S9_iPKfiiiPfSC_PS2_PT2_iSB_SB_.has_indirect_call, or(0, .L__assert_fail.has_indirect_call)
	.section	.AMDGPU.csdata,"",@progbits
; Kernel info:
; codeLenInByte = 68
; TotalNumSgprs: 36
; NumVgprs: 51
; ScratchSize: 64
; MemoryBound: 0
; FloatMode: 240
; IeeeMode: 1
; LDSByteSize: 0 bytes/workgroup (compile time only)
; SGPRBlocks: 0
; VGPRBlocks: 3
; NumSGPRsForWavesPerEU: 36
; NumVGPRsForWavesPerEU: 51
; NamedBarCnt: 0
; Occupancy: 16
; WaveLimiterHint : 1
; COMPUTE_PGM_RSRC2:SCRATCH_EN: 1
; COMPUTE_PGM_RSRC2:USER_SGPR: 2
; COMPUTE_PGM_RSRC2:TRAP_HANDLER: 0
; COMPUTE_PGM_RSRC2:TGID_X_EN: 1
; COMPUTE_PGM_RSRC2:TGID_Y_EN: 0
; COMPUTE_PGM_RSRC2:TGID_Z_EN: 0
; COMPUTE_PGM_RSRC2:TIDIG_COMP_CNT: 0
	.section	.text._Z39paged_attention_ll4mi_QKV_mfma16_kernelIDF16_hLN4vllm18Fp8KVCacheDataTypeE1EDF16_Li16ELi64ELi256ELb0ELi13EEvPKT_PKT0_S7_ifPKiS9_S9_iPKfiiiPfSC_PS2_PT2_iSB_SB_,"axG",@progbits,_Z39paged_attention_ll4mi_QKV_mfma16_kernelIDF16_hLN4vllm18Fp8KVCacheDataTypeE1EDF16_Li16ELi64ELi256ELb0ELi13EEvPKT_PKT0_S7_ifPKiS9_S9_iPKfiiiPfSC_PS2_PT2_iSB_SB_,comdat
	.protected	_Z39paged_attention_ll4mi_QKV_mfma16_kernelIDF16_hLN4vllm18Fp8KVCacheDataTypeE1EDF16_Li16ELi64ELi256ELb0ELi13EEvPKT_PKT0_S7_ifPKiS9_S9_iPKfiiiPfSC_PS2_PT2_iSB_SB_ ; -- Begin function _Z39paged_attention_ll4mi_QKV_mfma16_kernelIDF16_hLN4vllm18Fp8KVCacheDataTypeE1EDF16_Li16ELi64ELi256ELb0ELi13EEvPKT_PKT0_S7_ifPKiS9_S9_iPKfiiiPfSC_PS2_PT2_iSB_SB_
	.globl	_Z39paged_attention_ll4mi_QKV_mfma16_kernelIDF16_hLN4vllm18Fp8KVCacheDataTypeE1EDF16_Li16ELi64ELi256ELb0ELi13EEvPKT_PKT0_S7_ifPKiS9_S9_iPKfiiiPfSC_PS2_PT2_iSB_SB_
	.p2align	8
	.type	_Z39paged_attention_ll4mi_QKV_mfma16_kernelIDF16_hLN4vllm18Fp8KVCacheDataTypeE1EDF16_Li16ELi64ELi256ELb0ELi13EEvPKT_PKT0_S7_ifPKiS9_S9_iPKfiiiPfSC_PS2_PT2_iSB_SB_,@function
_Z39paged_attention_ll4mi_QKV_mfma16_kernelIDF16_hLN4vllm18Fp8KVCacheDataTypeE1EDF16_Li16ELi64ELi256ELb0ELi13EEvPKT_PKT0_S7_ifPKiS9_S9_iPKfiiiPfSC_PS2_PT2_iSB_SB_: ; @_Z39paged_attention_ll4mi_QKV_mfma16_kernelIDF16_hLN4vllm18Fp8KVCacheDataTypeE1EDF16_Li16ELi64ELi256ELb0ELi13EEvPKT_PKT0_S7_ifPKiS9_S9_iPKfiiiPfSC_PS2_PT2_iSB_SB_
; %bb.0:
	s_get_pc_i64 s[2:3]
	s_add_nc_u64 s[2:3], s[2:3], __PRETTY_FUNCTION__._Z39paged_attention_ll4mi_QKV_mfma16_kernelIDF16_hLN4vllm18Fp8KVCacheDataTypeE1EDF16_Li16ELi64ELi256ELb0ELi13EEvPKT_PKT0_S7_ifPKiS9_S9_iPKfiiiPfSC_PS2_PT2_iSB_SB_@rel64+4
	s_delay_alu instid0(SALU_CYCLE_1)
	v_dual_mov_b32 v0, 0xbb3 :: v_dual_mov_b32 v1, s2
	v_mov_b32_e32 v2, s3
	s_add_nc_u64 s[8:9], s[0:1], 0x90
	s_get_pc_i64 s[0:1]
	s_add_nc_u64 s[0:1], s[0:1], __assert_fail@rel64+4
	s_mov_b32 s32, 0
	s_swap_pc_i64 s[30:31], s[0:1]
	.section	.rodata,"a",@progbits
	.p2align	6, 0x0
	.amdhsa_kernel _Z39paged_attention_ll4mi_QKV_mfma16_kernelIDF16_hLN4vllm18Fp8KVCacheDataTypeE1EDF16_Li16ELi64ELi256ELb0ELi13EEvPKT_PKT0_S7_ifPKiS9_S9_iPKfiiiPfSC_PS2_PT2_iSB_SB_
		.amdhsa_group_segment_fixed_size 0
		.amdhsa_private_segment_fixed_size 64
		.amdhsa_kernarg_size 400
		.amdhsa_user_sgpr_count 2
		.amdhsa_user_sgpr_dispatch_ptr 0
		.amdhsa_user_sgpr_queue_ptr 0
		.amdhsa_user_sgpr_kernarg_segment_ptr 1
		.amdhsa_user_sgpr_dispatch_id 0
		.amdhsa_user_sgpr_kernarg_preload_length 0
		.amdhsa_user_sgpr_kernarg_preload_offset 0
		.amdhsa_user_sgpr_private_segment_size 0
		.amdhsa_wavefront_size32 1
		.amdhsa_uses_dynamic_stack 0
		.amdhsa_enable_private_segment 1
		.amdhsa_system_sgpr_workgroup_id_x 1
		.amdhsa_system_sgpr_workgroup_id_y 0
		.amdhsa_system_sgpr_workgroup_id_z 0
		.amdhsa_system_sgpr_workgroup_info 0
		.amdhsa_system_vgpr_workitem_id 0
		.amdhsa_next_free_vgpr 51
		.amdhsa_next_free_sgpr 34
		.amdhsa_named_barrier_count 0
		.amdhsa_reserve_vcc 1
		.amdhsa_float_round_mode_32 0
		.amdhsa_float_round_mode_16_64 0
		.amdhsa_float_denorm_mode_32 3
		.amdhsa_float_denorm_mode_16_64 3
		.amdhsa_fp16_overflow 0
		.amdhsa_memory_ordered 1
		.amdhsa_forward_progress 1
		.amdhsa_inst_pref_size 1
		.amdhsa_round_robin_scheduling 0
		.amdhsa_exception_fp_ieee_invalid_op 0
		.amdhsa_exception_fp_denorm_src 0
		.amdhsa_exception_fp_ieee_div_zero 0
		.amdhsa_exception_fp_ieee_overflow 0
		.amdhsa_exception_fp_ieee_underflow 0
		.amdhsa_exception_fp_ieee_inexact 0
		.amdhsa_exception_int_div_zero 0
	.end_amdhsa_kernel
	.section	.text._Z39paged_attention_ll4mi_QKV_mfma16_kernelIDF16_hLN4vllm18Fp8KVCacheDataTypeE1EDF16_Li16ELi64ELi256ELb0ELi13EEvPKT_PKT0_S7_ifPKiS9_S9_iPKfiiiPfSC_PS2_PT2_iSB_SB_,"axG",@progbits,_Z39paged_attention_ll4mi_QKV_mfma16_kernelIDF16_hLN4vllm18Fp8KVCacheDataTypeE1EDF16_Li16ELi64ELi256ELb0ELi13EEvPKT_PKT0_S7_ifPKiS9_S9_iPKfiiiPfSC_PS2_PT2_iSB_SB_,comdat
.Lfunc_end842:
	.size	_Z39paged_attention_ll4mi_QKV_mfma16_kernelIDF16_hLN4vllm18Fp8KVCacheDataTypeE1EDF16_Li16ELi64ELi256ELb0ELi13EEvPKT_PKT0_S7_ifPKiS9_S9_iPKfiiiPfSC_PS2_PT2_iSB_SB_, .Lfunc_end842-_Z39paged_attention_ll4mi_QKV_mfma16_kernelIDF16_hLN4vllm18Fp8KVCacheDataTypeE1EDF16_Li16ELi64ELi256ELb0ELi13EEvPKT_PKT0_S7_ifPKiS9_S9_iPKfiiiPfSC_PS2_PT2_iSB_SB_
                                        ; -- End function
	.set _Z39paged_attention_ll4mi_QKV_mfma16_kernelIDF16_hLN4vllm18Fp8KVCacheDataTypeE1EDF16_Li16ELi64ELi256ELb0ELi13EEvPKT_PKT0_S7_ifPKiS9_S9_iPKfiiiPfSC_PS2_PT2_iSB_SB_.num_vgpr, max(3, .L__assert_fail.num_vgpr)
	.set _Z39paged_attention_ll4mi_QKV_mfma16_kernelIDF16_hLN4vllm18Fp8KVCacheDataTypeE1EDF16_Li16ELi64ELi256ELb0ELi13EEvPKT_PKT0_S7_ifPKiS9_S9_iPKfiiiPfSC_PS2_PT2_iSB_SB_.num_agpr, max(0, .L__assert_fail.num_agpr)
	.set _Z39paged_attention_ll4mi_QKV_mfma16_kernelIDF16_hLN4vllm18Fp8KVCacheDataTypeE1EDF16_Li16ELi64ELi256ELb0ELi13EEvPKT_PKT0_S7_ifPKiS9_S9_iPKfiiiPfSC_PS2_PT2_iSB_SB_.numbered_sgpr, max(33, .L__assert_fail.numbered_sgpr)
	.set _Z39paged_attention_ll4mi_QKV_mfma16_kernelIDF16_hLN4vllm18Fp8KVCacheDataTypeE1EDF16_Li16ELi64ELi256ELb0ELi13EEvPKT_PKT0_S7_ifPKiS9_S9_iPKfiiiPfSC_PS2_PT2_iSB_SB_.num_named_barrier, max(0, .L__assert_fail.num_named_barrier)
	.set _Z39paged_attention_ll4mi_QKV_mfma16_kernelIDF16_hLN4vllm18Fp8KVCacheDataTypeE1EDF16_Li16ELi64ELi256ELb0ELi13EEvPKT_PKT0_S7_ifPKiS9_S9_iPKfiiiPfSC_PS2_PT2_iSB_SB_.private_seg_size, 0+max(.L__assert_fail.private_seg_size)
	.set _Z39paged_attention_ll4mi_QKV_mfma16_kernelIDF16_hLN4vllm18Fp8KVCacheDataTypeE1EDF16_Li16ELi64ELi256ELb0ELi13EEvPKT_PKT0_S7_ifPKiS9_S9_iPKfiiiPfSC_PS2_PT2_iSB_SB_.uses_vcc, or(1, .L__assert_fail.uses_vcc)
	.set _Z39paged_attention_ll4mi_QKV_mfma16_kernelIDF16_hLN4vllm18Fp8KVCacheDataTypeE1EDF16_Li16ELi64ELi256ELb0ELi13EEvPKT_PKT0_S7_ifPKiS9_S9_iPKfiiiPfSC_PS2_PT2_iSB_SB_.uses_flat_scratch, or(0, .L__assert_fail.uses_flat_scratch)
	.set _Z39paged_attention_ll4mi_QKV_mfma16_kernelIDF16_hLN4vllm18Fp8KVCacheDataTypeE1EDF16_Li16ELi64ELi256ELb0ELi13EEvPKT_PKT0_S7_ifPKiS9_S9_iPKfiiiPfSC_PS2_PT2_iSB_SB_.has_dyn_sized_stack, or(0, .L__assert_fail.has_dyn_sized_stack)
	.set _Z39paged_attention_ll4mi_QKV_mfma16_kernelIDF16_hLN4vllm18Fp8KVCacheDataTypeE1EDF16_Li16ELi64ELi256ELb0ELi13EEvPKT_PKT0_S7_ifPKiS9_S9_iPKfiiiPfSC_PS2_PT2_iSB_SB_.has_recursion, or(0, .L__assert_fail.has_recursion)
	.set _Z39paged_attention_ll4mi_QKV_mfma16_kernelIDF16_hLN4vllm18Fp8KVCacheDataTypeE1EDF16_Li16ELi64ELi256ELb0ELi13EEvPKT_PKT0_S7_ifPKiS9_S9_iPKfiiiPfSC_PS2_PT2_iSB_SB_.has_indirect_call, or(0, .L__assert_fail.has_indirect_call)
	.section	.AMDGPU.csdata,"",@progbits
; Kernel info:
; codeLenInByte = 68
; TotalNumSgprs: 36
; NumVgprs: 51
; ScratchSize: 64
; MemoryBound: 0
; FloatMode: 240
; IeeeMode: 1
; LDSByteSize: 0 bytes/workgroup (compile time only)
; SGPRBlocks: 0
; VGPRBlocks: 3
; NumSGPRsForWavesPerEU: 36
; NumVGPRsForWavesPerEU: 51
; NamedBarCnt: 0
; Occupancy: 16
; WaveLimiterHint : 1
; COMPUTE_PGM_RSRC2:SCRATCH_EN: 1
; COMPUTE_PGM_RSRC2:USER_SGPR: 2
; COMPUTE_PGM_RSRC2:TRAP_HANDLER: 0
; COMPUTE_PGM_RSRC2:TGID_X_EN: 1
; COMPUTE_PGM_RSRC2:TGID_Y_EN: 0
; COMPUTE_PGM_RSRC2:TGID_Z_EN: 0
; COMPUTE_PGM_RSRC2:TIDIG_COMP_CNT: 0
	.section	.text._Z39paged_attention_ll4mi_QKV_mfma16_kernelIDF16_hLN4vllm18Fp8KVCacheDataTypeE1EDF16_Li16ELi64ELi256ELb0ELi14EEvPKT_PKT0_S7_ifPKiS9_S9_iPKfiiiPfSC_PS2_PT2_iSB_SB_,"axG",@progbits,_Z39paged_attention_ll4mi_QKV_mfma16_kernelIDF16_hLN4vllm18Fp8KVCacheDataTypeE1EDF16_Li16ELi64ELi256ELb0ELi14EEvPKT_PKT0_S7_ifPKiS9_S9_iPKfiiiPfSC_PS2_PT2_iSB_SB_,comdat
	.protected	_Z39paged_attention_ll4mi_QKV_mfma16_kernelIDF16_hLN4vllm18Fp8KVCacheDataTypeE1EDF16_Li16ELi64ELi256ELb0ELi14EEvPKT_PKT0_S7_ifPKiS9_S9_iPKfiiiPfSC_PS2_PT2_iSB_SB_ ; -- Begin function _Z39paged_attention_ll4mi_QKV_mfma16_kernelIDF16_hLN4vllm18Fp8KVCacheDataTypeE1EDF16_Li16ELi64ELi256ELb0ELi14EEvPKT_PKT0_S7_ifPKiS9_S9_iPKfiiiPfSC_PS2_PT2_iSB_SB_
	.globl	_Z39paged_attention_ll4mi_QKV_mfma16_kernelIDF16_hLN4vllm18Fp8KVCacheDataTypeE1EDF16_Li16ELi64ELi256ELb0ELi14EEvPKT_PKT0_S7_ifPKiS9_S9_iPKfiiiPfSC_PS2_PT2_iSB_SB_
	.p2align	8
	.type	_Z39paged_attention_ll4mi_QKV_mfma16_kernelIDF16_hLN4vllm18Fp8KVCacheDataTypeE1EDF16_Li16ELi64ELi256ELb0ELi14EEvPKT_PKT0_S7_ifPKiS9_S9_iPKfiiiPfSC_PS2_PT2_iSB_SB_,@function
_Z39paged_attention_ll4mi_QKV_mfma16_kernelIDF16_hLN4vllm18Fp8KVCacheDataTypeE1EDF16_Li16ELi64ELi256ELb0ELi14EEvPKT_PKT0_S7_ifPKiS9_S9_iPKfiiiPfSC_PS2_PT2_iSB_SB_: ; @_Z39paged_attention_ll4mi_QKV_mfma16_kernelIDF16_hLN4vllm18Fp8KVCacheDataTypeE1EDF16_Li16ELi64ELi256ELb0ELi14EEvPKT_PKT0_S7_ifPKiS9_S9_iPKfiiiPfSC_PS2_PT2_iSB_SB_
; %bb.0:
	s_get_pc_i64 s[2:3]
	s_add_nc_u64 s[2:3], s[2:3], __PRETTY_FUNCTION__._Z39paged_attention_ll4mi_QKV_mfma16_kernelIDF16_hLN4vllm18Fp8KVCacheDataTypeE1EDF16_Li16ELi64ELi256ELb0ELi14EEvPKT_PKT0_S7_ifPKiS9_S9_iPKfiiiPfSC_PS2_PT2_iSB_SB_@rel64+4
	s_delay_alu instid0(SALU_CYCLE_1)
	v_dual_mov_b32 v0, 0xbb3 :: v_dual_mov_b32 v1, s2
	v_mov_b32_e32 v2, s3
	s_add_nc_u64 s[8:9], s[0:1], 0x90
	s_get_pc_i64 s[0:1]
	s_add_nc_u64 s[0:1], s[0:1], __assert_fail@rel64+4
	s_mov_b32 s32, 0
	s_swap_pc_i64 s[30:31], s[0:1]
	.section	.rodata,"a",@progbits
	.p2align	6, 0x0
	.amdhsa_kernel _Z39paged_attention_ll4mi_QKV_mfma16_kernelIDF16_hLN4vllm18Fp8KVCacheDataTypeE1EDF16_Li16ELi64ELi256ELb0ELi14EEvPKT_PKT0_S7_ifPKiS9_S9_iPKfiiiPfSC_PS2_PT2_iSB_SB_
		.amdhsa_group_segment_fixed_size 0
		.amdhsa_private_segment_fixed_size 64
		.amdhsa_kernarg_size 400
		.amdhsa_user_sgpr_count 2
		.amdhsa_user_sgpr_dispatch_ptr 0
		.amdhsa_user_sgpr_queue_ptr 0
		.amdhsa_user_sgpr_kernarg_segment_ptr 1
		.amdhsa_user_sgpr_dispatch_id 0
		.amdhsa_user_sgpr_kernarg_preload_length 0
		.amdhsa_user_sgpr_kernarg_preload_offset 0
		.amdhsa_user_sgpr_private_segment_size 0
		.amdhsa_wavefront_size32 1
		.amdhsa_uses_dynamic_stack 0
		.amdhsa_enable_private_segment 1
		.amdhsa_system_sgpr_workgroup_id_x 1
		.amdhsa_system_sgpr_workgroup_id_y 0
		.amdhsa_system_sgpr_workgroup_id_z 0
		.amdhsa_system_sgpr_workgroup_info 0
		.amdhsa_system_vgpr_workitem_id 0
		.amdhsa_next_free_vgpr 51
		.amdhsa_next_free_sgpr 34
		.amdhsa_named_barrier_count 0
		.amdhsa_reserve_vcc 1
		.amdhsa_float_round_mode_32 0
		.amdhsa_float_round_mode_16_64 0
		.amdhsa_float_denorm_mode_32 3
		.amdhsa_float_denorm_mode_16_64 3
		.amdhsa_fp16_overflow 0
		.amdhsa_memory_ordered 1
		.amdhsa_forward_progress 1
		.amdhsa_inst_pref_size 1
		.amdhsa_round_robin_scheduling 0
		.amdhsa_exception_fp_ieee_invalid_op 0
		.amdhsa_exception_fp_denorm_src 0
		.amdhsa_exception_fp_ieee_div_zero 0
		.amdhsa_exception_fp_ieee_overflow 0
		.amdhsa_exception_fp_ieee_underflow 0
		.amdhsa_exception_fp_ieee_inexact 0
		.amdhsa_exception_int_div_zero 0
	.end_amdhsa_kernel
	.section	.text._Z39paged_attention_ll4mi_QKV_mfma16_kernelIDF16_hLN4vllm18Fp8KVCacheDataTypeE1EDF16_Li16ELi64ELi256ELb0ELi14EEvPKT_PKT0_S7_ifPKiS9_S9_iPKfiiiPfSC_PS2_PT2_iSB_SB_,"axG",@progbits,_Z39paged_attention_ll4mi_QKV_mfma16_kernelIDF16_hLN4vllm18Fp8KVCacheDataTypeE1EDF16_Li16ELi64ELi256ELb0ELi14EEvPKT_PKT0_S7_ifPKiS9_S9_iPKfiiiPfSC_PS2_PT2_iSB_SB_,comdat
.Lfunc_end843:
	.size	_Z39paged_attention_ll4mi_QKV_mfma16_kernelIDF16_hLN4vllm18Fp8KVCacheDataTypeE1EDF16_Li16ELi64ELi256ELb0ELi14EEvPKT_PKT0_S7_ifPKiS9_S9_iPKfiiiPfSC_PS2_PT2_iSB_SB_, .Lfunc_end843-_Z39paged_attention_ll4mi_QKV_mfma16_kernelIDF16_hLN4vllm18Fp8KVCacheDataTypeE1EDF16_Li16ELi64ELi256ELb0ELi14EEvPKT_PKT0_S7_ifPKiS9_S9_iPKfiiiPfSC_PS2_PT2_iSB_SB_
                                        ; -- End function
	.set _Z39paged_attention_ll4mi_QKV_mfma16_kernelIDF16_hLN4vllm18Fp8KVCacheDataTypeE1EDF16_Li16ELi64ELi256ELb0ELi14EEvPKT_PKT0_S7_ifPKiS9_S9_iPKfiiiPfSC_PS2_PT2_iSB_SB_.num_vgpr, max(3, .L__assert_fail.num_vgpr)
	.set _Z39paged_attention_ll4mi_QKV_mfma16_kernelIDF16_hLN4vllm18Fp8KVCacheDataTypeE1EDF16_Li16ELi64ELi256ELb0ELi14EEvPKT_PKT0_S7_ifPKiS9_S9_iPKfiiiPfSC_PS2_PT2_iSB_SB_.num_agpr, max(0, .L__assert_fail.num_agpr)
	.set _Z39paged_attention_ll4mi_QKV_mfma16_kernelIDF16_hLN4vllm18Fp8KVCacheDataTypeE1EDF16_Li16ELi64ELi256ELb0ELi14EEvPKT_PKT0_S7_ifPKiS9_S9_iPKfiiiPfSC_PS2_PT2_iSB_SB_.numbered_sgpr, max(33, .L__assert_fail.numbered_sgpr)
	.set _Z39paged_attention_ll4mi_QKV_mfma16_kernelIDF16_hLN4vllm18Fp8KVCacheDataTypeE1EDF16_Li16ELi64ELi256ELb0ELi14EEvPKT_PKT0_S7_ifPKiS9_S9_iPKfiiiPfSC_PS2_PT2_iSB_SB_.num_named_barrier, max(0, .L__assert_fail.num_named_barrier)
	.set _Z39paged_attention_ll4mi_QKV_mfma16_kernelIDF16_hLN4vllm18Fp8KVCacheDataTypeE1EDF16_Li16ELi64ELi256ELb0ELi14EEvPKT_PKT0_S7_ifPKiS9_S9_iPKfiiiPfSC_PS2_PT2_iSB_SB_.private_seg_size, 0+max(.L__assert_fail.private_seg_size)
	.set _Z39paged_attention_ll4mi_QKV_mfma16_kernelIDF16_hLN4vllm18Fp8KVCacheDataTypeE1EDF16_Li16ELi64ELi256ELb0ELi14EEvPKT_PKT0_S7_ifPKiS9_S9_iPKfiiiPfSC_PS2_PT2_iSB_SB_.uses_vcc, or(1, .L__assert_fail.uses_vcc)
	.set _Z39paged_attention_ll4mi_QKV_mfma16_kernelIDF16_hLN4vllm18Fp8KVCacheDataTypeE1EDF16_Li16ELi64ELi256ELb0ELi14EEvPKT_PKT0_S7_ifPKiS9_S9_iPKfiiiPfSC_PS2_PT2_iSB_SB_.uses_flat_scratch, or(0, .L__assert_fail.uses_flat_scratch)
	.set _Z39paged_attention_ll4mi_QKV_mfma16_kernelIDF16_hLN4vllm18Fp8KVCacheDataTypeE1EDF16_Li16ELi64ELi256ELb0ELi14EEvPKT_PKT0_S7_ifPKiS9_S9_iPKfiiiPfSC_PS2_PT2_iSB_SB_.has_dyn_sized_stack, or(0, .L__assert_fail.has_dyn_sized_stack)
	.set _Z39paged_attention_ll4mi_QKV_mfma16_kernelIDF16_hLN4vllm18Fp8KVCacheDataTypeE1EDF16_Li16ELi64ELi256ELb0ELi14EEvPKT_PKT0_S7_ifPKiS9_S9_iPKfiiiPfSC_PS2_PT2_iSB_SB_.has_recursion, or(0, .L__assert_fail.has_recursion)
	.set _Z39paged_attention_ll4mi_QKV_mfma16_kernelIDF16_hLN4vllm18Fp8KVCacheDataTypeE1EDF16_Li16ELi64ELi256ELb0ELi14EEvPKT_PKT0_S7_ifPKiS9_S9_iPKfiiiPfSC_PS2_PT2_iSB_SB_.has_indirect_call, or(0, .L__assert_fail.has_indirect_call)
	.section	.AMDGPU.csdata,"",@progbits
; Kernel info:
; codeLenInByte = 68
; TotalNumSgprs: 36
; NumVgprs: 51
; ScratchSize: 64
; MemoryBound: 0
; FloatMode: 240
; IeeeMode: 1
; LDSByteSize: 0 bytes/workgroup (compile time only)
; SGPRBlocks: 0
; VGPRBlocks: 3
; NumSGPRsForWavesPerEU: 36
; NumVGPRsForWavesPerEU: 51
; NamedBarCnt: 0
; Occupancy: 16
; WaveLimiterHint : 1
; COMPUTE_PGM_RSRC2:SCRATCH_EN: 1
; COMPUTE_PGM_RSRC2:USER_SGPR: 2
; COMPUTE_PGM_RSRC2:TRAP_HANDLER: 0
; COMPUTE_PGM_RSRC2:TGID_X_EN: 1
; COMPUTE_PGM_RSRC2:TGID_Y_EN: 0
; COMPUTE_PGM_RSRC2:TGID_Z_EN: 0
; COMPUTE_PGM_RSRC2:TIDIG_COMP_CNT: 0
	.section	.text._Z39paged_attention_ll4mi_QKV_mfma16_kernelIDF16_hLN4vllm18Fp8KVCacheDataTypeE1EDF16_Li16ELi64ELi256ELb0ELi15EEvPKT_PKT0_S7_ifPKiS9_S9_iPKfiiiPfSC_PS2_PT2_iSB_SB_,"axG",@progbits,_Z39paged_attention_ll4mi_QKV_mfma16_kernelIDF16_hLN4vllm18Fp8KVCacheDataTypeE1EDF16_Li16ELi64ELi256ELb0ELi15EEvPKT_PKT0_S7_ifPKiS9_S9_iPKfiiiPfSC_PS2_PT2_iSB_SB_,comdat
	.protected	_Z39paged_attention_ll4mi_QKV_mfma16_kernelIDF16_hLN4vllm18Fp8KVCacheDataTypeE1EDF16_Li16ELi64ELi256ELb0ELi15EEvPKT_PKT0_S7_ifPKiS9_S9_iPKfiiiPfSC_PS2_PT2_iSB_SB_ ; -- Begin function _Z39paged_attention_ll4mi_QKV_mfma16_kernelIDF16_hLN4vllm18Fp8KVCacheDataTypeE1EDF16_Li16ELi64ELi256ELb0ELi15EEvPKT_PKT0_S7_ifPKiS9_S9_iPKfiiiPfSC_PS2_PT2_iSB_SB_
	.globl	_Z39paged_attention_ll4mi_QKV_mfma16_kernelIDF16_hLN4vllm18Fp8KVCacheDataTypeE1EDF16_Li16ELi64ELi256ELb0ELi15EEvPKT_PKT0_S7_ifPKiS9_S9_iPKfiiiPfSC_PS2_PT2_iSB_SB_
	.p2align	8
	.type	_Z39paged_attention_ll4mi_QKV_mfma16_kernelIDF16_hLN4vllm18Fp8KVCacheDataTypeE1EDF16_Li16ELi64ELi256ELb0ELi15EEvPKT_PKT0_S7_ifPKiS9_S9_iPKfiiiPfSC_PS2_PT2_iSB_SB_,@function
_Z39paged_attention_ll4mi_QKV_mfma16_kernelIDF16_hLN4vllm18Fp8KVCacheDataTypeE1EDF16_Li16ELi64ELi256ELb0ELi15EEvPKT_PKT0_S7_ifPKiS9_S9_iPKfiiiPfSC_PS2_PT2_iSB_SB_: ; @_Z39paged_attention_ll4mi_QKV_mfma16_kernelIDF16_hLN4vllm18Fp8KVCacheDataTypeE1EDF16_Li16ELi64ELi256ELb0ELi15EEvPKT_PKT0_S7_ifPKiS9_S9_iPKfiiiPfSC_PS2_PT2_iSB_SB_
; %bb.0:
	s_get_pc_i64 s[2:3]
	s_add_nc_u64 s[2:3], s[2:3], __PRETTY_FUNCTION__._Z39paged_attention_ll4mi_QKV_mfma16_kernelIDF16_hLN4vllm18Fp8KVCacheDataTypeE1EDF16_Li16ELi64ELi256ELb0ELi15EEvPKT_PKT0_S7_ifPKiS9_S9_iPKfiiiPfSC_PS2_PT2_iSB_SB_@rel64+4
	s_delay_alu instid0(SALU_CYCLE_1)
	v_dual_mov_b32 v0, 0xbb3 :: v_dual_mov_b32 v1, s2
	v_mov_b32_e32 v2, s3
	s_add_nc_u64 s[8:9], s[0:1], 0x90
	s_get_pc_i64 s[0:1]
	s_add_nc_u64 s[0:1], s[0:1], __assert_fail@rel64+4
	s_mov_b32 s32, 0
	s_swap_pc_i64 s[30:31], s[0:1]
	.section	.rodata,"a",@progbits
	.p2align	6, 0x0
	.amdhsa_kernel _Z39paged_attention_ll4mi_QKV_mfma16_kernelIDF16_hLN4vllm18Fp8KVCacheDataTypeE1EDF16_Li16ELi64ELi256ELb0ELi15EEvPKT_PKT0_S7_ifPKiS9_S9_iPKfiiiPfSC_PS2_PT2_iSB_SB_
		.amdhsa_group_segment_fixed_size 0
		.amdhsa_private_segment_fixed_size 64
		.amdhsa_kernarg_size 400
		.amdhsa_user_sgpr_count 2
		.amdhsa_user_sgpr_dispatch_ptr 0
		.amdhsa_user_sgpr_queue_ptr 0
		.amdhsa_user_sgpr_kernarg_segment_ptr 1
		.amdhsa_user_sgpr_dispatch_id 0
		.amdhsa_user_sgpr_kernarg_preload_length 0
		.amdhsa_user_sgpr_kernarg_preload_offset 0
		.amdhsa_user_sgpr_private_segment_size 0
		.amdhsa_wavefront_size32 1
		.amdhsa_uses_dynamic_stack 0
		.amdhsa_enable_private_segment 1
		.amdhsa_system_sgpr_workgroup_id_x 1
		.amdhsa_system_sgpr_workgroup_id_y 0
		.amdhsa_system_sgpr_workgroup_id_z 0
		.amdhsa_system_sgpr_workgroup_info 0
		.amdhsa_system_vgpr_workitem_id 0
		.amdhsa_next_free_vgpr 51
		.amdhsa_next_free_sgpr 34
		.amdhsa_named_barrier_count 0
		.amdhsa_reserve_vcc 1
		.amdhsa_float_round_mode_32 0
		.amdhsa_float_round_mode_16_64 0
		.amdhsa_float_denorm_mode_32 3
		.amdhsa_float_denorm_mode_16_64 3
		.amdhsa_fp16_overflow 0
		.amdhsa_memory_ordered 1
		.amdhsa_forward_progress 1
		.amdhsa_inst_pref_size 1
		.amdhsa_round_robin_scheduling 0
		.amdhsa_exception_fp_ieee_invalid_op 0
		.amdhsa_exception_fp_denorm_src 0
		.amdhsa_exception_fp_ieee_div_zero 0
		.amdhsa_exception_fp_ieee_overflow 0
		.amdhsa_exception_fp_ieee_underflow 0
		.amdhsa_exception_fp_ieee_inexact 0
		.amdhsa_exception_int_div_zero 0
	.end_amdhsa_kernel
	.section	.text._Z39paged_attention_ll4mi_QKV_mfma16_kernelIDF16_hLN4vllm18Fp8KVCacheDataTypeE1EDF16_Li16ELi64ELi256ELb0ELi15EEvPKT_PKT0_S7_ifPKiS9_S9_iPKfiiiPfSC_PS2_PT2_iSB_SB_,"axG",@progbits,_Z39paged_attention_ll4mi_QKV_mfma16_kernelIDF16_hLN4vllm18Fp8KVCacheDataTypeE1EDF16_Li16ELi64ELi256ELb0ELi15EEvPKT_PKT0_S7_ifPKiS9_S9_iPKfiiiPfSC_PS2_PT2_iSB_SB_,comdat
.Lfunc_end844:
	.size	_Z39paged_attention_ll4mi_QKV_mfma16_kernelIDF16_hLN4vllm18Fp8KVCacheDataTypeE1EDF16_Li16ELi64ELi256ELb0ELi15EEvPKT_PKT0_S7_ifPKiS9_S9_iPKfiiiPfSC_PS2_PT2_iSB_SB_, .Lfunc_end844-_Z39paged_attention_ll4mi_QKV_mfma16_kernelIDF16_hLN4vllm18Fp8KVCacheDataTypeE1EDF16_Li16ELi64ELi256ELb0ELi15EEvPKT_PKT0_S7_ifPKiS9_S9_iPKfiiiPfSC_PS2_PT2_iSB_SB_
                                        ; -- End function
	.set _Z39paged_attention_ll4mi_QKV_mfma16_kernelIDF16_hLN4vllm18Fp8KVCacheDataTypeE1EDF16_Li16ELi64ELi256ELb0ELi15EEvPKT_PKT0_S7_ifPKiS9_S9_iPKfiiiPfSC_PS2_PT2_iSB_SB_.num_vgpr, max(3, .L__assert_fail.num_vgpr)
	.set _Z39paged_attention_ll4mi_QKV_mfma16_kernelIDF16_hLN4vllm18Fp8KVCacheDataTypeE1EDF16_Li16ELi64ELi256ELb0ELi15EEvPKT_PKT0_S7_ifPKiS9_S9_iPKfiiiPfSC_PS2_PT2_iSB_SB_.num_agpr, max(0, .L__assert_fail.num_agpr)
	.set _Z39paged_attention_ll4mi_QKV_mfma16_kernelIDF16_hLN4vllm18Fp8KVCacheDataTypeE1EDF16_Li16ELi64ELi256ELb0ELi15EEvPKT_PKT0_S7_ifPKiS9_S9_iPKfiiiPfSC_PS2_PT2_iSB_SB_.numbered_sgpr, max(33, .L__assert_fail.numbered_sgpr)
	.set _Z39paged_attention_ll4mi_QKV_mfma16_kernelIDF16_hLN4vllm18Fp8KVCacheDataTypeE1EDF16_Li16ELi64ELi256ELb0ELi15EEvPKT_PKT0_S7_ifPKiS9_S9_iPKfiiiPfSC_PS2_PT2_iSB_SB_.num_named_barrier, max(0, .L__assert_fail.num_named_barrier)
	.set _Z39paged_attention_ll4mi_QKV_mfma16_kernelIDF16_hLN4vllm18Fp8KVCacheDataTypeE1EDF16_Li16ELi64ELi256ELb0ELi15EEvPKT_PKT0_S7_ifPKiS9_S9_iPKfiiiPfSC_PS2_PT2_iSB_SB_.private_seg_size, 0+max(.L__assert_fail.private_seg_size)
	.set _Z39paged_attention_ll4mi_QKV_mfma16_kernelIDF16_hLN4vllm18Fp8KVCacheDataTypeE1EDF16_Li16ELi64ELi256ELb0ELi15EEvPKT_PKT0_S7_ifPKiS9_S9_iPKfiiiPfSC_PS2_PT2_iSB_SB_.uses_vcc, or(1, .L__assert_fail.uses_vcc)
	.set _Z39paged_attention_ll4mi_QKV_mfma16_kernelIDF16_hLN4vllm18Fp8KVCacheDataTypeE1EDF16_Li16ELi64ELi256ELb0ELi15EEvPKT_PKT0_S7_ifPKiS9_S9_iPKfiiiPfSC_PS2_PT2_iSB_SB_.uses_flat_scratch, or(0, .L__assert_fail.uses_flat_scratch)
	.set _Z39paged_attention_ll4mi_QKV_mfma16_kernelIDF16_hLN4vllm18Fp8KVCacheDataTypeE1EDF16_Li16ELi64ELi256ELb0ELi15EEvPKT_PKT0_S7_ifPKiS9_S9_iPKfiiiPfSC_PS2_PT2_iSB_SB_.has_dyn_sized_stack, or(0, .L__assert_fail.has_dyn_sized_stack)
	.set _Z39paged_attention_ll4mi_QKV_mfma16_kernelIDF16_hLN4vllm18Fp8KVCacheDataTypeE1EDF16_Li16ELi64ELi256ELb0ELi15EEvPKT_PKT0_S7_ifPKiS9_S9_iPKfiiiPfSC_PS2_PT2_iSB_SB_.has_recursion, or(0, .L__assert_fail.has_recursion)
	.set _Z39paged_attention_ll4mi_QKV_mfma16_kernelIDF16_hLN4vllm18Fp8KVCacheDataTypeE1EDF16_Li16ELi64ELi256ELb0ELi15EEvPKT_PKT0_S7_ifPKiS9_S9_iPKfiiiPfSC_PS2_PT2_iSB_SB_.has_indirect_call, or(0, .L__assert_fail.has_indirect_call)
	.section	.AMDGPU.csdata,"",@progbits
; Kernel info:
; codeLenInByte = 68
; TotalNumSgprs: 36
; NumVgprs: 51
; ScratchSize: 64
; MemoryBound: 0
; FloatMode: 240
; IeeeMode: 1
; LDSByteSize: 0 bytes/workgroup (compile time only)
; SGPRBlocks: 0
; VGPRBlocks: 3
; NumSGPRsForWavesPerEU: 36
; NumVGPRsForWavesPerEU: 51
; NamedBarCnt: 0
; Occupancy: 16
; WaveLimiterHint : 1
; COMPUTE_PGM_RSRC2:SCRATCH_EN: 1
; COMPUTE_PGM_RSRC2:USER_SGPR: 2
; COMPUTE_PGM_RSRC2:TRAP_HANDLER: 0
; COMPUTE_PGM_RSRC2:TGID_X_EN: 1
; COMPUTE_PGM_RSRC2:TGID_Y_EN: 0
; COMPUTE_PGM_RSRC2:TGID_Z_EN: 0
; COMPUTE_PGM_RSRC2:TIDIG_COMP_CNT: 0
	.section	.text._Z39paged_attention_ll4mi_QKV_mfma16_kernelIDF16_hLN4vllm18Fp8KVCacheDataTypeE1EDF16_Li16ELi64ELi256ELb0ELi16EEvPKT_PKT0_S7_ifPKiS9_S9_iPKfiiiPfSC_PS2_PT2_iSB_SB_,"axG",@progbits,_Z39paged_attention_ll4mi_QKV_mfma16_kernelIDF16_hLN4vllm18Fp8KVCacheDataTypeE1EDF16_Li16ELi64ELi256ELb0ELi16EEvPKT_PKT0_S7_ifPKiS9_S9_iPKfiiiPfSC_PS2_PT2_iSB_SB_,comdat
	.protected	_Z39paged_attention_ll4mi_QKV_mfma16_kernelIDF16_hLN4vllm18Fp8KVCacheDataTypeE1EDF16_Li16ELi64ELi256ELb0ELi16EEvPKT_PKT0_S7_ifPKiS9_S9_iPKfiiiPfSC_PS2_PT2_iSB_SB_ ; -- Begin function _Z39paged_attention_ll4mi_QKV_mfma16_kernelIDF16_hLN4vllm18Fp8KVCacheDataTypeE1EDF16_Li16ELi64ELi256ELb0ELi16EEvPKT_PKT0_S7_ifPKiS9_S9_iPKfiiiPfSC_PS2_PT2_iSB_SB_
	.globl	_Z39paged_attention_ll4mi_QKV_mfma16_kernelIDF16_hLN4vllm18Fp8KVCacheDataTypeE1EDF16_Li16ELi64ELi256ELb0ELi16EEvPKT_PKT0_S7_ifPKiS9_S9_iPKfiiiPfSC_PS2_PT2_iSB_SB_
	.p2align	8
	.type	_Z39paged_attention_ll4mi_QKV_mfma16_kernelIDF16_hLN4vllm18Fp8KVCacheDataTypeE1EDF16_Li16ELi64ELi256ELb0ELi16EEvPKT_PKT0_S7_ifPKiS9_S9_iPKfiiiPfSC_PS2_PT2_iSB_SB_,@function
_Z39paged_attention_ll4mi_QKV_mfma16_kernelIDF16_hLN4vllm18Fp8KVCacheDataTypeE1EDF16_Li16ELi64ELi256ELb0ELi16EEvPKT_PKT0_S7_ifPKiS9_S9_iPKfiiiPfSC_PS2_PT2_iSB_SB_: ; @_Z39paged_attention_ll4mi_QKV_mfma16_kernelIDF16_hLN4vllm18Fp8KVCacheDataTypeE1EDF16_Li16ELi64ELi256ELb0ELi16EEvPKT_PKT0_S7_ifPKiS9_S9_iPKfiiiPfSC_PS2_PT2_iSB_SB_
; %bb.0:
	s_get_pc_i64 s[2:3]
	s_add_nc_u64 s[2:3], s[2:3], __PRETTY_FUNCTION__._Z39paged_attention_ll4mi_QKV_mfma16_kernelIDF16_hLN4vllm18Fp8KVCacheDataTypeE1EDF16_Li16ELi64ELi256ELb0ELi16EEvPKT_PKT0_S7_ifPKiS9_S9_iPKfiiiPfSC_PS2_PT2_iSB_SB_@rel64+4
	s_delay_alu instid0(SALU_CYCLE_1)
	v_dual_mov_b32 v0, 0xbb3 :: v_dual_mov_b32 v1, s2
	v_mov_b32_e32 v2, s3
	s_add_nc_u64 s[8:9], s[0:1], 0x90
	s_get_pc_i64 s[0:1]
	s_add_nc_u64 s[0:1], s[0:1], __assert_fail@rel64+4
	s_mov_b32 s32, 0
	s_swap_pc_i64 s[30:31], s[0:1]
	.section	.rodata,"a",@progbits
	.p2align	6, 0x0
	.amdhsa_kernel _Z39paged_attention_ll4mi_QKV_mfma16_kernelIDF16_hLN4vllm18Fp8KVCacheDataTypeE1EDF16_Li16ELi64ELi256ELb0ELi16EEvPKT_PKT0_S7_ifPKiS9_S9_iPKfiiiPfSC_PS2_PT2_iSB_SB_
		.amdhsa_group_segment_fixed_size 0
		.amdhsa_private_segment_fixed_size 64
		.amdhsa_kernarg_size 400
		.amdhsa_user_sgpr_count 2
		.amdhsa_user_sgpr_dispatch_ptr 0
		.amdhsa_user_sgpr_queue_ptr 0
		.amdhsa_user_sgpr_kernarg_segment_ptr 1
		.amdhsa_user_sgpr_dispatch_id 0
		.amdhsa_user_sgpr_kernarg_preload_length 0
		.amdhsa_user_sgpr_kernarg_preload_offset 0
		.amdhsa_user_sgpr_private_segment_size 0
		.amdhsa_wavefront_size32 1
		.amdhsa_uses_dynamic_stack 0
		.amdhsa_enable_private_segment 1
		.amdhsa_system_sgpr_workgroup_id_x 1
		.amdhsa_system_sgpr_workgroup_id_y 0
		.amdhsa_system_sgpr_workgroup_id_z 0
		.amdhsa_system_sgpr_workgroup_info 0
		.amdhsa_system_vgpr_workitem_id 0
		.amdhsa_next_free_vgpr 51
		.amdhsa_next_free_sgpr 34
		.amdhsa_named_barrier_count 0
		.amdhsa_reserve_vcc 1
		.amdhsa_float_round_mode_32 0
		.amdhsa_float_round_mode_16_64 0
		.amdhsa_float_denorm_mode_32 3
		.amdhsa_float_denorm_mode_16_64 3
		.amdhsa_fp16_overflow 0
		.amdhsa_memory_ordered 1
		.amdhsa_forward_progress 1
		.amdhsa_inst_pref_size 1
		.amdhsa_round_robin_scheduling 0
		.amdhsa_exception_fp_ieee_invalid_op 0
		.amdhsa_exception_fp_denorm_src 0
		.amdhsa_exception_fp_ieee_div_zero 0
		.amdhsa_exception_fp_ieee_overflow 0
		.amdhsa_exception_fp_ieee_underflow 0
		.amdhsa_exception_fp_ieee_inexact 0
		.amdhsa_exception_int_div_zero 0
	.end_amdhsa_kernel
	.section	.text._Z39paged_attention_ll4mi_QKV_mfma16_kernelIDF16_hLN4vllm18Fp8KVCacheDataTypeE1EDF16_Li16ELi64ELi256ELb0ELi16EEvPKT_PKT0_S7_ifPKiS9_S9_iPKfiiiPfSC_PS2_PT2_iSB_SB_,"axG",@progbits,_Z39paged_attention_ll4mi_QKV_mfma16_kernelIDF16_hLN4vllm18Fp8KVCacheDataTypeE1EDF16_Li16ELi64ELi256ELb0ELi16EEvPKT_PKT0_S7_ifPKiS9_S9_iPKfiiiPfSC_PS2_PT2_iSB_SB_,comdat
.Lfunc_end845:
	.size	_Z39paged_attention_ll4mi_QKV_mfma16_kernelIDF16_hLN4vllm18Fp8KVCacheDataTypeE1EDF16_Li16ELi64ELi256ELb0ELi16EEvPKT_PKT0_S7_ifPKiS9_S9_iPKfiiiPfSC_PS2_PT2_iSB_SB_, .Lfunc_end845-_Z39paged_attention_ll4mi_QKV_mfma16_kernelIDF16_hLN4vllm18Fp8KVCacheDataTypeE1EDF16_Li16ELi64ELi256ELb0ELi16EEvPKT_PKT0_S7_ifPKiS9_S9_iPKfiiiPfSC_PS2_PT2_iSB_SB_
                                        ; -- End function
	.set _Z39paged_attention_ll4mi_QKV_mfma16_kernelIDF16_hLN4vllm18Fp8KVCacheDataTypeE1EDF16_Li16ELi64ELi256ELb0ELi16EEvPKT_PKT0_S7_ifPKiS9_S9_iPKfiiiPfSC_PS2_PT2_iSB_SB_.num_vgpr, max(3, .L__assert_fail.num_vgpr)
	.set _Z39paged_attention_ll4mi_QKV_mfma16_kernelIDF16_hLN4vllm18Fp8KVCacheDataTypeE1EDF16_Li16ELi64ELi256ELb0ELi16EEvPKT_PKT0_S7_ifPKiS9_S9_iPKfiiiPfSC_PS2_PT2_iSB_SB_.num_agpr, max(0, .L__assert_fail.num_agpr)
	.set _Z39paged_attention_ll4mi_QKV_mfma16_kernelIDF16_hLN4vllm18Fp8KVCacheDataTypeE1EDF16_Li16ELi64ELi256ELb0ELi16EEvPKT_PKT0_S7_ifPKiS9_S9_iPKfiiiPfSC_PS2_PT2_iSB_SB_.numbered_sgpr, max(33, .L__assert_fail.numbered_sgpr)
	.set _Z39paged_attention_ll4mi_QKV_mfma16_kernelIDF16_hLN4vllm18Fp8KVCacheDataTypeE1EDF16_Li16ELi64ELi256ELb0ELi16EEvPKT_PKT0_S7_ifPKiS9_S9_iPKfiiiPfSC_PS2_PT2_iSB_SB_.num_named_barrier, max(0, .L__assert_fail.num_named_barrier)
	.set _Z39paged_attention_ll4mi_QKV_mfma16_kernelIDF16_hLN4vllm18Fp8KVCacheDataTypeE1EDF16_Li16ELi64ELi256ELb0ELi16EEvPKT_PKT0_S7_ifPKiS9_S9_iPKfiiiPfSC_PS2_PT2_iSB_SB_.private_seg_size, 0+max(.L__assert_fail.private_seg_size)
	.set _Z39paged_attention_ll4mi_QKV_mfma16_kernelIDF16_hLN4vllm18Fp8KVCacheDataTypeE1EDF16_Li16ELi64ELi256ELb0ELi16EEvPKT_PKT0_S7_ifPKiS9_S9_iPKfiiiPfSC_PS2_PT2_iSB_SB_.uses_vcc, or(1, .L__assert_fail.uses_vcc)
	.set _Z39paged_attention_ll4mi_QKV_mfma16_kernelIDF16_hLN4vllm18Fp8KVCacheDataTypeE1EDF16_Li16ELi64ELi256ELb0ELi16EEvPKT_PKT0_S7_ifPKiS9_S9_iPKfiiiPfSC_PS2_PT2_iSB_SB_.uses_flat_scratch, or(0, .L__assert_fail.uses_flat_scratch)
	.set _Z39paged_attention_ll4mi_QKV_mfma16_kernelIDF16_hLN4vllm18Fp8KVCacheDataTypeE1EDF16_Li16ELi64ELi256ELb0ELi16EEvPKT_PKT0_S7_ifPKiS9_S9_iPKfiiiPfSC_PS2_PT2_iSB_SB_.has_dyn_sized_stack, or(0, .L__assert_fail.has_dyn_sized_stack)
	.set _Z39paged_attention_ll4mi_QKV_mfma16_kernelIDF16_hLN4vllm18Fp8KVCacheDataTypeE1EDF16_Li16ELi64ELi256ELb0ELi16EEvPKT_PKT0_S7_ifPKiS9_S9_iPKfiiiPfSC_PS2_PT2_iSB_SB_.has_recursion, or(0, .L__assert_fail.has_recursion)
	.set _Z39paged_attention_ll4mi_QKV_mfma16_kernelIDF16_hLN4vllm18Fp8KVCacheDataTypeE1EDF16_Li16ELi64ELi256ELb0ELi16EEvPKT_PKT0_S7_ifPKiS9_S9_iPKfiiiPfSC_PS2_PT2_iSB_SB_.has_indirect_call, or(0, .L__assert_fail.has_indirect_call)
	.section	.AMDGPU.csdata,"",@progbits
; Kernel info:
; codeLenInByte = 68
; TotalNumSgprs: 36
; NumVgprs: 51
; ScratchSize: 64
; MemoryBound: 0
; FloatMode: 240
; IeeeMode: 1
; LDSByteSize: 0 bytes/workgroup (compile time only)
; SGPRBlocks: 0
; VGPRBlocks: 3
; NumSGPRsForWavesPerEU: 36
; NumVGPRsForWavesPerEU: 51
; NamedBarCnt: 0
; Occupancy: 16
; WaveLimiterHint : 1
; COMPUTE_PGM_RSRC2:SCRATCH_EN: 1
; COMPUTE_PGM_RSRC2:USER_SGPR: 2
; COMPUTE_PGM_RSRC2:TRAP_HANDLER: 0
; COMPUTE_PGM_RSRC2:TGID_X_EN: 1
; COMPUTE_PGM_RSRC2:TGID_Y_EN: 0
; COMPUTE_PGM_RSRC2:TGID_Z_EN: 0
; COMPUTE_PGM_RSRC2:TIDIG_COMP_CNT: 0
	.section	.text._Z39paged_attention_ll4mi_QKV_mfma16_kernelIDF16_hLN4vllm18Fp8KVCacheDataTypeE1EDF16_Li16ELi64ELi256ELb0ELi1EEvPKT_PKT0_S7_ifPKiS9_S9_iPKfiiiPfSC_PS2_PT2_iSB_SB_,"axG",@progbits,_Z39paged_attention_ll4mi_QKV_mfma16_kernelIDF16_hLN4vllm18Fp8KVCacheDataTypeE1EDF16_Li16ELi64ELi256ELb0ELi1EEvPKT_PKT0_S7_ifPKiS9_S9_iPKfiiiPfSC_PS2_PT2_iSB_SB_,comdat
	.protected	_Z39paged_attention_ll4mi_QKV_mfma16_kernelIDF16_hLN4vllm18Fp8KVCacheDataTypeE1EDF16_Li16ELi64ELi256ELb0ELi1EEvPKT_PKT0_S7_ifPKiS9_S9_iPKfiiiPfSC_PS2_PT2_iSB_SB_ ; -- Begin function _Z39paged_attention_ll4mi_QKV_mfma16_kernelIDF16_hLN4vllm18Fp8KVCacheDataTypeE1EDF16_Li16ELi64ELi256ELb0ELi1EEvPKT_PKT0_S7_ifPKiS9_S9_iPKfiiiPfSC_PS2_PT2_iSB_SB_
	.globl	_Z39paged_attention_ll4mi_QKV_mfma16_kernelIDF16_hLN4vllm18Fp8KVCacheDataTypeE1EDF16_Li16ELi64ELi256ELb0ELi1EEvPKT_PKT0_S7_ifPKiS9_S9_iPKfiiiPfSC_PS2_PT2_iSB_SB_
	.p2align	8
	.type	_Z39paged_attention_ll4mi_QKV_mfma16_kernelIDF16_hLN4vllm18Fp8KVCacheDataTypeE1EDF16_Li16ELi64ELi256ELb0ELi1EEvPKT_PKT0_S7_ifPKiS9_S9_iPKfiiiPfSC_PS2_PT2_iSB_SB_,@function
_Z39paged_attention_ll4mi_QKV_mfma16_kernelIDF16_hLN4vllm18Fp8KVCacheDataTypeE1EDF16_Li16ELi64ELi256ELb0ELi1EEvPKT_PKT0_S7_ifPKiS9_S9_iPKfiiiPfSC_PS2_PT2_iSB_SB_: ; @_Z39paged_attention_ll4mi_QKV_mfma16_kernelIDF16_hLN4vllm18Fp8KVCacheDataTypeE1EDF16_Li16ELi64ELi256ELb0ELi1EEvPKT_PKT0_S7_ifPKiS9_S9_iPKfiiiPfSC_PS2_PT2_iSB_SB_
; %bb.0:
	s_get_pc_i64 s[2:3]
	s_add_nc_u64 s[2:3], s[2:3], __PRETTY_FUNCTION__._Z39paged_attention_ll4mi_QKV_mfma16_kernelIDF16_hLN4vllm18Fp8KVCacheDataTypeE1EDF16_Li16ELi64ELi256ELb0ELi1EEvPKT_PKT0_S7_ifPKiS9_S9_iPKfiiiPfSC_PS2_PT2_iSB_SB_@rel64+4
	s_delay_alu instid0(SALU_CYCLE_1)
	v_dual_mov_b32 v0, 0xbb3 :: v_dual_mov_b32 v1, s2
	v_mov_b32_e32 v2, s3
	s_add_nc_u64 s[8:9], s[0:1], 0x90
	s_get_pc_i64 s[0:1]
	s_add_nc_u64 s[0:1], s[0:1], __assert_fail@rel64+4
	s_mov_b32 s32, 0
	s_swap_pc_i64 s[30:31], s[0:1]
	.section	.rodata,"a",@progbits
	.p2align	6, 0x0
	.amdhsa_kernel _Z39paged_attention_ll4mi_QKV_mfma16_kernelIDF16_hLN4vllm18Fp8KVCacheDataTypeE1EDF16_Li16ELi64ELi256ELb0ELi1EEvPKT_PKT0_S7_ifPKiS9_S9_iPKfiiiPfSC_PS2_PT2_iSB_SB_
		.amdhsa_group_segment_fixed_size 0
		.amdhsa_private_segment_fixed_size 64
		.amdhsa_kernarg_size 400
		.amdhsa_user_sgpr_count 2
		.amdhsa_user_sgpr_dispatch_ptr 0
		.amdhsa_user_sgpr_queue_ptr 0
		.amdhsa_user_sgpr_kernarg_segment_ptr 1
		.amdhsa_user_sgpr_dispatch_id 0
		.amdhsa_user_sgpr_kernarg_preload_length 0
		.amdhsa_user_sgpr_kernarg_preload_offset 0
		.amdhsa_user_sgpr_private_segment_size 0
		.amdhsa_wavefront_size32 1
		.amdhsa_uses_dynamic_stack 0
		.amdhsa_enable_private_segment 1
		.amdhsa_system_sgpr_workgroup_id_x 1
		.amdhsa_system_sgpr_workgroup_id_y 0
		.amdhsa_system_sgpr_workgroup_id_z 0
		.amdhsa_system_sgpr_workgroup_info 0
		.amdhsa_system_vgpr_workitem_id 0
		.amdhsa_next_free_vgpr 51
		.amdhsa_next_free_sgpr 34
		.amdhsa_named_barrier_count 0
		.amdhsa_reserve_vcc 1
		.amdhsa_float_round_mode_32 0
		.amdhsa_float_round_mode_16_64 0
		.amdhsa_float_denorm_mode_32 3
		.amdhsa_float_denorm_mode_16_64 3
		.amdhsa_fp16_overflow 0
		.amdhsa_memory_ordered 1
		.amdhsa_forward_progress 1
		.amdhsa_inst_pref_size 1
		.amdhsa_round_robin_scheduling 0
		.amdhsa_exception_fp_ieee_invalid_op 0
		.amdhsa_exception_fp_denorm_src 0
		.amdhsa_exception_fp_ieee_div_zero 0
		.amdhsa_exception_fp_ieee_overflow 0
		.amdhsa_exception_fp_ieee_underflow 0
		.amdhsa_exception_fp_ieee_inexact 0
		.amdhsa_exception_int_div_zero 0
	.end_amdhsa_kernel
	.section	.text._Z39paged_attention_ll4mi_QKV_mfma16_kernelIDF16_hLN4vllm18Fp8KVCacheDataTypeE1EDF16_Li16ELi64ELi256ELb0ELi1EEvPKT_PKT0_S7_ifPKiS9_S9_iPKfiiiPfSC_PS2_PT2_iSB_SB_,"axG",@progbits,_Z39paged_attention_ll4mi_QKV_mfma16_kernelIDF16_hLN4vllm18Fp8KVCacheDataTypeE1EDF16_Li16ELi64ELi256ELb0ELi1EEvPKT_PKT0_S7_ifPKiS9_S9_iPKfiiiPfSC_PS2_PT2_iSB_SB_,comdat
.Lfunc_end846:
	.size	_Z39paged_attention_ll4mi_QKV_mfma16_kernelIDF16_hLN4vllm18Fp8KVCacheDataTypeE1EDF16_Li16ELi64ELi256ELb0ELi1EEvPKT_PKT0_S7_ifPKiS9_S9_iPKfiiiPfSC_PS2_PT2_iSB_SB_, .Lfunc_end846-_Z39paged_attention_ll4mi_QKV_mfma16_kernelIDF16_hLN4vllm18Fp8KVCacheDataTypeE1EDF16_Li16ELi64ELi256ELb0ELi1EEvPKT_PKT0_S7_ifPKiS9_S9_iPKfiiiPfSC_PS2_PT2_iSB_SB_
                                        ; -- End function
	.set _Z39paged_attention_ll4mi_QKV_mfma16_kernelIDF16_hLN4vllm18Fp8KVCacheDataTypeE1EDF16_Li16ELi64ELi256ELb0ELi1EEvPKT_PKT0_S7_ifPKiS9_S9_iPKfiiiPfSC_PS2_PT2_iSB_SB_.num_vgpr, max(3, .L__assert_fail.num_vgpr)
	.set _Z39paged_attention_ll4mi_QKV_mfma16_kernelIDF16_hLN4vllm18Fp8KVCacheDataTypeE1EDF16_Li16ELi64ELi256ELb0ELi1EEvPKT_PKT0_S7_ifPKiS9_S9_iPKfiiiPfSC_PS2_PT2_iSB_SB_.num_agpr, max(0, .L__assert_fail.num_agpr)
	.set _Z39paged_attention_ll4mi_QKV_mfma16_kernelIDF16_hLN4vllm18Fp8KVCacheDataTypeE1EDF16_Li16ELi64ELi256ELb0ELi1EEvPKT_PKT0_S7_ifPKiS9_S9_iPKfiiiPfSC_PS2_PT2_iSB_SB_.numbered_sgpr, max(33, .L__assert_fail.numbered_sgpr)
	.set _Z39paged_attention_ll4mi_QKV_mfma16_kernelIDF16_hLN4vllm18Fp8KVCacheDataTypeE1EDF16_Li16ELi64ELi256ELb0ELi1EEvPKT_PKT0_S7_ifPKiS9_S9_iPKfiiiPfSC_PS2_PT2_iSB_SB_.num_named_barrier, max(0, .L__assert_fail.num_named_barrier)
	.set _Z39paged_attention_ll4mi_QKV_mfma16_kernelIDF16_hLN4vllm18Fp8KVCacheDataTypeE1EDF16_Li16ELi64ELi256ELb0ELi1EEvPKT_PKT0_S7_ifPKiS9_S9_iPKfiiiPfSC_PS2_PT2_iSB_SB_.private_seg_size, 0+max(.L__assert_fail.private_seg_size)
	.set _Z39paged_attention_ll4mi_QKV_mfma16_kernelIDF16_hLN4vllm18Fp8KVCacheDataTypeE1EDF16_Li16ELi64ELi256ELb0ELi1EEvPKT_PKT0_S7_ifPKiS9_S9_iPKfiiiPfSC_PS2_PT2_iSB_SB_.uses_vcc, or(1, .L__assert_fail.uses_vcc)
	.set _Z39paged_attention_ll4mi_QKV_mfma16_kernelIDF16_hLN4vllm18Fp8KVCacheDataTypeE1EDF16_Li16ELi64ELi256ELb0ELi1EEvPKT_PKT0_S7_ifPKiS9_S9_iPKfiiiPfSC_PS2_PT2_iSB_SB_.uses_flat_scratch, or(0, .L__assert_fail.uses_flat_scratch)
	.set _Z39paged_attention_ll4mi_QKV_mfma16_kernelIDF16_hLN4vllm18Fp8KVCacheDataTypeE1EDF16_Li16ELi64ELi256ELb0ELi1EEvPKT_PKT0_S7_ifPKiS9_S9_iPKfiiiPfSC_PS2_PT2_iSB_SB_.has_dyn_sized_stack, or(0, .L__assert_fail.has_dyn_sized_stack)
	.set _Z39paged_attention_ll4mi_QKV_mfma16_kernelIDF16_hLN4vllm18Fp8KVCacheDataTypeE1EDF16_Li16ELi64ELi256ELb0ELi1EEvPKT_PKT0_S7_ifPKiS9_S9_iPKfiiiPfSC_PS2_PT2_iSB_SB_.has_recursion, or(0, .L__assert_fail.has_recursion)
	.set _Z39paged_attention_ll4mi_QKV_mfma16_kernelIDF16_hLN4vllm18Fp8KVCacheDataTypeE1EDF16_Li16ELi64ELi256ELb0ELi1EEvPKT_PKT0_S7_ifPKiS9_S9_iPKfiiiPfSC_PS2_PT2_iSB_SB_.has_indirect_call, or(0, .L__assert_fail.has_indirect_call)
	.section	.AMDGPU.csdata,"",@progbits
; Kernel info:
; codeLenInByte = 68
; TotalNumSgprs: 36
; NumVgprs: 51
; ScratchSize: 64
; MemoryBound: 0
; FloatMode: 240
; IeeeMode: 1
; LDSByteSize: 0 bytes/workgroup (compile time only)
; SGPRBlocks: 0
; VGPRBlocks: 3
; NumSGPRsForWavesPerEU: 36
; NumVGPRsForWavesPerEU: 51
; NamedBarCnt: 0
; Occupancy: 16
; WaveLimiterHint : 1
; COMPUTE_PGM_RSRC2:SCRATCH_EN: 1
; COMPUTE_PGM_RSRC2:USER_SGPR: 2
; COMPUTE_PGM_RSRC2:TRAP_HANDLER: 0
; COMPUTE_PGM_RSRC2:TGID_X_EN: 1
; COMPUTE_PGM_RSRC2:TGID_Y_EN: 0
; COMPUTE_PGM_RSRC2:TGID_Z_EN: 0
; COMPUTE_PGM_RSRC2:TIDIG_COMP_CNT: 0
	.section	.text._Z39paged_attention_ll4mi_QKV_mfma16_kernelIDF16_hLN4vllm18Fp8KVCacheDataTypeE1EDF16_Li16ELi64ELi256ELb0ELi2EEvPKT_PKT0_S7_ifPKiS9_S9_iPKfiiiPfSC_PS2_PT2_iSB_SB_,"axG",@progbits,_Z39paged_attention_ll4mi_QKV_mfma16_kernelIDF16_hLN4vllm18Fp8KVCacheDataTypeE1EDF16_Li16ELi64ELi256ELb0ELi2EEvPKT_PKT0_S7_ifPKiS9_S9_iPKfiiiPfSC_PS2_PT2_iSB_SB_,comdat
	.protected	_Z39paged_attention_ll4mi_QKV_mfma16_kernelIDF16_hLN4vllm18Fp8KVCacheDataTypeE1EDF16_Li16ELi64ELi256ELb0ELi2EEvPKT_PKT0_S7_ifPKiS9_S9_iPKfiiiPfSC_PS2_PT2_iSB_SB_ ; -- Begin function _Z39paged_attention_ll4mi_QKV_mfma16_kernelIDF16_hLN4vllm18Fp8KVCacheDataTypeE1EDF16_Li16ELi64ELi256ELb0ELi2EEvPKT_PKT0_S7_ifPKiS9_S9_iPKfiiiPfSC_PS2_PT2_iSB_SB_
	.globl	_Z39paged_attention_ll4mi_QKV_mfma16_kernelIDF16_hLN4vllm18Fp8KVCacheDataTypeE1EDF16_Li16ELi64ELi256ELb0ELi2EEvPKT_PKT0_S7_ifPKiS9_S9_iPKfiiiPfSC_PS2_PT2_iSB_SB_
	.p2align	8
	.type	_Z39paged_attention_ll4mi_QKV_mfma16_kernelIDF16_hLN4vllm18Fp8KVCacheDataTypeE1EDF16_Li16ELi64ELi256ELb0ELi2EEvPKT_PKT0_S7_ifPKiS9_S9_iPKfiiiPfSC_PS2_PT2_iSB_SB_,@function
_Z39paged_attention_ll4mi_QKV_mfma16_kernelIDF16_hLN4vllm18Fp8KVCacheDataTypeE1EDF16_Li16ELi64ELi256ELb0ELi2EEvPKT_PKT0_S7_ifPKiS9_S9_iPKfiiiPfSC_PS2_PT2_iSB_SB_: ; @_Z39paged_attention_ll4mi_QKV_mfma16_kernelIDF16_hLN4vllm18Fp8KVCacheDataTypeE1EDF16_Li16ELi64ELi256ELb0ELi2EEvPKT_PKT0_S7_ifPKiS9_S9_iPKfiiiPfSC_PS2_PT2_iSB_SB_
; %bb.0:
	s_get_pc_i64 s[2:3]
	s_add_nc_u64 s[2:3], s[2:3], __PRETTY_FUNCTION__._Z39paged_attention_ll4mi_QKV_mfma16_kernelIDF16_hLN4vllm18Fp8KVCacheDataTypeE1EDF16_Li16ELi64ELi256ELb0ELi2EEvPKT_PKT0_S7_ifPKiS9_S9_iPKfiiiPfSC_PS2_PT2_iSB_SB_@rel64+4
	s_delay_alu instid0(SALU_CYCLE_1)
	v_dual_mov_b32 v0, 0xbb3 :: v_dual_mov_b32 v1, s2
	v_mov_b32_e32 v2, s3
	s_add_nc_u64 s[8:9], s[0:1], 0x90
	s_get_pc_i64 s[0:1]
	s_add_nc_u64 s[0:1], s[0:1], __assert_fail@rel64+4
	s_mov_b32 s32, 0
	s_swap_pc_i64 s[30:31], s[0:1]
	.section	.rodata,"a",@progbits
	.p2align	6, 0x0
	.amdhsa_kernel _Z39paged_attention_ll4mi_QKV_mfma16_kernelIDF16_hLN4vllm18Fp8KVCacheDataTypeE1EDF16_Li16ELi64ELi256ELb0ELi2EEvPKT_PKT0_S7_ifPKiS9_S9_iPKfiiiPfSC_PS2_PT2_iSB_SB_
		.amdhsa_group_segment_fixed_size 0
		.amdhsa_private_segment_fixed_size 64
		.amdhsa_kernarg_size 400
		.amdhsa_user_sgpr_count 2
		.amdhsa_user_sgpr_dispatch_ptr 0
		.amdhsa_user_sgpr_queue_ptr 0
		.amdhsa_user_sgpr_kernarg_segment_ptr 1
		.amdhsa_user_sgpr_dispatch_id 0
		.amdhsa_user_sgpr_kernarg_preload_length 0
		.amdhsa_user_sgpr_kernarg_preload_offset 0
		.amdhsa_user_sgpr_private_segment_size 0
		.amdhsa_wavefront_size32 1
		.amdhsa_uses_dynamic_stack 0
		.amdhsa_enable_private_segment 1
		.amdhsa_system_sgpr_workgroup_id_x 1
		.amdhsa_system_sgpr_workgroup_id_y 0
		.amdhsa_system_sgpr_workgroup_id_z 0
		.amdhsa_system_sgpr_workgroup_info 0
		.amdhsa_system_vgpr_workitem_id 0
		.amdhsa_next_free_vgpr 51
		.amdhsa_next_free_sgpr 34
		.amdhsa_named_barrier_count 0
		.amdhsa_reserve_vcc 1
		.amdhsa_float_round_mode_32 0
		.amdhsa_float_round_mode_16_64 0
		.amdhsa_float_denorm_mode_32 3
		.amdhsa_float_denorm_mode_16_64 3
		.amdhsa_fp16_overflow 0
		.amdhsa_memory_ordered 1
		.amdhsa_forward_progress 1
		.amdhsa_inst_pref_size 1
		.amdhsa_round_robin_scheduling 0
		.amdhsa_exception_fp_ieee_invalid_op 0
		.amdhsa_exception_fp_denorm_src 0
		.amdhsa_exception_fp_ieee_div_zero 0
		.amdhsa_exception_fp_ieee_overflow 0
		.amdhsa_exception_fp_ieee_underflow 0
		.amdhsa_exception_fp_ieee_inexact 0
		.amdhsa_exception_int_div_zero 0
	.end_amdhsa_kernel
	.section	.text._Z39paged_attention_ll4mi_QKV_mfma16_kernelIDF16_hLN4vllm18Fp8KVCacheDataTypeE1EDF16_Li16ELi64ELi256ELb0ELi2EEvPKT_PKT0_S7_ifPKiS9_S9_iPKfiiiPfSC_PS2_PT2_iSB_SB_,"axG",@progbits,_Z39paged_attention_ll4mi_QKV_mfma16_kernelIDF16_hLN4vllm18Fp8KVCacheDataTypeE1EDF16_Li16ELi64ELi256ELb0ELi2EEvPKT_PKT0_S7_ifPKiS9_S9_iPKfiiiPfSC_PS2_PT2_iSB_SB_,comdat
.Lfunc_end847:
	.size	_Z39paged_attention_ll4mi_QKV_mfma16_kernelIDF16_hLN4vllm18Fp8KVCacheDataTypeE1EDF16_Li16ELi64ELi256ELb0ELi2EEvPKT_PKT0_S7_ifPKiS9_S9_iPKfiiiPfSC_PS2_PT2_iSB_SB_, .Lfunc_end847-_Z39paged_attention_ll4mi_QKV_mfma16_kernelIDF16_hLN4vllm18Fp8KVCacheDataTypeE1EDF16_Li16ELi64ELi256ELb0ELi2EEvPKT_PKT0_S7_ifPKiS9_S9_iPKfiiiPfSC_PS2_PT2_iSB_SB_
                                        ; -- End function
	.set _Z39paged_attention_ll4mi_QKV_mfma16_kernelIDF16_hLN4vllm18Fp8KVCacheDataTypeE1EDF16_Li16ELi64ELi256ELb0ELi2EEvPKT_PKT0_S7_ifPKiS9_S9_iPKfiiiPfSC_PS2_PT2_iSB_SB_.num_vgpr, max(3, .L__assert_fail.num_vgpr)
	.set _Z39paged_attention_ll4mi_QKV_mfma16_kernelIDF16_hLN4vllm18Fp8KVCacheDataTypeE1EDF16_Li16ELi64ELi256ELb0ELi2EEvPKT_PKT0_S7_ifPKiS9_S9_iPKfiiiPfSC_PS2_PT2_iSB_SB_.num_agpr, max(0, .L__assert_fail.num_agpr)
	.set _Z39paged_attention_ll4mi_QKV_mfma16_kernelIDF16_hLN4vllm18Fp8KVCacheDataTypeE1EDF16_Li16ELi64ELi256ELb0ELi2EEvPKT_PKT0_S7_ifPKiS9_S9_iPKfiiiPfSC_PS2_PT2_iSB_SB_.numbered_sgpr, max(33, .L__assert_fail.numbered_sgpr)
	.set _Z39paged_attention_ll4mi_QKV_mfma16_kernelIDF16_hLN4vllm18Fp8KVCacheDataTypeE1EDF16_Li16ELi64ELi256ELb0ELi2EEvPKT_PKT0_S7_ifPKiS9_S9_iPKfiiiPfSC_PS2_PT2_iSB_SB_.num_named_barrier, max(0, .L__assert_fail.num_named_barrier)
	.set _Z39paged_attention_ll4mi_QKV_mfma16_kernelIDF16_hLN4vllm18Fp8KVCacheDataTypeE1EDF16_Li16ELi64ELi256ELb0ELi2EEvPKT_PKT0_S7_ifPKiS9_S9_iPKfiiiPfSC_PS2_PT2_iSB_SB_.private_seg_size, 0+max(.L__assert_fail.private_seg_size)
	.set _Z39paged_attention_ll4mi_QKV_mfma16_kernelIDF16_hLN4vllm18Fp8KVCacheDataTypeE1EDF16_Li16ELi64ELi256ELb0ELi2EEvPKT_PKT0_S7_ifPKiS9_S9_iPKfiiiPfSC_PS2_PT2_iSB_SB_.uses_vcc, or(1, .L__assert_fail.uses_vcc)
	.set _Z39paged_attention_ll4mi_QKV_mfma16_kernelIDF16_hLN4vllm18Fp8KVCacheDataTypeE1EDF16_Li16ELi64ELi256ELb0ELi2EEvPKT_PKT0_S7_ifPKiS9_S9_iPKfiiiPfSC_PS2_PT2_iSB_SB_.uses_flat_scratch, or(0, .L__assert_fail.uses_flat_scratch)
	.set _Z39paged_attention_ll4mi_QKV_mfma16_kernelIDF16_hLN4vllm18Fp8KVCacheDataTypeE1EDF16_Li16ELi64ELi256ELb0ELi2EEvPKT_PKT0_S7_ifPKiS9_S9_iPKfiiiPfSC_PS2_PT2_iSB_SB_.has_dyn_sized_stack, or(0, .L__assert_fail.has_dyn_sized_stack)
	.set _Z39paged_attention_ll4mi_QKV_mfma16_kernelIDF16_hLN4vllm18Fp8KVCacheDataTypeE1EDF16_Li16ELi64ELi256ELb0ELi2EEvPKT_PKT0_S7_ifPKiS9_S9_iPKfiiiPfSC_PS2_PT2_iSB_SB_.has_recursion, or(0, .L__assert_fail.has_recursion)
	.set _Z39paged_attention_ll4mi_QKV_mfma16_kernelIDF16_hLN4vllm18Fp8KVCacheDataTypeE1EDF16_Li16ELi64ELi256ELb0ELi2EEvPKT_PKT0_S7_ifPKiS9_S9_iPKfiiiPfSC_PS2_PT2_iSB_SB_.has_indirect_call, or(0, .L__assert_fail.has_indirect_call)
	.section	.AMDGPU.csdata,"",@progbits
; Kernel info:
; codeLenInByte = 68
; TotalNumSgprs: 36
; NumVgprs: 51
; ScratchSize: 64
; MemoryBound: 0
; FloatMode: 240
; IeeeMode: 1
; LDSByteSize: 0 bytes/workgroup (compile time only)
; SGPRBlocks: 0
; VGPRBlocks: 3
; NumSGPRsForWavesPerEU: 36
; NumVGPRsForWavesPerEU: 51
; NamedBarCnt: 0
; Occupancy: 16
; WaveLimiterHint : 1
; COMPUTE_PGM_RSRC2:SCRATCH_EN: 1
; COMPUTE_PGM_RSRC2:USER_SGPR: 2
; COMPUTE_PGM_RSRC2:TRAP_HANDLER: 0
; COMPUTE_PGM_RSRC2:TGID_X_EN: 1
; COMPUTE_PGM_RSRC2:TGID_Y_EN: 0
; COMPUTE_PGM_RSRC2:TGID_Z_EN: 0
; COMPUTE_PGM_RSRC2:TIDIG_COMP_CNT: 0
	.section	.text._Z39paged_attention_ll4mi_QKV_mfma16_kernelIDF16_hLN4vllm18Fp8KVCacheDataTypeE1EDF16_Li16ELi64ELi256ELb0ELi3EEvPKT_PKT0_S7_ifPKiS9_S9_iPKfiiiPfSC_PS2_PT2_iSB_SB_,"axG",@progbits,_Z39paged_attention_ll4mi_QKV_mfma16_kernelIDF16_hLN4vllm18Fp8KVCacheDataTypeE1EDF16_Li16ELi64ELi256ELb0ELi3EEvPKT_PKT0_S7_ifPKiS9_S9_iPKfiiiPfSC_PS2_PT2_iSB_SB_,comdat
	.protected	_Z39paged_attention_ll4mi_QKV_mfma16_kernelIDF16_hLN4vllm18Fp8KVCacheDataTypeE1EDF16_Li16ELi64ELi256ELb0ELi3EEvPKT_PKT0_S7_ifPKiS9_S9_iPKfiiiPfSC_PS2_PT2_iSB_SB_ ; -- Begin function _Z39paged_attention_ll4mi_QKV_mfma16_kernelIDF16_hLN4vllm18Fp8KVCacheDataTypeE1EDF16_Li16ELi64ELi256ELb0ELi3EEvPKT_PKT0_S7_ifPKiS9_S9_iPKfiiiPfSC_PS2_PT2_iSB_SB_
	.globl	_Z39paged_attention_ll4mi_QKV_mfma16_kernelIDF16_hLN4vllm18Fp8KVCacheDataTypeE1EDF16_Li16ELi64ELi256ELb0ELi3EEvPKT_PKT0_S7_ifPKiS9_S9_iPKfiiiPfSC_PS2_PT2_iSB_SB_
	.p2align	8
	.type	_Z39paged_attention_ll4mi_QKV_mfma16_kernelIDF16_hLN4vllm18Fp8KVCacheDataTypeE1EDF16_Li16ELi64ELi256ELb0ELi3EEvPKT_PKT0_S7_ifPKiS9_S9_iPKfiiiPfSC_PS2_PT2_iSB_SB_,@function
_Z39paged_attention_ll4mi_QKV_mfma16_kernelIDF16_hLN4vllm18Fp8KVCacheDataTypeE1EDF16_Li16ELi64ELi256ELb0ELi3EEvPKT_PKT0_S7_ifPKiS9_S9_iPKfiiiPfSC_PS2_PT2_iSB_SB_: ; @_Z39paged_attention_ll4mi_QKV_mfma16_kernelIDF16_hLN4vllm18Fp8KVCacheDataTypeE1EDF16_Li16ELi64ELi256ELb0ELi3EEvPKT_PKT0_S7_ifPKiS9_S9_iPKfiiiPfSC_PS2_PT2_iSB_SB_
; %bb.0:
	s_get_pc_i64 s[2:3]
	s_add_nc_u64 s[2:3], s[2:3], __PRETTY_FUNCTION__._Z39paged_attention_ll4mi_QKV_mfma16_kernelIDF16_hLN4vllm18Fp8KVCacheDataTypeE1EDF16_Li16ELi64ELi256ELb0ELi3EEvPKT_PKT0_S7_ifPKiS9_S9_iPKfiiiPfSC_PS2_PT2_iSB_SB_@rel64+4
	s_delay_alu instid0(SALU_CYCLE_1)
	v_dual_mov_b32 v0, 0xbb3 :: v_dual_mov_b32 v1, s2
	v_mov_b32_e32 v2, s3
	s_add_nc_u64 s[8:9], s[0:1], 0x90
	s_get_pc_i64 s[0:1]
	s_add_nc_u64 s[0:1], s[0:1], __assert_fail@rel64+4
	s_mov_b32 s32, 0
	s_swap_pc_i64 s[30:31], s[0:1]
	.section	.rodata,"a",@progbits
	.p2align	6, 0x0
	.amdhsa_kernel _Z39paged_attention_ll4mi_QKV_mfma16_kernelIDF16_hLN4vllm18Fp8KVCacheDataTypeE1EDF16_Li16ELi64ELi256ELb0ELi3EEvPKT_PKT0_S7_ifPKiS9_S9_iPKfiiiPfSC_PS2_PT2_iSB_SB_
		.amdhsa_group_segment_fixed_size 0
		.amdhsa_private_segment_fixed_size 64
		.amdhsa_kernarg_size 400
		.amdhsa_user_sgpr_count 2
		.amdhsa_user_sgpr_dispatch_ptr 0
		.amdhsa_user_sgpr_queue_ptr 0
		.amdhsa_user_sgpr_kernarg_segment_ptr 1
		.amdhsa_user_sgpr_dispatch_id 0
		.amdhsa_user_sgpr_kernarg_preload_length 0
		.amdhsa_user_sgpr_kernarg_preload_offset 0
		.amdhsa_user_sgpr_private_segment_size 0
		.amdhsa_wavefront_size32 1
		.amdhsa_uses_dynamic_stack 0
		.amdhsa_enable_private_segment 1
		.amdhsa_system_sgpr_workgroup_id_x 1
		.amdhsa_system_sgpr_workgroup_id_y 0
		.amdhsa_system_sgpr_workgroup_id_z 0
		.amdhsa_system_sgpr_workgroup_info 0
		.amdhsa_system_vgpr_workitem_id 0
		.amdhsa_next_free_vgpr 51
		.amdhsa_next_free_sgpr 34
		.amdhsa_named_barrier_count 0
		.amdhsa_reserve_vcc 1
		.amdhsa_float_round_mode_32 0
		.amdhsa_float_round_mode_16_64 0
		.amdhsa_float_denorm_mode_32 3
		.amdhsa_float_denorm_mode_16_64 3
		.amdhsa_fp16_overflow 0
		.amdhsa_memory_ordered 1
		.amdhsa_forward_progress 1
		.amdhsa_inst_pref_size 1
		.amdhsa_round_robin_scheduling 0
		.amdhsa_exception_fp_ieee_invalid_op 0
		.amdhsa_exception_fp_denorm_src 0
		.amdhsa_exception_fp_ieee_div_zero 0
		.amdhsa_exception_fp_ieee_overflow 0
		.amdhsa_exception_fp_ieee_underflow 0
		.amdhsa_exception_fp_ieee_inexact 0
		.amdhsa_exception_int_div_zero 0
	.end_amdhsa_kernel
	.section	.text._Z39paged_attention_ll4mi_QKV_mfma16_kernelIDF16_hLN4vllm18Fp8KVCacheDataTypeE1EDF16_Li16ELi64ELi256ELb0ELi3EEvPKT_PKT0_S7_ifPKiS9_S9_iPKfiiiPfSC_PS2_PT2_iSB_SB_,"axG",@progbits,_Z39paged_attention_ll4mi_QKV_mfma16_kernelIDF16_hLN4vllm18Fp8KVCacheDataTypeE1EDF16_Li16ELi64ELi256ELb0ELi3EEvPKT_PKT0_S7_ifPKiS9_S9_iPKfiiiPfSC_PS2_PT2_iSB_SB_,comdat
.Lfunc_end848:
	.size	_Z39paged_attention_ll4mi_QKV_mfma16_kernelIDF16_hLN4vllm18Fp8KVCacheDataTypeE1EDF16_Li16ELi64ELi256ELb0ELi3EEvPKT_PKT0_S7_ifPKiS9_S9_iPKfiiiPfSC_PS2_PT2_iSB_SB_, .Lfunc_end848-_Z39paged_attention_ll4mi_QKV_mfma16_kernelIDF16_hLN4vllm18Fp8KVCacheDataTypeE1EDF16_Li16ELi64ELi256ELb0ELi3EEvPKT_PKT0_S7_ifPKiS9_S9_iPKfiiiPfSC_PS2_PT2_iSB_SB_
                                        ; -- End function
	.set _Z39paged_attention_ll4mi_QKV_mfma16_kernelIDF16_hLN4vllm18Fp8KVCacheDataTypeE1EDF16_Li16ELi64ELi256ELb0ELi3EEvPKT_PKT0_S7_ifPKiS9_S9_iPKfiiiPfSC_PS2_PT2_iSB_SB_.num_vgpr, max(3, .L__assert_fail.num_vgpr)
	.set _Z39paged_attention_ll4mi_QKV_mfma16_kernelIDF16_hLN4vllm18Fp8KVCacheDataTypeE1EDF16_Li16ELi64ELi256ELb0ELi3EEvPKT_PKT0_S7_ifPKiS9_S9_iPKfiiiPfSC_PS2_PT2_iSB_SB_.num_agpr, max(0, .L__assert_fail.num_agpr)
	.set _Z39paged_attention_ll4mi_QKV_mfma16_kernelIDF16_hLN4vllm18Fp8KVCacheDataTypeE1EDF16_Li16ELi64ELi256ELb0ELi3EEvPKT_PKT0_S7_ifPKiS9_S9_iPKfiiiPfSC_PS2_PT2_iSB_SB_.numbered_sgpr, max(33, .L__assert_fail.numbered_sgpr)
	.set _Z39paged_attention_ll4mi_QKV_mfma16_kernelIDF16_hLN4vllm18Fp8KVCacheDataTypeE1EDF16_Li16ELi64ELi256ELb0ELi3EEvPKT_PKT0_S7_ifPKiS9_S9_iPKfiiiPfSC_PS2_PT2_iSB_SB_.num_named_barrier, max(0, .L__assert_fail.num_named_barrier)
	.set _Z39paged_attention_ll4mi_QKV_mfma16_kernelIDF16_hLN4vllm18Fp8KVCacheDataTypeE1EDF16_Li16ELi64ELi256ELb0ELi3EEvPKT_PKT0_S7_ifPKiS9_S9_iPKfiiiPfSC_PS2_PT2_iSB_SB_.private_seg_size, 0+max(.L__assert_fail.private_seg_size)
	.set _Z39paged_attention_ll4mi_QKV_mfma16_kernelIDF16_hLN4vllm18Fp8KVCacheDataTypeE1EDF16_Li16ELi64ELi256ELb0ELi3EEvPKT_PKT0_S7_ifPKiS9_S9_iPKfiiiPfSC_PS2_PT2_iSB_SB_.uses_vcc, or(1, .L__assert_fail.uses_vcc)
	.set _Z39paged_attention_ll4mi_QKV_mfma16_kernelIDF16_hLN4vllm18Fp8KVCacheDataTypeE1EDF16_Li16ELi64ELi256ELb0ELi3EEvPKT_PKT0_S7_ifPKiS9_S9_iPKfiiiPfSC_PS2_PT2_iSB_SB_.uses_flat_scratch, or(0, .L__assert_fail.uses_flat_scratch)
	.set _Z39paged_attention_ll4mi_QKV_mfma16_kernelIDF16_hLN4vllm18Fp8KVCacheDataTypeE1EDF16_Li16ELi64ELi256ELb0ELi3EEvPKT_PKT0_S7_ifPKiS9_S9_iPKfiiiPfSC_PS2_PT2_iSB_SB_.has_dyn_sized_stack, or(0, .L__assert_fail.has_dyn_sized_stack)
	.set _Z39paged_attention_ll4mi_QKV_mfma16_kernelIDF16_hLN4vllm18Fp8KVCacheDataTypeE1EDF16_Li16ELi64ELi256ELb0ELi3EEvPKT_PKT0_S7_ifPKiS9_S9_iPKfiiiPfSC_PS2_PT2_iSB_SB_.has_recursion, or(0, .L__assert_fail.has_recursion)
	.set _Z39paged_attention_ll4mi_QKV_mfma16_kernelIDF16_hLN4vllm18Fp8KVCacheDataTypeE1EDF16_Li16ELi64ELi256ELb0ELi3EEvPKT_PKT0_S7_ifPKiS9_S9_iPKfiiiPfSC_PS2_PT2_iSB_SB_.has_indirect_call, or(0, .L__assert_fail.has_indirect_call)
	.section	.AMDGPU.csdata,"",@progbits
; Kernel info:
; codeLenInByte = 68
; TotalNumSgprs: 36
; NumVgprs: 51
; ScratchSize: 64
; MemoryBound: 0
; FloatMode: 240
; IeeeMode: 1
; LDSByteSize: 0 bytes/workgroup (compile time only)
; SGPRBlocks: 0
; VGPRBlocks: 3
; NumSGPRsForWavesPerEU: 36
; NumVGPRsForWavesPerEU: 51
; NamedBarCnt: 0
; Occupancy: 16
; WaveLimiterHint : 1
; COMPUTE_PGM_RSRC2:SCRATCH_EN: 1
; COMPUTE_PGM_RSRC2:USER_SGPR: 2
; COMPUTE_PGM_RSRC2:TRAP_HANDLER: 0
; COMPUTE_PGM_RSRC2:TGID_X_EN: 1
; COMPUTE_PGM_RSRC2:TGID_Y_EN: 0
; COMPUTE_PGM_RSRC2:TGID_Z_EN: 0
; COMPUTE_PGM_RSRC2:TIDIG_COMP_CNT: 0
	.section	.text._Z39paged_attention_ll4mi_QKV_mfma16_kernelIDF16_hLN4vllm18Fp8KVCacheDataTypeE1EDF16_Li16ELi64ELi256ELb0ELi4EEvPKT_PKT0_S7_ifPKiS9_S9_iPKfiiiPfSC_PS2_PT2_iSB_SB_,"axG",@progbits,_Z39paged_attention_ll4mi_QKV_mfma16_kernelIDF16_hLN4vllm18Fp8KVCacheDataTypeE1EDF16_Li16ELi64ELi256ELb0ELi4EEvPKT_PKT0_S7_ifPKiS9_S9_iPKfiiiPfSC_PS2_PT2_iSB_SB_,comdat
	.protected	_Z39paged_attention_ll4mi_QKV_mfma16_kernelIDF16_hLN4vllm18Fp8KVCacheDataTypeE1EDF16_Li16ELi64ELi256ELb0ELi4EEvPKT_PKT0_S7_ifPKiS9_S9_iPKfiiiPfSC_PS2_PT2_iSB_SB_ ; -- Begin function _Z39paged_attention_ll4mi_QKV_mfma16_kernelIDF16_hLN4vllm18Fp8KVCacheDataTypeE1EDF16_Li16ELi64ELi256ELb0ELi4EEvPKT_PKT0_S7_ifPKiS9_S9_iPKfiiiPfSC_PS2_PT2_iSB_SB_
	.globl	_Z39paged_attention_ll4mi_QKV_mfma16_kernelIDF16_hLN4vllm18Fp8KVCacheDataTypeE1EDF16_Li16ELi64ELi256ELb0ELi4EEvPKT_PKT0_S7_ifPKiS9_S9_iPKfiiiPfSC_PS2_PT2_iSB_SB_
	.p2align	8
	.type	_Z39paged_attention_ll4mi_QKV_mfma16_kernelIDF16_hLN4vllm18Fp8KVCacheDataTypeE1EDF16_Li16ELi64ELi256ELb0ELi4EEvPKT_PKT0_S7_ifPKiS9_S9_iPKfiiiPfSC_PS2_PT2_iSB_SB_,@function
_Z39paged_attention_ll4mi_QKV_mfma16_kernelIDF16_hLN4vllm18Fp8KVCacheDataTypeE1EDF16_Li16ELi64ELi256ELb0ELi4EEvPKT_PKT0_S7_ifPKiS9_S9_iPKfiiiPfSC_PS2_PT2_iSB_SB_: ; @_Z39paged_attention_ll4mi_QKV_mfma16_kernelIDF16_hLN4vllm18Fp8KVCacheDataTypeE1EDF16_Li16ELi64ELi256ELb0ELi4EEvPKT_PKT0_S7_ifPKiS9_S9_iPKfiiiPfSC_PS2_PT2_iSB_SB_
; %bb.0:
	s_get_pc_i64 s[2:3]
	s_add_nc_u64 s[2:3], s[2:3], __PRETTY_FUNCTION__._Z39paged_attention_ll4mi_QKV_mfma16_kernelIDF16_hLN4vllm18Fp8KVCacheDataTypeE1EDF16_Li16ELi64ELi256ELb0ELi4EEvPKT_PKT0_S7_ifPKiS9_S9_iPKfiiiPfSC_PS2_PT2_iSB_SB_@rel64+4
	s_delay_alu instid0(SALU_CYCLE_1)
	v_dual_mov_b32 v0, 0xbb3 :: v_dual_mov_b32 v1, s2
	v_mov_b32_e32 v2, s3
	s_add_nc_u64 s[8:9], s[0:1], 0x90
	s_get_pc_i64 s[0:1]
	s_add_nc_u64 s[0:1], s[0:1], __assert_fail@rel64+4
	s_mov_b32 s32, 0
	s_swap_pc_i64 s[30:31], s[0:1]
	.section	.rodata,"a",@progbits
	.p2align	6, 0x0
	.amdhsa_kernel _Z39paged_attention_ll4mi_QKV_mfma16_kernelIDF16_hLN4vllm18Fp8KVCacheDataTypeE1EDF16_Li16ELi64ELi256ELb0ELi4EEvPKT_PKT0_S7_ifPKiS9_S9_iPKfiiiPfSC_PS2_PT2_iSB_SB_
		.amdhsa_group_segment_fixed_size 0
		.amdhsa_private_segment_fixed_size 64
		.amdhsa_kernarg_size 400
		.amdhsa_user_sgpr_count 2
		.amdhsa_user_sgpr_dispatch_ptr 0
		.amdhsa_user_sgpr_queue_ptr 0
		.amdhsa_user_sgpr_kernarg_segment_ptr 1
		.amdhsa_user_sgpr_dispatch_id 0
		.amdhsa_user_sgpr_kernarg_preload_length 0
		.amdhsa_user_sgpr_kernarg_preload_offset 0
		.amdhsa_user_sgpr_private_segment_size 0
		.amdhsa_wavefront_size32 1
		.amdhsa_uses_dynamic_stack 0
		.amdhsa_enable_private_segment 1
		.amdhsa_system_sgpr_workgroup_id_x 1
		.amdhsa_system_sgpr_workgroup_id_y 0
		.amdhsa_system_sgpr_workgroup_id_z 0
		.amdhsa_system_sgpr_workgroup_info 0
		.amdhsa_system_vgpr_workitem_id 0
		.amdhsa_next_free_vgpr 51
		.amdhsa_next_free_sgpr 34
		.amdhsa_named_barrier_count 0
		.amdhsa_reserve_vcc 1
		.amdhsa_float_round_mode_32 0
		.amdhsa_float_round_mode_16_64 0
		.amdhsa_float_denorm_mode_32 3
		.amdhsa_float_denorm_mode_16_64 3
		.amdhsa_fp16_overflow 0
		.amdhsa_memory_ordered 1
		.amdhsa_forward_progress 1
		.amdhsa_inst_pref_size 1
		.amdhsa_round_robin_scheduling 0
		.amdhsa_exception_fp_ieee_invalid_op 0
		.amdhsa_exception_fp_denorm_src 0
		.amdhsa_exception_fp_ieee_div_zero 0
		.amdhsa_exception_fp_ieee_overflow 0
		.amdhsa_exception_fp_ieee_underflow 0
		.amdhsa_exception_fp_ieee_inexact 0
		.amdhsa_exception_int_div_zero 0
	.end_amdhsa_kernel
	.section	.text._Z39paged_attention_ll4mi_QKV_mfma16_kernelIDF16_hLN4vllm18Fp8KVCacheDataTypeE1EDF16_Li16ELi64ELi256ELb0ELi4EEvPKT_PKT0_S7_ifPKiS9_S9_iPKfiiiPfSC_PS2_PT2_iSB_SB_,"axG",@progbits,_Z39paged_attention_ll4mi_QKV_mfma16_kernelIDF16_hLN4vllm18Fp8KVCacheDataTypeE1EDF16_Li16ELi64ELi256ELb0ELi4EEvPKT_PKT0_S7_ifPKiS9_S9_iPKfiiiPfSC_PS2_PT2_iSB_SB_,comdat
.Lfunc_end849:
	.size	_Z39paged_attention_ll4mi_QKV_mfma16_kernelIDF16_hLN4vllm18Fp8KVCacheDataTypeE1EDF16_Li16ELi64ELi256ELb0ELi4EEvPKT_PKT0_S7_ifPKiS9_S9_iPKfiiiPfSC_PS2_PT2_iSB_SB_, .Lfunc_end849-_Z39paged_attention_ll4mi_QKV_mfma16_kernelIDF16_hLN4vllm18Fp8KVCacheDataTypeE1EDF16_Li16ELi64ELi256ELb0ELi4EEvPKT_PKT0_S7_ifPKiS9_S9_iPKfiiiPfSC_PS2_PT2_iSB_SB_
                                        ; -- End function
	.set _Z39paged_attention_ll4mi_QKV_mfma16_kernelIDF16_hLN4vllm18Fp8KVCacheDataTypeE1EDF16_Li16ELi64ELi256ELb0ELi4EEvPKT_PKT0_S7_ifPKiS9_S9_iPKfiiiPfSC_PS2_PT2_iSB_SB_.num_vgpr, max(3, .L__assert_fail.num_vgpr)
	.set _Z39paged_attention_ll4mi_QKV_mfma16_kernelIDF16_hLN4vllm18Fp8KVCacheDataTypeE1EDF16_Li16ELi64ELi256ELb0ELi4EEvPKT_PKT0_S7_ifPKiS9_S9_iPKfiiiPfSC_PS2_PT2_iSB_SB_.num_agpr, max(0, .L__assert_fail.num_agpr)
	.set _Z39paged_attention_ll4mi_QKV_mfma16_kernelIDF16_hLN4vllm18Fp8KVCacheDataTypeE1EDF16_Li16ELi64ELi256ELb0ELi4EEvPKT_PKT0_S7_ifPKiS9_S9_iPKfiiiPfSC_PS2_PT2_iSB_SB_.numbered_sgpr, max(33, .L__assert_fail.numbered_sgpr)
	.set _Z39paged_attention_ll4mi_QKV_mfma16_kernelIDF16_hLN4vllm18Fp8KVCacheDataTypeE1EDF16_Li16ELi64ELi256ELb0ELi4EEvPKT_PKT0_S7_ifPKiS9_S9_iPKfiiiPfSC_PS2_PT2_iSB_SB_.num_named_barrier, max(0, .L__assert_fail.num_named_barrier)
	.set _Z39paged_attention_ll4mi_QKV_mfma16_kernelIDF16_hLN4vllm18Fp8KVCacheDataTypeE1EDF16_Li16ELi64ELi256ELb0ELi4EEvPKT_PKT0_S7_ifPKiS9_S9_iPKfiiiPfSC_PS2_PT2_iSB_SB_.private_seg_size, 0+max(.L__assert_fail.private_seg_size)
	.set _Z39paged_attention_ll4mi_QKV_mfma16_kernelIDF16_hLN4vllm18Fp8KVCacheDataTypeE1EDF16_Li16ELi64ELi256ELb0ELi4EEvPKT_PKT0_S7_ifPKiS9_S9_iPKfiiiPfSC_PS2_PT2_iSB_SB_.uses_vcc, or(1, .L__assert_fail.uses_vcc)
	.set _Z39paged_attention_ll4mi_QKV_mfma16_kernelIDF16_hLN4vllm18Fp8KVCacheDataTypeE1EDF16_Li16ELi64ELi256ELb0ELi4EEvPKT_PKT0_S7_ifPKiS9_S9_iPKfiiiPfSC_PS2_PT2_iSB_SB_.uses_flat_scratch, or(0, .L__assert_fail.uses_flat_scratch)
	.set _Z39paged_attention_ll4mi_QKV_mfma16_kernelIDF16_hLN4vllm18Fp8KVCacheDataTypeE1EDF16_Li16ELi64ELi256ELb0ELi4EEvPKT_PKT0_S7_ifPKiS9_S9_iPKfiiiPfSC_PS2_PT2_iSB_SB_.has_dyn_sized_stack, or(0, .L__assert_fail.has_dyn_sized_stack)
	.set _Z39paged_attention_ll4mi_QKV_mfma16_kernelIDF16_hLN4vllm18Fp8KVCacheDataTypeE1EDF16_Li16ELi64ELi256ELb0ELi4EEvPKT_PKT0_S7_ifPKiS9_S9_iPKfiiiPfSC_PS2_PT2_iSB_SB_.has_recursion, or(0, .L__assert_fail.has_recursion)
	.set _Z39paged_attention_ll4mi_QKV_mfma16_kernelIDF16_hLN4vllm18Fp8KVCacheDataTypeE1EDF16_Li16ELi64ELi256ELb0ELi4EEvPKT_PKT0_S7_ifPKiS9_S9_iPKfiiiPfSC_PS2_PT2_iSB_SB_.has_indirect_call, or(0, .L__assert_fail.has_indirect_call)
	.section	.AMDGPU.csdata,"",@progbits
; Kernel info:
; codeLenInByte = 68
; TotalNumSgprs: 36
; NumVgprs: 51
; ScratchSize: 64
; MemoryBound: 0
; FloatMode: 240
; IeeeMode: 1
; LDSByteSize: 0 bytes/workgroup (compile time only)
; SGPRBlocks: 0
; VGPRBlocks: 3
; NumSGPRsForWavesPerEU: 36
; NumVGPRsForWavesPerEU: 51
; NamedBarCnt: 0
; Occupancy: 16
; WaveLimiterHint : 1
; COMPUTE_PGM_RSRC2:SCRATCH_EN: 1
; COMPUTE_PGM_RSRC2:USER_SGPR: 2
; COMPUTE_PGM_RSRC2:TRAP_HANDLER: 0
; COMPUTE_PGM_RSRC2:TGID_X_EN: 1
; COMPUTE_PGM_RSRC2:TGID_Y_EN: 0
; COMPUTE_PGM_RSRC2:TGID_Z_EN: 0
; COMPUTE_PGM_RSRC2:TIDIG_COMP_CNT: 0
	.section	.text._Z38paged_attention_ll4mi_QKV_mfma4_kernelIDF16_hLN4vllm18Fp8KVCacheDataTypeE1EhLi32ELi64ELi256ELb1ELi1EEvPKT_PKT0_S7_ifPKiS9_S9_iPKfiiiPfSC_PS2_PT2_iSB_SB_,"axG",@progbits,_Z38paged_attention_ll4mi_QKV_mfma4_kernelIDF16_hLN4vllm18Fp8KVCacheDataTypeE1EhLi32ELi64ELi256ELb1ELi1EEvPKT_PKT0_S7_ifPKiS9_S9_iPKfiiiPfSC_PS2_PT2_iSB_SB_,comdat
	.protected	_Z38paged_attention_ll4mi_QKV_mfma4_kernelIDF16_hLN4vllm18Fp8KVCacheDataTypeE1EhLi32ELi64ELi256ELb1ELi1EEvPKT_PKT0_S7_ifPKiS9_S9_iPKfiiiPfSC_PS2_PT2_iSB_SB_ ; -- Begin function _Z38paged_attention_ll4mi_QKV_mfma4_kernelIDF16_hLN4vllm18Fp8KVCacheDataTypeE1EhLi32ELi64ELi256ELb1ELi1EEvPKT_PKT0_S7_ifPKiS9_S9_iPKfiiiPfSC_PS2_PT2_iSB_SB_
	.globl	_Z38paged_attention_ll4mi_QKV_mfma4_kernelIDF16_hLN4vllm18Fp8KVCacheDataTypeE1EhLi32ELi64ELi256ELb1ELi1EEvPKT_PKT0_S7_ifPKiS9_S9_iPKfiiiPfSC_PS2_PT2_iSB_SB_
	.p2align	8
	.type	_Z38paged_attention_ll4mi_QKV_mfma4_kernelIDF16_hLN4vllm18Fp8KVCacheDataTypeE1EhLi32ELi64ELi256ELb1ELi1EEvPKT_PKT0_S7_ifPKiS9_S9_iPKfiiiPfSC_PS2_PT2_iSB_SB_,@function
_Z38paged_attention_ll4mi_QKV_mfma4_kernelIDF16_hLN4vllm18Fp8KVCacheDataTypeE1EhLi32ELi64ELi256ELb1ELi1EEvPKT_PKT0_S7_ifPKiS9_S9_iPKfiiiPfSC_PS2_PT2_iSB_SB_: ; @_Z38paged_attention_ll4mi_QKV_mfma4_kernelIDF16_hLN4vllm18Fp8KVCacheDataTypeE1EhLi32ELi64ELi256ELb1ELi1EEvPKT_PKT0_S7_ifPKiS9_S9_iPKfiiiPfSC_PS2_PT2_iSB_SB_
; %bb.0:
	s_get_pc_i64 s[2:3]
	s_add_nc_u64 s[2:3], s[2:3], __PRETTY_FUNCTION__._Z38paged_attention_ll4mi_QKV_mfma4_kernelIDF16_hLN4vllm18Fp8KVCacheDataTypeE1EhLi32ELi64ELi256ELb1ELi1EEvPKT_PKT0_S7_ifPKiS9_S9_iPKfiiiPfSC_PS2_PT2_iSB_SB_@rel64+4
	s_delay_alu instid0(SALU_CYCLE_1)
	v_dual_mov_b32 v0, 0xbce :: v_dual_mov_b32 v1, s2
	v_mov_b32_e32 v2, s3
	s_add_nc_u64 s[8:9], s[0:1], 0x90
	s_get_pc_i64 s[0:1]
	s_add_nc_u64 s[0:1], s[0:1], __assert_fail@rel64+4
	s_mov_b32 s32, 0
	s_swap_pc_i64 s[30:31], s[0:1]
	.section	.rodata,"a",@progbits
	.p2align	6, 0x0
	.amdhsa_kernel _Z38paged_attention_ll4mi_QKV_mfma4_kernelIDF16_hLN4vllm18Fp8KVCacheDataTypeE1EhLi32ELi64ELi256ELb1ELi1EEvPKT_PKT0_S7_ifPKiS9_S9_iPKfiiiPfSC_PS2_PT2_iSB_SB_
		.amdhsa_group_segment_fixed_size 0
		.amdhsa_private_segment_fixed_size 64
		.amdhsa_kernarg_size 400
		.amdhsa_user_sgpr_count 2
		.amdhsa_user_sgpr_dispatch_ptr 0
		.amdhsa_user_sgpr_queue_ptr 0
		.amdhsa_user_sgpr_kernarg_segment_ptr 1
		.amdhsa_user_sgpr_dispatch_id 0
		.amdhsa_user_sgpr_kernarg_preload_length 0
		.amdhsa_user_sgpr_kernarg_preload_offset 0
		.amdhsa_user_sgpr_private_segment_size 0
		.amdhsa_wavefront_size32 1
		.amdhsa_uses_dynamic_stack 0
		.amdhsa_enable_private_segment 1
		.amdhsa_system_sgpr_workgroup_id_x 1
		.amdhsa_system_sgpr_workgroup_id_y 0
		.amdhsa_system_sgpr_workgroup_id_z 0
		.amdhsa_system_sgpr_workgroup_info 0
		.amdhsa_system_vgpr_workitem_id 0
		.amdhsa_next_free_vgpr 51
		.amdhsa_next_free_sgpr 34
		.amdhsa_named_barrier_count 0
		.amdhsa_reserve_vcc 1
		.amdhsa_float_round_mode_32 0
		.amdhsa_float_round_mode_16_64 0
		.amdhsa_float_denorm_mode_32 3
		.amdhsa_float_denorm_mode_16_64 3
		.amdhsa_fp16_overflow 0
		.amdhsa_memory_ordered 1
		.amdhsa_forward_progress 1
		.amdhsa_inst_pref_size 1
		.amdhsa_round_robin_scheduling 0
		.amdhsa_exception_fp_ieee_invalid_op 0
		.amdhsa_exception_fp_denorm_src 0
		.amdhsa_exception_fp_ieee_div_zero 0
		.amdhsa_exception_fp_ieee_overflow 0
		.amdhsa_exception_fp_ieee_underflow 0
		.amdhsa_exception_fp_ieee_inexact 0
		.amdhsa_exception_int_div_zero 0
	.end_amdhsa_kernel
	.section	.text._Z38paged_attention_ll4mi_QKV_mfma4_kernelIDF16_hLN4vllm18Fp8KVCacheDataTypeE1EhLi32ELi64ELi256ELb1ELi1EEvPKT_PKT0_S7_ifPKiS9_S9_iPKfiiiPfSC_PS2_PT2_iSB_SB_,"axG",@progbits,_Z38paged_attention_ll4mi_QKV_mfma4_kernelIDF16_hLN4vllm18Fp8KVCacheDataTypeE1EhLi32ELi64ELi256ELb1ELi1EEvPKT_PKT0_S7_ifPKiS9_S9_iPKfiiiPfSC_PS2_PT2_iSB_SB_,comdat
.Lfunc_end850:
	.size	_Z38paged_attention_ll4mi_QKV_mfma4_kernelIDF16_hLN4vllm18Fp8KVCacheDataTypeE1EhLi32ELi64ELi256ELb1ELi1EEvPKT_PKT0_S7_ifPKiS9_S9_iPKfiiiPfSC_PS2_PT2_iSB_SB_, .Lfunc_end850-_Z38paged_attention_ll4mi_QKV_mfma4_kernelIDF16_hLN4vllm18Fp8KVCacheDataTypeE1EhLi32ELi64ELi256ELb1ELi1EEvPKT_PKT0_S7_ifPKiS9_S9_iPKfiiiPfSC_PS2_PT2_iSB_SB_
                                        ; -- End function
	.set _Z38paged_attention_ll4mi_QKV_mfma4_kernelIDF16_hLN4vllm18Fp8KVCacheDataTypeE1EhLi32ELi64ELi256ELb1ELi1EEvPKT_PKT0_S7_ifPKiS9_S9_iPKfiiiPfSC_PS2_PT2_iSB_SB_.num_vgpr, max(3, .L__assert_fail.num_vgpr)
	.set _Z38paged_attention_ll4mi_QKV_mfma4_kernelIDF16_hLN4vllm18Fp8KVCacheDataTypeE1EhLi32ELi64ELi256ELb1ELi1EEvPKT_PKT0_S7_ifPKiS9_S9_iPKfiiiPfSC_PS2_PT2_iSB_SB_.num_agpr, max(0, .L__assert_fail.num_agpr)
	.set _Z38paged_attention_ll4mi_QKV_mfma4_kernelIDF16_hLN4vllm18Fp8KVCacheDataTypeE1EhLi32ELi64ELi256ELb1ELi1EEvPKT_PKT0_S7_ifPKiS9_S9_iPKfiiiPfSC_PS2_PT2_iSB_SB_.numbered_sgpr, max(33, .L__assert_fail.numbered_sgpr)
	.set _Z38paged_attention_ll4mi_QKV_mfma4_kernelIDF16_hLN4vllm18Fp8KVCacheDataTypeE1EhLi32ELi64ELi256ELb1ELi1EEvPKT_PKT0_S7_ifPKiS9_S9_iPKfiiiPfSC_PS2_PT2_iSB_SB_.num_named_barrier, max(0, .L__assert_fail.num_named_barrier)
	.set _Z38paged_attention_ll4mi_QKV_mfma4_kernelIDF16_hLN4vllm18Fp8KVCacheDataTypeE1EhLi32ELi64ELi256ELb1ELi1EEvPKT_PKT0_S7_ifPKiS9_S9_iPKfiiiPfSC_PS2_PT2_iSB_SB_.private_seg_size, 0+max(.L__assert_fail.private_seg_size)
	.set _Z38paged_attention_ll4mi_QKV_mfma4_kernelIDF16_hLN4vllm18Fp8KVCacheDataTypeE1EhLi32ELi64ELi256ELb1ELi1EEvPKT_PKT0_S7_ifPKiS9_S9_iPKfiiiPfSC_PS2_PT2_iSB_SB_.uses_vcc, or(1, .L__assert_fail.uses_vcc)
	.set _Z38paged_attention_ll4mi_QKV_mfma4_kernelIDF16_hLN4vllm18Fp8KVCacheDataTypeE1EhLi32ELi64ELi256ELb1ELi1EEvPKT_PKT0_S7_ifPKiS9_S9_iPKfiiiPfSC_PS2_PT2_iSB_SB_.uses_flat_scratch, or(0, .L__assert_fail.uses_flat_scratch)
	.set _Z38paged_attention_ll4mi_QKV_mfma4_kernelIDF16_hLN4vllm18Fp8KVCacheDataTypeE1EhLi32ELi64ELi256ELb1ELi1EEvPKT_PKT0_S7_ifPKiS9_S9_iPKfiiiPfSC_PS2_PT2_iSB_SB_.has_dyn_sized_stack, or(0, .L__assert_fail.has_dyn_sized_stack)
	.set _Z38paged_attention_ll4mi_QKV_mfma4_kernelIDF16_hLN4vllm18Fp8KVCacheDataTypeE1EhLi32ELi64ELi256ELb1ELi1EEvPKT_PKT0_S7_ifPKiS9_S9_iPKfiiiPfSC_PS2_PT2_iSB_SB_.has_recursion, or(0, .L__assert_fail.has_recursion)
	.set _Z38paged_attention_ll4mi_QKV_mfma4_kernelIDF16_hLN4vllm18Fp8KVCacheDataTypeE1EhLi32ELi64ELi256ELb1ELi1EEvPKT_PKT0_S7_ifPKiS9_S9_iPKfiiiPfSC_PS2_PT2_iSB_SB_.has_indirect_call, or(0, .L__assert_fail.has_indirect_call)
	.section	.AMDGPU.csdata,"",@progbits
; Kernel info:
; codeLenInByte = 68
; TotalNumSgprs: 36
; NumVgprs: 51
; ScratchSize: 64
; MemoryBound: 0
; FloatMode: 240
; IeeeMode: 1
; LDSByteSize: 0 bytes/workgroup (compile time only)
; SGPRBlocks: 0
; VGPRBlocks: 3
; NumSGPRsForWavesPerEU: 36
; NumVGPRsForWavesPerEU: 51
; NamedBarCnt: 0
; Occupancy: 16
; WaveLimiterHint : 1
; COMPUTE_PGM_RSRC2:SCRATCH_EN: 1
; COMPUTE_PGM_RSRC2:USER_SGPR: 2
; COMPUTE_PGM_RSRC2:TRAP_HANDLER: 0
; COMPUTE_PGM_RSRC2:TGID_X_EN: 1
; COMPUTE_PGM_RSRC2:TGID_Y_EN: 0
; COMPUTE_PGM_RSRC2:TGID_Z_EN: 0
; COMPUTE_PGM_RSRC2:TIDIG_COMP_CNT: 0
	.section	.text._Z38paged_attention_ll4mi_QKV_mfma4_kernelIDF16_hLN4vllm18Fp8KVCacheDataTypeE1EhLi32ELi64ELi256ELb1ELi2EEvPKT_PKT0_S7_ifPKiS9_S9_iPKfiiiPfSC_PS2_PT2_iSB_SB_,"axG",@progbits,_Z38paged_attention_ll4mi_QKV_mfma4_kernelIDF16_hLN4vllm18Fp8KVCacheDataTypeE1EhLi32ELi64ELi256ELb1ELi2EEvPKT_PKT0_S7_ifPKiS9_S9_iPKfiiiPfSC_PS2_PT2_iSB_SB_,comdat
	.protected	_Z38paged_attention_ll4mi_QKV_mfma4_kernelIDF16_hLN4vllm18Fp8KVCacheDataTypeE1EhLi32ELi64ELi256ELb1ELi2EEvPKT_PKT0_S7_ifPKiS9_S9_iPKfiiiPfSC_PS2_PT2_iSB_SB_ ; -- Begin function _Z38paged_attention_ll4mi_QKV_mfma4_kernelIDF16_hLN4vllm18Fp8KVCacheDataTypeE1EhLi32ELi64ELi256ELb1ELi2EEvPKT_PKT0_S7_ifPKiS9_S9_iPKfiiiPfSC_PS2_PT2_iSB_SB_
	.globl	_Z38paged_attention_ll4mi_QKV_mfma4_kernelIDF16_hLN4vllm18Fp8KVCacheDataTypeE1EhLi32ELi64ELi256ELb1ELi2EEvPKT_PKT0_S7_ifPKiS9_S9_iPKfiiiPfSC_PS2_PT2_iSB_SB_
	.p2align	8
	.type	_Z38paged_attention_ll4mi_QKV_mfma4_kernelIDF16_hLN4vllm18Fp8KVCacheDataTypeE1EhLi32ELi64ELi256ELb1ELi2EEvPKT_PKT0_S7_ifPKiS9_S9_iPKfiiiPfSC_PS2_PT2_iSB_SB_,@function
_Z38paged_attention_ll4mi_QKV_mfma4_kernelIDF16_hLN4vllm18Fp8KVCacheDataTypeE1EhLi32ELi64ELi256ELb1ELi2EEvPKT_PKT0_S7_ifPKiS9_S9_iPKfiiiPfSC_PS2_PT2_iSB_SB_: ; @_Z38paged_attention_ll4mi_QKV_mfma4_kernelIDF16_hLN4vllm18Fp8KVCacheDataTypeE1EhLi32ELi64ELi256ELb1ELi2EEvPKT_PKT0_S7_ifPKiS9_S9_iPKfiiiPfSC_PS2_PT2_iSB_SB_
; %bb.0:
	s_get_pc_i64 s[2:3]
	s_add_nc_u64 s[2:3], s[2:3], __PRETTY_FUNCTION__._Z38paged_attention_ll4mi_QKV_mfma4_kernelIDF16_hLN4vllm18Fp8KVCacheDataTypeE1EhLi32ELi64ELi256ELb1ELi2EEvPKT_PKT0_S7_ifPKiS9_S9_iPKfiiiPfSC_PS2_PT2_iSB_SB_@rel64+4
	s_delay_alu instid0(SALU_CYCLE_1)
	v_dual_mov_b32 v0, 0xbce :: v_dual_mov_b32 v1, s2
	v_mov_b32_e32 v2, s3
	s_add_nc_u64 s[8:9], s[0:1], 0x90
	s_get_pc_i64 s[0:1]
	s_add_nc_u64 s[0:1], s[0:1], __assert_fail@rel64+4
	s_mov_b32 s32, 0
	s_swap_pc_i64 s[30:31], s[0:1]
	.section	.rodata,"a",@progbits
	.p2align	6, 0x0
	.amdhsa_kernel _Z38paged_attention_ll4mi_QKV_mfma4_kernelIDF16_hLN4vllm18Fp8KVCacheDataTypeE1EhLi32ELi64ELi256ELb1ELi2EEvPKT_PKT0_S7_ifPKiS9_S9_iPKfiiiPfSC_PS2_PT2_iSB_SB_
		.amdhsa_group_segment_fixed_size 0
		.amdhsa_private_segment_fixed_size 64
		.amdhsa_kernarg_size 400
		.amdhsa_user_sgpr_count 2
		.amdhsa_user_sgpr_dispatch_ptr 0
		.amdhsa_user_sgpr_queue_ptr 0
		.amdhsa_user_sgpr_kernarg_segment_ptr 1
		.amdhsa_user_sgpr_dispatch_id 0
		.amdhsa_user_sgpr_kernarg_preload_length 0
		.amdhsa_user_sgpr_kernarg_preload_offset 0
		.amdhsa_user_sgpr_private_segment_size 0
		.amdhsa_wavefront_size32 1
		.amdhsa_uses_dynamic_stack 0
		.amdhsa_enable_private_segment 1
		.amdhsa_system_sgpr_workgroup_id_x 1
		.amdhsa_system_sgpr_workgroup_id_y 0
		.amdhsa_system_sgpr_workgroup_id_z 0
		.amdhsa_system_sgpr_workgroup_info 0
		.amdhsa_system_vgpr_workitem_id 0
		.amdhsa_next_free_vgpr 51
		.amdhsa_next_free_sgpr 34
		.amdhsa_named_barrier_count 0
		.amdhsa_reserve_vcc 1
		.amdhsa_float_round_mode_32 0
		.amdhsa_float_round_mode_16_64 0
		.amdhsa_float_denorm_mode_32 3
		.amdhsa_float_denorm_mode_16_64 3
		.amdhsa_fp16_overflow 0
		.amdhsa_memory_ordered 1
		.amdhsa_forward_progress 1
		.amdhsa_inst_pref_size 1
		.amdhsa_round_robin_scheduling 0
		.amdhsa_exception_fp_ieee_invalid_op 0
		.amdhsa_exception_fp_denorm_src 0
		.amdhsa_exception_fp_ieee_div_zero 0
		.amdhsa_exception_fp_ieee_overflow 0
		.amdhsa_exception_fp_ieee_underflow 0
		.amdhsa_exception_fp_ieee_inexact 0
		.amdhsa_exception_int_div_zero 0
	.end_amdhsa_kernel
	.section	.text._Z38paged_attention_ll4mi_QKV_mfma4_kernelIDF16_hLN4vllm18Fp8KVCacheDataTypeE1EhLi32ELi64ELi256ELb1ELi2EEvPKT_PKT0_S7_ifPKiS9_S9_iPKfiiiPfSC_PS2_PT2_iSB_SB_,"axG",@progbits,_Z38paged_attention_ll4mi_QKV_mfma4_kernelIDF16_hLN4vllm18Fp8KVCacheDataTypeE1EhLi32ELi64ELi256ELb1ELi2EEvPKT_PKT0_S7_ifPKiS9_S9_iPKfiiiPfSC_PS2_PT2_iSB_SB_,comdat
.Lfunc_end851:
	.size	_Z38paged_attention_ll4mi_QKV_mfma4_kernelIDF16_hLN4vllm18Fp8KVCacheDataTypeE1EhLi32ELi64ELi256ELb1ELi2EEvPKT_PKT0_S7_ifPKiS9_S9_iPKfiiiPfSC_PS2_PT2_iSB_SB_, .Lfunc_end851-_Z38paged_attention_ll4mi_QKV_mfma4_kernelIDF16_hLN4vllm18Fp8KVCacheDataTypeE1EhLi32ELi64ELi256ELb1ELi2EEvPKT_PKT0_S7_ifPKiS9_S9_iPKfiiiPfSC_PS2_PT2_iSB_SB_
                                        ; -- End function
	.set _Z38paged_attention_ll4mi_QKV_mfma4_kernelIDF16_hLN4vllm18Fp8KVCacheDataTypeE1EhLi32ELi64ELi256ELb1ELi2EEvPKT_PKT0_S7_ifPKiS9_S9_iPKfiiiPfSC_PS2_PT2_iSB_SB_.num_vgpr, max(3, .L__assert_fail.num_vgpr)
	.set _Z38paged_attention_ll4mi_QKV_mfma4_kernelIDF16_hLN4vllm18Fp8KVCacheDataTypeE1EhLi32ELi64ELi256ELb1ELi2EEvPKT_PKT0_S7_ifPKiS9_S9_iPKfiiiPfSC_PS2_PT2_iSB_SB_.num_agpr, max(0, .L__assert_fail.num_agpr)
	.set _Z38paged_attention_ll4mi_QKV_mfma4_kernelIDF16_hLN4vllm18Fp8KVCacheDataTypeE1EhLi32ELi64ELi256ELb1ELi2EEvPKT_PKT0_S7_ifPKiS9_S9_iPKfiiiPfSC_PS2_PT2_iSB_SB_.numbered_sgpr, max(33, .L__assert_fail.numbered_sgpr)
	.set _Z38paged_attention_ll4mi_QKV_mfma4_kernelIDF16_hLN4vllm18Fp8KVCacheDataTypeE1EhLi32ELi64ELi256ELb1ELi2EEvPKT_PKT0_S7_ifPKiS9_S9_iPKfiiiPfSC_PS2_PT2_iSB_SB_.num_named_barrier, max(0, .L__assert_fail.num_named_barrier)
	.set _Z38paged_attention_ll4mi_QKV_mfma4_kernelIDF16_hLN4vllm18Fp8KVCacheDataTypeE1EhLi32ELi64ELi256ELb1ELi2EEvPKT_PKT0_S7_ifPKiS9_S9_iPKfiiiPfSC_PS2_PT2_iSB_SB_.private_seg_size, 0+max(.L__assert_fail.private_seg_size)
	.set _Z38paged_attention_ll4mi_QKV_mfma4_kernelIDF16_hLN4vllm18Fp8KVCacheDataTypeE1EhLi32ELi64ELi256ELb1ELi2EEvPKT_PKT0_S7_ifPKiS9_S9_iPKfiiiPfSC_PS2_PT2_iSB_SB_.uses_vcc, or(1, .L__assert_fail.uses_vcc)
	.set _Z38paged_attention_ll4mi_QKV_mfma4_kernelIDF16_hLN4vllm18Fp8KVCacheDataTypeE1EhLi32ELi64ELi256ELb1ELi2EEvPKT_PKT0_S7_ifPKiS9_S9_iPKfiiiPfSC_PS2_PT2_iSB_SB_.uses_flat_scratch, or(0, .L__assert_fail.uses_flat_scratch)
	.set _Z38paged_attention_ll4mi_QKV_mfma4_kernelIDF16_hLN4vllm18Fp8KVCacheDataTypeE1EhLi32ELi64ELi256ELb1ELi2EEvPKT_PKT0_S7_ifPKiS9_S9_iPKfiiiPfSC_PS2_PT2_iSB_SB_.has_dyn_sized_stack, or(0, .L__assert_fail.has_dyn_sized_stack)
	.set _Z38paged_attention_ll4mi_QKV_mfma4_kernelIDF16_hLN4vllm18Fp8KVCacheDataTypeE1EhLi32ELi64ELi256ELb1ELi2EEvPKT_PKT0_S7_ifPKiS9_S9_iPKfiiiPfSC_PS2_PT2_iSB_SB_.has_recursion, or(0, .L__assert_fail.has_recursion)
	.set _Z38paged_attention_ll4mi_QKV_mfma4_kernelIDF16_hLN4vllm18Fp8KVCacheDataTypeE1EhLi32ELi64ELi256ELb1ELi2EEvPKT_PKT0_S7_ifPKiS9_S9_iPKfiiiPfSC_PS2_PT2_iSB_SB_.has_indirect_call, or(0, .L__assert_fail.has_indirect_call)
	.section	.AMDGPU.csdata,"",@progbits
; Kernel info:
; codeLenInByte = 68
; TotalNumSgprs: 36
; NumVgprs: 51
; ScratchSize: 64
; MemoryBound: 0
; FloatMode: 240
; IeeeMode: 1
; LDSByteSize: 0 bytes/workgroup (compile time only)
; SGPRBlocks: 0
; VGPRBlocks: 3
; NumSGPRsForWavesPerEU: 36
; NumVGPRsForWavesPerEU: 51
; NamedBarCnt: 0
; Occupancy: 16
; WaveLimiterHint : 1
; COMPUTE_PGM_RSRC2:SCRATCH_EN: 1
; COMPUTE_PGM_RSRC2:USER_SGPR: 2
; COMPUTE_PGM_RSRC2:TRAP_HANDLER: 0
; COMPUTE_PGM_RSRC2:TGID_X_EN: 1
; COMPUTE_PGM_RSRC2:TGID_Y_EN: 0
; COMPUTE_PGM_RSRC2:TGID_Z_EN: 0
; COMPUTE_PGM_RSRC2:TIDIG_COMP_CNT: 0
	.section	.text._Z38paged_attention_ll4mi_QKV_mfma4_kernelIDF16_hLN4vllm18Fp8KVCacheDataTypeE1EhLi32ELi64ELi256ELb1ELi3EEvPKT_PKT0_S7_ifPKiS9_S9_iPKfiiiPfSC_PS2_PT2_iSB_SB_,"axG",@progbits,_Z38paged_attention_ll4mi_QKV_mfma4_kernelIDF16_hLN4vllm18Fp8KVCacheDataTypeE1EhLi32ELi64ELi256ELb1ELi3EEvPKT_PKT0_S7_ifPKiS9_S9_iPKfiiiPfSC_PS2_PT2_iSB_SB_,comdat
	.protected	_Z38paged_attention_ll4mi_QKV_mfma4_kernelIDF16_hLN4vllm18Fp8KVCacheDataTypeE1EhLi32ELi64ELi256ELb1ELi3EEvPKT_PKT0_S7_ifPKiS9_S9_iPKfiiiPfSC_PS2_PT2_iSB_SB_ ; -- Begin function _Z38paged_attention_ll4mi_QKV_mfma4_kernelIDF16_hLN4vllm18Fp8KVCacheDataTypeE1EhLi32ELi64ELi256ELb1ELi3EEvPKT_PKT0_S7_ifPKiS9_S9_iPKfiiiPfSC_PS2_PT2_iSB_SB_
	.globl	_Z38paged_attention_ll4mi_QKV_mfma4_kernelIDF16_hLN4vllm18Fp8KVCacheDataTypeE1EhLi32ELi64ELi256ELb1ELi3EEvPKT_PKT0_S7_ifPKiS9_S9_iPKfiiiPfSC_PS2_PT2_iSB_SB_
	.p2align	8
	.type	_Z38paged_attention_ll4mi_QKV_mfma4_kernelIDF16_hLN4vllm18Fp8KVCacheDataTypeE1EhLi32ELi64ELi256ELb1ELi3EEvPKT_PKT0_S7_ifPKiS9_S9_iPKfiiiPfSC_PS2_PT2_iSB_SB_,@function
_Z38paged_attention_ll4mi_QKV_mfma4_kernelIDF16_hLN4vllm18Fp8KVCacheDataTypeE1EhLi32ELi64ELi256ELb1ELi3EEvPKT_PKT0_S7_ifPKiS9_S9_iPKfiiiPfSC_PS2_PT2_iSB_SB_: ; @_Z38paged_attention_ll4mi_QKV_mfma4_kernelIDF16_hLN4vllm18Fp8KVCacheDataTypeE1EhLi32ELi64ELi256ELb1ELi3EEvPKT_PKT0_S7_ifPKiS9_S9_iPKfiiiPfSC_PS2_PT2_iSB_SB_
; %bb.0:
	s_get_pc_i64 s[2:3]
	s_add_nc_u64 s[2:3], s[2:3], __PRETTY_FUNCTION__._Z38paged_attention_ll4mi_QKV_mfma4_kernelIDF16_hLN4vllm18Fp8KVCacheDataTypeE1EhLi32ELi64ELi256ELb1ELi3EEvPKT_PKT0_S7_ifPKiS9_S9_iPKfiiiPfSC_PS2_PT2_iSB_SB_@rel64+4
	s_delay_alu instid0(SALU_CYCLE_1)
	v_dual_mov_b32 v0, 0xbce :: v_dual_mov_b32 v1, s2
	v_mov_b32_e32 v2, s3
	s_add_nc_u64 s[8:9], s[0:1], 0x90
	s_get_pc_i64 s[0:1]
	s_add_nc_u64 s[0:1], s[0:1], __assert_fail@rel64+4
	s_mov_b32 s32, 0
	s_swap_pc_i64 s[30:31], s[0:1]
	.section	.rodata,"a",@progbits
	.p2align	6, 0x0
	.amdhsa_kernel _Z38paged_attention_ll4mi_QKV_mfma4_kernelIDF16_hLN4vllm18Fp8KVCacheDataTypeE1EhLi32ELi64ELi256ELb1ELi3EEvPKT_PKT0_S7_ifPKiS9_S9_iPKfiiiPfSC_PS2_PT2_iSB_SB_
		.amdhsa_group_segment_fixed_size 0
		.amdhsa_private_segment_fixed_size 64
		.amdhsa_kernarg_size 400
		.amdhsa_user_sgpr_count 2
		.amdhsa_user_sgpr_dispatch_ptr 0
		.amdhsa_user_sgpr_queue_ptr 0
		.amdhsa_user_sgpr_kernarg_segment_ptr 1
		.amdhsa_user_sgpr_dispatch_id 0
		.amdhsa_user_sgpr_kernarg_preload_length 0
		.amdhsa_user_sgpr_kernarg_preload_offset 0
		.amdhsa_user_sgpr_private_segment_size 0
		.amdhsa_wavefront_size32 1
		.amdhsa_uses_dynamic_stack 0
		.amdhsa_enable_private_segment 1
		.amdhsa_system_sgpr_workgroup_id_x 1
		.amdhsa_system_sgpr_workgroup_id_y 0
		.amdhsa_system_sgpr_workgroup_id_z 0
		.amdhsa_system_sgpr_workgroup_info 0
		.amdhsa_system_vgpr_workitem_id 0
		.amdhsa_next_free_vgpr 51
		.amdhsa_next_free_sgpr 34
		.amdhsa_named_barrier_count 0
		.amdhsa_reserve_vcc 1
		.amdhsa_float_round_mode_32 0
		.amdhsa_float_round_mode_16_64 0
		.amdhsa_float_denorm_mode_32 3
		.amdhsa_float_denorm_mode_16_64 3
		.amdhsa_fp16_overflow 0
		.amdhsa_memory_ordered 1
		.amdhsa_forward_progress 1
		.amdhsa_inst_pref_size 1
		.amdhsa_round_robin_scheduling 0
		.amdhsa_exception_fp_ieee_invalid_op 0
		.amdhsa_exception_fp_denorm_src 0
		.amdhsa_exception_fp_ieee_div_zero 0
		.amdhsa_exception_fp_ieee_overflow 0
		.amdhsa_exception_fp_ieee_underflow 0
		.amdhsa_exception_fp_ieee_inexact 0
		.amdhsa_exception_int_div_zero 0
	.end_amdhsa_kernel
	.section	.text._Z38paged_attention_ll4mi_QKV_mfma4_kernelIDF16_hLN4vllm18Fp8KVCacheDataTypeE1EhLi32ELi64ELi256ELb1ELi3EEvPKT_PKT0_S7_ifPKiS9_S9_iPKfiiiPfSC_PS2_PT2_iSB_SB_,"axG",@progbits,_Z38paged_attention_ll4mi_QKV_mfma4_kernelIDF16_hLN4vllm18Fp8KVCacheDataTypeE1EhLi32ELi64ELi256ELb1ELi3EEvPKT_PKT0_S7_ifPKiS9_S9_iPKfiiiPfSC_PS2_PT2_iSB_SB_,comdat
.Lfunc_end852:
	.size	_Z38paged_attention_ll4mi_QKV_mfma4_kernelIDF16_hLN4vllm18Fp8KVCacheDataTypeE1EhLi32ELi64ELi256ELb1ELi3EEvPKT_PKT0_S7_ifPKiS9_S9_iPKfiiiPfSC_PS2_PT2_iSB_SB_, .Lfunc_end852-_Z38paged_attention_ll4mi_QKV_mfma4_kernelIDF16_hLN4vllm18Fp8KVCacheDataTypeE1EhLi32ELi64ELi256ELb1ELi3EEvPKT_PKT0_S7_ifPKiS9_S9_iPKfiiiPfSC_PS2_PT2_iSB_SB_
                                        ; -- End function
	.set _Z38paged_attention_ll4mi_QKV_mfma4_kernelIDF16_hLN4vllm18Fp8KVCacheDataTypeE1EhLi32ELi64ELi256ELb1ELi3EEvPKT_PKT0_S7_ifPKiS9_S9_iPKfiiiPfSC_PS2_PT2_iSB_SB_.num_vgpr, max(3, .L__assert_fail.num_vgpr)
	.set _Z38paged_attention_ll4mi_QKV_mfma4_kernelIDF16_hLN4vllm18Fp8KVCacheDataTypeE1EhLi32ELi64ELi256ELb1ELi3EEvPKT_PKT0_S7_ifPKiS9_S9_iPKfiiiPfSC_PS2_PT2_iSB_SB_.num_agpr, max(0, .L__assert_fail.num_agpr)
	.set _Z38paged_attention_ll4mi_QKV_mfma4_kernelIDF16_hLN4vllm18Fp8KVCacheDataTypeE1EhLi32ELi64ELi256ELb1ELi3EEvPKT_PKT0_S7_ifPKiS9_S9_iPKfiiiPfSC_PS2_PT2_iSB_SB_.numbered_sgpr, max(33, .L__assert_fail.numbered_sgpr)
	.set _Z38paged_attention_ll4mi_QKV_mfma4_kernelIDF16_hLN4vllm18Fp8KVCacheDataTypeE1EhLi32ELi64ELi256ELb1ELi3EEvPKT_PKT0_S7_ifPKiS9_S9_iPKfiiiPfSC_PS2_PT2_iSB_SB_.num_named_barrier, max(0, .L__assert_fail.num_named_barrier)
	.set _Z38paged_attention_ll4mi_QKV_mfma4_kernelIDF16_hLN4vllm18Fp8KVCacheDataTypeE1EhLi32ELi64ELi256ELb1ELi3EEvPKT_PKT0_S7_ifPKiS9_S9_iPKfiiiPfSC_PS2_PT2_iSB_SB_.private_seg_size, 0+max(.L__assert_fail.private_seg_size)
	.set _Z38paged_attention_ll4mi_QKV_mfma4_kernelIDF16_hLN4vllm18Fp8KVCacheDataTypeE1EhLi32ELi64ELi256ELb1ELi3EEvPKT_PKT0_S7_ifPKiS9_S9_iPKfiiiPfSC_PS2_PT2_iSB_SB_.uses_vcc, or(1, .L__assert_fail.uses_vcc)
	.set _Z38paged_attention_ll4mi_QKV_mfma4_kernelIDF16_hLN4vllm18Fp8KVCacheDataTypeE1EhLi32ELi64ELi256ELb1ELi3EEvPKT_PKT0_S7_ifPKiS9_S9_iPKfiiiPfSC_PS2_PT2_iSB_SB_.uses_flat_scratch, or(0, .L__assert_fail.uses_flat_scratch)
	.set _Z38paged_attention_ll4mi_QKV_mfma4_kernelIDF16_hLN4vllm18Fp8KVCacheDataTypeE1EhLi32ELi64ELi256ELb1ELi3EEvPKT_PKT0_S7_ifPKiS9_S9_iPKfiiiPfSC_PS2_PT2_iSB_SB_.has_dyn_sized_stack, or(0, .L__assert_fail.has_dyn_sized_stack)
	.set _Z38paged_attention_ll4mi_QKV_mfma4_kernelIDF16_hLN4vllm18Fp8KVCacheDataTypeE1EhLi32ELi64ELi256ELb1ELi3EEvPKT_PKT0_S7_ifPKiS9_S9_iPKfiiiPfSC_PS2_PT2_iSB_SB_.has_recursion, or(0, .L__assert_fail.has_recursion)
	.set _Z38paged_attention_ll4mi_QKV_mfma4_kernelIDF16_hLN4vllm18Fp8KVCacheDataTypeE1EhLi32ELi64ELi256ELb1ELi3EEvPKT_PKT0_S7_ifPKiS9_S9_iPKfiiiPfSC_PS2_PT2_iSB_SB_.has_indirect_call, or(0, .L__assert_fail.has_indirect_call)
	.section	.AMDGPU.csdata,"",@progbits
; Kernel info:
; codeLenInByte = 68
; TotalNumSgprs: 36
; NumVgprs: 51
; ScratchSize: 64
; MemoryBound: 0
; FloatMode: 240
; IeeeMode: 1
; LDSByteSize: 0 bytes/workgroup (compile time only)
; SGPRBlocks: 0
; VGPRBlocks: 3
; NumSGPRsForWavesPerEU: 36
; NumVGPRsForWavesPerEU: 51
; NamedBarCnt: 0
; Occupancy: 16
; WaveLimiterHint : 1
; COMPUTE_PGM_RSRC2:SCRATCH_EN: 1
; COMPUTE_PGM_RSRC2:USER_SGPR: 2
; COMPUTE_PGM_RSRC2:TRAP_HANDLER: 0
; COMPUTE_PGM_RSRC2:TGID_X_EN: 1
; COMPUTE_PGM_RSRC2:TGID_Y_EN: 0
; COMPUTE_PGM_RSRC2:TGID_Z_EN: 0
; COMPUTE_PGM_RSRC2:TIDIG_COMP_CNT: 0
	.section	.text._Z38paged_attention_ll4mi_QKV_mfma4_kernelIDF16_hLN4vllm18Fp8KVCacheDataTypeE1EhLi32ELi64ELi256ELb1ELi4EEvPKT_PKT0_S7_ifPKiS9_S9_iPKfiiiPfSC_PS2_PT2_iSB_SB_,"axG",@progbits,_Z38paged_attention_ll4mi_QKV_mfma4_kernelIDF16_hLN4vllm18Fp8KVCacheDataTypeE1EhLi32ELi64ELi256ELb1ELi4EEvPKT_PKT0_S7_ifPKiS9_S9_iPKfiiiPfSC_PS2_PT2_iSB_SB_,comdat
	.protected	_Z38paged_attention_ll4mi_QKV_mfma4_kernelIDF16_hLN4vllm18Fp8KVCacheDataTypeE1EhLi32ELi64ELi256ELb1ELi4EEvPKT_PKT0_S7_ifPKiS9_S9_iPKfiiiPfSC_PS2_PT2_iSB_SB_ ; -- Begin function _Z38paged_attention_ll4mi_QKV_mfma4_kernelIDF16_hLN4vllm18Fp8KVCacheDataTypeE1EhLi32ELi64ELi256ELb1ELi4EEvPKT_PKT0_S7_ifPKiS9_S9_iPKfiiiPfSC_PS2_PT2_iSB_SB_
	.globl	_Z38paged_attention_ll4mi_QKV_mfma4_kernelIDF16_hLN4vllm18Fp8KVCacheDataTypeE1EhLi32ELi64ELi256ELb1ELi4EEvPKT_PKT0_S7_ifPKiS9_S9_iPKfiiiPfSC_PS2_PT2_iSB_SB_
	.p2align	8
	.type	_Z38paged_attention_ll4mi_QKV_mfma4_kernelIDF16_hLN4vllm18Fp8KVCacheDataTypeE1EhLi32ELi64ELi256ELb1ELi4EEvPKT_PKT0_S7_ifPKiS9_S9_iPKfiiiPfSC_PS2_PT2_iSB_SB_,@function
_Z38paged_attention_ll4mi_QKV_mfma4_kernelIDF16_hLN4vllm18Fp8KVCacheDataTypeE1EhLi32ELi64ELi256ELb1ELi4EEvPKT_PKT0_S7_ifPKiS9_S9_iPKfiiiPfSC_PS2_PT2_iSB_SB_: ; @_Z38paged_attention_ll4mi_QKV_mfma4_kernelIDF16_hLN4vllm18Fp8KVCacheDataTypeE1EhLi32ELi64ELi256ELb1ELi4EEvPKT_PKT0_S7_ifPKiS9_S9_iPKfiiiPfSC_PS2_PT2_iSB_SB_
; %bb.0:
	s_get_pc_i64 s[2:3]
	s_add_nc_u64 s[2:3], s[2:3], __PRETTY_FUNCTION__._Z38paged_attention_ll4mi_QKV_mfma4_kernelIDF16_hLN4vllm18Fp8KVCacheDataTypeE1EhLi32ELi64ELi256ELb1ELi4EEvPKT_PKT0_S7_ifPKiS9_S9_iPKfiiiPfSC_PS2_PT2_iSB_SB_@rel64+4
	s_delay_alu instid0(SALU_CYCLE_1)
	v_dual_mov_b32 v0, 0xbce :: v_dual_mov_b32 v1, s2
	v_mov_b32_e32 v2, s3
	s_add_nc_u64 s[8:9], s[0:1], 0x90
	s_get_pc_i64 s[0:1]
	s_add_nc_u64 s[0:1], s[0:1], __assert_fail@rel64+4
	s_mov_b32 s32, 0
	s_swap_pc_i64 s[30:31], s[0:1]
	.section	.rodata,"a",@progbits
	.p2align	6, 0x0
	.amdhsa_kernel _Z38paged_attention_ll4mi_QKV_mfma4_kernelIDF16_hLN4vllm18Fp8KVCacheDataTypeE1EhLi32ELi64ELi256ELb1ELi4EEvPKT_PKT0_S7_ifPKiS9_S9_iPKfiiiPfSC_PS2_PT2_iSB_SB_
		.amdhsa_group_segment_fixed_size 0
		.amdhsa_private_segment_fixed_size 64
		.amdhsa_kernarg_size 400
		.amdhsa_user_sgpr_count 2
		.amdhsa_user_sgpr_dispatch_ptr 0
		.amdhsa_user_sgpr_queue_ptr 0
		.amdhsa_user_sgpr_kernarg_segment_ptr 1
		.amdhsa_user_sgpr_dispatch_id 0
		.amdhsa_user_sgpr_kernarg_preload_length 0
		.amdhsa_user_sgpr_kernarg_preload_offset 0
		.amdhsa_user_sgpr_private_segment_size 0
		.amdhsa_wavefront_size32 1
		.amdhsa_uses_dynamic_stack 0
		.amdhsa_enable_private_segment 1
		.amdhsa_system_sgpr_workgroup_id_x 1
		.amdhsa_system_sgpr_workgroup_id_y 0
		.amdhsa_system_sgpr_workgroup_id_z 0
		.amdhsa_system_sgpr_workgroup_info 0
		.amdhsa_system_vgpr_workitem_id 0
		.amdhsa_next_free_vgpr 51
		.amdhsa_next_free_sgpr 34
		.amdhsa_named_barrier_count 0
		.amdhsa_reserve_vcc 1
		.amdhsa_float_round_mode_32 0
		.amdhsa_float_round_mode_16_64 0
		.amdhsa_float_denorm_mode_32 3
		.amdhsa_float_denorm_mode_16_64 3
		.amdhsa_fp16_overflow 0
		.amdhsa_memory_ordered 1
		.amdhsa_forward_progress 1
		.amdhsa_inst_pref_size 1
		.amdhsa_round_robin_scheduling 0
		.amdhsa_exception_fp_ieee_invalid_op 0
		.amdhsa_exception_fp_denorm_src 0
		.amdhsa_exception_fp_ieee_div_zero 0
		.amdhsa_exception_fp_ieee_overflow 0
		.amdhsa_exception_fp_ieee_underflow 0
		.amdhsa_exception_fp_ieee_inexact 0
		.amdhsa_exception_int_div_zero 0
	.end_amdhsa_kernel
	.section	.text._Z38paged_attention_ll4mi_QKV_mfma4_kernelIDF16_hLN4vllm18Fp8KVCacheDataTypeE1EhLi32ELi64ELi256ELb1ELi4EEvPKT_PKT0_S7_ifPKiS9_S9_iPKfiiiPfSC_PS2_PT2_iSB_SB_,"axG",@progbits,_Z38paged_attention_ll4mi_QKV_mfma4_kernelIDF16_hLN4vllm18Fp8KVCacheDataTypeE1EhLi32ELi64ELi256ELb1ELi4EEvPKT_PKT0_S7_ifPKiS9_S9_iPKfiiiPfSC_PS2_PT2_iSB_SB_,comdat
.Lfunc_end853:
	.size	_Z38paged_attention_ll4mi_QKV_mfma4_kernelIDF16_hLN4vllm18Fp8KVCacheDataTypeE1EhLi32ELi64ELi256ELb1ELi4EEvPKT_PKT0_S7_ifPKiS9_S9_iPKfiiiPfSC_PS2_PT2_iSB_SB_, .Lfunc_end853-_Z38paged_attention_ll4mi_QKV_mfma4_kernelIDF16_hLN4vllm18Fp8KVCacheDataTypeE1EhLi32ELi64ELi256ELb1ELi4EEvPKT_PKT0_S7_ifPKiS9_S9_iPKfiiiPfSC_PS2_PT2_iSB_SB_
                                        ; -- End function
	.set _Z38paged_attention_ll4mi_QKV_mfma4_kernelIDF16_hLN4vllm18Fp8KVCacheDataTypeE1EhLi32ELi64ELi256ELb1ELi4EEvPKT_PKT0_S7_ifPKiS9_S9_iPKfiiiPfSC_PS2_PT2_iSB_SB_.num_vgpr, max(3, .L__assert_fail.num_vgpr)
	.set _Z38paged_attention_ll4mi_QKV_mfma4_kernelIDF16_hLN4vllm18Fp8KVCacheDataTypeE1EhLi32ELi64ELi256ELb1ELi4EEvPKT_PKT0_S7_ifPKiS9_S9_iPKfiiiPfSC_PS2_PT2_iSB_SB_.num_agpr, max(0, .L__assert_fail.num_agpr)
	.set _Z38paged_attention_ll4mi_QKV_mfma4_kernelIDF16_hLN4vllm18Fp8KVCacheDataTypeE1EhLi32ELi64ELi256ELb1ELi4EEvPKT_PKT0_S7_ifPKiS9_S9_iPKfiiiPfSC_PS2_PT2_iSB_SB_.numbered_sgpr, max(33, .L__assert_fail.numbered_sgpr)
	.set _Z38paged_attention_ll4mi_QKV_mfma4_kernelIDF16_hLN4vllm18Fp8KVCacheDataTypeE1EhLi32ELi64ELi256ELb1ELi4EEvPKT_PKT0_S7_ifPKiS9_S9_iPKfiiiPfSC_PS2_PT2_iSB_SB_.num_named_barrier, max(0, .L__assert_fail.num_named_barrier)
	.set _Z38paged_attention_ll4mi_QKV_mfma4_kernelIDF16_hLN4vllm18Fp8KVCacheDataTypeE1EhLi32ELi64ELi256ELb1ELi4EEvPKT_PKT0_S7_ifPKiS9_S9_iPKfiiiPfSC_PS2_PT2_iSB_SB_.private_seg_size, 0+max(.L__assert_fail.private_seg_size)
	.set _Z38paged_attention_ll4mi_QKV_mfma4_kernelIDF16_hLN4vllm18Fp8KVCacheDataTypeE1EhLi32ELi64ELi256ELb1ELi4EEvPKT_PKT0_S7_ifPKiS9_S9_iPKfiiiPfSC_PS2_PT2_iSB_SB_.uses_vcc, or(1, .L__assert_fail.uses_vcc)
	.set _Z38paged_attention_ll4mi_QKV_mfma4_kernelIDF16_hLN4vllm18Fp8KVCacheDataTypeE1EhLi32ELi64ELi256ELb1ELi4EEvPKT_PKT0_S7_ifPKiS9_S9_iPKfiiiPfSC_PS2_PT2_iSB_SB_.uses_flat_scratch, or(0, .L__assert_fail.uses_flat_scratch)
	.set _Z38paged_attention_ll4mi_QKV_mfma4_kernelIDF16_hLN4vllm18Fp8KVCacheDataTypeE1EhLi32ELi64ELi256ELb1ELi4EEvPKT_PKT0_S7_ifPKiS9_S9_iPKfiiiPfSC_PS2_PT2_iSB_SB_.has_dyn_sized_stack, or(0, .L__assert_fail.has_dyn_sized_stack)
	.set _Z38paged_attention_ll4mi_QKV_mfma4_kernelIDF16_hLN4vllm18Fp8KVCacheDataTypeE1EhLi32ELi64ELi256ELb1ELi4EEvPKT_PKT0_S7_ifPKiS9_S9_iPKfiiiPfSC_PS2_PT2_iSB_SB_.has_recursion, or(0, .L__assert_fail.has_recursion)
	.set _Z38paged_attention_ll4mi_QKV_mfma4_kernelIDF16_hLN4vllm18Fp8KVCacheDataTypeE1EhLi32ELi64ELi256ELb1ELi4EEvPKT_PKT0_S7_ifPKiS9_S9_iPKfiiiPfSC_PS2_PT2_iSB_SB_.has_indirect_call, or(0, .L__assert_fail.has_indirect_call)
	.section	.AMDGPU.csdata,"",@progbits
; Kernel info:
; codeLenInByte = 68
; TotalNumSgprs: 36
; NumVgprs: 51
; ScratchSize: 64
; MemoryBound: 0
; FloatMode: 240
; IeeeMode: 1
; LDSByteSize: 0 bytes/workgroup (compile time only)
; SGPRBlocks: 0
; VGPRBlocks: 3
; NumSGPRsForWavesPerEU: 36
; NumVGPRsForWavesPerEU: 51
; NamedBarCnt: 0
; Occupancy: 16
; WaveLimiterHint : 1
; COMPUTE_PGM_RSRC2:SCRATCH_EN: 1
; COMPUTE_PGM_RSRC2:USER_SGPR: 2
; COMPUTE_PGM_RSRC2:TRAP_HANDLER: 0
; COMPUTE_PGM_RSRC2:TGID_X_EN: 1
; COMPUTE_PGM_RSRC2:TGID_Y_EN: 0
; COMPUTE_PGM_RSRC2:TGID_Z_EN: 0
; COMPUTE_PGM_RSRC2:TIDIG_COMP_CNT: 0
	.section	.text._Z39paged_attention_ll4mi_QKV_mfma16_kernelIDF16_hLN4vllm18Fp8KVCacheDataTypeE1EhLi32ELi64ELi256ELb1ELi5EEvPKT_PKT0_S7_ifPKiS9_S9_iPKfiiiPfSC_PS2_PT2_iSB_SB_,"axG",@progbits,_Z39paged_attention_ll4mi_QKV_mfma16_kernelIDF16_hLN4vllm18Fp8KVCacheDataTypeE1EhLi32ELi64ELi256ELb1ELi5EEvPKT_PKT0_S7_ifPKiS9_S9_iPKfiiiPfSC_PS2_PT2_iSB_SB_,comdat
	.protected	_Z39paged_attention_ll4mi_QKV_mfma16_kernelIDF16_hLN4vllm18Fp8KVCacheDataTypeE1EhLi32ELi64ELi256ELb1ELi5EEvPKT_PKT0_S7_ifPKiS9_S9_iPKfiiiPfSC_PS2_PT2_iSB_SB_ ; -- Begin function _Z39paged_attention_ll4mi_QKV_mfma16_kernelIDF16_hLN4vllm18Fp8KVCacheDataTypeE1EhLi32ELi64ELi256ELb1ELi5EEvPKT_PKT0_S7_ifPKiS9_S9_iPKfiiiPfSC_PS2_PT2_iSB_SB_
	.globl	_Z39paged_attention_ll4mi_QKV_mfma16_kernelIDF16_hLN4vllm18Fp8KVCacheDataTypeE1EhLi32ELi64ELi256ELb1ELi5EEvPKT_PKT0_S7_ifPKiS9_S9_iPKfiiiPfSC_PS2_PT2_iSB_SB_
	.p2align	8
	.type	_Z39paged_attention_ll4mi_QKV_mfma16_kernelIDF16_hLN4vllm18Fp8KVCacheDataTypeE1EhLi32ELi64ELi256ELb1ELi5EEvPKT_PKT0_S7_ifPKiS9_S9_iPKfiiiPfSC_PS2_PT2_iSB_SB_,@function
_Z39paged_attention_ll4mi_QKV_mfma16_kernelIDF16_hLN4vllm18Fp8KVCacheDataTypeE1EhLi32ELi64ELi256ELb1ELi5EEvPKT_PKT0_S7_ifPKiS9_S9_iPKfiiiPfSC_PS2_PT2_iSB_SB_: ; @_Z39paged_attention_ll4mi_QKV_mfma16_kernelIDF16_hLN4vllm18Fp8KVCacheDataTypeE1EhLi32ELi64ELi256ELb1ELi5EEvPKT_PKT0_S7_ifPKiS9_S9_iPKfiiiPfSC_PS2_PT2_iSB_SB_
; %bb.0:
	s_get_pc_i64 s[2:3]
	s_add_nc_u64 s[2:3], s[2:3], __PRETTY_FUNCTION__._Z39paged_attention_ll4mi_QKV_mfma16_kernelIDF16_hLN4vllm18Fp8KVCacheDataTypeE1EhLi32ELi64ELi256ELb1ELi5EEvPKT_PKT0_S7_ifPKiS9_S9_iPKfiiiPfSC_PS2_PT2_iSB_SB_@rel64+4
	s_delay_alu instid0(SALU_CYCLE_1)
	v_dual_mov_b32 v0, 0xbb3 :: v_dual_mov_b32 v1, s2
	v_mov_b32_e32 v2, s3
	s_add_nc_u64 s[8:9], s[0:1], 0x90
	s_get_pc_i64 s[0:1]
	s_add_nc_u64 s[0:1], s[0:1], __assert_fail@rel64+4
	s_mov_b32 s32, 0
	s_swap_pc_i64 s[30:31], s[0:1]
	.section	.rodata,"a",@progbits
	.p2align	6, 0x0
	.amdhsa_kernel _Z39paged_attention_ll4mi_QKV_mfma16_kernelIDF16_hLN4vllm18Fp8KVCacheDataTypeE1EhLi32ELi64ELi256ELb1ELi5EEvPKT_PKT0_S7_ifPKiS9_S9_iPKfiiiPfSC_PS2_PT2_iSB_SB_
		.amdhsa_group_segment_fixed_size 0
		.amdhsa_private_segment_fixed_size 64
		.amdhsa_kernarg_size 400
		.amdhsa_user_sgpr_count 2
		.amdhsa_user_sgpr_dispatch_ptr 0
		.amdhsa_user_sgpr_queue_ptr 0
		.amdhsa_user_sgpr_kernarg_segment_ptr 1
		.amdhsa_user_sgpr_dispatch_id 0
		.amdhsa_user_sgpr_kernarg_preload_length 0
		.amdhsa_user_sgpr_kernarg_preload_offset 0
		.amdhsa_user_sgpr_private_segment_size 0
		.amdhsa_wavefront_size32 1
		.amdhsa_uses_dynamic_stack 0
		.amdhsa_enable_private_segment 1
		.amdhsa_system_sgpr_workgroup_id_x 1
		.amdhsa_system_sgpr_workgroup_id_y 0
		.amdhsa_system_sgpr_workgroup_id_z 0
		.amdhsa_system_sgpr_workgroup_info 0
		.amdhsa_system_vgpr_workitem_id 0
		.amdhsa_next_free_vgpr 51
		.amdhsa_next_free_sgpr 34
		.amdhsa_named_barrier_count 0
		.amdhsa_reserve_vcc 1
		.amdhsa_float_round_mode_32 0
		.amdhsa_float_round_mode_16_64 0
		.amdhsa_float_denorm_mode_32 3
		.amdhsa_float_denorm_mode_16_64 3
		.amdhsa_fp16_overflow 0
		.amdhsa_memory_ordered 1
		.amdhsa_forward_progress 1
		.amdhsa_inst_pref_size 1
		.amdhsa_round_robin_scheduling 0
		.amdhsa_exception_fp_ieee_invalid_op 0
		.amdhsa_exception_fp_denorm_src 0
		.amdhsa_exception_fp_ieee_div_zero 0
		.amdhsa_exception_fp_ieee_overflow 0
		.amdhsa_exception_fp_ieee_underflow 0
		.amdhsa_exception_fp_ieee_inexact 0
		.amdhsa_exception_int_div_zero 0
	.end_amdhsa_kernel
	.section	.text._Z39paged_attention_ll4mi_QKV_mfma16_kernelIDF16_hLN4vllm18Fp8KVCacheDataTypeE1EhLi32ELi64ELi256ELb1ELi5EEvPKT_PKT0_S7_ifPKiS9_S9_iPKfiiiPfSC_PS2_PT2_iSB_SB_,"axG",@progbits,_Z39paged_attention_ll4mi_QKV_mfma16_kernelIDF16_hLN4vllm18Fp8KVCacheDataTypeE1EhLi32ELi64ELi256ELb1ELi5EEvPKT_PKT0_S7_ifPKiS9_S9_iPKfiiiPfSC_PS2_PT2_iSB_SB_,comdat
.Lfunc_end854:
	.size	_Z39paged_attention_ll4mi_QKV_mfma16_kernelIDF16_hLN4vllm18Fp8KVCacheDataTypeE1EhLi32ELi64ELi256ELb1ELi5EEvPKT_PKT0_S7_ifPKiS9_S9_iPKfiiiPfSC_PS2_PT2_iSB_SB_, .Lfunc_end854-_Z39paged_attention_ll4mi_QKV_mfma16_kernelIDF16_hLN4vllm18Fp8KVCacheDataTypeE1EhLi32ELi64ELi256ELb1ELi5EEvPKT_PKT0_S7_ifPKiS9_S9_iPKfiiiPfSC_PS2_PT2_iSB_SB_
                                        ; -- End function
	.set _Z39paged_attention_ll4mi_QKV_mfma16_kernelIDF16_hLN4vllm18Fp8KVCacheDataTypeE1EhLi32ELi64ELi256ELb1ELi5EEvPKT_PKT0_S7_ifPKiS9_S9_iPKfiiiPfSC_PS2_PT2_iSB_SB_.num_vgpr, max(3, .L__assert_fail.num_vgpr)
	.set _Z39paged_attention_ll4mi_QKV_mfma16_kernelIDF16_hLN4vllm18Fp8KVCacheDataTypeE1EhLi32ELi64ELi256ELb1ELi5EEvPKT_PKT0_S7_ifPKiS9_S9_iPKfiiiPfSC_PS2_PT2_iSB_SB_.num_agpr, max(0, .L__assert_fail.num_agpr)
	.set _Z39paged_attention_ll4mi_QKV_mfma16_kernelIDF16_hLN4vllm18Fp8KVCacheDataTypeE1EhLi32ELi64ELi256ELb1ELi5EEvPKT_PKT0_S7_ifPKiS9_S9_iPKfiiiPfSC_PS2_PT2_iSB_SB_.numbered_sgpr, max(33, .L__assert_fail.numbered_sgpr)
	.set _Z39paged_attention_ll4mi_QKV_mfma16_kernelIDF16_hLN4vllm18Fp8KVCacheDataTypeE1EhLi32ELi64ELi256ELb1ELi5EEvPKT_PKT0_S7_ifPKiS9_S9_iPKfiiiPfSC_PS2_PT2_iSB_SB_.num_named_barrier, max(0, .L__assert_fail.num_named_barrier)
	.set _Z39paged_attention_ll4mi_QKV_mfma16_kernelIDF16_hLN4vllm18Fp8KVCacheDataTypeE1EhLi32ELi64ELi256ELb1ELi5EEvPKT_PKT0_S7_ifPKiS9_S9_iPKfiiiPfSC_PS2_PT2_iSB_SB_.private_seg_size, 0+max(.L__assert_fail.private_seg_size)
	.set _Z39paged_attention_ll4mi_QKV_mfma16_kernelIDF16_hLN4vllm18Fp8KVCacheDataTypeE1EhLi32ELi64ELi256ELb1ELi5EEvPKT_PKT0_S7_ifPKiS9_S9_iPKfiiiPfSC_PS2_PT2_iSB_SB_.uses_vcc, or(1, .L__assert_fail.uses_vcc)
	.set _Z39paged_attention_ll4mi_QKV_mfma16_kernelIDF16_hLN4vllm18Fp8KVCacheDataTypeE1EhLi32ELi64ELi256ELb1ELi5EEvPKT_PKT0_S7_ifPKiS9_S9_iPKfiiiPfSC_PS2_PT2_iSB_SB_.uses_flat_scratch, or(0, .L__assert_fail.uses_flat_scratch)
	.set _Z39paged_attention_ll4mi_QKV_mfma16_kernelIDF16_hLN4vllm18Fp8KVCacheDataTypeE1EhLi32ELi64ELi256ELb1ELi5EEvPKT_PKT0_S7_ifPKiS9_S9_iPKfiiiPfSC_PS2_PT2_iSB_SB_.has_dyn_sized_stack, or(0, .L__assert_fail.has_dyn_sized_stack)
	.set _Z39paged_attention_ll4mi_QKV_mfma16_kernelIDF16_hLN4vllm18Fp8KVCacheDataTypeE1EhLi32ELi64ELi256ELb1ELi5EEvPKT_PKT0_S7_ifPKiS9_S9_iPKfiiiPfSC_PS2_PT2_iSB_SB_.has_recursion, or(0, .L__assert_fail.has_recursion)
	.set _Z39paged_attention_ll4mi_QKV_mfma16_kernelIDF16_hLN4vllm18Fp8KVCacheDataTypeE1EhLi32ELi64ELi256ELb1ELi5EEvPKT_PKT0_S7_ifPKiS9_S9_iPKfiiiPfSC_PS2_PT2_iSB_SB_.has_indirect_call, or(0, .L__assert_fail.has_indirect_call)
	.section	.AMDGPU.csdata,"",@progbits
; Kernel info:
; codeLenInByte = 68
; TotalNumSgprs: 36
; NumVgprs: 51
; ScratchSize: 64
; MemoryBound: 0
; FloatMode: 240
; IeeeMode: 1
; LDSByteSize: 0 bytes/workgroup (compile time only)
; SGPRBlocks: 0
; VGPRBlocks: 3
; NumSGPRsForWavesPerEU: 36
; NumVGPRsForWavesPerEU: 51
; NamedBarCnt: 0
; Occupancy: 16
; WaveLimiterHint : 1
; COMPUTE_PGM_RSRC2:SCRATCH_EN: 1
; COMPUTE_PGM_RSRC2:USER_SGPR: 2
; COMPUTE_PGM_RSRC2:TRAP_HANDLER: 0
; COMPUTE_PGM_RSRC2:TGID_X_EN: 1
; COMPUTE_PGM_RSRC2:TGID_Y_EN: 0
; COMPUTE_PGM_RSRC2:TGID_Z_EN: 0
; COMPUTE_PGM_RSRC2:TIDIG_COMP_CNT: 0
	.section	.text._Z39paged_attention_ll4mi_QKV_mfma16_kernelIDF16_hLN4vllm18Fp8KVCacheDataTypeE1EhLi32ELi64ELi256ELb1ELi6EEvPKT_PKT0_S7_ifPKiS9_S9_iPKfiiiPfSC_PS2_PT2_iSB_SB_,"axG",@progbits,_Z39paged_attention_ll4mi_QKV_mfma16_kernelIDF16_hLN4vllm18Fp8KVCacheDataTypeE1EhLi32ELi64ELi256ELb1ELi6EEvPKT_PKT0_S7_ifPKiS9_S9_iPKfiiiPfSC_PS2_PT2_iSB_SB_,comdat
	.protected	_Z39paged_attention_ll4mi_QKV_mfma16_kernelIDF16_hLN4vllm18Fp8KVCacheDataTypeE1EhLi32ELi64ELi256ELb1ELi6EEvPKT_PKT0_S7_ifPKiS9_S9_iPKfiiiPfSC_PS2_PT2_iSB_SB_ ; -- Begin function _Z39paged_attention_ll4mi_QKV_mfma16_kernelIDF16_hLN4vllm18Fp8KVCacheDataTypeE1EhLi32ELi64ELi256ELb1ELi6EEvPKT_PKT0_S7_ifPKiS9_S9_iPKfiiiPfSC_PS2_PT2_iSB_SB_
	.globl	_Z39paged_attention_ll4mi_QKV_mfma16_kernelIDF16_hLN4vllm18Fp8KVCacheDataTypeE1EhLi32ELi64ELi256ELb1ELi6EEvPKT_PKT0_S7_ifPKiS9_S9_iPKfiiiPfSC_PS2_PT2_iSB_SB_
	.p2align	8
	.type	_Z39paged_attention_ll4mi_QKV_mfma16_kernelIDF16_hLN4vllm18Fp8KVCacheDataTypeE1EhLi32ELi64ELi256ELb1ELi6EEvPKT_PKT0_S7_ifPKiS9_S9_iPKfiiiPfSC_PS2_PT2_iSB_SB_,@function
_Z39paged_attention_ll4mi_QKV_mfma16_kernelIDF16_hLN4vllm18Fp8KVCacheDataTypeE1EhLi32ELi64ELi256ELb1ELi6EEvPKT_PKT0_S7_ifPKiS9_S9_iPKfiiiPfSC_PS2_PT2_iSB_SB_: ; @_Z39paged_attention_ll4mi_QKV_mfma16_kernelIDF16_hLN4vllm18Fp8KVCacheDataTypeE1EhLi32ELi64ELi256ELb1ELi6EEvPKT_PKT0_S7_ifPKiS9_S9_iPKfiiiPfSC_PS2_PT2_iSB_SB_
; %bb.0:
	s_get_pc_i64 s[2:3]
	s_add_nc_u64 s[2:3], s[2:3], __PRETTY_FUNCTION__._Z39paged_attention_ll4mi_QKV_mfma16_kernelIDF16_hLN4vllm18Fp8KVCacheDataTypeE1EhLi32ELi64ELi256ELb1ELi6EEvPKT_PKT0_S7_ifPKiS9_S9_iPKfiiiPfSC_PS2_PT2_iSB_SB_@rel64+4
	s_delay_alu instid0(SALU_CYCLE_1)
	v_dual_mov_b32 v0, 0xbb3 :: v_dual_mov_b32 v1, s2
	v_mov_b32_e32 v2, s3
	s_add_nc_u64 s[8:9], s[0:1], 0x90
	s_get_pc_i64 s[0:1]
	s_add_nc_u64 s[0:1], s[0:1], __assert_fail@rel64+4
	s_mov_b32 s32, 0
	s_swap_pc_i64 s[30:31], s[0:1]
	.section	.rodata,"a",@progbits
	.p2align	6, 0x0
	.amdhsa_kernel _Z39paged_attention_ll4mi_QKV_mfma16_kernelIDF16_hLN4vllm18Fp8KVCacheDataTypeE1EhLi32ELi64ELi256ELb1ELi6EEvPKT_PKT0_S7_ifPKiS9_S9_iPKfiiiPfSC_PS2_PT2_iSB_SB_
		.amdhsa_group_segment_fixed_size 0
		.amdhsa_private_segment_fixed_size 64
		.amdhsa_kernarg_size 400
		.amdhsa_user_sgpr_count 2
		.amdhsa_user_sgpr_dispatch_ptr 0
		.amdhsa_user_sgpr_queue_ptr 0
		.amdhsa_user_sgpr_kernarg_segment_ptr 1
		.amdhsa_user_sgpr_dispatch_id 0
		.amdhsa_user_sgpr_kernarg_preload_length 0
		.amdhsa_user_sgpr_kernarg_preload_offset 0
		.amdhsa_user_sgpr_private_segment_size 0
		.amdhsa_wavefront_size32 1
		.amdhsa_uses_dynamic_stack 0
		.amdhsa_enable_private_segment 1
		.amdhsa_system_sgpr_workgroup_id_x 1
		.amdhsa_system_sgpr_workgroup_id_y 0
		.amdhsa_system_sgpr_workgroup_id_z 0
		.amdhsa_system_sgpr_workgroup_info 0
		.amdhsa_system_vgpr_workitem_id 0
		.amdhsa_next_free_vgpr 51
		.amdhsa_next_free_sgpr 34
		.amdhsa_named_barrier_count 0
		.amdhsa_reserve_vcc 1
		.amdhsa_float_round_mode_32 0
		.amdhsa_float_round_mode_16_64 0
		.amdhsa_float_denorm_mode_32 3
		.amdhsa_float_denorm_mode_16_64 3
		.amdhsa_fp16_overflow 0
		.amdhsa_memory_ordered 1
		.amdhsa_forward_progress 1
		.amdhsa_inst_pref_size 1
		.amdhsa_round_robin_scheduling 0
		.amdhsa_exception_fp_ieee_invalid_op 0
		.amdhsa_exception_fp_denorm_src 0
		.amdhsa_exception_fp_ieee_div_zero 0
		.amdhsa_exception_fp_ieee_overflow 0
		.amdhsa_exception_fp_ieee_underflow 0
		.amdhsa_exception_fp_ieee_inexact 0
		.amdhsa_exception_int_div_zero 0
	.end_amdhsa_kernel
	.section	.text._Z39paged_attention_ll4mi_QKV_mfma16_kernelIDF16_hLN4vllm18Fp8KVCacheDataTypeE1EhLi32ELi64ELi256ELb1ELi6EEvPKT_PKT0_S7_ifPKiS9_S9_iPKfiiiPfSC_PS2_PT2_iSB_SB_,"axG",@progbits,_Z39paged_attention_ll4mi_QKV_mfma16_kernelIDF16_hLN4vllm18Fp8KVCacheDataTypeE1EhLi32ELi64ELi256ELb1ELi6EEvPKT_PKT0_S7_ifPKiS9_S9_iPKfiiiPfSC_PS2_PT2_iSB_SB_,comdat
.Lfunc_end855:
	.size	_Z39paged_attention_ll4mi_QKV_mfma16_kernelIDF16_hLN4vllm18Fp8KVCacheDataTypeE1EhLi32ELi64ELi256ELb1ELi6EEvPKT_PKT0_S7_ifPKiS9_S9_iPKfiiiPfSC_PS2_PT2_iSB_SB_, .Lfunc_end855-_Z39paged_attention_ll4mi_QKV_mfma16_kernelIDF16_hLN4vllm18Fp8KVCacheDataTypeE1EhLi32ELi64ELi256ELb1ELi6EEvPKT_PKT0_S7_ifPKiS9_S9_iPKfiiiPfSC_PS2_PT2_iSB_SB_
                                        ; -- End function
	.set _Z39paged_attention_ll4mi_QKV_mfma16_kernelIDF16_hLN4vllm18Fp8KVCacheDataTypeE1EhLi32ELi64ELi256ELb1ELi6EEvPKT_PKT0_S7_ifPKiS9_S9_iPKfiiiPfSC_PS2_PT2_iSB_SB_.num_vgpr, max(3, .L__assert_fail.num_vgpr)
	.set _Z39paged_attention_ll4mi_QKV_mfma16_kernelIDF16_hLN4vllm18Fp8KVCacheDataTypeE1EhLi32ELi64ELi256ELb1ELi6EEvPKT_PKT0_S7_ifPKiS9_S9_iPKfiiiPfSC_PS2_PT2_iSB_SB_.num_agpr, max(0, .L__assert_fail.num_agpr)
	.set _Z39paged_attention_ll4mi_QKV_mfma16_kernelIDF16_hLN4vllm18Fp8KVCacheDataTypeE1EhLi32ELi64ELi256ELb1ELi6EEvPKT_PKT0_S7_ifPKiS9_S9_iPKfiiiPfSC_PS2_PT2_iSB_SB_.numbered_sgpr, max(33, .L__assert_fail.numbered_sgpr)
	.set _Z39paged_attention_ll4mi_QKV_mfma16_kernelIDF16_hLN4vllm18Fp8KVCacheDataTypeE1EhLi32ELi64ELi256ELb1ELi6EEvPKT_PKT0_S7_ifPKiS9_S9_iPKfiiiPfSC_PS2_PT2_iSB_SB_.num_named_barrier, max(0, .L__assert_fail.num_named_barrier)
	.set _Z39paged_attention_ll4mi_QKV_mfma16_kernelIDF16_hLN4vllm18Fp8KVCacheDataTypeE1EhLi32ELi64ELi256ELb1ELi6EEvPKT_PKT0_S7_ifPKiS9_S9_iPKfiiiPfSC_PS2_PT2_iSB_SB_.private_seg_size, 0+max(.L__assert_fail.private_seg_size)
	.set _Z39paged_attention_ll4mi_QKV_mfma16_kernelIDF16_hLN4vllm18Fp8KVCacheDataTypeE1EhLi32ELi64ELi256ELb1ELi6EEvPKT_PKT0_S7_ifPKiS9_S9_iPKfiiiPfSC_PS2_PT2_iSB_SB_.uses_vcc, or(1, .L__assert_fail.uses_vcc)
	.set _Z39paged_attention_ll4mi_QKV_mfma16_kernelIDF16_hLN4vllm18Fp8KVCacheDataTypeE1EhLi32ELi64ELi256ELb1ELi6EEvPKT_PKT0_S7_ifPKiS9_S9_iPKfiiiPfSC_PS2_PT2_iSB_SB_.uses_flat_scratch, or(0, .L__assert_fail.uses_flat_scratch)
	.set _Z39paged_attention_ll4mi_QKV_mfma16_kernelIDF16_hLN4vllm18Fp8KVCacheDataTypeE1EhLi32ELi64ELi256ELb1ELi6EEvPKT_PKT0_S7_ifPKiS9_S9_iPKfiiiPfSC_PS2_PT2_iSB_SB_.has_dyn_sized_stack, or(0, .L__assert_fail.has_dyn_sized_stack)
	.set _Z39paged_attention_ll4mi_QKV_mfma16_kernelIDF16_hLN4vllm18Fp8KVCacheDataTypeE1EhLi32ELi64ELi256ELb1ELi6EEvPKT_PKT0_S7_ifPKiS9_S9_iPKfiiiPfSC_PS2_PT2_iSB_SB_.has_recursion, or(0, .L__assert_fail.has_recursion)
	.set _Z39paged_attention_ll4mi_QKV_mfma16_kernelIDF16_hLN4vllm18Fp8KVCacheDataTypeE1EhLi32ELi64ELi256ELb1ELi6EEvPKT_PKT0_S7_ifPKiS9_S9_iPKfiiiPfSC_PS2_PT2_iSB_SB_.has_indirect_call, or(0, .L__assert_fail.has_indirect_call)
	.section	.AMDGPU.csdata,"",@progbits
; Kernel info:
; codeLenInByte = 68
; TotalNumSgprs: 36
; NumVgprs: 51
; ScratchSize: 64
; MemoryBound: 0
; FloatMode: 240
; IeeeMode: 1
; LDSByteSize: 0 bytes/workgroup (compile time only)
; SGPRBlocks: 0
; VGPRBlocks: 3
; NumSGPRsForWavesPerEU: 36
; NumVGPRsForWavesPerEU: 51
; NamedBarCnt: 0
; Occupancy: 16
; WaveLimiterHint : 1
; COMPUTE_PGM_RSRC2:SCRATCH_EN: 1
; COMPUTE_PGM_RSRC2:USER_SGPR: 2
; COMPUTE_PGM_RSRC2:TRAP_HANDLER: 0
; COMPUTE_PGM_RSRC2:TGID_X_EN: 1
; COMPUTE_PGM_RSRC2:TGID_Y_EN: 0
; COMPUTE_PGM_RSRC2:TGID_Z_EN: 0
; COMPUTE_PGM_RSRC2:TIDIG_COMP_CNT: 0
	.section	.text._Z39paged_attention_ll4mi_QKV_mfma16_kernelIDF16_hLN4vllm18Fp8KVCacheDataTypeE1EhLi32ELi64ELi256ELb1ELi7EEvPKT_PKT0_S7_ifPKiS9_S9_iPKfiiiPfSC_PS2_PT2_iSB_SB_,"axG",@progbits,_Z39paged_attention_ll4mi_QKV_mfma16_kernelIDF16_hLN4vllm18Fp8KVCacheDataTypeE1EhLi32ELi64ELi256ELb1ELi7EEvPKT_PKT0_S7_ifPKiS9_S9_iPKfiiiPfSC_PS2_PT2_iSB_SB_,comdat
	.protected	_Z39paged_attention_ll4mi_QKV_mfma16_kernelIDF16_hLN4vllm18Fp8KVCacheDataTypeE1EhLi32ELi64ELi256ELb1ELi7EEvPKT_PKT0_S7_ifPKiS9_S9_iPKfiiiPfSC_PS2_PT2_iSB_SB_ ; -- Begin function _Z39paged_attention_ll4mi_QKV_mfma16_kernelIDF16_hLN4vllm18Fp8KVCacheDataTypeE1EhLi32ELi64ELi256ELb1ELi7EEvPKT_PKT0_S7_ifPKiS9_S9_iPKfiiiPfSC_PS2_PT2_iSB_SB_
	.globl	_Z39paged_attention_ll4mi_QKV_mfma16_kernelIDF16_hLN4vllm18Fp8KVCacheDataTypeE1EhLi32ELi64ELi256ELb1ELi7EEvPKT_PKT0_S7_ifPKiS9_S9_iPKfiiiPfSC_PS2_PT2_iSB_SB_
	.p2align	8
	.type	_Z39paged_attention_ll4mi_QKV_mfma16_kernelIDF16_hLN4vllm18Fp8KVCacheDataTypeE1EhLi32ELi64ELi256ELb1ELi7EEvPKT_PKT0_S7_ifPKiS9_S9_iPKfiiiPfSC_PS2_PT2_iSB_SB_,@function
_Z39paged_attention_ll4mi_QKV_mfma16_kernelIDF16_hLN4vllm18Fp8KVCacheDataTypeE1EhLi32ELi64ELi256ELb1ELi7EEvPKT_PKT0_S7_ifPKiS9_S9_iPKfiiiPfSC_PS2_PT2_iSB_SB_: ; @_Z39paged_attention_ll4mi_QKV_mfma16_kernelIDF16_hLN4vllm18Fp8KVCacheDataTypeE1EhLi32ELi64ELi256ELb1ELi7EEvPKT_PKT0_S7_ifPKiS9_S9_iPKfiiiPfSC_PS2_PT2_iSB_SB_
; %bb.0:
	s_get_pc_i64 s[2:3]
	s_add_nc_u64 s[2:3], s[2:3], __PRETTY_FUNCTION__._Z39paged_attention_ll4mi_QKV_mfma16_kernelIDF16_hLN4vllm18Fp8KVCacheDataTypeE1EhLi32ELi64ELi256ELb1ELi7EEvPKT_PKT0_S7_ifPKiS9_S9_iPKfiiiPfSC_PS2_PT2_iSB_SB_@rel64+4
	s_delay_alu instid0(SALU_CYCLE_1)
	v_dual_mov_b32 v0, 0xbb3 :: v_dual_mov_b32 v1, s2
	v_mov_b32_e32 v2, s3
	s_add_nc_u64 s[8:9], s[0:1], 0x90
	s_get_pc_i64 s[0:1]
	s_add_nc_u64 s[0:1], s[0:1], __assert_fail@rel64+4
	s_mov_b32 s32, 0
	s_swap_pc_i64 s[30:31], s[0:1]
	.section	.rodata,"a",@progbits
	.p2align	6, 0x0
	.amdhsa_kernel _Z39paged_attention_ll4mi_QKV_mfma16_kernelIDF16_hLN4vllm18Fp8KVCacheDataTypeE1EhLi32ELi64ELi256ELb1ELi7EEvPKT_PKT0_S7_ifPKiS9_S9_iPKfiiiPfSC_PS2_PT2_iSB_SB_
		.amdhsa_group_segment_fixed_size 0
		.amdhsa_private_segment_fixed_size 64
		.amdhsa_kernarg_size 400
		.amdhsa_user_sgpr_count 2
		.amdhsa_user_sgpr_dispatch_ptr 0
		.amdhsa_user_sgpr_queue_ptr 0
		.amdhsa_user_sgpr_kernarg_segment_ptr 1
		.amdhsa_user_sgpr_dispatch_id 0
		.amdhsa_user_sgpr_kernarg_preload_length 0
		.amdhsa_user_sgpr_kernarg_preload_offset 0
		.amdhsa_user_sgpr_private_segment_size 0
		.amdhsa_wavefront_size32 1
		.amdhsa_uses_dynamic_stack 0
		.amdhsa_enable_private_segment 1
		.amdhsa_system_sgpr_workgroup_id_x 1
		.amdhsa_system_sgpr_workgroup_id_y 0
		.amdhsa_system_sgpr_workgroup_id_z 0
		.amdhsa_system_sgpr_workgroup_info 0
		.amdhsa_system_vgpr_workitem_id 0
		.amdhsa_next_free_vgpr 51
		.amdhsa_next_free_sgpr 34
		.amdhsa_named_barrier_count 0
		.amdhsa_reserve_vcc 1
		.amdhsa_float_round_mode_32 0
		.amdhsa_float_round_mode_16_64 0
		.amdhsa_float_denorm_mode_32 3
		.amdhsa_float_denorm_mode_16_64 3
		.amdhsa_fp16_overflow 0
		.amdhsa_memory_ordered 1
		.amdhsa_forward_progress 1
		.amdhsa_inst_pref_size 1
		.amdhsa_round_robin_scheduling 0
		.amdhsa_exception_fp_ieee_invalid_op 0
		.amdhsa_exception_fp_denorm_src 0
		.amdhsa_exception_fp_ieee_div_zero 0
		.amdhsa_exception_fp_ieee_overflow 0
		.amdhsa_exception_fp_ieee_underflow 0
		.amdhsa_exception_fp_ieee_inexact 0
		.amdhsa_exception_int_div_zero 0
	.end_amdhsa_kernel
	.section	.text._Z39paged_attention_ll4mi_QKV_mfma16_kernelIDF16_hLN4vllm18Fp8KVCacheDataTypeE1EhLi32ELi64ELi256ELb1ELi7EEvPKT_PKT0_S7_ifPKiS9_S9_iPKfiiiPfSC_PS2_PT2_iSB_SB_,"axG",@progbits,_Z39paged_attention_ll4mi_QKV_mfma16_kernelIDF16_hLN4vllm18Fp8KVCacheDataTypeE1EhLi32ELi64ELi256ELb1ELi7EEvPKT_PKT0_S7_ifPKiS9_S9_iPKfiiiPfSC_PS2_PT2_iSB_SB_,comdat
.Lfunc_end856:
	.size	_Z39paged_attention_ll4mi_QKV_mfma16_kernelIDF16_hLN4vllm18Fp8KVCacheDataTypeE1EhLi32ELi64ELi256ELb1ELi7EEvPKT_PKT0_S7_ifPKiS9_S9_iPKfiiiPfSC_PS2_PT2_iSB_SB_, .Lfunc_end856-_Z39paged_attention_ll4mi_QKV_mfma16_kernelIDF16_hLN4vllm18Fp8KVCacheDataTypeE1EhLi32ELi64ELi256ELb1ELi7EEvPKT_PKT0_S7_ifPKiS9_S9_iPKfiiiPfSC_PS2_PT2_iSB_SB_
                                        ; -- End function
	.set _Z39paged_attention_ll4mi_QKV_mfma16_kernelIDF16_hLN4vllm18Fp8KVCacheDataTypeE1EhLi32ELi64ELi256ELb1ELi7EEvPKT_PKT0_S7_ifPKiS9_S9_iPKfiiiPfSC_PS2_PT2_iSB_SB_.num_vgpr, max(3, .L__assert_fail.num_vgpr)
	.set _Z39paged_attention_ll4mi_QKV_mfma16_kernelIDF16_hLN4vllm18Fp8KVCacheDataTypeE1EhLi32ELi64ELi256ELb1ELi7EEvPKT_PKT0_S7_ifPKiS9_S9_iPKfiiiPfSC_PS2_PT2_iSB_SB_.num_agpr, max(0, .L__assert_fail.num_agpr)
	.set _Z39paged_attention_ll4mi_QKV_mfma16_kernelIDF16_hLN4vllm18Fp8KVCacheDataTypeE1EhLi32ELi64ELi256ELb1ELi7EEvPKT_PKT0_S7_ifPKiS9_S9_iPKfiiiPfSC_PS2_PT2_iSB_SB_.numbered_sgpr, max(33, .L__assert_fail.numbered_sgpr)
	.set _Z39paged_attention_ll4mi_QKV_mfma16_kernelIDF16_hLN4vllm18Fp8KVCacheDataTypeE1EhLi32ELi64ELi256ELb1ELi7EEvPKT_PKT0_S7_ifPKiS9_S9_iPKfiiiPfSC_PS2_PT2_iSB_SB_.num_named_barrier, max(0, .L__assert_fail.num_named_barrier)
	.set _Z39paged_attention_ll4mi_QKV_mfma16_kernelIDF16_hLN4vllm18Fp8KVCacheDataTypeE1EhLi32ELi64ELi256ELb1ELi7EEvPKT_PKT0_S7_ifPKiS9_S9_iPKfiiiPfSC_PS2_PT2_iSB_SB_.private_seg_size, 0+max(.L__assert_fail.private_seg_size)
	.set _Z39paged_attention_ll4mi_QKV_mfma16_kernelIDF16_hLN4vllm18Fp8KVCacheDataTypeE1EhLi32ELi64ELi256ELb1ELi7EEvPKT_PKT0_S7_ifPKiS9_S9_iPKfiiiPfSC_PS2_PT2_iSB_SB_.uses_vcc, or(1, .L__assert_fail.uses_vcc)
	.set _Z39paged_attention_ll4mi_QKV_mfma16_kernelIDF16_hLN4vllm18Fp8KVCacheDataTypeE1EhLi32ELi64ELi256ELb1ELi7EEvPKT_PKT0_S7_ifPKiS9_S9_iPKfiiiPfSC_PS2_PT2_iSB_SB_.uses_flat_scratch, or(0, .L__assert_fail.uses_flat_scratch)
	.set _Z39paged_attention_ll4mi_QKV_mfma16_kernelIDF16_hLN4vllm18Fp8KVCacheDataTypeE1EhLi32ELi64ELi256ELb1ELi7EEvPKT_PKT0_S7_ifPKiS9_S9_iPKfiiiPfSC_PS2_PT2_iSB_SB_.has_dyn_sized_stack, or(0, .L__assert_fail.has_dyn_sized_stack)
	.set _Z39paged_attention_ll4mi_QKV_mfma16_kernelIDF16_hLN4vllm18Fp8KVCacheDataTypeE1EhLi32ELi64ELi256ELb1ELi7EEvPKT_PKT0_S7_ifPKiS9_S9_iPKfiiiPfSC_PS2_PT2_iSB_SB_.has_recursion, or(0, .L__assert_fail.has_recursion)
	.set _Z39paged_attention_ll4mi_QKV_mfma16_kernelIDF16_hLN4vllm18Fp8KVCacheDataTypeE1EhLi32ELi64ELi256ELb1ELi7EEvPKT_PKT0_S7_ifPKiS9_S9_iPKfiiiPfSC_PS2_PT2_iSB_SB_.has_indirect_call, or(0, .L__assert_fail.has_indirect_call)
	.section	.AMDGPU.csdata,"",@progbits
; Kernel info:
; codeLenInByte = 68
; TotalNumSgprs: 36
; NumVgprs: 51
; ScratchSize: 64
; MemoryBound: 0
; FloatMode: 240
; IeeeMode: 1
; LDSByteSize: 0 bytes/workgroup (compile time only)
; SGPRBlocks: 0
; VGPRBlocks: 3
; NumSGPRsForWavesPerEU: 36
; NumVGPRsForWavesPerEU: 51
; NamedBarCnt: 0
; Occupancy: 16
; WaveLimiterHint : 1
; COMPUTE_PGM_RSRC2:SCRATCH_EN: 1
; COMPUTE_PGM_RSRC2:USER_SGPR: 2
; COMPUTE_PGM_RSRC2:TRAP_HANDLER: 0
; COMPUTE_PGM_RSRC2:TGID_X_EN: 1
; COMPUTE_PGM_RSRC2:TGID_Y_EN: 0
; COMPUTE_PGM_RSRC2:TGID_Z_EN: 0
; COMPUTE_PGM_RSRC2:TIDIG_COMP_CNT: 0
	.section	.text._Z39paged_attention_ll4mi_QKV_mfma16_kernelIDF16_hLN4vllm18Fp8KVCacheDataTypeE1EhLi32ELi64ELi256ELb1ELi8EEvPKT_PKT0_S7_ifPKiS9_S9_iPKfiiiPfSC_PS2_PT2_iSB_SB_,"axG",@progbits,_Z39paged_attention_ll4mi_QKV_mfma16_kernelIDF16_hLN4vllm18Fp8KVCacheDataTypeE1EhLi32ELi64ELi256ELb1ELi8EEvPKT_PKT0_S7_ifPKiS9_S9_iPKfiiiPfSC_PS2_PT2_iSB_SB_,comdat
	.protected	_Z39paged_attention_ll4mi_QKV_mfma16_kernelIDF16_hLN4vllm18Fp8KVCacheDataTypeE1EhLi32ELi64ELi256ELb1ELi8EEvPKT_PKT0_S7_ifPKiS9_S9_iPKfiiiPfSC_PS2_PT2_iSB_SB_ ; -- Begin function _Z39paged_attention_ll4mi_QKV_mfma16_kernelIDF16_hLN4vllm18Fp8KVCacheDataTypeE1EhLi32ELi64ELi256ELb1ELi8EEvPKT_PKT0_S7_ifPKiS9_S9_iPKfiiiPfSC_PS2_PT2_iSB_SB_
	.globl	_Z39paged_attention_ll4mi_QKV_mfma16_kernelIDF16_hLN4vllm18Fp8KVCacheDataTypeE1EhLi32ELi64ELi256ELb1ELi8EEvPKT_PKT0_S7_ifPKiS9_S9_iPKfiiiPfSC_PS2_PT2_iSB_SB_
	.p2align	8
	.type	_Z39paged_attention_ll4mi_QKV_mfma16_kernelIDF16_hLN4vllm18Fp8KVCacheDataTypeE1EhLi32ELi64ELi256ELb1ELi8EEvPKT_PKT0_S7_ifPKiS9_S9_iPKfiiiPfSC_PS2_PT2_iSB_SB_,@function
_Z39paged_attention_ll4mi_QKV_mfma16_kernelIDF16_hLN4vllm18Fp8KVCacheDataTypeE1EhLi32ELi64ELi256ELb1ELi8EEvPKT_PKT0_S7_ifPKiS9_S9_iPKfiiiPfSC_PS2_PT2_iSB_SB_: ; @_Z39paged_attention_ll4mi_QKV_mfma16_kernelIDF16_hLN4vllm18Fp8KVCacheDataTypeE1EhLi32ELi64ELi256ELb1ELi8EEvPKT_PKT0_S7_ifPKiS9_S9_iPKfiiiPfSC_PS2_PT2_iSB_SB_
; %bb.0:
	s_get_pc_i64 s[2:3]
	s_add_nc_u64 s[2:3], s[2:3], __PRETTY_FUNCTION__._Z39paged_attention_ll4mi_QKV_mfma16_kernelIDF16_hLN4vllm18Fp8KVCacheDataTypeE1EhLi32ELi64ELi256ELb1ELi8EEvPKT_PKT0_S7_ifPKiS9_S9_iPKfiiiPfSC_PS2_PT2_iSB_SB_@rel64+4
	s_delay_alu instid0(SALU_CYCLE_1)
	v_dual_mov_b32 v0, 0xbb3 :: v_dual_mov_b32 v1, s2
	v_mov_b32_e32 v2, s3
	s_add_nc_u64 s[8:9], s[0:1], 0x90
	s_get_pc_i64 s[0:1]
	s_add_nc_u64 s[0:1], s[0:1], __assert_fail@rel64+4
	s_mov_b32 s32, 0
	s_swap_pc_i64 s[30:31], s[0:1]
	.section	.rodata,"a",@progbits
	.p2align	6, 0x0
	.amdhsa_kernel _Z39paged_attention_ll4mi_QKV_mfma16_kernelIDF16_hLN4vllm18Fp8KVCacheDataTypeE1EhLi32ELi64ELi256ELb1ELi8EEvPKT_PKT0_S7_ifPKiS9_S9_iPKfiiiPfSC_PS2_PT2_iSB_SB_
		.amdhsa_group_segment_fixed_size 0
		.amdhsa_private_segment_fixed_size 64
		.amdhsa_kernarg_size 400
		.amdhsa_user_sgpr_count 2
		.amdhsa_user_sgpr_dispatch_ptr 0
		.amdhsa_user_sgpr_queue_ptr 0
		.amdhsa_user_sgpr_kernarg_segment_ptr 1
		.amdhsa_user_sgpr_dispatch_id 0
		.amdhsa_user_sgpr_kernarg_preload_length 0
		.amdhsa_user_sgpr_kernarg_preload_offset 0
		.amdhsa_user_sgpr_private_segment_size 0
		.amdhsa_wavefront_size32 1
		.amdhsa_uses_dynamic_stack 0
		.amdhsa_enable_private_segment 1
		.amdhsa_system_sgpr_workgroup_id_x 1
		.amdhsa_system_sgpr_workgroup_id_y 0
		.amdhsa_system_sgpr_workgroup_id_z 0
		.amdhsa_system_sgpr_workgroup_info 0
		.amdhsa_system_vgpr_workitem_id 0
		.amdhsa_next_free_vgpr 51
		.amdhsa_next_free_sgpr 34
		.amdhsa_named_barrier_count 0
		.amdhsa_reserve_vcc 1
		.amdhsa_float_round_mode_32 0
		.amdhsa_float_round_mode_16_64 0
		.amdhsa_float_denorm_mode_32 3
		.amdhsa_float_denorm_mode_16_64 3
		.amdhsa_fp16_overflow 0
		.amdhsa_memory_ordered 1
		.amdhsa_forward_progress 1
		.amdhsa_inst_pref_size 1
		.amdhsa_round_robin_scheduling 0
		.amdhsa_exception_fp_ieee_invalid_op 0
		.amdhsa_exception_fp_denorm_src 0
		.amdhsa_exception_fp_ieee_div_zero 0
		.amdhsa_exception_fp_ieee_overflow 0
		.amdhsa_exception_fp_ieee_underflow 0
		.amdhsa_exception_fp_ieee_inexact 0
		.amdhsa_exception_int_div_zero 0
	.end_amdhsa_kernel
	.section	.text._Z39paged_attention_ll4mi_QKV_mfma16_kernelIDF16_hLN4vllm18Fp8KVCacheDataTypeE1EhLi32ELi64ELi256ELb1ELi8EEvPKT_PKT0_S7_ifPKiS9_S9_iPKfiiiPfSC_PS2_PT2_iSB_SB_,"axG",@progbits,_Z39paged_attention_ll4mi_QKV_mfma16_kernelIDF16_hLN4vllm18Fp8KVCacheDataTypeE1EhLi32ELi64ELi256ELb1ELi8EEvPKT_PKT0_S7_ifPKiS9_S9_iPKfiiiPfSC_PS2_PT2_iSB_SB_,comdat
.Lfunc_end857:
	.size	_Z39paged_attention_ll4mi_QKV_mfma16_kernelIDF16_hLN4vllm18Fp8KVCacheDataTypeE1EhLi32ELi64ELi256ELb1ELi8EEvPKT_PKT0_S7_ifPKiS9_S9_iPKfiiiPfSC_PS2_PT2_iSB_SB_, .Lfunc_end857-_Z39paged_attention_ll4mi_QKV_mfma16_kernelIDF16_hLN4vllm18Fp8KVCacheDataTypeE1EhLi32ELi64ELi256ELb1ELi8EEvPKT_PKT0_S7_ifPKiS9_S9_iPKfiiiPfSC_PS2_PT2_iSB_SB_
                                        ; -- End function
	.set _Z39paged_attention_ll4mi_QKV_mfma16_kernelIDF16_hLN4vllm18Fp8KVCacheDataTypeE1EhLi32ELi64ELi256ELb1ELi8EEvPKT_PKT0_S7_ifPKiS9_S9_iPKfiiiPfSC_PS2_PT2_iSB_SB_.num_vgpr, max(3, .L__assert_fail.num_vgpr)
	.set _Z39paged_attention_ll4mi_QKV_mfma16_kernelIDF16_hLN4vllm18Fp8KVCacheDataTypeE1EhLi32ELi64ELi256ELb1ELi8EEvPKT_PKT0_S7_ifPKiS9_S9_iPKfiiiPfSC_PS2_PT2_iSB_SB_.num_agpr, max(0, .L__assert_fail.num_agpr)
	.set _Z39paged_attention_ll4mi_QKV_mfma16_kernelIDF16_hLN4vllm18Fp8KVCacheDataTypeE1EhLi32ELi64ELi256ELb1ELi8EEvPKT_PKT0_S7_ifPKiS9_S9_iPKfiiiPfSC_PS2_PT2_iSB_SB_.numbered_sgpr, max(33, .L__assert_fail.numbered_sgpr)
	.set _Z39paged_attention_ll4mi_QKV_mfma16_kernelIDF16_hLN4vllm18Fp8KVCacheDataTypeE1EhLi32ELi64ELi256ELb1ELi8EEvPKT_PKT0_S7_ifPKiS9_S9_iPKfiiiPfSC_PS2_PT2_iSB_SB_.num_named_barrier, max(0, .L__assert_fail.num_named_barrier)
	.set _Z39paged_attention_ll4mi_QKV_mfma16_kernelIDF16_hLN4vllm18Fp8KVCacheDataTypeE1EhLi32ELi64ELi256ELb1ELi8EEvPKT_PKT0_S7_ifPKiS9_S9_iPKfiiiPfSC_PS2_PT2_iSB_SB_.private_seg_size, 0+max(.L__assert_fail.private_seg_size)
	.set _Z39paged_attention_ll4mi_QKV_mfma16_kernelIDF16_hLN4vllm18Fp8KVCacheDataTypeE1EhLi32ELi64ELi256ELb1ELi8EEvPKT_PKT0_S7_ifPKiS9_S9_iPKfiiiPfSC_PS2_PT2_iSB_SB_.uses_vcc, or(1, .L__assert_fail.uses_vcc)
	.set _Z39paged_attention_ll4mi_QKV_mfma16_kernelIDF16_hLN4vllm18Fp8KVCacheDataTypeE1EhLi32ELi64ELi256ELb1ELi8EEvPKT_PKT0_S7_ifPKiS9_S9_iPKfiiiPfSC_PS2_PT2_iSB_SB_.uses_flat_scratch, or(0, .L__assert_fail.uses_flat_scratch)
	.set _Z39paged_attention_ll4mi_QKV_mfma16_kernelIDF16_hLN4vllm18Fp8KVCacheDataTypeE1EhLi32ELi64ELi256ELb1ELi8EEvPKT_PKT0_S7_ifPKiS9_S9_iPKfiiiPfSC_PS2_PT2_iSB_SB_.has_dyn_sized_stack, or(0, .L__assert_fail.has_dyn_sized_stack)
	.set _Z39paged_attention_ll4mi_QKV_mfma16_kernelIDF16_hLN4vllm18Fp8KVCacheDataTypeE1EhLi32ELi64ELi256ELb1ELi8EEvPKT_PKT0_S7_ifPKiS9_S9_iPKfiiiPfSC_PS2_PT2_iSB_SB_.has_recursion, or(0, .L__assert_fail.has_recursion)
	.set _Z39paged_attention_ll4mi_QKV_mfma16_kernelIDF16_hLN4vllm18Fp8KVCacheDataTypeE1EhLi32ELi64ELi256ELb1ELi8EEvPKT_PKT0_S7_ifPKiS9_S9_iPKfiiiPfSC_PS2_PT2_iSB_SB_.has_indirect_call, or(0, .L__assert_fail.has_indirect_call)
	.section	.AMDGPU.csdata,"",@progbits
; Kernel info:
; codeLenInByte = 68
; TotalNumSgprs: 36
; NumVgprs: 51
; ScratchSize: 64
; MemoryBound: 0
; FloatMode: 240
; IeeeMode: 1
; LDSByteSize: 0 bytes/workgroup (compile time only)
; SGPRBlocks: 0
; VGPRBlocks: 3
; NumSGPRsForWavesPerEU: 36
; NumVGPRsForWavesPerEU: 51
; NamedBarCnt: 0
; Occupancy: 16
; WaveLimiterHint : 1
; COMPUTE_PGM_RSRC2:SCRATCH_EN: 1
; COMPUTE_PGM_RSRC2:USER_SGPR: 2
; COMPUTE_PGM_RSRC2:TRAP_HANDLER: 0
; COMPUTE_PGM_RSRC2:TGID_X_EN: 1
; COMPUTE_PGM_RSRC2:TGID_Y_EN: 0
; COMPUTE_PGM_RSRC2:TGID_Z_EN: 0
; COMPUTE_PGM_RSRC2:TIDIG_COMP_CNT: 0
	.section	.text._Z39paged_attention_ll4mi_QKV_mfma16_kernelIDF16_hLN4vllm18Fp8KVCacheDataTypeE1EhLi32ELi64ELi256ELb1ELi9EEvPKT_PKT0_S7_ifPKiS9_S9_iPKfiiiPfSC_PS2_PT2_iSB_SB_,"axG",@progbits,_Z39paged_attention_ll4mi_QKV_mfma16_kernelIDF16_hLN4vllm18Fp8KVCacheDataTypeE1EhLi32ELi64ELi256ELb1ELi9EEvPKT_PKT0_S7_ifPKiS9_S9_iPKfiiiPfSC_PS2_PT2_iSB_SB_,comdat
	.protected	_Z39paged_attention_ll4mi_QKV_mfma16_kernelIDF16_hLN4vllm18Fp8KVCacheDataTypeE1EhLi32ELi64ELi256ELb1ELi9EEvPKT_PKT0_S7_ifPKiS9_S9_iPKfiiiPfSC_PS2_PT2_iSB_SB_ ; -- Begin function _Z39paged_attention_ll4mi_QKV_mfma16_kernelIDF16_hLN4vllm18Fp8KVCacheDataTypeE1EhLi32ELi64ELi256ELb1ELi9EEvPKT_PKT0_S7_ifPKiS9_S9_iPKfiiiPfSC_PS2_PT2_iSB_SB_
	.globl	_Z39paged_attention_ll4mi_QKV_mfma16_kernelIDF16_hLN4vllm18Fp8KVCacheDataTypeE1EhLi32ELi64ELi256ELb1ELi9EEvPKT_PKT0_S7_ifPKiS9_S9_iPKfiiiPfSC_PS2_PT2_iSB_SB_
	.p2align	8
	.type	_Z39paged_attention_ll4mi_QKV_mfma16_kernelIDF16_hLN4vllm18Fp8KVCacheDataTypeE1EhLi32ELi64ELi256ELb1ELi9EEvPKT_PKT0_S7_ifPKiS9_S9_iPKfiiiPfSC_PS2_PT2_iSB_SB_,@function
_Z39paged_attention_ll4mi_QKV_mfma16_kernelIDF16_hLN4vllm18Fp8KVCacheDataTypeE1EhLi32ELi64ELi256ELb1ELi9EEvPKT_PKT0_S7_ifPKiS9_S9_iPKfiiiPfSC_PS2_PT2_iSB_SB_: ; @_Z39paged_attention_ll4mi_QKV_mfma16_kernelIDF16_hLN4vllm18Fp8KVCacheDataTypeE1EhLi32ELi64ELi256ELb1ELi9EEvPKT_PKT0_S7_ifPKiS9_S9_iPKfiiiPfSC_PS2_PT2_iSB_SB_
; %bb.0:
	s_get_pc_i64 s[2:3]
	s_add_nc_u64 s[2:3], s[2:3], __PRETTY_FUNCTION__._Z39paged_attention_ll4mi_QKV_mfma16_kernelIDF16_hLN4vllm18Fp8KVCacheDataTypeE1EhLi32ELi64ELi256ELb1ELi9EEvPKT_PKT0_S7_ifPKiS9_S9_iPKfiiiPfSC_PS2_PT2_iSB_SB_@rel64+4
	s_delay_alu instid0(SALU_CYCLE_1)
	v_dual_mov_b32 v0, 0xbb3 :: v_dual_mov_b32 v1, s2
	v_mov_b32_e32 v2, s3
	s_add_nc_u64 s[8:9], s[0:1], 0x90
	s_get_pc_i64 s[0:1]
	s_add_nc_u64 s[0:1], s[0:1], __assert_fail@rel64+4
	s_mov_b32 s32, 0
	s_swap_pc_i64 s[30:31], s[0:1]
	.section	.rodata,"a",@progbits
	.p2align	6, 0x0
	.amdhsa_kernel _Z39paged_attention_ll4mi_QKV_mfma16_kernelIDF16_hLN4vllm18Fp8KVCacheDataTypeE1EhLi32ELi64ELi256ELb1ELi9EEvPKT_PKT0_S7_ifPKiS9_S9_iPKfiiiPfSC_PS2_PT2_iSB_SB_
		.amdhsa_group_segment_fixed_size 0
		.amdhsa_private_segment_fixed_size 64
		.amdhsa_kernarg_size 400
		.amdhsa_user_sgpr_count 2
		.amdhsa_user_sgpr_dispatch_ptr 0
		.amdhsa_user_sgpr_queue_ptr 0
		.amdhsa_user_sgpr_kernarg_segment_ptr 1
		.amdhsa_user_sgpr_dispatch_id 0
		.amdhsa_user_sgpr_kernarg_preload_length 0
		.amdhsa_user_sgpr_kernarg_preload_offset 0
		.amdhsa_user_sgpr_private_segment_size 0
		.amdhsa_wavefront_size32 1
		.amdhsa_uses_dynamic_stack 0
		.amdhsa_enable_private_segment 1
		.amdhsa_system_sgpr_workgroup_id_x 1
		.amdhsa_system_sgpr_workgroup_id_y 0
		.amdhsa_system_sgpr_workgroup_id_z 0
		.amdhsa_system_sgpr_workgroup_info 0
		.amdhsa_system_vgpr_workitem_id 0
		.amdhsa_next_free_vgpr 51
		.amdhsa_next_free_sgpr 34
		.amdhsa_named_barrier_count 0
		.amdhsa_reserve_vcc 1
		.amdhsa_float_round_mode_32 0
		.amdhsa_float_round_mode_16_64 0
		.amdhsa_float_denorm_mode_32 3
		.amdhsa_float_denorm_mode_16_64 3
		.amdhsa_fp16_overflow 0
		.amdhsa_memory_ordered 1
		.amdhsa_forward_progress 1
		.amdhsa_inst_pref_size 1
		.amdhsa_round_robin_scheduling 0
		.amdhsa_exception_fp_ieee_invalid_op 0
		.amdhsa_exception_fp_denorm_src 0
		.amdhsa_exception_fp_ieee_div_zero 0
		.amdhsa_exception_fp_ieee_overflow 0
		.amdhsa_exception_fp_ieee_underflow 0
		.amdhsa_exception_fp_ieee_inexact 0
		.amdhsa_exception_int_div_zero 0
	.end_amdhsa_kernel
	.section	.text._Z39paged_attention_ll4mi_QKV_mfma16_kernelIDF16_hLN4vllm18Fp8KVCacheDataTypeE1EhLi32ELi64ELi256ELb1ELi9EEvPKT_PKT0_S7_ifPKiS9_S9_iPKfiiiPfSC_PS2_PT2_iSB_SB_,"axG",@progbits,_Z39paged_attention_ll4mi_QKV_mfma16_kernelIDF16_hLN4vllm18Fp8KVCacheDataTypeE1EhLi32ELi64ELi256ELb1ELi9EEvPKT_PKT0_S7_ifPKiS9_S9_iPKfiiiPfSC_PS2_PT2_iSB_SB_,comdat
.Lfunc_end858:
	.size	_Z39paged_attention_ll4mi_QKV_mfma16_kernelIDF16_hLN4vllm18Fp8KVCacheDataTypeE1EhLi32ELi64ELi256ELb1ELi9EEvPKT_PKT0_S7_ifPKiS9_S9_iPKfiiiPfSC_PS2_PT2_iSB_SB_, .Lfunc_end858-_Z39paged_attention_ll4mi_QKV_mfma16_kernelIDF16_hLN4vllm18Fp8KVCacheDataTypeE1EhLi32ELi64ELi256ELb1ELi9EEvPKT_PKT0_S7_ifPKiS9_S9_iPKfiiiPfSC_PS2_PT2_iSB_SB_
                                        ; -- End function
	.set _Z39paged_attention_ll4mi_QKV_mfma16_kernelIDF16_hLN4vllm18Fp8KVCacheDataTypeE1EhLi32ELi64ELi256ELb1ELi9EEvPKT_PKT0_S7_ifPKiS9_S9_iPKfiiiPfSC_PS2_PT2_iSB_SB_.num_vgpr, max(3, .L__assert_fail.num_vgpr)
	.set _Z39paged_attention_ll4mi_QKV_mfma16_kernelIDF16_hLN4vllm18Fp8KVCacheDataTypeE1EhLi32ELi64ELi256ELb1ELi9EEvPKT_PKT0_S7_ifPKiS9_S9_iPKfiiiPfSC_PS2_PT2_iSB_SB_.num_agpr, max(0, .L__assert_fail.num_agpr)
	.set _Z39paged_attention_ll4mi_QKV_mfma16_kernelIDF16_hLN4vllm18Fp8KVCacheDataTypeE1EhLi32ELi64ELi256ELb1ELi9EEvPKT_PKT0_S7_ifPKiS9_S9_iPKfiiiPfSC_PS2_PT2_iSB_SB_.numbered_sgpr, max(33, .L__assert_fail.numbered_sgpr)
	.set _Z39paged_attention_ll4mi_QKV_mfma16_kernelIDF16_hLN4vllm18Fp8KVCacheDataTypeE1EhLi32ELi64ELi256ELb1ELi9EEvPKT_PKT0_S7_ifPKiS9_S9_iPKfiiiPfSC_PS2_PT2_iSB_SB_.num_named_barrier, max(0, .L__assert_fail.num_named_barrier)
	.set _Z39paged_attention_ll4mi_QKV_mfma16_kernelIDF16_hLN4vllm18Fp8KVCacheDataTypeE1EhLi32ELi64ELi256ELb1ELi9EEvPKT_PKT0_S7_ifPKiS9_S9_iPKfiiiPfSC_PS2_PT2_iSB_SB_.private_seg_size, 0+max(.L__assert_fail.private_seg_size)
	.set _Z39paged_attention_ll4mi_QKV_mfma16_kernelIDF16_hLN4vllm18Fp8KVCacheDataTypeE1EhLi32ELi64ELi256ELb1ELi9EEvPKT_PKT0_S7_ifPKiS9_S9_iPKfiiiPfSC_PS2_PT2_iSB_SB_.uses_vcc, or(1, .L__assert_fail.uses_vcc)
	.set _Z39paged_attention_ll4mi_QKV_mfma16_kernelIDF16_hLN4vllm18Fp8KVCacheDataTypeE1EhLi32ELi64ELi256ELb1ELi9EEvPKT_PKT0_S7_ifPKiS9_S9_iPKfiiiPfSC_PS2_PT2_iSB_SB_.uses_flat_scratch, or(0, .L__assert_fail.uses_flat_scratch)
	.set _Z39paged_attention_ll4mi_QKV_mfma16_kernelIDF16_hLN4vllm18Fp8KVCacheDataTypeE1EhLi32ELi64ELi256ELb1ELi9EEvPKT_PKT0_S7_ifPKiS9_S9_iPKfiiiPfSC_PS2_PT2_iSB_SB_.has_dyn_sized_stack, or(0, .L__assert_fail.has_dyn_sized_stack)
	.set _Z39paged_attention_ll4mi_QKV_mfma16_kernelIDF16_hLN4vllm18Fp8KVCacheDataTypeE1EhLi32ELi64ELi256ELb1ELi9EEvPKT_PKT0_S7_ifPKiS9_S9_iPKfiiiPfSC_PS2_PT2_iSB_SB_.has_recursion, or(0, .L__assert_fail.has_recursion)
	.set _Z39paged_attention_ll4mi_QKV_mfma16_kernelIDF16_hLN4vllm18Fp8KVCacheDataTypeE1EhLi32ELi64ELi256ELb1ELi9EEvPKT_PKT0_S7_ifPKiS9_S9_iPKfiiiPfSC_PS2_PT2_iSB_SB_.has_indirect_call, or(0, .L__assert_fail.has_indirect_call)
	.section	.AMDGPU.csdata,"",@progbits
; Kernel info:
; codeLenInByte = 68
; TotalNumSgprs: 36
; NumVgprs: 51
; ScratchSize: 64
; MemoryBound: 0
; FloatMode: 240
; IeeeMode: 1
; LDSByteSize: 0 bytes/workgroup (compile time only)
; SGPRBlocks: 0
; VGPRBlocks: 3
; NumSGPRsForWavesPerEU: 36
; NumVGPRsForWavesPerEU: 51
; NamedBarCnt: 0
; Occupancy: 16
; WaveLimiterHint : 1
; COMPUTE_PGM_RSRC2:SCRATCH_EN: 1
; COMPUTE_PGM_RSRC2:USER_SGPR: 2
; COMPUTE_PGM_RSRC2:TRAP_HANDLER: 0
; COMPUTE_PGM_RSRC2:TGID_X_EN: 1
; COMPUTE_PGM_RSRC2:TGID_Y_EN: 0
; COMPUTE_PGM_RSRC2:TGID_Z_EN: 0
; COMPUTE_PGM_RSRC2:TIDIG_COMP_CNT: 0
	.section	.text._Z39paged_attention_ll4mi_QKV_mfma16_kernelIDF16_hLN4vllm18Fp8KVCacheDataTypeE1EhLi32ELi64ELi256ELb1ELi10EEvPKT_PKT0_S7_ifPKiS9_S9_iPKfiiiPfSC_PS2_PT2_iSB_SB_,"axG",@progbits,_Z39paged_attention_ll4mi_QKV_mfma16_kernelIDF16_hLN4vllm18Fp8KVCacheDataTypeE1EhLi32ELi64ELi256ELb1ELi10EEvPKT_PKT0_S7_ifPKiS9_S9_iPKfiiiPfSC_PS2_PT2_iSB_SB_,comdat
	.protected	_Z39paged_attention_ll4mi_QKV_mfma16_kernelIDF16_hLN4vllm18Fp8KVCacheDataTypeE1EhLi32ELi64ELi256ELb1ELi10EEvPKT_PKT0_S7_ifPKiS9_S9_iPKfiiiPfSC_PS2_PT2_iSB_SB_ ; -- Begin function _Z39paged_attention_ll4mi_QKV_mfma16_kernelIDF16_hLN4vllm18Fp8KVCacheDataTypeE1EhLi32ELi64ELi256ELb1ELi10EEvPKT_PKT0_S7_ifPKiS9_S9_iPKfiiiPfSC_PS2_PT2_iSB_SB_
	.globl	_Z39paged_attention_ll4mi_QKV_mfma16_kernelIDF16_hLN4vllm18Fp8KVCacheDataTypeE1EhLi32ELi64ELi256ELb1ELi10EEvPKT_PKT0_S7_ifPKiS9_S9_iPKfiiiPfSC_PS2_PT2_iSB_SB_
	.p2align	8
	.type	_Z39paged_attention_ll4mi_QKV_mfma16_kernelIDF16_hLN4vllm18Fp8KVCacheDataTypeE1EhLi32ELi64ELi256ELb1ELi10EEvPKT_PKT0_S7_ifPKiS9_S9_iPKfiiiPfSC_PS2_PT2_iSB_SB_,@function
_Z39paged_attention_ll4mi_QKV_mfma16_kernelIDF16_hLN4vllm18Fp8KVCacheDataTypeE1EhLi32ELi64ELi256ELb1ELi10EEvPKT_PKT0_S7_ifPKiS9_S9_iPKfiiiPfSC_PS2_PT2_iSB_SB_: ; @_Z39paged_attention_ll4mi_QKV_mfma16_kernelIDF16_hLN4vllm18Fp8KVCacheDataTypeE1EhLi32ELi64ELi256ELb1ELi10EEvPKT_PKT0_S7_ifPKiS9_S9_iPKfiiiPfSC_PS2_PT2_iSB_SB_
; %bb.0:
	s_get_pc_i64 s[2:3]
	s_add_nc_u64 s[2:3], s[2:3], __PRETTY_FUNCTION__._Z39paged_attention_ll4mi_QKV_mfma16_kernelIDF16_hLN4vllm18Fp8KVCacheDataTypeE1EhLi32ELi64ELi256ELb1ELi10EEvPKT_PKT0_S7_ifPKiS9_S9_iPKfiiiPfSC_PS2_PT2_iSB_SB_@rel64+4
	s_delay_alu instid0(SALU_CYCLE_1)
	v_dual_mov_b32 v0, 0xbb3 :: v_dual_mov_b32 v1, s2
	v_mov_b32_e32 v2, s3
	s_add_nc_u64 s[8:9], s[0:1], 0x90
	s_get_pc_i64 s[0:1]
	s_add_nc_u64 s[0:1], s[0:1], __assert_fail@rel64+4
	s_mov_b32 s32, 0
	s_swap_pc_i64 s[30:31], s[0:1]
	.section	.rodata,"a",@progbits
	.p2align	6, 0x0
	.amdhsa_kernel _Z39paged_attention_ll4mi_QKV_mfma16_kernelIDF16_hLN4vllm18Fp8KVCacheDataTypeE1EhLi32ELi64ELi256ELb1ELi10EEvPKT_PKT0_S7_ifPKiS9_S9_iPKfiiiPfSC_PS2_PT2_iSB_SB_
		.amdhsa_group_segment_fixed_size 0
		.amdhsa_private_segment_fixed_size 64
		.amdhsa_kernarg_size 400
		.amdhsa_user_sgpr_count 2
		.amdhsa_user_sgpr_dispatch_ptr 0
		.amdhsa_user_sgpr_queue_ptr 0
		.amdhsa_user_sgpr_kernarg_segment_ptr 1
		.amdhsa_user_sgpr_dispatch_id 0
		.amdhsa_user_sgpr_kernarg_preload_length 0
		.amdhsa_user_sgpr_kernarg_preload_offset 0
		.amdhsa_user_sgpr_private_segment_size 0
		.amdhsa_wavefront_size32 1
		.amdhsa_uses_dynamic_stack 0
		.amdhsa_enable_private_segment 1
		.amdhsa_system_sgpr_workgroup_id_x 1
		.amdhsa_system_sgpr_workgroup_id_y 0
		.amdhsa_system_sgpr_workgroup_id_z 0
		.amdhsa_system_sgpr_workgroup_info 0
		.amdhsa_system_vgpr_workitem_id 0
		.amdhsa_next_free_vgpr 51
		.amdhsa_next_free_sgpr 34
		.amdhsa_named_barrier_count 0
		.amdhsa_reserve_vcc 1
		.amdhsa_float_round_mode_32 0
		.amdhsa_float_round_mode_16_64 0
		.amdhsa_float_denorm_mode_32 3
		.amdhsa_float_denorm_mode_16_64 3
		.amdhsa_fp16_overflow 0
		.amdhsa_memory_ordered 1
		.amdhsa_forward_progress 1
		.amdhsa_inst_pref_size 1
		.amdhsa_round_robin_scheduling 0
		.amdhsa_exception_fp_ieee_invalid_op 0
		.amdhsa_exception_fp_denorm_src 0
		.amdhsa_exception_fp_ieee_div_zero 0
		.amdhsa_exception_fp_ieee_overflow 0
		.amdhsa_exception_fp_ieee_underflow 0
		.amdhsa_exception_fp_ieee_inexact 0
		.amdhsa_exception_int_div_zero 0
	.end_amdhsa_kernel
	.section	.text._Z39paged_attention_ll4mi_QKV_mfma16_kernelIDF16_hLN4vllm18Fp8KVCacheDataTypeE1EhLi32ELi64ELi256ELb1ELi10EEvPKT_PKT0_S7_ifPKiS9_S9_iPKfiiiPfSC_PS2_PT2_iSB_SB_,"axG",@progbits,_Z39paged_attention_ll4mi_QKV_mfma16_kernelIDF16_hLN4vllm18Fp8KVCacheDataTypeE1EhLi32ELi64ELi256ELb1ELi10EEvPKT_PKT0_S7_ifPKiS9_S9_iPKfiiiPfSC_PS2_PT2_iSB_SB_,comdat
.Lfunc_end859:
	.size	_Z39paged_attention_ll4mi_QKV_mfma16_kernelIDF16_hLN4vllm18Fp8KVCacheDataTypeE1EhLi32ELi64ELi256ELb1ELi10EEvPKT_PKT0_S7_ifPKiS9_S9_iPKfiiiPfSC_PS2_PT2_iSB_SB_, .Lfunc_end859-_Z39paged_attention_ll4mi_QKV_mfma16_kernelIDF16_hLN4vllm18Fp8KVCacheDataTypeE1EhLi32ELi64ELi256ELb1ELi10EEvPKT_PKT0_S7_ifPKiS9_S9_iPKfiiiPfSC_PS2_PT2_iSB_SB_
                                        ; -- End function
	.set _Z39paged_attention_ll4mi_QKV_mfma16_kernelIDF16_hLN4vllm18Fp8KVCacheDataTypeE1EhLi32ELi64ELi256ELb1ELi10EEvPKT_PKT0_S7_ifPKiS9_S9_iPKfiiiPfSC_PS2_PT2_iSB_SB_.num_vgpr, max(3, .L__assert_fail.num_vgpr)
	.set _Z39paged_attention_ll4mi_QKV_mfma16_kernelIDF16_hLN4vllm18Fp8KVCacheDataTypeE1EhLi32ELi64ELi256ELb1ELi10EEvPKT_PKT0_S7_ifPKiS9_S9_iPKfiiiPfSC_PS2_PT2_iSB_SB_.num_agpr, max(0, .L__assert_fail.num_agpr)
	.set _Z39paged_attention_ll4mi_QKV_mfma16_kernelIDF16_hLN4vllm18Fp8KVCacheDataTypeE1EhLi32ELi64ELi256ELb1ELi10EEvPKT_PKT0_S7_ifPKiS9_S9_iPKfiiiPfSC_PS2_PT2_iSB_SB_.numbered_sgpr, max(33, .L__assert_fail.numbered_sgpr)
	.set _Z39paged_attention_ll4mi_QKV_mfma16_kernelIDF16_hLN4vllm18Fp8KVCacheDataTypeE1EhLi32ELi64ELi256ELb1ELi10EEvPKT_PKT0_S7_ifPKiS9_S9_iPKfiiiPfSC_PS2_PT2_iSB_SB_.num_named_barrier, max(0, .L__assert_fail.num_named_barrier)
	.set _Z39paged_attention_ll4mi_QKV_mfma16_kernelIDF16_hLN4vllm18Fp8KVCacheDataTypeE1EhLi32ELi64ELi256ELb1ELi10EEvPKT_PKT0_S7_ifPKiS9_S9_iPKfiiiPfSC_PS2_PT2_iSB_SB_.private_seg_size, 0+max(.L__assert_fail.private_seg_size)
	.set _Z39paged_attention_ll4mi_QKV_mfma16_kernelIDF16_hLN4vllm18Fp8KVCacheDataTypeE1EhLi32ELi64ELi256ELb1ELi10EEvPKT_PKT0_S7_ifPKiS9_S9_iPKfiiiPfSC_PS2_PT2_iSB_SB_.uses_vcc, or(1, .L__assert_fail.uses_vcc)
	.set _Z39paged_attention_ll4mi_QKV_mfma16_kernelIDF16_hLN4vllm18Fp8KVCacheDataTypeE1EhLi32ELi64ELi256ELb1ELi10EEvPKT_PKT0_S7_ifPKiS9_S9_iPKfiiiPfSC_PS2_PT2_iSB_SB_.uses_flat_scratch, or(0, .L__assert_fail.uses_flat_scratch)
	.set _Z39paged_attention_ll4mi_QKV_mfma16_kernelIDF16_hLN4vllm18Fp8KVCacheDataTypeE1EhLi32ELi64ELi256ELb1ELi10EEvPKT_PKT0_S7_ifPKiS9_S9_iPKfiiiPfSC_PS2_PT2_iSB_SB_.has_dyn_sized_stack, or(0, .L__assert_fail.has_dyn_sized_stack)
	.set _Z39paged_attention_ll4mi_QKV_mfma16_kernelIDF16_hLN4vllm18Fp8KVCacheDataTypeE1EhLi32ELi64ELi256ELb1ELi10EEvPKT_PKT0_S7_ifPKiS9_S9_iPKfiiiPfSC_PS2_PT2_iSB_SB_.has_recursion, or(0, .L__assert_fail.has_recursion)
	.set _Z39paged_attention_ll4mi_QKV_mfma16_kernelIDF16_hLN4vllm18Fp8KVCacheDataTypeE1EhLi32ELi64ELi256ELb1ELi10EEvPKT_PKT0_S7_ifPKiS9_S9_iPKfiiiPfSC_PS2_PT2_iSB_SB_.has_indirect_call, or(0, .L__assert_fail.has_indirect_call)
	.section	.AMDGPU.csdata,"",@progbits
; Kernel info:
; codeLenInByte = 68
; TotalNumSgprs: 36
; NumVgprs: 51
; ScratchSize: 64
; MemoryBound: 0
; FloatMode: 240
; IeeeMode: 1
; LDSByteSize: 0 bytes/workgroup (compile time only)
; SGPRBlocks: 0
; VGPRBlocks: 3
; NumSGPRsForWavesPerEU: 36
; NumVGPRsForWavesPerEU: 51
; NamedBarCnt: 0
; Occupancy: 16
; WaveLimiterHint : 1
; COMPUTE_PGM_RSRC2:SCRATCH_EN: 1
; COMPUTE_PGM_RSRC2:USER_SGPR: 2
; COMPUTE_PGM_RSRC2:TRAP_HANDLER: 0
; COMPUTE_PGM_RSRC2:TGID_X_EN: 1
; COMPUTE_PGM_RSRC2:TGID_Y_EN: 0
; COMPUTE_PGM_RSRC2:TGID_Z_EN: 0
; COMPUTE_PGM_RSRC2:TIDIG_COMP_CNT: 0
	.section	.text._Z39paged_attention_ll4mi_QKV_mfma16_kernelIDF16_hLN4vllm18Fp8KVCacheDataTypeE1EhLi32ELi64ELi256ELb1ELi11EEvPKT_PKT0_S7_ifPKiS9_S9_iPKfiiiPfSC_PS2_PT2_iSB_SB_,"axG",@progbits,_Z39paged_attention_ll4mi_QKV_mfma16_kernelIDF16_hLN4vllm18Fp8KVCacheDataTypeE1EhLi32ELi64ELi256ELb1ELi11EEvPKT_PKT0_S7_ifPKiS9_S9_iPKfiiiPfSC_PS2_PT2_iSB_SB_,comdat
	.protected	_Z39paged_attention_ll4mi_QKV_mfma16_kernelIDF16_hLN4vllm18Fp8KVCacheDataTypeE1EhLi32ELi64ELi256ELb1ELi11EEvPKT_PKT0_S7_ifPKiS9_S9_iPKfiiiPfSC_PS2_PT2_iSB_SB_ ; -- Begin function _Z39paged_attention_ll4mi_QKV_mfma16_kernelIDF16_hLN4vllm18Fp8KVCacheDataTypeE1EhLi32ELi64ELi256ELb1ELi11EEvPKT_PKT0_S7_ifPKiS9_S9_iPKfiiiPfSC_PS2_PT2_iSB_SB_
	.globl	_Z39paged_attention_ll4mi_QKV_mfma16_kernelIDF16_hLN4vllm18Fp8KVCacheDataTypeE1EhLi32ELi64ELi256ELb1ELi11EEvPKT_PKT0_S7_ifPKiS9_S9_iPKfiiiPfSC_PS2_PT2_iSB_SB_
	.p2align	8
	.type	_Z39paged_attention_ll4mi_QKV_mfma16_kernelIDF16_hLN4vllm18Fp8KVCacheDataTypeE1EhLi32ELi64ELi256ELb1ELi11EEvPKT_PKT0_S7_ifPKiS9_S9_iPKfiiiPfSC_PS2_PT2_iSB_SB_,@function
_Z39paged_attention_ll4mi_QKV_mfma16_kernelIDF16_hLN4vllm18Fp8KVCacheDataTypeE1EhLi32ELi64ELi256ELb1ELi11EEvPKT_PKT0_S7_ifPKiS9_S9_iPKfiiiPfSC_PS2_PT2_iSB_SB_: ; @_Z39paged_attention_ll4mi_QKV_mfma16_kernelIDF16_hLN4vllm18Fp8KVCacheDataTypeE1EhLi32ELi64ELi256ELb1ELi11EEvPKT_PKT0_S7_ifPKiS9_S9_iPKfiiiPfSC_PS2_PT2_iSB_SB_
; %bb.0:
	s_get_pc_i64 s[2:3]
	s_add_nc_u64 s[2:3], s[2:3], __PRETTY_FUNCTION__._Z39paged_attention_ll4mi_QKV_mfma16_kernelIDF16_hLN4vllm18Fp8KVCacheDataTypeE1EhLi32ELi64ELi256ELb1ELi11EEvPKT_PKT0_S7_ifPKiS9_S9_iPKfiiiPfSC_PS2_PT2_iSB_SB_@rel64+4
	s_delay_alu instid0(SALU_CYCLE_1)
	v_dual_mov_b32 v0, 0xbb3 :: v_dual_mov_b32 v1, s2
	v_mov_b32_e32 v2, s3
	s_add_nc_u64 s[8:9], s[0:1], 0x90
	s_get_pc_i64 s[0:1]
	s_add_nc_u64 s[0:1], s[0:1], __assert_fail@rel64+4
	s_mov_b32 s32, 0
	s_swap_pc_i64 s[30:31], s[0:1]
	.section	.rodata,"a",@progbits
	.p2align	6, 0x0
	.amdhsa_kernel _Z39paged_attention_ll4mi_QKV_mfma16_kernelIDF16_hLN4vllm18Fp8KVCacheDataTypeE1EhLi32ELi64ELi256ELb1ELi11EEvPKT_PKT0_S7_ifPKiS9_S9_iPKfiiiPfSC_PS2_PT2_iSB_SB_
		.amdhsa_group_segment_fixed_size 0
		.amdhsa_private_segment_fixed_size 64
		.amdhsa_kernarg_size 400
		.amdhsa_user_sgpr_count 2
		.amdhsa_user_sgpr_dispatch_ptr 0
		.amdhsa_user_sgpr_queue_ptr 0
		.amdhsa_user_sgpr_kernarg_segment_ptr 1
		.amdhsa_user_sgpr_dispatch_id 0
		.amdhsa_user_sgpr_kernarg_preload_length 0
		.amdhsa_user_sgpr_kernarg_preload_offset 0
		.amdhsa_user_sgpr_private_segment_size 0
		.amdhsa_wavefront_size32 1
		.amdhsa_uses_dynamic_stack 0
		.amdhsa_enable_private_segment 1
		.amdhsa_system_sgpr_workgroup_id_x 1
		.amdhsa_system_sgpr_workgroup_id_y 0
		.amdhsa_system_sgpr_workgroup_id_z 0
		.amdhsa_system_sgpr_workgroup_info 0
		.amdhsa_system_vgpr_workitem_id 0
		.amdhsa_next_free_vgpr 51
		.amdhsa_next_free_sgpr 34
		.amdhsa_named_barrier_count 0
		.amdhsa_reserve_vcc 1
		.amdhsa_float_round_mode_32 0
		.amdhsa_float_round_mode_16_64 0
		.amdhsa_float_denorm_mode_32 3
		.amdhsa_float_denorm_mode_16_64 3
		.amdhsa_fp16_overflow 0
		.amdhsa_memory_ordered 1
		.amdhsa_forward_progress 1
		.amdhsa_inst_pref_size 1
		.amdhsa_round_robin_scheduling 0
		.amdhsa_exception_fp_ieee_invalid_op 0
		.amdhsa_exception_fp_denorm_src 0
		.amdhsa_exception_fp_ieee_div_zero 0
		.amdhsa_exception_fp_ieee_overflow 0
		.amdhsa_exception_fp_ieee_underflow 0
		.amdhsa_exception_fp_ieee_inexact 0
		.amdhsa_exception_int_div_zero 0
	.end_amdhsa_kernel
	.section	.text._Z39paged_attention_ll4mi_QKV_mfma16_kernelIDF16_hLN4vllm18Fp8KVCacheDataTypeE1EhLi32ELi64ELi256ELb1ELi11EEvPKT_PKT0_S7_ifPKiS9_S9_iPKfiiiPfSC_PS2_PT2_iSB_SB_,"axG",@progbits,_Z39paged_attention_ll4mi_QKV_mfma16_kernelIDF16_hLN4vllm18Fp8KVCacheDataTypeE1EhLi32ELi64ELi256ELb1ELi11EEvPKT_PKT0_S7_ifPKiS9_S9_iPKfiiiPfSC_PS2_PT2_iSB_SB_,comdat
.Lfunc_end860:
	.size	_Z39paged_attention_ll4mi_QKV_mfma16_kernelIDF16_hLN4vllm18Fp8KVCacheDataTypeE1EhLi32ELi64ELi256ELb1ELi11EEvPKT_PKT0_S7_ifPKiS9_S9_iPKfiiiPfSC_PS2_PT2_iSB_SB_, .Lfunc_end860-_Z39paged_attention_ll4mi_QKV_mfma16_kernelIDF16_hLN4vllm18Fp8KVCacheDataTypeE1EhLi32ELi64ELi256ELb1ELi11EEvPKT_PKT0_S7_ifPKiS9_S9_iPKfiiiPfSC_PS2_PT2_iSB_SB_
                                        ; -- End function
	.set _Z39paged_attention_ll4mi_QKV_mfma16_kernelIDF16_hLN4vllm18Fp8KVCacheDataTypeE1EhLi32ELi64ELi256ELb1ELi11EEvPKT_PKT0_S7_ifPKiS9_S9_iPKfiiiPfSC_PS2_PT2_iSB_SB_.num_vgpr, max(3, .L__assert_fail.num_vgpr)
	.set _Z39paged_attention_ll4mi_QKV_mfma16_kernelIDF16_hLN4vllm18Fp8KVCacheDataTypeE1EhLi32ELi64ELi256ELb1ELi11EEvPKT_PKT0_S7_ifPKiS9_S9_iPKfiiiPfSC_PS2_PT2_iSB_SB_.num_agpr, max(0, .L__assert_fail.num_agpr)
	.set _Z39paged_attention_ll4mi_QKV_mfma16_kernelIDF16_hLN4vllm18Fp8KVCacheDataTypeE1EhLi32ELi64ELi256ELb1ELi11EEvPKT_PKT0_S7_ifPKiS9_S9_iPKfiiiPfSC_PS2_PT2_iSB_SB_.numbered_sgpr, max(33, .L__assert_fail.numbered_sgpr)
	.set _Z39paged_attention_ll4mi_QKV_mfma16_kernelIDF16_hLN4vllm18Fp8KVCacheDataTypeE1EhLi32ELi64ELi256ELb1ELi11EEvPKT_PKT0_S7_ifPKiS9_S9_iPKfiiiPfSC_PS2_PT2_iSB_SB_.num_named_barrier, max(0, .L__assert_fail.num_named_barrier)
	.set _Z39paged_attention_ll4mi_QKV_mfma16_kernelIDF16_hLN4vllm18Fp8KVCacheDataTypeE1EhLi32ELi64ELi256ELb1ELi11EEvPKT_PKT0_S7_ifPKiS9_S9_iPKfiiiPfSC_PS2_PT2_iSB_SB_.private_seg_size, 0+max(.L__assert_fail.private_seg_size)
	.set _Z39paged_attention_ll4mi_QKV_mfma16_kernelIDF16_hLN4vllm18Fp8KVCacheDataTypeE1EhLi32ELi64ELi256ELb1ELi11EEvPKT_PKT0_S7_ifPKiS9_S9_iPKfiiiPfSC_PS2_PT2_iSB_SB_.uses_vcc, or(1, .L__assert_fail.uses_vcc)
	.set _Z39paged_attention_ll4mi_QKV_mfma16_kernelIDF16_hLN4vllm18Fp8KVCacheDataTypeE1EhLi32ELi64ELi256ELb1ELi11EEvPKT_PKT0_S7_ifPKiS9_S9_iPKfiiiPfSC_PS2_PT2_iSB_SB_.uses_flat_scratch, or(0, .L__assert_fail.uses_flat_scratch)
	.set _Z39paged_attention_ll4mi_QKV_mfma16_kernelIDF16_hLN4vllm18Fp8KVCacheDataTypeE1EhLi32ELi64ELi256ELb1ELi11EEvPKT_PKT0_S7_ifPKiS9_S9_iPKfiiiPfSC_PS2_PT2_iSB_SB_.has_dyn_sized_stack, or(0, .L__assert_fail.has_dyn_sized_stack)
	.set _Z39paged_attention_ll4mi_QKV_mfma16_kernelIDF16_hLN4vllm18Fp8KVCacheDataTypeE1EhLi32ELi64ELi256ELb1ELi11EEvPKT_PKT0_S7_ifPKiS9_S9_iPKfiiiPfSC_PS2_PT2_iSB_SB_.has_recursion, or(0, .L__assert_fail.has_recursion)
	.set _Z39paged_attention_ll4mi_QKV_mfma16_kernelIDF16_hLN4vllm18Fp8KVCacheDataTypeE1EhLi32ELi64ELi256ELb1ELi11EEvPKT_PKT0_S7_ifPKiS9_S9_iPKfiiiPfSC_PS2_PT2_iSB_SB_.has_indirect_call, or(0, .L__assert_fail.has_indirect_call)
	.section	.AMDGPU.csdata,"",@progbits
; Kernel info:
; codeLenInByte = 68
; TotalNumSgprs: 36
; NumVgprs: 51
; ScratchSize: 64
; MemoryBound: 0
; FloatMode: 240
; IeeeMode: 1
; LDSByteSize: 0 bytes/workgroup (compile time only)
; SGPRBlocks: 0
; VGPRBlocks: 3
; NumSGPRsForWavesPerEU: 36
; NumVGPRsForWavesPerEU: 51
; NamedBarCnt: 0
; Occupancy: 16
; WaveLimiterHint : 1
; COMPUTE_PGM_RSRC2:SCRATCH_EN: 1
; COMPUTE_PGM_RSRC2:USER_SGPR: 2
; COMPUTE_PGM_RSRC2:TRAP_HANDLER: 0
; COMPUTE_PGM_RSRC2:TGID_X_EN: 1
; COMPUTE_PGM_RSRC2:TGID_Y_EN: 0
; COMPUTE_PGM_RSRC2:TGID_Z_EN: 0
; COMPUTE_PGM_RSRC2:TIDIG_COMP_CNT: 0
	.section	.text._Z39paged_attention_ll4mi_QKV_mfma16_kernelIDF16_hLN4vllm18Fp8KVCacheDataTypeE1EhLi32ELi64ELi256ELb1ELi12EEvPKT_PKT0_S7_ifPKiS9_S9_iPKfiiiPfSC_PS2_PT2_iSB_SB_,"axG",@progbits,_Z39paged_attention_ll4mi_QKV_mfma16_kernelIDF16_hLN4vllm18Fp8KVCacheDataTypeE1EhLi32ELi64ELi256ELb1ELi12EEvPKT_PKT0_S7_ifPKiS9_S9_iPKfiiiPfSC_PS2_PT2_iSB_SB_,comdat
	.protected	_Z39paged_attention_ll4mi_QKV_mfma16_kernelIDF16_hLN4vllm18Fp8KVCacheDataTypeE1EhLi32ELi64ELi256ELb1ELi12EEvPKT_PKT0_S7_ifPKiS9_S9_iPKfiiiPfSC_PS2_PT2_iSB_SB_ ; -- Begin function _Z39paged_attention_ll4mi_QKV_mfma16_kernelIDF16_hLN4vllm18Fp8KVCacheDataTypeE1EhLi32ELi64ELi256ELb1ELi12EEvPKT_PKT0_S7_ifPKiS9_S9_iPKfiiiPfSC_PS2_PT2_iSB_SB_
	.globl	_Z39paged_attention_ll4mi_QKV_mfma16_kernelIDF16_hLN4vllm18Fp8KVCacheDataTypeE1EhLi32ELi64ELi256ELb1ELi12EEvPKT_PKT0_S7_ifPKiS9_S9_iPKfiiiPfSC_PS2_PT2_iSB_SB_
	.p2align	8
	.type	_Z39paged_attention_ll4mi_QKV_mfma16_kernelIDF16_hLN4vllm18Fp8KVCacheDataTypeE1EhLi32ELi64ELi256ELb1ELi12EEvPKT_PKT0_S7_ifPKiS9_S9_iPKfiiiPfSC_PS2_PT2_iSB_SB_,@function
_Z39paged_attention_ll4mi_QKV_mfma16_kernelIDF16_hLN4vllm18Fp8KVCacheDataTypeE1EhLi32ELi64ELi256ELb1ELi12EEvPKT_PKT0_S7_ifPKiS9_S9_iPKfiiiPfSC_PS2_PT2_iSB_SB_: ; @_Z39paged_attention_ll4mi_QKV_mfma16_kernelIDF16_hLN4vllm18Fp8KVCacheDataTypeE1EhLi32ELi64ELi256ELb1ELi12EEvPKT_PKT0_S7_ifPKiS9_S9_iPKfiiiPfSC_PS2_PT2_iSB_SB_
; %bb.0:
	s_get_pc_i64 s[2:3]
	s_add_nc_u64 s[2:3], s[2:3], __PRETTY_FUNCTION__._Z39paged_attention_ll4mi_QKV_mfma16_kernelIDF16_hLN4vllm18Fp8KVCacheDataTypeE1EhLi32ELi64ELi256ELb1ELi12EEvPKT_PKT0_S7_ifPKiS9_S9_iPKfiiiPfSC_PS2_PT2_iSB_SB_@rel64+4
	s_delay_alu instid0(SALU_CYCLE_1)
	v_dual_mov_b32 v0, 0xbb3 :: v_dual_mov_b32 v1, s2
	v_mov_b32_e32 v2, s3
	s_add_nc_u64 s[8:9], s[0:1], 0x90
	s_get_pc_i64 s[0:1]
	s_add_nc_u64 s[0:1], s[0:1], __assert_fail@rel64+4
	s_mov_b32 s32, 0
	s_swap_pc_i64 s[30:31], s[0:1]
	.section	.rodata,"a",@progbits
	.p2align	6, 0x0
	.amdhsa_kernel _Z39paged_attention_ll4mi_QKV_mfma16_kernelIDF16_hLN4vllm18Fp8KVCacheDataTypeE1EhLi32ELi64ELi256ELb1ELi12EEvPKT_PKT0_S7_ifPKiS9_S9_iPKfiiiPfSC_PS2_PT2_iSB_SB_
		.amdhsa_group_segment_fixed_size 0
		.amdhsa_private_segment_fixed_size 64
		.amdhsa_kernarg_size 400
		.amdhsa_user_sgpr_count 2
		.amdhsa_user_sgpr_dispatch_ptr 0
		.amdhsa_user_sgpr_queue_ptr 0
		.amdhsa_user_sgpr_kernarg_segment_ptr 1
		.amdhsa_user_sgpr_dispatch_id 0
		.amdhsa_user_sgpr_kernarg_preload_length 0
		.amdhsa_user_sgpr_kernarg_preload_offset 0
		.amdhsa_user_sgpr_private_segment_size 0
		.amdhsa_wavefront_size32 1
		.amdhsa_uses_dynamic_stack 0
		.amdhsa_enable_private_segment 1
		.amdhsa_system_sgpr_workgroup_id_x 1
		.amdhsa_system_sgpr_workgroup_id_y 0
		.amdhsa_system_sgpr_workgroup_id_z 0
		.amdhsa_system_sgpr_workgroup_info 0
		.amdhsa_system_vgpr_workitem_id 0
		.amdhsa_next_free_vgpr 51
		.amdhsa_next_free_sgpr 34
		.amdhsa_named_barrier_count 0
		.amdhsa_reserve_vcc 1
		.amdhsa_float_round_mode_32 0
		.amdhsa_float_round_mode_16_64 0
		.amdhsa_float_denorm_mode_32 3
		.amdhsa_float_denorm_mode_16_64 3
		.amdhsa_fp16_overflow 0
		.amdhsa_memory_ordered 1
		.amdhsa_forward_progress 1
		.amdhsa_inst_pref_size 1
		.amdhsa_round_robin_scheduling 0
		.amdhsa_exception_fp_ieee_invalid_op 0
		.amdhsa_exception_fp_denorm_src 0
		.amdhsa_exception_fp_ieee_div_zero 0
		.amdhsa_exception_fp_ieee_overflow 0
		.amdhsa_exception_fp_ieee_underflow 0
		.amdhsa_exception_fp_ieee_inexact 0
		.amdhsa_exception_int_div_zero 0
	.end_amdhsa_kernel
	.section	.text._Z39paged_attention_ll4mi_QKV_mfma16_kernelIDF16_hLN4vllm18Fp8KVCacheDataTypeE1EhLi32ELi64ELi256ELb1ELi12EEvPKT_PKT0_S7_ifPKiS9_S9_iPKfiiiPfSC_PS2_PT2_iSB_SB_,"axG",@progbits,_Z39paged_attention_ll4mi_QKV_mfma16_kernelIDF16_hLN4vllm18Fp8KVCacheDataTypeE1EhLi32ELi64ELi256ELb1ELi12EEvPKT_PKT0_S7_ifPKiS9_S9_iPKfiiiPfSC_PS2_PT2_iSB_SB_,comdat
.Lfunc_end861:
	.size	_Z39paged_attention_ll4mi_QKV_mfma16_kernelIDF16_hLN4vllm18Fp8KVCacheDataTypeE1EhLi32ELi64ELi256ELb1ELi12EEvPKT_PKT0_S7_ifPKiS9_S9_iPKfiiiPfSC_PS2_PT2_iSB_SB_, .Lfunc_end861-_Z39paged_attention_ll4mi_QKV_mfma16_kernelIDF16_hLN4vllm18Fp8KVCacheDataTypeE1EhLi32ELi64ELi256ELb1ELi12EEvPKT_PKT0_S7_ifPKiS9_S9_iPKfiiiPfSC_PS2_PT2_iSB_SB_
                                        ; -- End function
	.set _Z39paged_attention_ll4mi_QKV_mfma16_kernelIDF16_hLN4vllm18Fp8KVCacheDataTypeE1EhLi32ELi64ELi256ELb1ELi12EEvPKT_PKT0_S7_ifPKiS9_S9_iPKfiiiPfSC_PS2_PT2_iSB_SB_.num_vgpr, max(3, .L__assert_fail.num_vgpr)
	.set _Z39paged_attention_ll4mi_QKV_mfma16_kernelIDF16_hLN4vllm18Fp8KVCacheDataTypeE1EhLi32ELi64ELi256ELb1ELi12EEvPKT_PKT0_S7_ifPKiS9_S9_iPKfiiiPfSC_PS2_PT2_iSB_SB_.num_agpr, max(0, .L__assert_fail.num_agpr)
	.set _Z39paged_attention_ll4mi_QKV_mfma16_kernelIDF16_hLN4vllm18Fp8KVCacheDataTypeE1EhLi32ELi64ELi256ELb1ELi12EEvPKT_PKT0_S7_ifPKiS9_S9_iPKfiiiPfSC_PS2_PT2_iSB_SB_.numbered_sgpr, max(33, .L__assert_fail.numbered_sgpr)
	.set _Z39paged_attention_ll4mi_QKV_mfma16_kernelIDF16_hLN4vllm18Fp8KVCacheDataTypeE1EhLi32ELi64ELi256ELb1ELi12EEvPKT_PKT0_S7_ifPKiS9_S9_iPKfiiiPfSC_PS2_PT2_iSB_SB_.num_named_barrier, max(0, .L__assert_fail.num_named_barrier)
	.set _Z39paged_attention_ll4mi_QKV_mfma16_kernelIDF16_hLN4vllm18Fp8KVCacheDataTypeE1EhLi32ELi64ELi256ELb1ELi12EEvPKT_PKT0_S7_ifPKiS9_S9_iPKfiiiPfSC_PS2_PT2_iSB_SB_.private_seg_size, 0+max(.L__assert_fail.private_seg_size)
	.set _Z39paged_attention_ll4mi_QKV_mfma16_kernelIDF16_hLN4vllm18Fp8KVCacheDataTypeE1EhLi32ELi64ELi256ELb1ELi12EEvPKT_PKT0_S7_ifPKiS9_S9_iPKfiiiPfSC_PS2_PT2_iSB_SB_.uses_vcc, or(1, .L__assert_fail.uses_vcc)
	.set _Z39paged_attention_ll4mi_QKV_mfma16_kernelIDF16_hLN4vllm18Fp8KVCacheDataTypeE1EhLi32ELi64ELi256ELb1ELi12EEvPKT_PKT0_S7_ifPKiS9_S9_iPKfiiiPfSC_PS2_PT2_iSB_SB_.uses_flat_scratch, or(0, .L__assert_fail.uses_flat_scratch)
	.set _Z39paged_attention_ll4mi_QKV_mfma16_kernelIDF16_hLN4vllm18Fp8KVCacheDataTypeE1EhLi32ELi64ELi256ELb1ELi12EEvPKT_PKT0_S7_ifPKiS9_S9_iPKfiiiPfSC_PS2_PT2_iSB_SB_.has_dyn_sized_stack, or(0, .L__assert_fail.has_dyn_sized_stack)
	.set _Z39paged_attention_ll4mi_QKV_mfma16_kernelIDF16_hLN4vllm18Fp8KVCacheDataTypeE1EhLi32ELi64ELi256ELb1ELi12EEvPKT_PKT0_S7_ifPKiS9_S9_iPKfiiiPfSC_PS2_PT2_iSB_SB_.has_recursion, or(0, .L__assert_fail.has_recursion)
	.set _Z39paged_attention_ll4mi_QKV_mfma16_kernelIDF16_hLN4vllm18Fp8KVCacheDataTypeE1EhLi32ELi64ELi256ELb1ELi12EEvPKT_PKT0_S7_ifPKiS9_S9_iPKfiiiPfSC_PS2_PT2_iSB_SB_.has_indirect_call, or(0, .L__assert_fail.has_indirect_call)
	.section	.AMDGPU.csdata,"",@progbits
; Kernel info:
; codeLenInByte = 68
; TotalNumSgprs: 36
; NumVgprs: 51
; ScratchSize: 64
; MemoryBound: 0
; FloatMode: 240
; IeeeMode: 1
; LDSByteSize: 0 bytes/workgroup (compile time only)
; SGPRBlocks: 0
; VGPRBlocks: 3
; NumSGPRsForWavesPerEU: 36
; NumVGPRsForWavesPerEU: 51
; NamedBarCnt: 0
; Occupancy: 16
; WaveLimiterHint : 1
; COMPUTE_PGM_RSRC2:SCRATCH_EN: 1
; COMPUTE_PGM_RSRC2:USER_SGPR: 2
; COMPUTE_PGM_RSRC2:TRAP_HANDLER: 0
; COMPUTE_PGM_RSRC2:TGID_X_EN: 1
; COMPUTE_PGM_RSRC2:TGID_Y_EN: 0
; COMPUTE_PGM_RSRC2:TGID_Z_EN: 0
; COMPUTE_PGM_RSRC2:TIDIG_COMP_CNT: 0
	.section	.text._Z39paged_attention_ll4mi_QKV_mfma16_kernelIDF16_hLN4vllm18Fp8KVCacheDataTypeE1EhLi32ELi64ELi256ELb1ELi13EEvPKT_PKT0_S7_ifPKiS9_S9_iPKfiiiPfSC_PS2_PT2_iSB_SB_,"axG",@progbits,_Z39paged_attention_ll4mi_QKV_mfma16_kernelIDF16_hLN4vllm18Fp8KVCacheDataTypeE1EhLi32ELi64ELi256ELb1ELi13EEvPKT_PKT0_S7_ifPKiS9_S9_iPKfiiiPfSC_PS2_PT2_iSB_SB_,comdat
	.protected	_Z39paged_attention_ll4mi_QKV_mfma16_kernelIDF16_hLN4vllm18Fp8KVCacheDataTypeE1EhLi32ELi64ELi256ELb1ELi13EEvPKT_PKT0_S7_ifPKiS9_S9_iPKfiiiPfSC_PS2_PT2_iSB_SB_ ; -- Begin function _Z39paged_attention_ll4mi_QKV_mfma16_kernelIDF16_hLN4vllm18Fp8KVCacheDataTypeE1EhLi32ELi64ELi256ELb1ELi13EEvPKT_PKT0_S7_ifPKiS9_S9_iPKfiiiPfSC_PS2_PT2_iSB_SB_
	.globl	_Z39paged_attention_ll4mi_QKV_mfma16_kernelIDF16_hLN4vllm18Fp8KVCacheDataTypeE1EhLi32ELi64ELi256ELb1ELi13EEvPKT_PKT0_S7_ifPKiS9_S9_iPKfiiiPfSC_PS2_PT2_iSB_SB_
	.p2align	8
	.type	_Z39paged_attention_ll4mi_QKV_mfma16_kernelIDF16_hLN4vllm18Fp8KVCacheDataTypeE1EhLi32ELi64ELi256ELb1ELi13EEvPKT_PKT0_S7_ifPKiS9_S9_iPKfiiiPfSC_PS2_PT2_iSB_SB_,@function
_Z39paged_attention_ll4mi_QKV_mfma16_kernelIDF16_hLN4vllm18Fp8KVCacheDataTypeE1EhLi32ELi64ELi256ELb1ELi13EEvPKT_PKT0_S7_ifPKiS9_S9_iPKfiiiPfSC_PS2_PT2_iSB_SB_: ; @_Z39paged_attention_ll4mi_QKV_mfma16_kernelIDF16_hLN4vllm18Fp8KVCacheDataTypeE1EhLi32ELi64ELi256ELb1ELi13EEvPKT_PKT0_S7_ifPKiS9_S9_iPKfiiiPfSC_PS2_PT2_iSB_SB_
; %bb.0:
	s_get_pc_i64 s[2:3]
	s_add_nc_u64 s[2:3], s[2:3], __PRETTY_FUNCTION__._Z39paged_attention_ll4mi_QKV_mfma16_kernelIDF16_hLN4vllm18Fp8KVCacheDataTypeE1EhLi32ELi64ELi256ELb1ELi13EEvPKT_PKT0_S7_ifPKiS9_S9_iPKfiiiPfSC_PS2_PT2_iSB_SB_@rel64+4
	s_delay_alu instid0(SALU_CYCLE_1)
	v_dual_mov_b32 v0, 0xbb3 :: v_dual_mov_b32 v1, s2
	v_mov_b32_e32 v2, s3
	s_add_nc_u64 s[8:9], s[0:1], 0x90
	s_get_pc_i64 s[0:1]
	s_add_nc_u64 s[0:1], s[0:1], __assert_fail@rel64+4
	s_mov_b32 s32, 0
	s_swap_pc_i64 s[30:31], s[0:1]
	.section	.rodata,"a",@progbits
	.p2align	6, 0x0
	.amdhsa_kernel _Z39paged_attention_ll4mi_QKV_mfma16_kernelIDF16_hLN4vllm18Fp8KVCacheDataTypeE1EhLi32ELi64ELi256ELb1ELi13EEvPKT_PKT0_S7_ifPKiS9_S9_iPKfiiiPfSC_PS2_PT2_iSB_SB_
		.amdhsa_group_segment_fixed_size 0
		.amdhsa_private_segment_fixed_size 64
		.amdhsa_kernarg_size 400
		.amdhsa_user_sgpr_count 2
		.amdhsa_user_sgpr_dispatch_ptr 0
		.amdhsa_user_sgpr_queue_ptr 0
		.amdhsa_user_sgpr_kernarg_segment_ptr 1
		.amdhsa_user_sgpr_dispatch_id 0
		.amdhsa_user_sgpr_kernarg_preload_length 0
		.amdhsa_user_sgpr_kernarg_preload_offset 0
		.amdhsa_user_sgpr_private_segment_size 0
		.amdhsa_wavefront_size32 1
		.amdhsa_uses_dynamic_stack 0
		.amdhsa_enable_private_segment 1
		.amdhsa_system_sgpr_workgroup_id_x 1
		.amdhsa_system_sgpr_workgroup_id_y 0
		.amdhsa_system_sgpr_workgroup_id_z 0
		.amdhsa_system_sgpr_workgroup_info 0
		.amdhsa_system_vgpr_workitem_id 0
		.amdhsa_next_free_vgpr 51
		.amdhsa_next_free_sgpr 34
		.amdhsa_named_barrier_count 0
		.amdhsa_reserve_vcc 1
		.amdhsa_float_round_mode_32 0
		.amdhsa_float_round_mode_16_64 0
		.amdhsa_float_denorm_mode_32 3
		.amdhsa_float_denorm_mode_16_64 3
		.amdhsa_fp16_overflow 0
		.amdhsa_memory_ordered 1
		.amdhsa_forward_progress 1
		.amdhsa_inst_pref_size 1
		.amdhsa_round_robin_scheduling 0
		.amdhsa_exception_fp_ieee_invalid_op 0
		.amdhsa_exception_fp_denorm_src 0
		.amdhsa_exception_fp_ieee_div_zero 0
		.amdhsa_exception_fp_ieee_overflow 0
		.amdhsa_exception_fp_ieee_underflow 0
		.amdhsa_exception_fp_ieee_inexact 0
		.amdhsa_exception_int_div_zero 0
	.end_amdhsa_kernel
	.section	.text._Z39paged_attention_ll4mi_QKV_mfma16_kernelIDF16_hLN4vllm18Fp8KVCacheDataTypeE1EhLi32ELi64ELi256ELb1ELi13EEvPKT_PKT0_S7_ifPKiS9_S9_iPKfiiiPfSC_PS2_PT2_iSB_SB_,"axG",@progbits,_Z39paged_attention_ll4mi_QKV_mfma16_kernelIDF16_hLN4vllm18Fp8KVCacheDataTypeE1EhLi32ELi64ELi256ELb1ELi13EEvPKT_PKT0_S7_ifPKiS9_S9_iPKfiiiPfSC_PS2_PT2_iSB_SB_,comdat
.Lfunc_end862:
	.size	_Z39paged_attention_ll4mi_QKV_mfma16_kernelIDF16_hLN4vllm18Fp8KVCacheDataTypeE1EhLi32ELi64ELi256ELb1ELi13EEvPKT_PKT0_S7_ifPKiS9_S9_iPKfiiiPfSC_PS2_PT2_iSB_SB_, .Lfunc_end862-_Z39paged_attention_ll4mi_QKV_mfma16_kernelIDF16_hLN4vllm18Fp8KVCacheDataTypeE1EhLi32ELi64ELi256ELb1ELi13EEvPKT_PKT0_S7_ifPKiS9_S9_iPKfiiiPfSC_PS2_PT2_iSB_SB_
                                        ; -- End function
	.set _Z39paged_attention_ll4mi_QKV_mfma16_kernelIDF16_hLN4vllm18Fp8KVCacheDataTypeE1EhLi32ELi64ELi256ELb1ELi13EEvPKT_PKT0_S7_ifPKiS9_S9_iPKfiiiPfSC_PS2_PT2_iSB_SB_.num_vgpr, max(3, .L__assert_fail.num_vgpr)
	.set _Z39paged_attention_ll4mi_QKV_mfma16_kernelIDF16_hLN4vllm18Fp8KVCacheDataTypeE1EhLi32ELi64ELi256ELb1ELi13EEvPKT_PKT0_S7_ifPKiS9_S9_iPKfiiiPfSC_PS2_PT2_iSB_SB_.num_agpr, max(0, .L__assert_fail.num_agpr)
	.set _Z39paged_attention_ll4mi_QKV_mfma16_kernelIDF16_hLN4vllm18Fp8KVCacheDataTypeE1EhLi32ELi64ELi256ELb1ELi13EEvPKT_PKT0_S7_ifPKiS9_S9_iPKfiiiPfSC_PS2_PT2_iSB_SB_.numbered_sgpr, max(33, .L__assert_fail.numbered_sgpr)
	.set _Z39paged_attention_ll4mi_QKV_mfma16_kernelIDF16_hLN4vllm18Fp8KVCacheDataTypeE1EhLi32ELi64ELi256ELb1ELi13EEvPKT_PKT0_S7_ifPKiS9_S9_iPKfiiiPfSC_PS2_PT2_iSB_SB_.num_named_barrier, max(0, .L__assert_fail.num_named_barrier)
	.set _Z39paged_attention_ll4mi_QKV_mfma16_kernelIDF16_hLN4vllm18Fp8KVCacheDataTypeE1EhLi32ELi64ELi256ELb1ELi13EEvPKT_PKT0_S7_ifPKiS9_S9_iPKfiiiPfSC_PS2_PT2_iSB_SB_.private_seg_size, 0+max(.L__assert_fail.private_seg_size)
	.set _Z39paged_attention_ll4mi_QKV_mfma16_kernelIDF16_hLN4vllm18Fp8KVCacheDataTypeE1EhLi32ELi64ELi256ELb1ELi13EEvPKT_PKT0_S7_ifPKiS9_S9_iPKfiiiPfSC_PS2_PT2_iSB_SB_.uses_vcc, or(1, .L__assert_fail.uses_vcc)
	.set _Z39paged_attention_ll4mi_QKV_mfma16_kernelIDF16_hLN4vllm18Fp8KVCacheDataTypeE1EhLi32ELi64ELi256ELb1ELi13EEvPKT_PKT0_S7_ifPKiS9_S9_iPKfiiiPfSC_PS2_PT2_iSB_SB_.uses_flat_scratch, or(0, .L__assert_fail.uses_flat_scratch)
	.set _Z39paged_attention_ll4mi_QKV_mfma16_kernelIDF16_hLN4vllm18Fp8KVCacheDataTypeE1EhLi32ELi64ELi256ELb1ELi13EEvPKT_PKT0_S7_ifPKiS9_S9_iPKfiiiPfSC_PS2_PT2_iSB_SB_.has_dyn_sized_stack, or(0, .L__assert_fail.has_dyn_sized_stack)
	.set _Z39paged_attention_ll4mi_QKV_mfma16_kernelIDF16_hLN4vllm18Fp8KVCacheDataTypeE1EhLi32ELi64ELi256ELb1ELi13EEvPKT_PKT0_S7_ifPKiS9_S9_iPKfiiiPfSC_PS2_PT2_iSB_SB_.has_recursion, or(0, .L__assert_fail.has_recursion)
	.set _Z39paged_attention_ll4mi_QKV_mfma16_kernelIDF16_hLN4vllm18Fp8KVCacheDataTypeE1EhLi32ELi64ELi256ELb1ELi13EEvPKT_PKT0_S7_ifPKiS9_S9_iPKfiiiPfSC_PS2_PT2_iSB_SB_.has_indirect_call, or(0, .L__assert_fail.has_indirect_call)
	.section	.AMDGPU.csdata,"",@progbits
; Kernel info:
; codeLenInByte = 68
; TotalNumSgprs: 36
; NumVgprs: 51
; ScratchSize: 64
; MemoryBound: 0
; FloatMode: 240
; IeeeMode: 1
; LDSByteSize: 0 bytes/workgroup (compile time only)
; SGPRBlocks: 0
; VGPRBlocks: 3
; NumSGPRsForWavesPerEU: 36
; NumVGPRsForWavesPerEU: 51
; NamedBarCnt: 0
; Occupancy: 16
; WaveLimiterHint : 1
; COMPUTE_PGM_RSRC2:SCRATCH_EN: 1
; COMPUTE_PGM_RSRC2:USER_SGPR: 2
; COMPUTE_PGM_RSRC2:TRAP_HANDLER: 0
; COMPUTE_PGM_RSRC2:TGID_X_EN: 1
; COMPUTE_PGM_RSRC2:TGID_Y_EN: 0
; COMPUTE_PGM_RSRC2:TGID_Z_EN: 0
; COMPUTE_PGM_RSRC2:TIDIG_COMP_CNT: 0
	.section	.text._Z39paged_attention_ll4mi_QKV_mfma16_kernelIDF16_hLN4vllm18Fp8KVCacheDataTypeE1EhLi32ELi64ELi256ELb1ELi14EEvPKT_PKT0_S7_ifPKiS9_S9_iPKfiiiPfSC_PS2_PT2_iSB_SB_,"axG",@progbits,_Z39paged_attention_ll4mi_QKV_mfma16_kernelIDF16_hLN4vllm18Fp8KVCacheDataTypeE1EhLi32ELi64ELi256ELb1ELi14EEvPKT_PKT0_S7_ifPKiS9_S9_iPKfiiiPfSC_PS2_PT2_iSB_SB_,comdat
	.protected	_Z39paged_attention_ll4mi_QKV_mfma16_kernelIDF16_hLN4vllm18Fp8KVCacheDataTypeE1EhLi32ELi64ELi256ELb1ELi14EEvPKT_PKT0_S7_ifPKiS9_S9_iPKfiiiPfSC_PS2_PT2_iSB_SB_ ; -- Begin function _Z39paged_attention_ll4mi_QKV_mfma16_kernelIDF16_hLN4vllm18Fp8KVCacheDataTypeE1EhLi32ELi64ELi256ELb1ELi14EEvPKT_PKT0_S7_ifPKiS9_S9_iPKfiiiPfSC_PS2_PT2_iSB_SB_
	.globl	_Z39paged_attention_ll4mi_QKV_mfma16_kernelIDF16_hLN4vllm18Fp8KVCacheDataTypeE1EhLi32ELi64ELi256ELb1ELi14EEvPKT_PKT0_S7_ifPKiS9_S9_iPKfiiiPfSC_PS2_PT2_iSB_SB_
	.p2align	8
	.type	_Z39paged_attention_ll4mi_QKV_mfma16_kernelIDF16_hLN4vllm18Fp8KVCacheDataTypeE1EhLi32ELi64ELi256ELb1ELi14EEvPKT_PKT0_S7_ifPKiS9_S9_iPKfiiiPfSC_PS2_PT2_iSB_SB_,@function
_Z39paged_attention_ll4mi_QKV_mfma16_kernelIDF16_hLN4vllm18Fp8KVCacheDataTypeE1EhLi32ELi64ELi256ELb1ELi14EEvPKT_PKT0_S7_ifPKiS9_S9_iPKfiiiPfSC_PS2_PT2_iSB_SB_: ; @_Z39paged_attention_ll4mi_QKV_mfma16_kernelIDF16_hLN4vllm18Fp8KVCacheDataTypeE1EhLi32ELi64ELi256ELb1ELi14EEvPKT_PKT0_S7_ifPKiS9_S9_iPKfiiiPfSC_PS2_PT2_iSB_SB_
; %bb.0:
	s_get_pc_i64 s[2:3]
	s_add_nc_u64 s[2:3], s[2:3], __PRETTY_FUNCTION__._Z39paged_attention_ll4mi_QKV_mfma16_kernelIDF16_hLN4vllm18Fp8KVCacheDataTypeE1EhLi32ELi64ELi256ELb1ELi14EEvPKT_PKT0_S7_ifPKiS9_S9_iPKfiiiPfSC_PS2_PT2_iSB_SB_@rel64+4
	s_delay_alu instid0(SALU_CYCLE_1)
	v_dual_mov_b32 v0, 0xbb3 :: v_dual_mov_b32 v1, s2
	v_mov_b32_e32 v2, s3
	s_add_nc_u64 s[8:9], s[0:1], 0x90
	s_get_pc_i64 s[0:1]
	s_add_nc_u64 s[0:1], s[0:1], __assert_fail@rel64+4
	s_mov_b32 s32, 0
	s_swap_pc_i64 s[30:31], s[0:1]
	.section	.rodata,"a",@progbits
	.p2align	6, 0x0
	.amdhsa_kernel _Z39paged_attention_ll4mi_QKV_mfma16_kernelIDF16_hLN4vllm18Fp8KVCacheDataTypeE1EhLi32ELi64ELi256ELb1ELi14EEvPKT_PKT0_S7_ifPKiS9_S9_iPKfiiiPfSC_PS2_PT2_iSB_SB_
		.amdhsa_group_segment_fixed_size 0
		.amdhsa_private_segment_fixed_size 64
		.amdhsa_kernarg_size 400
		.amdhsa_user_sgpr_count 2
		.amdhsa_user_sgpr_dispatch_ptr 0
		.amdhsa_user_sgpr_queue_ptr 0
		.amdhsa_user_sgpr_kernarg_segment_ptr 1
		.amdhsa_user_sgpr_dispatch_id 0
		.amdhsa_user_sgpr_kernarg_preload_length 0
		.amdhsa_user_sgpr_kernarg_preload_offset 0
		.amdhsa_user_sgpr_private_segment_size 0
		.amdhsa_wavefront_size32 1
		.amdhsa_uses_dynamic_stack 0
		.amdhsa_enable_private_segment 1
		.amdhsa_system_sgpr_workgroup_id_x 1
		.amdhsa_system_sgpr_workgroup_id_y 0
		.amdhsa_system_sgpr_workgroup_id_z 0
		.amdhsa_system_sgpr_workgroup_info 0
		.amdhsa_system_vgpr_workitem_id 0
		.amdhsa_next_free_vgpr 51
		.amdhsa_next_free_sgpr 34
		.amdhsa_named_barrier_count 0
		.amdhsa_reserve_vcc 1
		.amdhsa_float_round_mode_32 0
		.amdhsa_float_round_mode_16_64 0
		.amdhsa_float_denorm_mode_32 3
		.amdhsa_float_denorm_mode_16_64 3
		.amdhsa_fp16_overflow 0
		.amdhsa_memory_ordered 1
		.amdhsa_forward_progress 1
		.amdhsa_inst_pref_size 1
		.amdhsa_round_robin_scheduling 0
		.amdhsa_exception_fp_ieee_invalid_op 0
		.amdhsa_exception_fp_denorm_src 0
		.amdhsa_exception_fp_ieee_div_zero 0
		.amdhsa_exception_fp_ieee_overflow 0
		.amdhsa_exception_fp_ieee_underflow 0
		.amdhsa_exception_fp_ieee_inexact 0
		.amdhsa_exception_int_div_zero 0
	.end_amdhsa_kernel
	.section	.text._Z39paged_attention_ll4mi_QKV_mfma16_kernelIDF16_hLN4vllm18Fp8KVCacheDataTypeE1EhLi32ELi64ELi256ELb1ELi14EEvPKT_PKT0_S7_ifPKiS9_S9_iPKfiiiPfSC_PS2_PT2_iSB_SB_,"axG",@progbits,_Z39paged_attention_ll4mi_QKV_mfma16_kernelIDF16_hLN4vllm18Fp8KVCacheDataTypeE1EhLi32ELi64ELi256ELb1ELi14EEvPKT_PKT0_S7_ifPKiS9_S9_iPKfiiiPfSC_PS2_PT2_iSB_SB_,comdat
.Lfunc_end863:
	.size	_Z39paged_attention_ll4mi_QKV_mfma16_kernelIDF16_hLN4vllm18Fp8KVCacheDataTypeE1EhLi32ELi64ELi256ELb1ELi14EEvPKT_PKT0_S7_ifPKiS9_S9_iPKfiiiPfSC_PS2_PT2_iSB_SB_, .Lfunc_end863-_Z39paged_attention_ll4mi_QKV_mfma16_kernelIDF16_hLN4vllm18Fp8KVCacheDataTypeE1EhLi32ELi64ELi256ELb1ELi14EEvPKT_PKT0_S7_ifPKiS9_S9_iPKfiiiPfSC_PS2_PT2_iSB_SB_
                                        ; -- End function
	.set _Z39paged_attention_ll4mi_QKV_mfma16_kernelIDF16_hLN4vllm18Fp8KVCacheDataTypeE1EhLi32ELi64ELi256ELb1ELi14EEvPKT_PKT0_S7_ifPKiS9_S9_iPKfiiiPfSC_PS2_PT2_iSB_SB_.num_vgpr, max(3, .L__assert_fail.num_vgpr)
	.set _Z39paged_attention_ll4mi_QKV_mfma16_kernelIDF16_hLN4vllm18Fp8KVCacheDataTypeE1EhLi32ELi64ELi256ELb1ELi14EEvPKT_PKT0_S7_ifPKiS9_S9_iPKfiiiPfSC_PS2_PT2_iSB_SB_.num_agpr, max(0, .L__assert_fail.num_agpr)
	.set _Z39paged_attention_ll4mi_QKV_mfma16_kernelIDF16_hLN4vllm18Fp8KVCacheDataTypeE1EhLi32ELi64ELi256ELb1ELi14EEvPKT_PKT0_S7_ifPKiS9_S9_iPKfiiiPfSC_PS2_PT2_iSB_SB_.numbered_sgpr, max(33, .L__assert_fail.numbered_sgpr)
	.set _Z39paged_attention_ll4mi_QKV_mfma16_kernelIDF16_hLN4vllm18Fp8KVCacheDataTypeE1EhLi32ELi64ELi256ELb1ELi14EEvPKT_PKT0_S7_ifPKiS9_S9_iPKfiiiPfSC_PS2_PT2_iSB_SB_.num_named_barrier, max(0, .L__assert_fail.num_named_barrier)
	.set _Z39paged_attention_ll4mi_QKV_mfma16_kernelIDF16_hLN4vllm18Fp8KVCacheDataTypeE1EhLi32ELi64ELi256ELb1ELi14EEvPKT_PKT0_S7_ifPKiS9_S9_iPKfiiiPfSC_PS2_PT2_iSB_SB_.private_seg_size, 0+max(.L__assert_fail.private_seg_size)
	.set _Z39paged_attention_ll4mi_QKV_mfma16_kernelIDF16_hLN4vllm18Fp8KVCacheDataTypeE1EhLi32ELi64ELi256ELb1ELi14EEvPKT_PKT0_S7_ifPKiS9_S9_iPKfiiiPfSC_PS2_PT2_iSB_SB_.uses_vcc, or(1, .L__assert_fail.uses_vcc)
	.set _Z39paged_attention_ll4mi_QKV_mfma16_kernelIDF16_hLN4vllm18Fp8KVCacheDataTypeE1EhLi32ELi64ELi256ELb1ELi14EEvPKT_PKT0_S7_ifPKiS9_S9_iPKfiiiPfSC_PS2_PT2_iSB_SB_.uses_flat_scratch, or(0, .L__assert_fail.uses_flat_scratch)
	.set _Z39paged_attention_ll4mi_QKV_mfma16_kernelIDF16_hLN4vllm18Fp8KVCacheDataTypeE1EhLi32ELi64ELi256ELb1ELi14EEvPKT_PKT0_S7_ifPKiS9_S9_iPKfiiiPfSC_PS2_PT2_iSB_SB_.has_dyn_sized_stack, or(0, .L__assert_fail.has_dyn_sized_stack)
	.set _Z39paged_attention_ll4mi_QKV_mfma16_kernelIDF16_hLN4vllm18Fp8KVCacheDataTypeE1EhLi32ELi64ELi256ELb1ELi14EEvPKT_PKT0_S7_ifPKiS9_S9_iPKfiiiPfSC_PS2_PT2_iSB_SB_.has_recursion, or(0, .L__assert_fail.has_recursion)
	.set _Z39paged_attention_ll4mi_QKV_mfma16_kernelIDF16_hLN4vllm18Fp8KVCacheDataTypeE1EhLi32ELi64ELi256ELb1ELi14EEvPKT_PKT0_S7_ifPKiS9_S9_iPKfiiiPfSC_PS2_PT2_iSB_SB_.has_indirect_call, or(0, .L__assert_fail.has_indirect_call)
	.section	.AMDGPU.csdata,"",@progbits
; Kernel info:
; codeLenInByte = 68
; TotalNumSgprs: 36
; NumVgprs: 51
; ScratchSize: 64
; MemoryBound: 0
; FloatMode: 240
; IeeeMode: 1
; LDSByteSize: 0 bytes/workgroup (compile time only)
; SGPRBlocks: 0
; VGPRBlocks: 3
; NumSGPRsForWavesPerEU: 36
; NumVGPRsForWavesPerEU: 51
; NamedBarCnt: 0
; Occupancy: 16
; WaveLimiterHint : 1
; COMPUTE_PGM_RSRC2:SCRATCH_EN: 1
; COMPUTE_PGM_RSRC2:USER_SGPR: 2
; COMPUTE_PGM_RSRC2:TRAP_HANDLER: 0
; COMPUTE_PGM_RSRC2:TGID_X_EN: 1
; COMPUTE_PGM_RSRC2:TGID_Y_EN: 0
; COMPUTE_PGM_RSRC2:TGID_Z_EN: 0
; COMPUTE_PGM_RSRC2:TIDIG_COMP_CNT: 0
	.section	.text._Z39paged_attention_ll4mi_QKV_mfma16_kernelIDF16_hLN4vllm18Fp8KVCacheDataTypeE1EhLi32ELi64ELi256ELb1ELi15EEvPKT_PKT0_S7_ifPKiS9_S9_iPKfiiiPfSC_PS2_PT2_iSB_SB_,"axG",@progbits,_Z39paged_attention_ll4mi_QKV_mfma16_kernelIDF16_hLN4vllm18Fp8KVCacheDataTypeE1EhLi32ELi64ELi256ELb1ELi15EEvPKT_PKT0_S7_ifPKiS9_S9_iPKfiiiPfSC_PS2_PT2_iSB_SB_,comdat
	.protected	_Z39paged_attention_ll4mi_QKV_mfma16_kernelIDF16_hLN4vllm18Fp8KVCacheDataTypeE1EhLi32ELi64ELi256ELb1ELi15EEvPKT_PKT0_S7_ifPKiS9_S9_iPKfiiiPfSC_PS2_PT2_iSB_SB_ ; -- Begin function _Z39paged_attention_ll4mi_QKV_mfma16_kernelIDF16_hLN4vllm18Fp8KVCacheDataTypeE1EhLi32ELi64ELi256ELb1ELi15EEvPKT_PKT0_S7_ifPKiS9_S9_iPKfiiiPfSC_PS2_PT2_iSB_SB_
	.globl	_Z39paged_attention_ll4mi_QKV_mfma16_kernelIDF16_hLN4vllm18Fp8KVCacheDataTypeE1EhLi32ELi64ELi256ELb1ELi15EEvPKT_PKT0_S7_ifPKiS9_S9_iPKfiiiPfSC_PS2_PT2_iSB_SB_
	.p2align	8
	.type	_Z39paged_attention_ll4mi_QKV_mfma16_kernelIDF16_hLN4vllm18Fp8KVCacheDataTypeE1EhLi32ELi64ELi256ELb1ELi15EEvPKT_PKT0_S7_ifPKiS9_S9_iPKfiiiPfSC_PS2_PT2_iSB_SB_,@function
_Z39paged_attention_ll4mi_QKV_mfma16_kernelIDF16_hLN4vllm18Fp8KVCacheDataTypeE1EhLi32ELi64ELi256ELb1ELi15EEvPKT_PKT0_S7_ifPKiS9_S9_iPKfiiiPfSC_PS2_PT2_iSB_SB_: ; @_Z39paged_attention_ll4mi_QKV_mfma16_kernelIDF16_hLN4vllm18Fp8KVCacheDataTypeE1EhLi32ELi64ELi256ELb1ELi15EEvPKT_PKT0_S7_ifPKiS9_S9_iPKfiiiPfSC_PS2_PT2_iSB_SB_
; %bb.0:
	s_get_pc_i64 s[2:3]
	s_add_nc_u64 s[2:3], s[2:3], __PRETTY_FUNCTION__._Z39paged_attention_ll4mi_QKV_mfma16_kernelIDF16_hLN4vllm18Fp8KVCacheDataTypeE1EhLi32ELi64ELi256ELb1ELi15EEvPKT_PKT0_S7_ifPKiS9_S9_iPKfiiiPfSC_PS2_PT2_iSB_SB_@rel64+4
	s_delay_alu instid0(SALU_CYCLE_1)
	v_dual_mov_b32 v0, 0xbb3 :: v_dual_mov_b32 v1, s2
	v_mov_b32_e32 v2, s3
	s_add_nc_u64 s[8:9], s[0:1], 0x90
	s_get_pc_i64 s[0:1]
	s_add_nc_u64 s[0:1], s[0:1], __assert_fail@rel64+4
	s_mov_b32 s32, 0
	s_swap_pc_i64 s[30:31], s[0:1]
	.section	.rodata,"a",@progbits
	.p2align	6, 0x0
	.amdhsa_kernel _Z39paged_attention_ll4mi_QKV_mfma16_kernelIDF16_hLN4vllm18Fp8KVCacheDataTypeE1EhLi32ELi64ELi256ELb1ELi15EEvPKT_PKT0_S7_ifPKiS9_S9_iPKfiiiPfSC_PS2_PT2_iSB_SB_
		.amdhsa_group_segment_fixed_size 0
		.amdhsa_private_segment_fixed_size 64
		.amdhsa_kernarg_size 400
		.amdhsa_user_sgpr_count 2
		.amdhsa_user_sgpr_dispatch_ptr 0
		.amdhsa_user_sgpr_queue_ptr 0
		.amdhsa_user_sgpr_kernarg_segment_ptr 1
		.amdhsa_user_sgpr_dispatch_id 0
		.amdhsa_user_sgpr_kernarg_preload_length 0
		.amdhsa_user_sgpr_kernarg_preload_offset 0
		.amdhsa_user_sgpr_private_segment_size 0
		.amdhsa_wavefront_size32 1
		.amdhsa_uses_dynamic_stack 0
		.amdhsa_enable_private_segment 1
		.amdhsa_system_sgpr_workgroup_id_x 1
		.amdhsa_system_sgpr_workgroup_id_y 0
		.amdhsa_system_sgpr_workgroup_id_z 0
		.amdhsa_system_sgpr_workgroup_info 0
		.amdhsa_system_vgpr_workitem_id 0
		.amdhsa_next_free_vgpr 51
		.amdhsa_next_free_sgpr 34
		.amdhsa_named_barrier_count 0
		.amdhsa_reserve_vcc 1
		.amdhsa_float_round_mode_32 0
		.amdhsa_float_round_mode_16_64 0
		.amdhsa_float_denorm_mode_32 3
		.amdhsa_float_denorm_mode_16_64 3
		.amdhsa_fp16_overflow 0
		.amdhsa_memory_ordered 1
		.amdhsa_forward_progress 1
		.amdhsa_inst_pref_size 1
		.amdhsa_round_robin_scheduling 0
		.amdhsa_exception_fp_ieee_invalid_op 0
		.amdhsa_exception_fp_denorm_src 0
		.amdhsa_exception_fp_ieee_div_zero 0
		.amdhsa_exception_fp_ieee_overflow 0
		.amdhsa_exception_fp_ieee_underflow 0
		.amdhsa_exception_fp_ieee_inexact 0
		.amdhsa_exception_int_div_zero 0
	.end_amdhsa_kernel
	.section	.text._Z39paged_attention_ll4mi_QKV_mfma16_kernelIDF16_hLN4vllm18Fp8KVCacheDataTypeE1EhLi32ELi64ELi256ELb1ELi15EEvPKT_PKT0_S7_ifPKiS9_S9_iPKfiiiPfSC_PS2_PT2_iSB_SB_,"axG",@progbits,_Z39paged_attention_ll4mi_QKV_mfma16_kernelIDF16_hLN4vllm18Fp8KVCacheDataTypeE1EhLi32ELi64ELi256ELb1ELi15EEvPKT_PKT0_S7_ifPKiS9_S9_iPKfiiiPfSC_PS2_PT2_iSB_SB_,comdat
.Lfunc_end864:
	.size	_Z39paged_attention_ll4mi_QKV_mfma16_kernelIDF16_hLN4vllm18Fp8KVCacheDataTypeE1EhLi32ELi64ELi256ELb1ELi15EEvPKT_PKT0_S7_ifPKiS9_S9_iPKfiiiPfSC_PS2_PT2_iSB_SB_, .Lfunc_end864-_Z39paged_attention_ll4mi_QKV_mfma16_kernelIDF16_hLN4vllm18Fp8KVCacheDataTypeE1EhLi32ELi64ELi256ELb1ELi15EEvPKT_PKT0_S7_ifPKiS9_S9_iPKfiiiPfSC_PS2_PT2_iSB_SB_
                                        ; -- End function
	.set _Z39paged_attention_ll4mi_QKV_mfma16_kernelIDF16_hLN4vllm18Fp8KVCacheDataTypeE1EhLi32ELi64ELi256ELb1ELi15EEvPKT_PKT0_S7_ifPKiS9_S9_iPKfiiiPfSC_PS2_PT2_iSB_SB_.num_vgpr, max(3, .L__assert_fail.num_vgpr)
	.set _Z39paged_attention_ll4mi_QKV_mfma16_kernelIDF16_hLN4vllm18Fp8KVCacheDataTypeE1EhLi32ELi64ELi256ELb1ELi15EEvPKT_PKT0_S7_ifPKiS9_S9_iPKfiiiPfSC_PS2_PT2_iSB_SB_.num_agpr, max(0, .L__assert_fail.num_agpr)
	.set _Z39paged_attention_ll4mi_QKV_mfma16_kernelIDF16_hLN4vllm18Fp8KVCacheDataTypeE1EhLi32ELi64ELi256ELb1ELi15EEvPKT_PKT0_S7_ifPKiS9_S9_iPKfiiiPfSC_PS2_PT2_iSB_SB_.numbered_sgpr, max(33, .L__assert_fail.numbered_sgpr)
	.set _Z39paged_attention_ll4mi_QKV_mfma16_kernelIDF16_hLN4vllm18Fp8KVCacheDataTypeE1EhLi32ELi64ELi256ELb1ELi15EEvPKT_PKT0_S7_ifPKiS9_S9_iPKfiiiPfSC_PS2_PT2_iSB_SB_.num_named_barrier, max(0, .L__assert_fail.num_named_barrier)
	.set _Z39paged_attention_ll4mi_QKV_mfma16_kernelIDF16_hLN4vllm18Fp8KVCacheDataTypeE1EhLi32ELi64ELi256ELb1ELi15EEvPKT_PKT0_S7_ifPKiS9_S9_iPKfiiiPfSC_PS2_PT2_iSB_SB_.private_seg_size, 0+max(.L__assert_fail.private_seg_size)
	.set _Z39paged_attention_ll4mi_QKV_mfma16_kernelIDF16_hLN4vllm18Fp8KVCacheDataTypeE1EhLi32ELi64ELi256ELb1ELi15EEvPKT_PKT0_S7_ifPKiS9_S9_iPKfiiiPfSC_PS2_PT2_iSB_SB_.uses_vcc, or(1, .L__assert_fail.uses_vcc)
	.set _Z39paged_attention_ll4mi_QKV_mfma16_kernelIDF16_hLN4vllm18Fp8KVCacheDataTypeE1EhLi32ELi64ELi256ELb1ELi15EEvPKT_PKT0_S7_ifPKiS9_S9_iPKfiiiPfSC_PS2_PT2_iSB_SB_.uses_flat_scratch, or(0, .L__assert_fail.uses_flat_scratch)
	.set _Z39paged_attention_ll4mi_QKV_mfma16_kernelIDF16_hLN4vllm18Fp8KVCacheDataTypeE1EhLi32ELi64ELi256ELb1ELi15EEvPKT_PKT0_S7_ifPKiS9_S9_iPKfiiiPfSC_PS2_PT2_iSB_SB_.has_dyn_sized_stack, or(0, .L__assert_fail.has_dyn_sized_stack)
	.set _Z39paged_attention_ll4mi_QKV_mfma16_kernelIDF16_hLN4vllm18Fp8KVCacheDataTypeE1EhLi32ELi64ELi256ELb1ELi15EEvPKT_PKT0_S7_ifPKiS9_S9_iPKfiiiPfSC_PS2_PT2_iSB_SB_.has_recursion, or(0, .L__assert_fail.has_recursion)
	.set _Z39paged_attention_ll4mi_QKV_mfma16_kernelIDF16_hLN4vllm18Fp8KVCacheDataTypeE1EhLi32ELi64ELi256ELb1ELi15EEvPKT_PKT0_S7_ifPKiS9_S9_iPKfiiiPfSC_PS2_PT2_iSB_SB_.has_indirect_call, or(0, .L__assert_fail.has_indirect_call)
	.section	.AMDGPU.csdata,"",@progbits
; Kernel info:
; codeLenInByte = 68
; TotalNumSgprs: 36
; NumVgprs: 51
; ScratchSize: 64
; MemoryBound: 0
; FloatMode: 240
; IeeeMode: 1
; LDSByteSize: 0 bytes/workgroup (compile time only)
; SGPRBlocks: 0
; VGPRBlocks: 3
; NumSGPRsForWavesPerEU: 36
; NumVGPRsForWavesPerEU: 51
; NamedBarCnt: 0
; Occupancy: 16
; WaveLimiterHint : 1
; COMPUTE_PGM_RSRC2:SCRATCH_EN: 1
; COMPUTE_PGM_RSRC2:USER_SGPR: 2
; COMPUTE_PGM_RSRC2:TRAP_HANDLER: 0
; COMPUTE_PGM_RSRC2:TGID_X_EN: 1
; COMPUTE_PGM_RSRC2:TGID_Y_EN: 0
; COMPUTE_PGM_RSRC2:TGID_Z_EN: 0
; COMPUTE_PGM_RSRC2:TIDIG_COMP_CNT: 0
	.section	.text._Z39paged_attention_ll4mi_QKV_mfma16_kernelIDF16_hLN4vllm18Fp8KVCacheDataTypeE1EhLi32ELi64ELi256ELb1ELi16EEvPKT_PKT0_S7_ifPKiS9_S9_iPKfiiiPfSC_PS2_PT2_iSB_SB_,"axG",@progbits,_Z39paged_attention_ll4mi_QKV_mfma16_kernelIDF16_hLN4vllm18Fp8KVCacheDataTypeE1EhLi32ELi64ELi256ELb1ELi16EEvPKT_PKT0_S7_ifPKiS9_S9_iPKfiiiPfSC_PS2_PT2_iSB_SB_,comdat
	.protected	_Z39paged_attention_ll4mi_QKV_mfma16_kernelIDF16_hLN4vllm18Fp8KVCacheDataTypeE1EhLi32ELi64ELi256ELb1ELi16EEvPKT_PKT0_S7_ifPKiS9_S9_iPKfiiiPfSC_PS2_PT2_iSB_SB_ ; -- Begin function _Z39paged_attention_ll4mi_QKV_mfma16_kernelIDF16_hLN4vllm18Fp8KVCacheDataTypeE1EhLi32ELi64ELi256ELb1ELi16EEvPKT_PKT0_S7_ifPKiS9_S9_iPKfiiiPfSC_PS2_PT2_iSB_SB_
	.globl	_Z39paged_attention_ll4mi_QKV_mfma16_kernelIDF16_hLN4vllm18Fp8KVCacheDataTypeE1EhLi32ELi64ELi256ELb1ELi16EEvPKT_PKT0_S7_ifPKiS9_S9_iPKfiiiPfSC_PS2_PT2_iSB_SB_
	.p2align	8
	.type	_Z39paged_attention_ll4mi_QKV_mfma16_kernelIDF16_hLN4vllm18Fp8KVCacheDataTypeE1EhLi32ELi64ELi256ELb1ELi16EEvPKT_PKT0_S7_ifPKiS9_S9_iPKfiiiPfSC_PS2_PT2_iSB_SB_,@function
_Z39paged_attention_ll4mi_QKV_mfma16_kernelIDF16_hLN4vllm18Fp8KVCacheDataTypeE1EhLi32ELi64ELi256ELb1ELi16EEvPKT_PKT0_S7_ifPKiS9_S9_iPKfiiiPfSC_PS2_PT2_iSB_SB_: ; @_Z39paged_attention_ll4mi_QKV_mfma16_kernelIDF16_hLN4vllm18Fp8KVCacheDataTypeE1EhLi32ELi64ELi256ELb1ELi16EEvPKT_PKT0_S7_ifPKiS9_S9_iPKfiiiPfSC_PS2_PT2_iSB_SB_
; %bb.0:
	s_get_pc_i64 s[2:3]
	s_add_nc_u64 s[2:3], s[2:3], __PRETTY_FUNCTION__._Z39paged_attention_ll4mi_QKV_mfma16_kernelIDF16_hLN4vllm18Fp8KVCacheDataTypeE1EhLi32ELi64ELi256ELb1ELi16EEvPKT_PKT0_S7_ifPKiS9_S9_iPKfiiiPfSC_PS2_PT2_iSB_SB_@rel64+4
	s_delay_alu instid0(SALU_CYCLE_1)
	v_dual_mov_b32 v0, 0xbb3 :: v_dual_mov_b32 v1, s2
	v_mov_b32_e32 v2, s3
	s_add_nc_u64 s[8:9], s[0:1], 0x90
	s_get_pc_i64 s[0:1]
	s_add_nc_u64 s[0:1], s[0:1], __assert_fail@rel64+4
	s_mov_b32 s32, 0
	s_swap_pc_i64 s[30:31], s[0:1]
	.section	.rodata,"a",@progbits
	.p2align	6, 0x0
	.amdhsa_kernel _Z39paged_attention_ll4mi_QKV_mfma16_kernelIDF16_hLN4vllm18Fp8KVCacheDataTypeE1EhLi32ELi64ELi256ELb1ELi16EEvPKT_PKT0_S7_ifPKiS9_S9_iPKfiiiPfSC_PS2_PT2_iSB_SB_
		.amdhsa_group_segment_fixed_size 0
		.amdhsa_private_segment_fixed_size 64
		.amdhsa_kernarg_size 400
		.amdhsa_user_sgpr_count 2
		.amdhsa_user_sgpr_dispatch_ptr 0
		.amdhsa_user_sgpr_queue_ptr 0
		.amdhsa_user_sgpr_kernarg_segment_ptr 1
		.amdhsa_user_sgpr_dispatch_id 0
		.amdhsa_user_sgpr_kernarg_preload_length 0
		.amdhsa_user_sgpr_kernarg_preload_offset 0
		.amdhsa_user_sgpr_private_segment_size 0
		.amdhsa_wavefront_size32 1
		.amdhsa_uses_dynamic_stack 0
		.amdhsa_enable_private_segment 1
		.amdhsa_system_sgpr_workgroup_id_x 1
		.amdhsa_system_sgpr_workgroup_id_y 0
		.amdhsa_system_sgpr_workgroup_id_z 0
		.amdhsa_system_sgpr_workgroup_info 0
		.amdhsa_system_vgpr_workitem_id 0
		.amdhsa_next_free_vgpr 51
		.amdhsa_next_free_sgpr 34
		.amdhsa_named_barrier_count 0
		.amdhsa_reserve_vcc 1
		.amdhsa_float_round_mode_32 0
		.amdhsa_float_round_mode_16_64 0
		.amdhsa_float_denorm_mode_32 3
		.amdhsa_float_denorm_mode_16_64 3
		.amdhsa_fp16_overflow 0
		.amdhsa_memory_ordered 1
		.amdhsa_forward_progress 1
		.amdhsa_inst_pref_size 1
		.amdhsa_round_robin_scheduling 0
		.amdhsa_exception_fp_ieee_invalid_op 0
		.amdhsa_exception_fp_denorm_src 0
		.amdhsa_exception_fp_ieee_div_zero 0
		.amdhsa_exception_fp_ieee_overflow 0
		.amdhsa_exception_fp_ieee_underflow 0
		.amdhsa_exception_fp_ieee_inexact 0
		.amdhsa_exception_int_div_zero 0
	.end_amdhsa_kernel
	.section	.text._Z39paged_attention_ll4mi_QKV_mfma16_kernelIDF16_hLN4vllm18Fp8KVCacheDataTypeE1EhLi32ELi64ELi256ELb1ELi16EEvPKT_PKT0_S7_ifPKiS9_S9_iPKfiiiPfSC_PS2_PT2_iSB_SB_,"axG",@progbits,_Z39paged_attention_ll4mi_QKV_mfma16_kernelIDF16_hLN4vllm18Fp8KVCacheDataTypeE1EhLi32ELi64ELi256ELb1ELi16EEvPKT_PKT0_S7_ifPKiS9_S9_iPKfiiiPfSC_PS2_PT2_iSB_SB_,comdat
.Lfunc_end865:
	.size	_Z39paged_attention_ll4mi_QKV_mfma16_kernelIDF16_hLN4vllm18Fp8KVCacheDataTypeE1EhLi32ELi64ELi256ELb1ELi16EEvPKT_PKT0_S7_ifPKiS9_S9_iPKfiiiPfSC_PS2_PT2_iSB_SB_, .Lfunc_end865-_Z39paged_attention_ll4mi_QKV_mfma16_kernelIDF16_hLN4vllm18Fp8KVCacheDataTypeE1EhLi32ELi64ELi256ELb1ELi16EEvPKT_PKT0_S7_ifPKiS9_S9_iPKfiiiPfSC_PS2_PT2_iSB_SB_
                                        ; -- End function
	.set _Z39paged_attention_ll4mi_QKV_mfma16_kernelIDF16_hLN4vllm18Fp8KVCacheDataTypeE1EhLi32ELi64ELi256ELb1ELi16EEvPKT_PKT0_S7_ifPKiS9_S9_iPKfiiiPfSC_PS2_PT2_iSB_SB_.num_vgpr, max(3, .L__assert_fail.num_vgpr)
	.set _Z39paged_attention_ll4mi_QKV_mfma16_kernelIDF16_hLN4vllm18Fp8KVCacheDataTypeE1EhLi32ELi64ELi256ELb1ELi16EEvPKT_PKT0_S7_ifPKiS9_S9_iPKfiiiPfSC_PS2_PT2_iSB_SB_.num_agpr, max(0, .L__assert_fail.num_agpr)
	.set _Z39paged_attention_ll4mi_QKV_mfma16_kernelIDF16_hLN4vllm18Fp8KVCacheDataTypeE1EhLi32ELi64ELi256ELb1ELi16EEvPKT_PKT0_S7_ifPKiS9_S9_iPKfiiiPfSC_PS2_PT2_iSB_SB_.numbered_sgpr, max(33, .L__assert_fail.numbered_sgpr)
	.set _Z39paged_attention_ll4mi_QKV_mfma16_kernelIDF16_hLN4vllm18Fp8KVCacheDataTypeE1EhLi32ELi64ELi256ELb1ELi16EEvPKT_PKT0_S7_ifPKiS9_S9_iPKfiiiPfSC_PS2_PT2_iSB_SB_.num_named_barrier, max(0, .L__assert_fail.num_named_barrier)
	.set _Z39paged_attention_ll4mi_QKV_mfma16_kernelIDF16_hLN4vllm18Fp8KVCacheDataTypeE1EhLi32ELi64ELi256ELb1ELi16EEvPKT_PKT0_S7_ifPKiS9_S9_iPKfiiiPfSC_PS2_PT2_iSB_SB_.private_seg_size, 0+max(.L__assert_fail.private_seg_size)
	.set _Z39paged_attention_ll4mi_QKV_mfma16_kernelIDF16_hLN4vllm18Fp8KVCacheDataTypeE1EhLi32ELi64ELi256ELb1ELi16EEvPKT_PKT0_S7_ifPKiS9_S9_iPKfiiiPfSC_PS2_PT2_iSB_SB_.uses_vcc, or(1, .L__assert_fail.uses_vcc)
	.set _Z39paged_attention_ll4mi_QKV_mfma16_kernelIDF16_hLN4vllm18Fp8KVCacheDataTypeE1EhLi32ELi64ELi256ELb1ELi16EEvPKT_PKT0_S7_ifPKiS9_S9_iPKfiiiPfSC_PS2_PT2_iSB_SB_.uses_flat_scratch, or(0, .L__assert_fail.uses_flat_scratch)
	.set _Z39paged_attention_ll4mi_QKV_mfma16_kernelIDF16_hLN4vllm18Fp8KVCacheDataTypeE1EhLi32ELi64ELi256ELb1ELi16EEvPKT_PKT0_S7_ifPKiS9_S9_iPKfiiiPfSC_PS2_PT2_iSB_SB_.has_dyn_sized_stack, or(0, .L__assert_fail.has_dyn_sized_stack)
	.set _Z39paged_attention_ll4mi_QKV_mfma16_kernelIDF16_hLN4vllm18Fp8KVCacheDataTypeE1EhLi32ELi64ELi256ELb1ELi16EEvPKT_PKT0_S7_ifPKiS9_S9_iPKfiiiPfSC_PS2_PT2_iSB_SB_.has_recursion, or(0, .L__assert_fail.has_recursion)
	.set _Z39paged_attention_ll4mi_QKV_mfma16_kernelIDF16_hLN4vllm18Fp8KVCacheDataTypeE1EhLi32ELi64ELi256ELb1ELi16EEvPKT_PKT0_S7_ifPKiS9_S9_iPKfiiiPfSC_PS2_PT2_iSB_SB_.has_indirect_call, or(0, .L__assert_fail.has_indirect_call)
	.section	.AMDGPU.csdata,"",@progbits
; Kernel info:
; codeLenInByte = 68
; TotalNumSgprs: 36
; NumVgprs: 51
; ScratchSize: 64
; MemoryBound: 0
; FloatMode: 240
; IeeeMode: 1
; LDSByteSize: 0 bytes/workgroup (compile time only)
; SGPRBlocks: 0
; VGPRBlocks: 3
; NumSGPRsForWavesPerEU: 36
; NumVGPRsForWavesPerEU: 51
; NamedBarCnt: 0
; Occupancy: 16
; WaveLimiterHint : 1
; COMPUTE_PGM_RSRC2:SCRATCH_EN: 1
; COMPUTE_PGM_RSRC2:USER_SGPR: 2
; COMPUTE_PGM_RSRC2:TRAP_HANDLER: 0
; COMPUTE_PGM_RSRC2:TGID_X_EN: 1
; COMPUTE_PGM_RSRC2:TGID_Y_EN: 0
; COMPUTE_PGM_RSRC2:TGID_Z_EN: 0
; COMPUTE_PGM_RSRC2:TIDIG_COMP_CNT: 0
	.section	.text._Z39paged_attention_ll4mi_QKV_mfma16_kernelIDF16_hLN4vllm18Fp8KVCacheDataTypeE1EhLi32ELi64ELi256ELb1ELi1EEvPKT_PKT0_S7_ifPKiS9_S9_iPKfiiiPfSC_PS2_PT2_iSB_SB_,"axG",@progbits,_Z39paged_attention_ll4mi_QKV_mfma16_kernelIDF16_hLN4vllm18Fp8KVCacheDataTypeE1EhLi32ELi64ELi256ELb1ELi1EEvPKT_PKT0_S7_ifPKiS9_S9_iPKfiiiPfSC_PS2_PT2_iSB_SB_,comdat
	.protected	_Z39paged_attention_ll4mi_QKV_mfma16_kernelIDF16_hLN4vllm18Fp8KVCacheDataTypeE1EhLi32ELi64ELi256ELb1ELi1EEvPKT_PKT0_S7_ifPKiS9_S9_iPKfiiiPfSC_PS2_PT2_iSB_SB_ ; -- Begin function _Z39paged_attention_ll4mi_QKV_mfma16_kernelIDF16_hLN4vllm18Fp8KVCacheDataTypeE1EhLi32ELi64ELi256ELb1ELi1EEvPKT_PKT0_S7_ifPKiS9_S9_iPKfiiiPfSC_PS2_PT2_iSB_SB_
	.globl	_Z39paged_attention_ll4mi_QKV_mfma16_kernelIDF16_hLN4vllm18Fp8KVCacheDataTypeE1EhLi32ELi64ELi256ELb1ELi1EEvPKT_PKT0_S7_ifPKiS9_S9_iPKfiiiPfSC_PS2_PT2_iSB_SB_
	.p2align	8
	.type	_Z39paged_attention_ll4mi_QKV_mfma16_kernelIDF16_hLN4vllm18Fp8KVCacheDataTypeE1EhLi32ELi64ELi256ELb1ELi1EEvPKT_PKT0_S7_ifPKiS9_S9_iPKfiiiPfSC_PS2_PT2_iSB_SB_,@function
_Z39paged_attention_ll4mi_QKV_mfma16_kernelIDF16_hLN4vllm18Fp8KVCacheDataTypeE1EhLi32ELi64ELi256ELb1ELi1EEvPKT_PKT0_S7_ifPKiS9_S9_iPKfiiiPfSC_PS2_PT2_iSB_SB_: ; @_Z39paged_attention_ll4mi_QKV_mfma16_kernelIDF16_hLN4vllm18Fp8KVCacheDataTypeE1EhLi32ELi64ELi256ELb1ELi1EEvPKT_PKT0_S7_ifPKiS9_S9_iPKfiiiPfSC_PS2_PT2_iSB_SB_
; %bb.0:
	s_get_pc_i64 s[2:3]
	s_add_nc_u64 s[2:3], s[2:3], __PRETTY_FUNCTION__._Z39paged_attention_ll4mi_QKV_mfma16_kernelIDF16_hLN4vllm18Fp8KVCacheDataTypeE1EhLi32ELi64ELi256ELb1ELi1EEvPKT_PKT0_S7_ifPKiS9_S9_iPKfiiiPfSC_PS2_PT2_iSB_SB_@rel64+4
	s_delay_alu instid0(SALU_CYCLE_1)
	v_dual_mov_b32 v0, 0xbb3 :: v_dual_mov_b32 v1, s2
	v_mov_b32_e32 v2, s3
	s_add_nc_u64 s[8:9], s[0:1], 0x90
	s_get_pc_i64 s[0:1]
	s_add_nc_u64 s[0:1], s[0:1], __assert_fail@rel64+4
	s_mov_b32 s32, 0
	s_swap_pc_i64 s[30:31], s[0:1]
	.section	.rodata,"a",@progbits
	.p2align	6, 0x0
	.amdhsa_kernel _Z39paged_attention_ll4mi_QKV_mfma16_kernelIDF16_hLN4vllm18Fp8KVCacheDataTypeE1EhLi32ELi64ELi256ELb1ELi1EEvPKT_PKT0_S7_ifPKiS9_S9_iPKfiiiPfSC_PS2_PT2_iSB_SB_
		.amdhsa_group_segment_fixed_size 0
		.amdhsa_private_segment_fixed_size 64
		.amdhsa_kernarg_size 400
		.amdhsa_user_sgpr_count 2
		.amdhsa_user_sgpr_dispatch_ptr 0
		.amdhsa_user_sgpr_queue_ptr 0
		.amdhsa_user_sgpr_kernarg_segment_ptr 1
		.amdhsa_user_sgpr_dispatch_id 0
		.amdhsa_user_sgpr_kernarg_preload_length 0
		.amdhsa_user_sgpr_kernarg_preload_offset 0
		.amdhsa_user_sgpr_private_segment_size 0
		.amdhsa_wavefront_size32 1
		.amdhsa_uses_dynamic_stack 0
		.amdhsa_enable_private_segment 1
		.amdhsa_system_sgpr_workgroup_id_x 1
		.amdhsa_system_sgpr_workgroup_id_y 0
		.amdhsa_system_sgpr_workgroup_id_z 0
		.amdhsa_system_sgpr_workgroup_info 0
		.amdhsa_system_vgpr_workitem_id 0
		.amdhsa_next_free_vgpr 51
		.amdhsa_next_free_sgpr 34
		.amdhsa_named_barrier_count 0
		.amdhsa_reserve_vcc 1
		.amdhsa_float_round_mode_32 0
		.amdhsa_float_round_mode_16_64 0
		.amdhsa_float_denorm_mode_32 3
		.amdhsa_float_denorm_mode_16_64 3
		.amdhsa_fp16_overflow 0
		.amdhsa_memory_ordered 1
		.amdhsa_forward_progress 1
		.amdhsa_inst_pref_size 1
		.amdhsa_round_robin_scheduling 0
		.amdhsa_exception_fp_ieee_invalid_op 0
		.amdhsa_exception_fp_denorm_src 0
		.amdhsa_exception_fp_ieee_div_zero 0
		.amdhsa_exception_fp_ieee_overflow 0
		.amdhsa_exception_fp_ieee_underflow 0
		.amdhsa_exception_fp_ieee_inexact 0
		.amdhsa_exception_int_div_zero 0
	.end_amdhsa_kernel
	.section	.text._Z39paged_attention_ll4mi_QKV_mfma16_kernelIDF16_hLN4vllm18Fp8KVCacheDataTypeE1EhLi32ELi64ELi256ELb1ELi1EEvPKT_PKT0_S7_ifPKiS9_S9_iPKfiiiPfSC_PS2_PT2_iSB_SB_,"axG",@progbits,_Z39paged_attention_ll4mi_QKV_mfma16_kernelIDF16_hLN4vllm18Fp8KVCacheDataTypeE1EhLi32ELi64ELi256ELb1ELi1EEvPKT_PKT0_S7_ifPKiS9_S9_iPKfiiiPfSC_PS2_PT2_iSB_SB_,comdat
.Lfunc_end866:
	.size	_Z39paged_attention_ll4mi_QKV_mfma16_kernelIDF16_hLN4vllm18Fp8KVCacheDataTypeE1EhLi32ELi64ELi256ELb1ELi1EEvPKT_PKT0_S7_ifPKiS9_S9_iPKfiiiPfSC_PS2_PT2_iSB_SB_, .Lfunc_end866-_Z39paged_attention_ll4mi_QKV_mfma16_kernelIDF16_hLN4vllm18Fp8KVCacheDataTypeE1EhLi32ELi64ELi256ELb1ELi1EEvPKT_PKT0_S7_ifPKiS9_S9_iPKfiiiPfSC_PS2_PT2_iSB_SB_
                                        ; -- End function
	.set _Z39paged_attention_ll4mi_QKV_mfma16_kernelIDF16_hLN4vllm18Fp8KVCacheDataTypeE1EhLi32ELi64ELi256ELb1ELi1EEvPKT_PKT0_S7_ifPKiS9_S9_iPKfiiiPfSC_PS2_PT2_iSB_SB_.num_vgpr, max(3, .L__assert_fail.num_vgpr)
	.set _Z39paged_attention_ll4mi_QKV_mfma16_kernelIDF16_hLN4vllm18Fp8KVCacheDataTypeE1EhLi32ELi64ELi256ELb1ELi1EEvPKT_PKT0_S7_ifPKiS9_S9_iPKfiiiPfSC_PS2_PT2_iSB_SB_.num_agpr, max(0, .L__assert_fail.num_agpr)
	.set _Z39paged_attention_ll4mi_QKV_mfma16_kernelIDF16_hLN4vllm18Fp8KVCacheDataTypeE1EhLi32ELi64ELi256ELb1ELi1EEvPKT_PKT0_S7_ifPKiS9_S9_iPKfiiiPfSC_PS2_PT2_iSB_SB_.numbered_sgpr, max(33, .L__assert_fail.numbered_sgpr)
	.set _Z39paged_attention_ll4mi_QKV_mfma16_kernelIDF16_hLN4vllm18Fp8KVCacheDataTypeE1EhLi32ELi64ELi256ELb1ELi1EEvPKT_PKT0_S7_ifPKiS9_S9_iPKfiiiPfSC_PS2_PT2_iSB_SB_.num_named_barrier, max(0, .L__assert_fail.num_named_barrier)
	.set _Z39paged_attention_ll4mi_QKV_mfma16_kernelIDF16_hLN4vllm18Fp8KVCacheDataTypeE1EhLi32ELi64ELi256ELb1ELi1EEvPKT_PKT0_S7_ifPKiS9_S9_iPKfiiiPfSC_PS2_PT2_iSB_SB_.private_seg_size, 0+max(.L__assert_fail.private_seg_size)
	.set _Z39paged_attention_ll4mi_QKV_mfma16_kernelIDF16_hLN4vllm18Fp8KVCacheDataTypeE1EhLi32ELi64ELi256ELb1ELi1EEvPKT_PKT0_S7_ifPKiS9_S9_iPKfiiiPfSC_PS2_PT2_iSB_SB_.uses_vcc, or(1, .L__assert_fail.uses_vcc)
	.set _Z39paged_attention_ll4mi_QKV_mfma16_kernelIDF16_hLN4vllm18Fp8KVCacheDataTypeE1EhLi32ELi64ELi256ELb1ELi1EEvPKT_PKT0_S7_ifPKiS9_S9_iPKfiiiPfSC_PS2_PT2_iSB_SB_.uses_flat_scratch, or(0, .L__assert_fail.uses_flat_scratch)
	.set _Z39paged_attention_ll4mi_QKV_mfma16_kernelIDF16_hLN4vllm18Fp8KVCacheDataTypeE1EhLi32ELi64ELi256ELb1ELi1EEvPKT_PKT0_S7_ifPKiS9_S9_iPKfiiiPfSC_PS2_PT2_iSB_SB_.has_dyn_sized_stack, or(0, .L__assert_fail.has_dyn_sized_stack)
	.set _Z39paged_attention_ll4mi_QKV_mfma16_kernelIDF16_hLN4vllm18Fp8KVCacheDataTypeE1EhLi32ELi64ELi256ELb1ELi1EEvPKT_PKT0_S7_ifPKiS9_S9_iPKfiiiPfSC_PS2_PT2_iSB_SB_.has_recursion, or(0, .L__assert_fail.has_recursion)
	.set _Z39paged_attention_ll4mi_QKV_mfma16_kernelIDF16_hLN4vllm18Fp8KVCacheDataTypeE1EhLi32ELi64ELi256ELb1ELi1EEvPKT_PKT0_S7_ifPKiS9_S9_iPKfiiiPfSC_PS2_PT2_iSB_SB_.has_indirect_call, or(0, .L__assert_fail.has_indirect_call)
	.section	.AMDGPU.csdata,"",@progbits
; Kernel info:
; codeLenInByte = 68
; TotalNumSgprs: 36
; NumVgprs: 51
; ScratchSize: 64
; MemoryBound: 0
; FloatMode: 240
; IeeeMode: 1
; LDSByteSize: 0 bytes/workgroup (compile time only)
; SGPRBlocks: 0
; VGPRBlocks: 3
; NumSGPRsForWavesPerEU: 36
; NumVGPRsForWavesPerEU: 51
; NamedBarCnt: 0
; Occupancy: 16
; WaveLimiterHint : 1
; COMPUTE_PGM_RSRC2:SCRATCH_EN: 1
; COMPUTE_PGM_RSRC2:USER_SGPR: 2
; COMPUTE_PGM_RSRC2:TRAP_HANDLER: 0
; COMPUTE_PGM_RSRC2:TGID_X_EN: 1
; COMPUTE_PGM_RSRC2:TGID_Y_EN: 0
; COMPUTE_PGM_RSRC2:TGID_Z_EN: 0
; COMPUTE_PGM_RSRC2:TIDIG_COMP_CNT: 0
	.section	.text._Z39paged_attention_ll4mi_QKV_mfma16_kernelIDF16_hLN4vllm18Fp8KVCacheDataTypeE1EhLi32ELi64ELi256ELb1ELi2EEvPKT_PKT0_S7_ifPKiS9_S9_iPKfiiiPfSC_PS2_PT2_iSB_SB_,"axG",@progbits,_Z39paged_attention_ll4mi_QKV_mfma16_kernelIDF16_hLN4vllm18Fp8KVCacheDataTypeE1EhLi32ELi64ELi256ELb1ELi2EEvPKT_PKT0_S7_ifPKiS9_S9_iPKfiiiPfSC_PS2_PT2_iSB_SB_,comdat
	.protected	_Z39paged_attention_ll4mi_QKV_mfma16_kernelIDF16_hLN4vllm18Fp8KVCacheDataTypeE1EhLi32ELi64ELi256ELb1ELi2EEvPKT_PKT0_S7_ifPKiS9_S9_iPKfiiiPfSC_PS2_PT2_iSB_SB_ ; -- Begin function _Z39paged_attention_ll4mi_QKV_mfma16_kernelIDF16_hLN4vllm18Fp8KVCacheDataTypeE1EhLi32ELi64ELi256ELb1ELi2EEvPKT_PKT0_S7_ifPKiS9_S9_iPKfiiiPfSC_PS2_PT2_iSB_SB_
	.globl	_Z39paged_attention_ll4mi_QKV_mfma16_kernelIDF16_hLN4vllm18Fp8KVCacheDataTypeE1EhLi32ELi64ELi256ELb1ELi2EEvPKT_PKT0_S7_ifPKiS9_S9_iPKfiiiPfSC_PS2_PT2_iSB_SB_
	.p2align	8
	.type	_Z39paged_attention_ll4mi_QKV_mfma16_kernelIDF16_hLN4vllm18Fp8KVCacheDataTypeE1EhLi32ELi64ELi256ELb1ELi2EEvPKT_PKT0_S7_ifPKiS9_S9_iPKfiiiPfSC_PS2_PT2_iSB_SB_,@function
_Z39paged_attention_ll4mi_QKV_mfma16_kernelIDF16_hLN4vllm18Fp8KVCacheDataTypeE1EhLi32ELi64ELi256ELb1ELi2EEvPKT_PKT0_S7_ifPKiS9_S9_iPKfiiiPfSC_PS2_PT2_iSB_SB_: ; @_Z39paged_attention_ll4mi_QKV_mfma16_kernelIDF16_hLN4vllm18Fp8KVCacheDataTypeE1EhLi32ELi64ELi256ELb1ELi2EEvPKT_PKT0_S7_ifPKiS9_S9_iPKfiiiPfSC_PS2_PT2_iSB_SB_
; %bb.0:
	s_get_pc_i64 s[2:3]
	s_add_nc_u64 s[2:3], s[2:3], __PRETTY_FUNCTION__._Z39paged_attention_ll4mi_QKV_mfma16_kernelIDF16_hLN4vllm18Fp8KVCacheDataTypeE1EhLi32ELi64ELi256ELb1ELi2EEvPKT_PKT0_S7_ifPKiS9_S9_iPKfiiiPfSC_PS2_PT2_iSB_SB_@rel64+4
	s_delay_alu instid0(SALU_CYCLE_1)
	v_dual_mov_b32 v0, 0xbb3 :: v_dual_mov_b32 v1, s2
	v_mov_b32_e32 v2, s3
	s_add_nc_u64 s[8:9], s[0:1], 0x90
	s_get_pc_i64 s[0:1]
	s_add_nc_u64 s[0:1], s[0:1], __assert_fail@rel64+4
	s_mov_b32 s32, 0
	s_swap_pc_i64 s[30:31], s[0:1]
	.section	.rodata,"a",@progbits
	.p2align	6, 0x0
	.amdhsa_kernel _Z39paged_attention_ll4mi_QKV_mfma16_kernelIDF16_hLN4vllm18Fp8KVCacheDataTypeE1EhLi32ELi64ELi256ELb1ELi2EEvPKT_PKT0_S7_ifPKiS9_S9_iPKfiiiPfSC_PS2_PT2_iSB_SB_
		.amdhsa_group_segment_fixed_size 0
		.amdhsa_private_segment_fixed_size 64
		.amdhsa_kernarg_size 400
		.amdhsa_user_sgpr_count 2
		.amdhsa_user_sgpr_dispatch_ptr 0
		.amdhsa_user_sgpr_queue_ptr 0
		.amdhsa_user_sgpr_kernarg_segment_ptr 1
		.amdhsa_user_sgpr_dispatch_id 0
		.amdhsa_user_sgpr_kernarg_preload_length 0
		.amdhsa_user_sgpr_kernarg_preload_offset 0
		.amdhsa_user_sgpr_private_segment_size 0
		.amdhsa_wavefront_size32 1
		.amdhsa_uses_dynamic_stack 0
		.amdhsa_enable_private_segment 1
		.amdhsa_system_sgpr_workgroup_id_x 1
		.amdhsa_system_sgpr_workgroup_id_y 0
		.amdhsa_system_sgpr_workgroup_id_z 0
		.amdhsa_system_sgpr_workgroup_info 0
		.amdhsa_system_vgpr_workitem_id 0
		.amdhsa_next_free_vgpr 51
		.amdhsa_next_free_sgpr 34
		.amdhsa_named_barrier_count 0
		.amdhsa_reserve_vcc 1
		.amdhsa_float_round_mode_32 0
		.amdhsa_float_round_mode_16_64 0
		.amdhsa_float_denorm_mode_32 3
		.amdhsa_float_denorm_mode_16_64 3
		.amdhsa_fp16_overflow 0
		.amdhsa_memory_ordered 1
		.amdhsa_forward_progress 1
		.amdhsa_inst_pref_size 1
		.amdhsa_round_robin_scheduling 0
		.amdhsa_exception_fp_ieee_invalid_op 0
		.amdhsa_exception_fp_denorm_src 0
		.amdhsa_exception_fp_ieee_div_zero 0
		.amdhsa_exception_fp_ieee_overflow 0
		.amdhsa_exception_fp_ieee_underflow 0
		.amdhsa_exception_fp_ieee_inexact 0
		.amdhsa_exception_int_div_zero 0
	.end_amdhsa_kernel
	.section	.text._Z39paged_attention_ll4mi_QKV_mfma16_kernelIDF16_hLN4vllm18Fp8KVCacheDataTypeE1EhLi32ELi64ELi256ELb1ELi2EEvPKT_PKT0_S7_ifPKiS9_S9_iPKfiiiPfSC_PS2_PT2_iSB_SB_,"axG",@progbits,_Z39paged_attention_ll4mi_QKV_mfma16_kernelIDF16_hLN4vllm18Fp8KVCacheDataTypeE1EhLi32ELi64ELi256ELb1ELi2EEvPKT_PKT0_S7_ifPKiS9_S9_iPKfiiiPfSC_PS2_PT2_iSB_SB_,comdat
.Lfunc_end867:
	.size	_Z39paged_attention_ll4mi_QKV_mfma16_kernelIDF16_hLN4vllm18Fp8KVCacheDataTypeE1EhLi32ELi64ELi256ELb1ELi2EEvPKT_PKT0_S7_ifPKiS9_S9_iPKfiiiPfSC_PS2_PT2_iSB_SB_, .Lfunc_end867-_Z39paged_attention_ll4mi_QKV_mfma16_kernelIDF16_hLN4vllm18Fp8KVCacheDataTypeE1EhLi32ELi64ELi256ELb1ELi2EEvPKT_PKT0_S7_ifPKiS9_S9_iPKfiiiPfSC_PS2_PT2_iSB_SB_
                                        ; -- End function
	.set _Z39paged_attention_ll4mi_QKV_mfma16_kernelIDF16_hLN4vllm18Fp8KVCacheDataTypeE1EhLi32ELi64ELi256ELb1ELi2EEvPKT_PKT0_S7_ifPKiS9_S9_iPKfiiiPfSC_PS2_PT2_iSB_SB_.num_vgpr, max(3, .L__assert_fail.num_vgpr)
	.set _Z39paged_attention_ll4mi_QKV_mfma16_kernelIDF16_hLN4vllm18Fp8KVCacheDataTypeE1EhLi32ELi64ELi256ELb1ELi2EEvPKT_PKT0_S7_ifPKiS9_S9_iPKfiiiPfSC_PS2_PT2_iSB_SB_.num_agpr, max(0, .L__assert_fail.num_agpr)
	.set _Z39paged_attention_ll4mi_QKV_mfma16_kernelIDF16_hLN4vllm18Fp8KVCacheDataTypeE1EhLi32ELi64ELi256ELb1ELi2EEvPKT_PKT0_S7_ifPKiS9_S9_iPKfiiiPfSC_PS2_PT2_iSB_SB_.numbered_sgpr, max(33, .L__assert_fail.numbered_sgpr)
	.set _Z39paged_attention_ll4mi_QKV_mfma16_kernelIDF16_hLN4vllm18Fp8KVCacheDataTypeE1EhLi32ELi64ELi256ELb1ELi2EEvPKT_PKT0_S7_ifPKiS9_S9_iPKfiiiPfSC_PS2_PT2_iSB_SB_.num_named_barrier, max(0, .L__assert_fail.num_named_barrier)
	.set _Z39paged_attention_ll4mi_QKV_mfma16_kernelIDF16_hLN4vllm18Fp8KVCacheDataTypeE1EhLi32ELi64ELi256ELb1ELi2EEvPKT_PKT0_S7_ifPKiS9_S9_iPKfiiiPfSC_PS2_PT2_iSB_SB_.private_seg_size, 0+max(.L__assert_fail.private_seg_size)
	.set _Z39paged_attention_ll4mi_QKV_mfma16_kernelIDF16_hLN4vllm18Fp8KVCacheDataTypeE1EhLi32ELi64ELi256ELb1ELi2EEvPKT_PKT0_S7_ifPKiS9_S9_iPKfiiiPfSC_PS2_PT2_iSB_SB_.uses_vcc, or(1, .L__assert_fail.uses_vcc)
	.set _Z39paged_attention_ll4mi_QKV_mfma16_kernelIDF16_hLN4vllm18Fp8KVCacheDataTypeE1EhLi32ELi64ELi256ELb1ELi2EEvPKT_PKT0_S7_ifPKiS9_S9_iPKfiiiPfSC_PS2_PT2_iSB_SB_.uses_flat_scratch, or(0, .L__assert_fail.uses_flat_scratch)
	.set _Z39paged_attention_ll4mi_QKV_mfma16_kernelIDF16_hLN4vllm18Fp8KVCacheDataTypeE1EhLi32ELi64ELi256ELb1ELi2EEvPKT_PKT0_S7_ifPKiS9_S9_iPKfiiiPfSC_PS2_PT2_iSB_SB_.has_dyn_sized_stack, or(0, .L__assert_fail.has_dyn_sized_stack)
	.set _Z39paged_attention_ll4mi_QKV_mfma16_kernelIDF16_hLN4vllm18Fp8KVCacheDataTypeE1EhLi32ELi64ELi256ELb1ELi2EEvPKT_PKT0_S7_ifPKiS9_S9_iPKfiiiPfSC_PS2_PT2_iSB_SB_.has_recursion, or(0, .L__assert_fail.has_recursion)
	.set _Z39paged_attention_ll4mi_QKV_mfma16_kernelIDF16_hLN4vllm18Fp8KVCacheDataTypeE1EhLi32ELi64ELi256ELb1ELi2EEvPKT_PKT0_S7_ifPKiS9_S9_iPKfiiiPfSC_PS2_PT2_iSB_SB_.has_indirect_call, or(0, .L__assert_fail.has_indirect_call)
	.section	.AMDGPU.csdata,"",@progbits
; Kernel info:
; codeLenInByte = 68
; TotalNumSgprs: 36
; NumVgprs: 51
; ScratchSize: 64
; MemoryBound: 0
; FloatMode: 240
; IeeeMode: 1
; LDSByteSize: 0 bytes/workgroup (compile time only)
; SGPRBlocks: 0
; VGPRBlocks: 3
; NumSGPRsForWavesPerEU: 36
; NumVGPRsForWavesPerEU: 51
; NamedBarCnt: 0
; Occupancy: 16
; WaveLimiterHint : 1
; COMPUTE_PGM_RSRC2:SCRATCH_EN: 1
; COMPUTE_PGM_RSRC2:USER_SGPR: 2
; COMPUTE_PGM_RSRC2:TRAP_HANDLER: 0
; COMPUTE_PGM_RSRC2:TGID_X_EN: 1
; COMPUTE_PGM_RSRC2:TGID_Y_EN: 0
; COMPUTE_PGM_RSRC2:TGID_Z_EN: 0
; COMPUTE_PGM_RSRC2:TIDIG_COMP_CNT: 0
	.section	.text._Z39paged_attention_ll4mi_QKV_mfma16_kernelIDF16_hLN4vllm18Fp8KVCacheDataTypeE1EhLi32ELi64ELi256ELb1ELi3EEvPKT_PKT0_S7_ifPKiS9_S9_iPKfiiiPfSC_PS2_PT2_iSB_SB_,"axG",@progbits,_Z39paged_attention_ll4mi_QKV_mfma16_kernelIDF16_hLN4vllm18Fp8KVCacheDataTypeE1EhLi32ELi64ELi256ELb1ELi3EEvPKT_PKT0_S7_ifPKiS9_S9_iPKfiiiPfSC_PS2_PT2_iSB_SB_,comdat
	.protected	_Z39paged_attention_ll4mi_QKV_mfma16_kernelIDF16_hLN4vllm18Fp8KVCacheDataTypeE1EhLi32ELi64ELi256ELb1ELi3EEvPKT_PKT0_S7_ifPKiS9_S9_iPKfiiiPfSC_PS2_PT2_iSB_SB_ ; -- Begin function _Z39paged_attention_ll4mi_QKV_mfma16_kernelIDF16_hLN4vllm18Fp8KVCacheDataTypeE1EhLi32ELi64ELi256ELb1ELi3EEvPKT_PKT0_S7_ifPKiS9_S9_iPKfiiiPfSC_PS2_PT2_iSB_SB_
	.globl	_Z39paged_attention_ll4mi_QKV_mfma16_kernelIDF16_hLN4vllm18Fp8KVCacheDataTypeE1EhLi32ELi64ELi256ELb1ELi3EEvPKT_PKT0_S7_ifPKiS9_S9_iPKfiiiPfSC_PS2_PT2_iSB_SB_
	.p2align	8
	.type	_Z39paged_attention_ll4mi_QKV_mfma16_kernelIDF16_hLN4vllm18Fp8KVCacheDataTypeE1EhLi32ELi64ELi256ELb1ELi3EEvPKT_PKT0_S7_ifPKiS9_S9_iPKfiiiPfSC_PS2_PT2_iSB_SB_,@function
_Z39paged_attention_ll4mi_QKV_mfma16_kernelIDF16_hLN4vllm18Fp8KVCacheDataTypeE1EhLi32ELi64ELi256ELb1ELi3EEvPKT_PKT0_S7_ifPKiS9_S9_iPKfiiiPfSC_PS2_PT2_iSB_SB_: ; @_Z39paged_attention_ll4mi_QKV_mfma16_kernelIDF16_hLN4vllm18Fp8KVCacheDataTypeE1EhLi32ELi64ELi256ELb1ELi3EEvPKT_PKT0_S7_ifPKiS9_S9_iPKfiiiPfSC_PS2_PT2_iSB_SB_
; %bb.0:
	s_get_pc_i64 s[2:3]
	s_add_nc_u64 s[2:3], s[2:3], __PRETTY_FUNCTION__._Z39paged_attention_ll4mi_QKV_mfma16_kernelIDF16_hLN4vllm18Fp8KVCacheDataTypeE1EhLi32ELi64ELi256ELb1ELi3EEvPKT_PKT0_S7_ifPKiS9_S9_iPKfiiiPfSC_PS2_PT2_iSB_SB_@rel64+4
	s_delay_alu instid0(SALU_CYCLE_1)
	v_dual_mov_b32 v0, 0xbb3 :: v_dual_mov_b32 v1, s2
	v_mov_b32_e32 v2, s3
	s_add_nc_u64 s[8:9], s[0:1], 0x90
	s_get_pc_i64 s[0:1]
	s_add_nc_u64 s[0:1], s[0:1], __assert_fail@rel64+4
	s_mov_b32 s32, 0
	s_swap_pc_i64 s[30:31], s[0:1]
	.section	.rodata,"a",@progbits
	.p2align	6, 0x0
	.amdhsa_kernel _Z39paged_attention_ll4mi_QKV_mfma16_kernelIDF16_hLN4vllm18Fp8KVCacheDataTypeE1EhLi32ELi64ELi256ELb1ELi3EEvPKT_PKT0_S7_ifPKiS9_S9_iPKfiiiPfSC_PS2_PT2_iSB_SB_
		.amdhsa_group_segment_fixed_size 0
		.amdhsa_private_segment_fixed_size 64
		.amdhsa_kernarg_size 400
		.amdhsa_user_sgpr_count 2
		.amdhsa_user_sgpr_dispatch_ptr 0
		.amdhsa_user_sgpr_queue_ptr 0
		.amdhsa_user_sgpr_kernarg_segment_ptr 1
		.amdhsa_user_sgpr_dispatch_id 0
		.amdhsa_user_sgpr_kernarg_preload_length 0
		.amdhsa_user_sgpr_kernarg_preload_offset 0
		.amdhsa_user_sgpr_private_segment_size 0
		.amdhsa_wavefront_size32 1
		.amdhsa_uses_dynamic_stack 0
		.amdhsa_enable_private_segment 1
		.amdhsa_system_sgpr_workgroup_id_x 1
		.amdhsa_system_sgpr_workgroup_id_y 0
		.amdhsa_system_sgpr_workgroup_id_z 0
		.amdhsa_system_sgpr_workgroup_info 0
		.amdhsa_system_vgpr_workitem_id 0
		.amdhsa_next_free_vgpr 51
		.amdhsa_next_free_sgpr 34
		.amdhsa_named_barrier_count 0
		.amdhsa_reserve_vcc 1
		.amdhsa_float_round_mode_32 0
		.amdhsa_float_round_mode_16_64 0
		.amdhsa_float_denorm_mode_32 3
		.amdhsa_float_denorm_mode_16_64 3
		.amdhsa_fp16_overflow 0
		.amdhsa_memory_ordered 1
		.amdhsa_forward_progress 1
		.amdhsa_inst_pref_size 1
		.amdhsa_round_robin_scheduling 0
		.amdhsa_exception_fp_ieee_invalid_op 0
		.amdhsa_exception_fp_denorm_src 0
		.amdhsa_exception_fp_ieee_div_zero 0
		.amdhsa_exception_fp_ieee_overflow 0
		.amdhsa_exception_fp_ieee_underflow 0
		.amdhsa_exception_fp_ieee_inexact 0
		.amdhsa_exception_int_div_zero 0
	.end_amdhsa_kernel
	.section	.text._Z39paged_attention_ll4mi_QKV_mfma16_kernelIDF16_hLN4vllm18Fp8KVCacheDataTypeE1EhLi32ELi64ELi256ELb1ELi3EEvPKT_PKT0_S7_ifPKiS9_S9_iPKfiiiPfSC_PS2_PT2_iSB_SB_,"axG",@progbits,_Z39paged_attention_ll4mi_QKV_mfma16_kernelIDF16_hLN4vllm18Fp8KVCacheDataTypeE1EhLi32ELi64ELi256ELb1ELi3EEvPKT_PKT0_S7_ifPKiS9_S9_iPKfiiiPfSC_PS2_PT2_iSB_SB_,comdat
.Lfunc_end868:
	.size	_Z39paged_attention_ll4mi_QKV_mfma16_kernelIDF16_hLN4vllm18Fp8KVCacheDataTypeE1EhLi32ELi64ELi256ELb1ELi3EEvPKT_PKT0_S7_ifPKiS9_S9_iPKfiiiPfSC_PS2_PT2_iSB_SB_, .Lfunc_end868-_Z39paged_attention_ll4mi_QKV_mfma16_kernelIDF16_hLN4vllm18Fp8KVCacheDataTypeE1EhLi32ELi64ELi256ELb1ELi3EEvPKT_PKT0_S7_ifPKiS9_S9_iPKfiiiPfSC_PS2_PT2_iSB_SB_
                                        ; -- End function
	.set _Z39paged_attention_ll4mi_QKV_mfma16_kernelIDF16_hLN4vllm18Fp8KVCacheDataTypeE1EhLi32ELi64ELi256ELb1ELi3EEvPKT_PKT0_S7_ifPKiS9_S9_iPKfiiiPfSC_PS2_PT2_iSB_SB_.num_vgpr, max(3, .L__assert_fail.num_vgpr)
	.set _Z39paged_attention_ll4mi_QKV_mfma16_kernelIDF16_hLN4vllm18Fp8KVCacheDataTypeE1EhLi32ELi64ELi256ELb1ELi3EEvPKT_PKT0_S7_ifPKiS9_S9_iPKfiiiPfSC_PS2_PT2_iSB_SB_.num_agpr, max(0, .L__assert_fail.num_agpr)
	.set _Z39paged_attention_ll4mi_QKV_mfma16_kernelIDF16_hLN4vllm18Fp8KVCacheDataTypeE1EhLi32ELi64ELi256ELb1ELi3EEvPKT_PKT0_S7_ifPKiS9_S9_iPKfiiiPfSC_PS2_PT2_iSB_SB_.numbered_sgpr, max(33, .L__assert_fail.numbered_sgpr)
	.set _Z39paged_attention_ll4mi_QKV_mfma16_kernelIDF16_hLN4vllm18Fp8KVCacheDataTypeE1EhLi32ELi64ELi256ELb1ELi3EEvPKT_PKT0_S7_ifPKiS9_S9_iPKfiiiPfSC_PS2_PT2_iSB_SB_.num_named_barrier, max(0, .L__assert_fail.num_named_barrier)
	.set _Z39paged_attention_ll4mi_QKV_mfma16_kernelIDF16_hLN4vllm18Fp8KVCacheDataTypeE1EhLi32ELi64ELi256ELb1ELi3EEvPKT_PKT0_S7_ifPKiS9_S9_iPKfiiiPfSC_PS2_PT2_iSB_SB_.private_seg_size, 0+max(.L__assert_fail.private_seg_size)
	.set _Z39paged_attention_ll4mi_QKV_mfma16_kernelIDF16_hLN4vllm18Fp8KVCacheDataTypeE1EhLi32ELi64ELi256ELb1ELi3EEvPKT_PKT0_S7_ifPKiS9_S9_iPKfiiiPfSC_PS2_PT2_iSB_SB_.uses_vcc, or(1, .L__assert_fail.uses_vcc)
	.set _Z39paged_attention_ll4mi_QKV_mfma16_kernelIDF16_hLN4vllm18Fp8KVCacheDataTypeE1EhLi32ELi64ELi256ELb1ELi3EEvPKT_PKT0_S7_ifPKiS9_S9_iPKfiiiPfSC_PS2_PT2_iSB_SB_.uses_flat_scratch, or(0, .L__assert_fail.uses_flat_scratch)
	.set _Z39paged_attention_ll4mi_QKV_mfma16_kernelIDF16_hLN4vllm18Fp8KVCacheDataTypeE1EhLi32ELi64ELi256ELb1ELi3EEvPKT_PKT0_S7_ifPKiS9_S9_iPKfiiiPfSC_PS2_PT2_iSB_SB_.has_dyn_sized_stack, or(0, .L__assert_fail.has_dyn_sized_stack)
	.set _Z39paged_attention_ll4mi_QKV_mfma16_kernelIDF16_hLN4vllm18Fp8KVCacheDataTypeE1EhLi32ELi64ELi256ELb1ELi3EEvPKT_PKT0_S7_ifPKiS9_S9_iPKfiiiPfSC_PS2_PT2_iSB_SB_.has_recursion, or(0, .L__assert_fail.has_recursion)
	.set _Z39paged_attention_ll4mi_QKV_mfma16_kernelIDF16_hLN4vllm18Fp8KVCacheDataTypeE1EhLi32ELi64ELi256ELb1ELi3EEvPKT_PKT0_S7_ifPKiS9_S9_iPKfiiiPfSC_PS2_PT2_iSB_SB_.has_indirect_call, or(0, .L__assert_fail.has_indirect_call)
	.section	.AMDGPU.csdata,"",@progbits
; Kernel info:
; codeLenInByte = 68
; TotalNumSgprs: 36
; NumVgprs: 51
; ScratchSize: 64
; MemoryBound: 0
; FloatMode: 240
; IeeeMode: 1
; LDSByteSize: 0 bytes/workgroup (compile time only)
; SGPRBlocks: 0
; VGPRBlocks: 3
; NumSGPRsForWavesPerEU: 36
; NumVGPRsForWavesPerEU: 51
; NamedBarCnt: 0
; Occupancy: 16
; WaveLimiterHint : 1
; COMPUTE_PGM_RSRC2:SCRATCH_EN: 1
; COMPUTE_PGM_RSRC2:USER_SGPR: 2
; COMPUTE_PGM_RSRC2:TRAP_HANDLER: 0
; COMPUTE_PGM_RSRC2:TGID_X_EN: 1
; COMPUTE_PGM_RSRC2:TGID_Y_EN: 0
; COMPUTE_PGM_RSRC2:TGID_Z_EN: 0
; COMPUTE_PGM_RSRC2:TIDIG_COMP_CNT: 0
	.section	.text._Z39paged_attention_ll4mi_QKV_mfma16_kernelIDF16_hLN4vllm18Fp8KVCacheDataTypeE1EhLi32ELi64ELi256ELb1ELi4EEvPKT_PKT0_S7_ifPKiS9_S9_iPKfiiiPfSC_PS2_PT2_iSB_SB_,"axG",@progbits,_Z39paged_attention_ll4mi_QKV_mfma16_kernelIDF16_hLN4vllm18Fp8KVCacheDataTypeE1EhLi32ELi64ELi256ELb1ELi4EEvPKT_PKT0_S7_ifPKiS9_S9_iPKfiiiPfSC_PS2_PT2_iSB_SB_,comdat
	.protected	_Z39paged_attention_ll4mi_QKV_mfma16_kernelIDF16_hLN4vllm18Fp8KVCacheDataTypeE1EhLi32ELi64ELi256ELb1ELi4EEvPKT_PKT0_S7_ifPKiS9_S9_iPKfiiiPfSC_PS2_PT2_iSB_SB_ ; -- Begin function _Z39paged_attention_ll4mi_QKV_mfma16_kernelIDF16_hLN4vllm18Fp8KVCacheDataTypeE1EhLi32ELi64ELi256ELb1ELi4EEvPKT_PKT0_S7_ifPKiS9_S9_iPKfiiiPfSC_PS2_PT2_iSB_SB_
	.globl	_Z39paged_attention_ll4mi_QKV_mfma16_kernelIDF16_hLN4vllm18Fp8KVCacheDataTypeE1EhLi32ELi64ELi256ELb1ELi4EEvPKT_PKT0_S7_ifPKiS9_S9_iPKfiiiPfSC_PS2_PT2_iSB_SB_
	.p2align	8
	.type	_Z39paged_attention_ll4mi_QKV_mfma16_kernelIDF16_hLN4vllm18Fp8KVCacheDataTypeE1EhLi32ELi64ELi256ELb1ELi4EEvPKT_PKT0_S7_ifPKiS9_S9_iPKfiiiPfSC_PS2_PT2_iSB_SB_,@function
_Z39paged_attention_ll4mi_QKV_mfma16_kernelIDF16_hLN4vllm18Fp8KVCacheDataTypeE1EhLi32ELi64ELi256ELb1ELi4EEvPKT_PKT0_S7_ifPKiS9_S9_iPKfiiiPfSC_PS2_PT2_iSB_SB_: ; @_Z39paged_attention_ll4mi_QKV_mfma16_kernelIDF16_hLN4vllm18Fp8KVCacheDataTypeE1EhLi32ELi64ELi256ELb1ELi4EEvPKT_PKT0_S7_ifPKiS9_S9_iPKfiiiPfSC_PS2_PT2_iSB_SB_
; %bb.0:
	s_get_pc_i64 s[2:3]
	s_add_nc_u64 s[2:3], s[2:3], __PRETTY_FUNCTION__._Z39paged_attention_ll4mi_QKV_mfma16_kernelIDF16_hLN4vllm18Fp8KVCacheDataTypeE1EhLi32ELi64ELi256ELb1ELi4EEvPKT_PKT0_S7_ifPKiS9_S9_iPKfiiiPfSC_PS2_PT2_iSB_SB_@rel64+4
	s_delay_alu instid0(SALU_CYCLE_1)
	v_dual_mov_b32 v0, 0xbb3 :: v_dual_mov_b32 v1, s2
	v_mov_b32_e32 v2, s3
	s_add_nc_u64 s[8:9], s[0:1], 0x90
	s_get_pc_i64 s[0:1]
	s_add_nc_u64 s[0:1], s[0:1], __assert_fail@rel64+4
	s_mov_b32 s32, 0
	s_swap_pc_i64 s[30:31], s[0:1]
	.section	.rodata,"a",@progbits
	.p2align	6, 0x0
	.amdhsa_kernel _Z39paged_attention_ll4mi_QKV_mfma16_kernelIDF16_hLN4vllm18Fp8KVCacheDataTypeE1EhLi32ELi64ELi256ELb1ELi4EEvPKT_PKT0_S7_ifPKiS9_S9_iPKfiiiPfSC_PS2_PT2_iSB_SB_
		.amdhsa_group_segment_fixed_size 0
		.amdhsa_private_segment_fixed_size 64
		.amdhsa_kernarg_size 400
		.amdhsa_user_sgpr_count 2
		.amdhsa_user_sgpr_dispatch_ptr 0
		.amdhsa_user_sgpr_queue_ptr 0
		.amdhsa_user_sgpr_kernarg_segment_ptr 1
		.amdhsa_user_sgpr_dispatch_id 0
		.amdhsa_user_sgpr_kernarg_preload_length 0
		.amdhsa_user_sgpr_kernarg_preload_offset 0
		.amdhsa_user_sgpr_private_segment_size 0
		.amdhsa_wavefront_size32 1
		.amdhsa_uses_dynamic_stack 0
		.amdhsa_enable_private_segment 1
		.amdhsa_system_sgpr_workgroup_id_x 1
		.amdhsa_system_sgpr_workgroup_id_y 0
		.amdhsa_system_sgpr_workgroup_id_z 0
		.amdhsa_system_sgpr_workgroup_info 0
		.amdhsa_system_vgpr_workitem_id 0
		.amdhsa_next_free_vgpr 51
		.amdhsa_next_free_sgpr 34
		.amdhsa_named_barrier_count 0
		.amdhsa_reserve_vcc 1
		.amdhsa_float_round_mode_32 0
		.amdhsa_float_round_mode_16_64 0
		.amdhsa_float_denorm_mode_32 3
		.amdhsa_float_denorm_mode_16_64 3
		.amdhsa_fp16_overflow 0
		.amdhsa_memory_ordered 1
		.amdhsa_forward_progress 1
		.amdhsa_inst_pref_size 1
		.amdhsa_round_robin_scheduling 0
		.amdhsa_exception_fp_ieee_invalid_op 0
		.amdhsa_exception_fp_denorm_src 0
		.amdhsa_exception_fp_ieee_div_zero 0
		.amdhsa_exception_fp_ieee_overflow 0
		.amdhsa_exception_fp_ieee_underflow 0
		.amdhsa_exception_fp_ieee_inexact 0
		.amdhsa_exception_int_div_zero 0
	.end_amdhsa_kernel
	.section	.text._Z39paged_attention_ll4mi_QKV_mfma16_kernelIDF16_hLN4vllm18Fp8KVCacheDataTypeE1EhLi32ELi64ELi256ELb1ELi4EEvPKT_PKT0_S7_ifPKiS9_S9_iPKfiiiPfSC_PS2_PT2_iSB_SB_,"axG",@progbits,_Z39paged_attention_ll4mi_QKV_mfma16_kernelIDF16_hLN4vllm18Fp8KVCacheDataTypeE1EhLi32ELi64ELi256ELb1ELi4EEvPKT_PKT0_S7_ifPKiS9_S9_iPKfiiiPfSC_PS2_PT2_iSB_SB_,comdat
.Lfunc_end869:
	.size	_Z39paged_attention_ll4mi_QKV_mfma16_kernelIDF16_hLN4vllm18Fp8KVCacheDataTypeE1EhLi32ELi64ELi256ELb1ELi4EEvPKT_PKT0_S7_ifPKiS9_S9_iPKfiiiPfSC_PS2_PT2_iSB_SB_, .Lfunc_end869-_Z39paged_attention_ll4mi_QKV_mfma16_kernelIDF16_hLN4vllm18Fp8KVCacheDataTypeE1EhLi32ELi64ELi256ELb1ELi4EEvPKT_PKT0_S7_ifPKiS9_S9_iPKfiiiPfSC_PS2_PT2_iSB_SB_
                                        ; -- End function
	.set _Z39paged_attention_ll4mi_QKV_mfma16_kernelIDF16_hLN4vllm18Fp8KVCacheDataTypeE1EhLi32ELi64ELi256ELb1ELi4EEvPKT_PKT0_S7_ifPKiS9_S9_iPKfiiiPfSC_PS2_PT2_iSB_SB_.num_vgpr, max(3, .L__assert_fail.num_vgpr)
	.set _Z39paged_attention_ll4mi_QKV_mfma16_kernelIDF16_hLN4vllm18Fp8KVCacheDataTypeE1EhLi32ELi64ELi256ELb1ELi4EEvPKT_PKT0_S7_ifPKiS9_S9_iPKfiiiPfSC_PS2_PT2_iSB_SB_.num_agpr, max(0, .L__assert_fail.num_agpr)
	.set _Z39paged_attention_ll4mi_QKV_mfma16_kernelIDF16_hLN4vllm18Fp8KVCacheDataTypeE1EhLi32ELi64ELi256ELb1ELi4EEvPKT_PKT0_S7_ifPKiS9_S9_iPKfiiiPfSC_PS2_PT2_iSB_SB_.numbered_sgpr, max(33, .L__assert_fail.numbered_sgpr)
	.set _Z39paged_attention_ll4mi_QKV_mfma16_kernelIDF16_hLN4vllm18Fp8KVCacheDataTypeE1EhLi32ELi64ELi256ELb1ELi4EEvPKT_PKT0_S7_ifPKiS9_S9_iPKfiiiPfSC_PS2_PT2_iSB_SB_.num_named_barrier, max(0, .L__assert_fail.num_named_barrier)
	.set _Z39paged_attention_ll4mi_QKV_mfma16_kernelIDF16_hLN4vllm18Fp8KVCacheDataTypeE1EhLi32ELi64ELi256ELb1ELi4EEvPKT_PKT0_S7_ifPKiS9_S9_iPKfiiiPfSC_PS2_PT2_iSB_SB_.private_seg_size, 0+max(.L__assert_fail.private_seg_size)
	.set _Z39paged_attention_ll4mi_QKV_mfma16_kernelIDF16_hLN4vllm18Fp8KVCacheDataTypeE1EhLi32ELi64ELi256ELb1ELi4EEvPKT_PKT0_S7_ifPKiS9_S9_iPKfiiiPfSC_PS2_PT2_iSB_SB_.uses_vcc, or(1, .L__assert_fail.uses_vcc)
	.set _Z39paged_attention_ll4mi_QKV_mfma16_kernelIDF16_hLN4vllm18Fp8KVCacheDataTypeE1EhLi32ELi64ELi256ELb1ELi4EEvPKT_PKT0_S7_ifPKiS9_S9_iPKfiiiPfSC_PS2_PT2_iSB_SB_.uses_flat_scratch, or(0, .L__assert_fail.uses_flat_scratch)
	.set _Z39paged_attention_ll4mi_QKV_mfma16_kernelIDF16_hLN4vllm18Fp8KVCacheDataTypeE1EhLi32ELi64ELi256ELb1ELi4EEvPKT_PKT0_S7_ifPKiS9_S9_iPKfiiiPfSC_PS2_PT2_iSB_SB_.has_dyn_sized_stack, or(0, .L__assert_fail.has_dyn_sized_stack)
	.set _Z39paged_attention_ll4mi_QKV_mfma16_kernelIDF16_hLN4vllm18Fp8KVCacheDataTypeE1EhLi32ELi64ELi256ELb1ELi4EEvPKT_PKT0_S7_ifPKiS9_S9_iPKfiiiPfSC_PS2_PT2_iSB_SB_.has_recursion, or(0, .L__assert_fail.has_recursion)
	.set _Z39paged_attention_ll4mi_QKV_mfma16_kernelIDF16_hLN4vllm18Fp8KVCacheDataTypeE1EhLi32ELi64ELi256ELb1ELi4EEvPKT_PKT0_S7_ifPKiS9_S9_iPKfiiiPfSC_PS2_PT2_iSB_SB_.has_indirect_call, or(0, .L__assert_fail.has_indirect_call)
	.section	.AMDGPU.csdata,"",@progbits
; Kernel info:
; codeLenInByte = 68
; TotalNumSgprs: 36
; NumVgprs: 51
; ScratchSize: 64
; MemoryBound: 0
; FloatMode: 240
; IeeeMode: 1
; LDSByteSize: 0 bytes/workgroup (compile time only)
; SGPRBlocks: 0
; VGPRBlocks: 3
; NumSGPRsForWavesPerEU: 36
; NumVGPRsForWavesPerEU: 51
; NamedBarCnt: 0
; Occupancy: 16
; WaveLimiterHint : 1
; COMPUTE_PGM_RSRC2:SCRATCH_EN: 1
; COMPUTE_PGM_RSRC2:USER_SGPR: 2
; COMPUTE_PGM_RSRC2:TRAP_HANDLER: 0
; COMPUTE_PGM_RSRC2:TGID_X_EN: 1
; COMPUTE_PGM_RSRC2:TGID_Y_EN: 0
; COMPUTE_PGM_RSRC2:TGID_Z_EN: 0
; COMPUTE_PGM_RSRC2:TIDIG_COMP_CNT: 0
	.section	.text._Z38paged_attention_ll4mi_QKV_mfma4_kernelIDF16_hLN4vllm18Fp8KVCacheDataTypeE1EhLi32ELi64ELi256ELb0ELi1EEvPKT_PKT0_S7_ifPKiS9_S9_iPKfiiiPfSC_PS2_PT2_iSB_SB_,"axG",@progbits,_Z38paged_attention_ll4mi_QKV_mfma4_kernelIDF16_hLN4vllm18Fp8KVCacheDataTypeE1EhLi32ELi64ELi256ELb0ELi1EEvPKT_PKT0_S7_ifPKiS9_S9_iPKfiiiPfSC_PS2_PT2_iSB_SB_,comdat
	.protected	_Z38paged_attention_ll4mi_QKV_mfma4_kernelIDF16_hLN4vllm18Fp8KVCacheDataTypeE1EhLi32ELi64ELi256ELb0ELi1EEvPKT_PKT0_S7_ifPKiS9_S9_iPKfiiiPfSC_PS2_PT2_iSB_SB_ ; -- Begin function _Z38paged_attention_ll4mi_QKV_mfma4_kernelIDF16_hLN4vllm18Fp8KVCacheDataTypeE1EhLi32ELi64ELi256ELb0ELi1EEvPKT_PKT0_S7_ifPKiS9_S9_iPKfiiiPfSC_PS2_PT2_iSB_SB_
	.globl	_Z38paged_attention_ll4mi_QKV_mfma4_kernelIDF16_hLN4vllm18Fp8KVCacheDataTypeE1EhLi32ELi64ELi256ELb0ELi1EEvPKT_PKT0_S7_ifPKiS9_S9_iPKfiiiPfSC_PS2_PT2_iSB_SB_
	.p2align	8
	.type	_Z38paged_attention_ll4mi_QKV_mfma4_kernelIDF16_hLN4vllm18Fp8KVCacheDataTypeE1EhLi32ELi64ELi256ELb0ELi1EEvPKT_PKT0_S7_ifPKiS9_S9_iPKfiiiPfSC_PS2_PT2_iSB_SB_,@function
_Z38paged_attention_ll4mi_QKV_mfma4_kernelIDF16_hLN4vllm18Fp8KVCacheDataTypeE1EhLi32ELi64ELi256ELb0ELi1EEvPKT_PKT0_S7_ifPKiS9_S9_iPKfiiiPfSC_PS2_PT2_iSB_SB_: ; @_Z38paged_attention_ll4mi_QKV_mfma4_kernelIDF16_hLN4vllm18Fp8KVCacheDataTypeE1EhLi32ELi64ELi256ELb0ELi1EEvPKT_PKT0_S7_ifPKiS9_S9_iPKfiiiPfSC_PS2_PT2_iSB_SB_
; %bb.0:
	s_get_pc_i64 s[2:3]
	s_add_nc_u64 s[2:3], s[2:3], __PRETTY_FUNCTION__._Z38paged_attention_ll4mi_QKV_mfma4_kernelIDF16_hLN4vllm18Fp8KVCacheDataTypeE1EhLi32ELi64ELi256ELb0ELi1EEvPKT_PKT0_S7_ifPKiS9_S9_iPKfiiiPfSC_PS2_PT2_iSB_SB_@rel64+4
	s_delay_alu instid0(SALU_CYCLE_1)
	v_dual_mov_b32 v0, 0xbce :: v_dual_mov_b32 v1, s2
	v_mov_b32_e32 v2, s3
	s_add_nc_u64 s[8:9], s[0:1], 0x90
	s_get_pc_i64 s[0:1]
	s_add_nc_u64 s[0:1], s[0:1], __assert_fail@rel64+4
	s_mov_b32 s32, 0
	s_swap_pc_i64 s[30:31], s[0:1]
	.section	.rodata,"a",@progbits
	.p2align	6, 0x0
	.amdhsa_kernel _Z38paged_attention_ll4mi_QKV_mfma4_kernelIDF16_hLN4vllm18Fp8KVCacheDataTypeE1EhLi32ELi64ELi256ELb0ELi1EEvPKT_PKT0_S7_ifPKiS9_S9_iPKfiiiPfSC_PS2_PT2_iSB_SB_
		.amdhsa_group_segment_fixed_size 0
		.amdhsa_private_segment_fixed_size 64
		.amdhsa_kernarg_size 400
		.amdhsa_user_sgpr_count 2
		.amdhsa_user_sgpr_dispatch_ptr 0
		.amdhsa_user_sgpr_queue_ptr 0
		.amdhsa_user_sgpr_kernarg_segment_ptr 1
		.amdhsa_user_sgpr_dispatch_id 0
		.amdhsa_user_sgpr_kernarg_preload_length 0
		.amdhsa_user_sgpr_kernarg_preload_offset 0
		.amdhsa_user_sgpr_private_segment_size 0
		.amdhsa_wavefront_size32 1
		.amdhsa_uses_dynamic_stack 0
		.amdhsa_enable_private_segment 1
		.amdhsa_system_sgpr_workgroup_id_x 1
		.amdhsa_system_sgpr_workgroup_id_y 0
		.amdhsa_system_sgpr_workgroup_id_z 0
		.amdhsa_system_sgpr_workgroup_info 0
		.amdhsa_system_vgpr_workitem_id 0
		.amdhsa_next_free_vgpr 51
		.amdhsa_next_free_sgpr 34
		.amdhsa_named_barrier_count 0
		.amdhsa_reserve_vcc 1
		.amdhsa_float_round_mode_32 0
		.amdhsa_float_round_mode_16_64 0
		.amdhsa_float_denorm_mode_32 3
		.amdhsa_float_denorm_mode_16_64 3
		.amdhsa_fp16_overflow 0
		.amdhsa_memory_ordered 1
		.amdhsa_forward_progress 1
		.amdhsa_inst_pref_size 1
		.amdhsa_round_robin_scheduling 0
		.amdhsa_exception_fp_ieee_invalid_op 0
		.amdhsa_exception_fp_denorm_src 0
		.amdhsa_exception_fp_ieee_div_zero 0
		.amdhsa_exception_fp_ieee_overflow 0
		.amdhsa_exception_fp_ieee_underflow 0
		.amdhsa_exception_fp_ieee_inexact 0
		.amdhsa_exception_int_div_zero 0
	.end_amdhsa_kernel
	.section	.text._Z38paged_attention_ll4mi_QKV_mfma4_kernelIDF16_hLN4vllm18Fp8KVCacheDataTypeE1EhLi32ELi64ELi256ELb0ELi1EEvPKT_PKT0_S7_ifPKiS9_S9_iPKfiiiPfSC_PS2_PT2_iSB_SB_,"axG",@progbits,_Z38paged_attention_ll4mi_QKV_mfma4_kernelIDF16_hLN4vllm18Fp8KVCacheDataTypeE1EhLi32ELi64ELi256ELb0ELi1EEvPKT_PKT0_S7_ifPKiS9_S9_iPKfiiiPfSC_PS2_PT2_iSB_SB_,comdat
.Lfunc_end870:
	.size	_Z38paged_attention_ll4mi_QKV_mfma4_kernelIDF16_hLN4vllm18Fp8KVCacheDataTypeE1EhLi32ELi64ELi256ELb0ELi1EEvPKT_PKT0_S7_ifPKiS9_S9_iPKfiiiPfSC_PS2_PT2_iSB_SB_, .Lfunc_end870-_Z38paged_attention_ll4mi_QKV_mfma4_kernelIDF16_hLN4vllm18Fp8KVCacheDataTypeE1EhLi32ELi64ELi256ELb0ELi1EEvPKT_PKT0_S7_ifPKiS9_S9_iPKfiiiPfSC_PS2_PT2_iSB_SB_
                                        ; -- End function
	.set _Z38paged_attention_ll4mi_QKV_mfma4_kernelIDF16_hLN4vllm18Fp8KVCacheDataTypeE1EhLi32ELi64ELi256ELb0ELi1EEvPKT_PKT0_S7_ifPKiS9_S9_iPKfiiiPfSC_PS2_PT2_iSB_SB_.num_vgpr, max(3, .L__assert_fail.num_vgpr)
	.set _Z38paged_attention_ll4mi_QKV_mfma4_kernelIDF16_hLN4vllm18Fp8KVCacheDataTypeE1EhLi32ELi64ELi256ELb0ELi1EEvPKT_PKT0_S7_ifPKiS9_S9_iPKfiiiPfSC_PS2_PT2_iSB_SB_.num_agpr, max(0, .L__assert_fail.num_agpr)
	.set _Z38paged_attention_ll4mi_QKV_mfma4_kernelIDF16_hLN4vllm18Fp8KVCacheDataTypeE1EhLi32ELi64ELi256ELb0ELi1EEvPKT_PKT0_S7_ifPKiS9_S9_iPKfiiiPfSC_PS2_PT2_iSB_SB_.numbered_sgpr, max(33, .L__assert_fail.numbered_sgpr)
	.set _Z38paged_attention_ll4mi_QKV_mfma4_kernelIDF16_hLN4vllm18Fp8KVCacheDataTypeE1EhLi32ELi64ELi256ELb0ELi1EEvPKT_PKT0_S7_ifPKiS9_S9_iPKfiiiPfSC_PS2_PT2_iSB_SB_.num_named_barrier, max(0, .L__assert_fail.num_named_barrier)
	.set _Z38paged_attention_ll4mi_QKV_mfma4_kernelIDF16_hLN4vllm18Fp8KVCacheDataTypeE1EhLi32ELi64ELi256ELb0ELi1EEvPKT_PKT0_S7_ifPKiS9_S9_iPKfiiiPfSC_PS2_PT2_iSB_SB_.private_seg_size, 0+max(.L__assert_fail.private_seg_size)
	.set _Z38paged_attention_ll4mi_QKV_mfma4_kernelIDF16_hLN4vllm18Fp8KVCacheDataTypeE1EhLi32ELi64ELi256ELb0ELi1EEvPKT_PKT0_S7_ifPKiS9_S9_iPKfiiiPfSC_PS2_PT2_iSB_SB_.uses_vcc, or(1, .L__assert_fail.uses_vcc)
	.set _Z38paged_attention_ll4mi_QKV_mfma4_kernelIDF16_hLN4vllm18Fp8KVCacheDataTypeE1EhLi32ELi64ELi256ELb0ELi1EEvPKT_PKT0_S7_ifPKiS9_S9_iPKfiiiPfSC_PS2_PT2_iSB_SB_.uses_flat_scratch, or(0, .L__assert_fail.uses_flat_scratch)
	.set _Z38paged_attention_ll4mi_QKV_mfma4_kernelIDF16_hLN4vllm18Fp8KVCacheDataTypeE1EhLi32ELi64ELi256ELb0ELi1EEvPKT_PKT0_S7_ifPKiS9_S9_iPKfiiiPfSC_PS2_PT2_iSB_SB_.has_dyn_sized_stack, or(0, .L__assert_fail.has_dyn_sized_stack)
	.set _Z38paged_attention_ll4mi_QKV_mfma4_kernelIDF16_hLN4vllm18Fp8KVCacheDataTypeE1EhLi32ELi64ELi256ELb0ELi1EEvPKT_PKT0_S7_ifPKiS9_S9_iPKfiiiPfSC_PS2_PT2_iSB_SB_.has_recursion, or(0, .L__assert_fail.has_recursion)
	.set _Z38paged_attention_ll4mi_QKV_mfma4_kernelIDF16_hLN4vllm18Fp8KVCacheDataTypeE1EhLi32ELi64ELi256ELb0ELi1EEvPKT_PKT0_S7_ifPKiS9_S9_iPKfiiiPfSC_PS2_PT2_iSB_SB_.has_indirect_call, or(0, .L__assert_fail.has_indirect_call)
	.section	.AMDGPU.csdata,"",@progbits
; Kernel info:
; codeLenInByte = 68
; TotalNumSgprs: 36
; NumVgprs: 51
; ScratchSize: 64
; MemoryBound: 0
; FloatMode: 240
; IeeeMode: 1
; LDSByteSize: 0 bytes/workgroup (compile time only)
; SGPRBlocks: 0
; VGPRBlocks: 3
; NumSGPRsForWavesPerEU: 36
; NumVGPRsForWavesPerEU: 51
; NamedBarCnt: 0
; Occupancy: 16
; WaveLimiterHint : 1
; COMPUTE_PGM_RSRC2:SCRATCH_EN: 1
; COMPUTE_PGM_RSRC2:USER_SGPR: 2
; COMPUTE_PGM_RSRC2:TRAP_HANDLER: 0
; COMPUTE_PGM_RSRC2:TGID_X_EN: 1
; COMPUTE_PGM_RSRC2:TGID_Y_EN: 0
; COMPUTE_PGM_RSRC2:TGID_Z_EN: 0
; COMPUTE_PGM_RSRC2:TIDIG_COMP_CNT: 0
	.section	.text._Z38paged_attention_ll4mi_QKV_mfma4_kernelIDF16_hLN4vllm18Fp8KVCacheDataTypeE1EhLi32ELi64ELi256ELb0ELi2EEvPKT_PKT0_S7_ifPKiS9_S9_iPKfiiiPfSC_PS2_PT2_iSB_SB_,"axG",@progbits,_Z38paged_attention_ll4mi_QKV_mfma4_kernelIDF16_hLN4vllm18Fp8KVCacheDataTypeE1EhLi32ELi64ELi256ELb0ELi2EEvPKT_PKT0_S7_ifPKiS9_S9_iPKfiiiPfSC_PS2_PT2_iSB_SB_,comdat
	.protected	_Z38paged_attention_ll4mi_QKV_mfma4_kernelIDF16_hLN4vllm18Fp8KVCacheDataTypeE1EhLi32ELi64ELi256ELb0ELi2EEvPKT_PKT0_S7_ifPKiS9_S9_iPKfiiiPfSC_PS2_PT2_iSB_SB_ ; -- Begin function _Z38paged_attention_ll4mi_QKV_mfma4_kernelIDF16_hLN4vllm18Fp8KVCacheDataTypeE1EhLi32ELi64ELi256ELb0ELi2EEvPKT_PKT0_S7_ifPKiS9_S9_iPKfiiiPfSC_PS2_PT2_iSB_SB_
	.globl	_Z38paged_attention_ll4mi_QKV_mfma4_kernelIDF16_hLN4vllm18Fp8KVCacheDataTypeE1EhLi32ELi64ELi256ELb0ELi2EEvPKT_PKT0_S7_ifPKiS9_S9_iPKfiiiPfSC_PS2_PT2_iSB_SB_
	.p2align	8
	.type	_Z38paged_attention_ll4mi_QKV_mfma4_kernelIDF16_hLN4vllm18Fp8KVCacheDataTypeE1EhLi32ELi64ELi256ELb0ELi2EEvPKT_PKT0_S7_ifPKiS9_S9_iPKfiiiPfSC_PS2_PT2_iSB_SB_,@function
_Z38paged_attention_ll4mi_QKV_mfma4_kernelIDF16_hLN4vllm18Fp8KVCacheDataTypeE1EhLi32ELi64ELi256ELb0ELi2EEvPKT_PKT0_S7_ifPKiS9_S9_iPKfiiiPfSC_PS2_PT2_iSB_SB_: ; @_Z38paged_attention_ll4mi_QKV_mfma4_kernelIDF16_hLN4vllm18Fp8KVCacheDataTypeE1EhLi32ELi64ELi256ELb0ELi2EEvPKT_PKT0_S7_ifPKiS9_S9_iPKfiiiPfSC_PS2_PT2_iSB_SB_
; %bb.0:
	s_get_pc_i64 s[2:3]
	s_add_nc_u64 s[2:3], s[2:3], __PRETTY_FUNCTION__._Z38paged_attention_ll4mi_QKV_mfma4_kernelIDF16_hLN4vllm18Fp8KVCacheDataTypeE1EhLi32ELi64ELi256ELb0ELi2EEvPKT_PKT0_S7_ifPKiS9_S9_iPKfiiiPfSC_PS2_PT2_iSB_SB_@rel64+4
	s_delay_alu instid0(SALU_CYCLE_1)
	v_dual_mov_b32 v0, 0xbce :: v_dual_mov_b32 v1, s2
	v_mov_b32_e32 v2, s3
	s_add_nc_u64 s[8:9], s[0:1], 0x90
	s_get_pc_i64 s[0:1]
	s_add_nc_u64 s[0:1], s[0:1], __assert_fail@rel64+4
	s_mov_b32 s32, 0
	s_swap_pc_i64 s[30:31], s[0:1]
	.section	.rodata,"a",@progbits
	.p2align	6, 0x0
	.amdhsa_kernel _Z38paged_attention_ll4mi_QKV_mfma4_kernelIDF16_hLN4vllm18Fp8KVCacheDataTypeE1EhLi32ELi64ELi256ELb0ELi2EEvPKT_PKT0_S7_ifPKiS9_S9_iPKfiiiPfSC_PS2_PT2_iSB_SB_
		.amdhsa_group_segment_fixed_size 0
		.amdhsa_private_segment_fixed_size 64
		.amdhsa_kernarg_size 400
		.amdhsa_user_sgpr_count 2
		.amdhsa_user_sgpr_dispatch_ptr 0
		.amdhsa_user_sgpr_queue_ptr 0
		.amdhsa_user_sgpr_kernarg_segment_ptr 1
		.amdhsa_user_sgpr_dispatch_id 0
		.amdhsa_user_sgpr_kernarg_preload_length 0
		.amdhsa_user_sgpr_kernarg_preload_offset 0
		.amdhsa_user_sgpr_private_segment_size 0
		.amdhsa_wavefront_size32 1
		.amdhsa_uses_dynamic_stack 0
		.amdhsa_enable_private_segment 1
		.amdhsa_system_sgpr_workgroup_id_x 1
		.amdhsa_system_sgpr_workgroup_id_y 0
		.amdhsa_system_sgpr_workgroup_id_z 0
		.amdhsa_system_sgpr_workgroup_info 0
		.amdhsa_system_vgpr_workitem_id 0
		.amdhsa_next_free_vgpr 51
		.amdhsa_next_free_sgpr 34
		.amdhsa_named_barrier_count 0
		.amdhsa_reserve_vcc 1
		.amdhsa_float_round_mode_32 0
		.amdhsa_float_round_mode_16_64 0
		.amdhsa_float_denorm_mode_32 3
		.amdhsa_float_denorm_mode_16_64 3
		.amdhsa_fp16_overflow 0
		.amdhsa_memory_ordered 1
		.amdhsa_forward_progress 1
		.amdhsa_inst_pref_size 1
		.amdhsa_round_robin_scheduling 0
		.amdhsa_exception_fp_ieee_invalid_op 0
		.amdhsa_exception_fp_denorm_src 0
		.amdhsa_exception_fp_ieee_div_zero 0
		.amdhsa_exception_fp_ieee_overflow 0
		.amdhsa_exception_fp_ieee_underflow 0
		.amdhsa_exception_fp_ieee_inexact 0
		.amdhsa_exception_int_div_zero 0
	.end_amdhsa_kernel
	.section	.text._Z38paged_attention_ll4mi_QKV_mfma4_kernelIDF16_hLN4vllm18Fp8KVCacheDataTypeE1EhLi32ELi64ELi256ELb0ELi2EEvPKT_PKT0_S7_ifPKiS9_S9_iPKfiiiPfSC_PS2_PT2_iSB_SB_,"axG",@progbits,_Z38paged_attention_ll4mi_QKV_mfma4_kernelIDF16_hLN4vllm18Fp8KVCacheDataTypeE1EhLi32ELi64ELi256ELb0ELi2EEvPKT_PKT0_S7_ifPKiS9_S9_iPKfiiiPfSC_PS2_PT2_iSB_SB_,comdat
.Lfunc_end871:
	.size	_Z38paged_attention_ll4mi_QKV_mfma4_kernelIDF16_hLN4vllm18Fp8KVCacheDataTypeE1EhLi32ELi64ELi256ELb0ELi2EEvPKT_PKT0_S7_ifPKiS9_S9_iPKfiiiPfSC_PS2_PT2_iSB_SB_, .Lfunc_end871-_Z38paged_attention_ll4mi_QKV_mfma4_kernelIDF16_hLN4vllm18Fp8KVCacheDataTypeE1EhLi32ELi64ELi256ELb0ELi2EEvPKT_PKT0_S7_ifPKiS9_S9_iPKfiiiPfSC_PS2_PT2_iSB_SB_
                                        ; -- End function
	.set _Z38paged_attention_ll4mi_QKV_mfma4_kernelIDF16_hLN4vllm18Fp8KVCacheDataTypeE1EhLi32ELi64ELi256ELb0ELi2EEvPKT_PKT0_S7_ifPKiS9_S9_iPKfiiiPfSC_PS2_PT2_iSB_SB_.num_vgpr, max(3, .L__assert_fail.num_vgpr)
	.set _Z38paged_attention_ll4mi_QKV_mfma4_kernelIDF16_hLN4vllm18Fp8KVCacheDataTypeE1EhLi32ELi64ELi256ELb0ELi2EEvPKT_PKT0_S7_ifPKiS9_S9_iPKfiiiPfSC_PS2_PT2_iSB_SB_.num_agpr, max(0, .L__assert_fail.num_agpr)
	.set _Z38paged_attention_ll4mi_QKV_mfma4_kernelIDF16_hLN4vllm18Fp8KVCacheDataTypeE1EhLi32ELi64ELi256ELb0ELi2EEvPKT_PKT0_S7_ifPKiS9_S9_iPKfiiiPfSC_PS2_PT2_iSB_SB_.numbered_sgpr, max(33, .L__assert_fail.numbered_sgpr)
	.set _Z38paged_attention_ll4mi_QKV_mfma4_kernelIDF16_hLN4vllm18Fp8KVCacheDataTypeE1EhLi32ELi64ELi256ELb0ELi2EEvPKT_PKT0_S7_ifPKiS9_S9_iPKfiiiPfSC_PS2_PT2_iSB_SB_.num_named_barrier, max(0, .L__assert_fail.num_named_barrier)
	.set _Z38paged_attention_ll4mi_QKV_mfma4_kernelIDF16_hLN4vllm18Fp8KVCacheDataTypeE1EhLi32ELi64ELi256ELb0ELi2EEvPKT_PKT0_S7_ifPKiS9_S9_iPKfiiiPfSC_PS2_PT2_iSB_SB_.private_seg_size, 0+max(.L__assert_fail.private_seg_size)
	.set _Z38paged_attention_ll4mi_QKV_mfma4_kernelIDF16_hLN4vllm18Fp8KVCacheDataTypeE1EhLi32ELi64ELi256ELb0ELi2EEvPKT_PKT0_S7_ifPKiS9_S9_iPKfiiiPfSC_PS2_PT2_iSB_SB_.uses_vcc, or(1, .L__assert_fail.uses_vcc)
	.set _Z38paged_attention_ll4mi_QKV_mfma4_kernelIDF16_hLN4vllm18Fp8KVCacheDataTypeE1EhLi32ELi64ELi256ELb0ELi2EEvPKT_PKT0_S7_ifPKiS9_S9_iPKfiiiPfSC_PS2_PT2_iSB_SB_.uses_flat_scratch, or(0, .L__assert_fail.uses_flat_scratch)
	.set _Z38paged_attention_ll4mi_QKV_mfma4_kernelIDF16_hLN4vllm18Fp8KVCacheDataTypeE1EhLi32ELi64ELi256ELb0ELi2EEvPKT_PKT0_S7_ifPKiS9_S9_iPKfiiiPfSC_PS2_PT2_iSB_SB_.has_dyn_sized_stack, or(0, .L__assert_fail.has_dyn_sized_stack)
	.set _Z38paged_attention_ll4mi_QKV_mfma4_kernelIDF16_hLN4vllm18Fp8KVCacheDataTypeE1EhLi32ELi64ELi256ELb0ELi2EEvPKT_PKT0_S7_ifPKiS9_S9_iPKfiiiPfSC_PS2_PT2_iSB_SB_.has_recursion, or(0, .L__assert_fail.has_recursion)
	.set _Z38paged_attention_ll4mi_QKV_mfma4_kernelIDF16_hLN4vllm18Fp8KVCacheDataTypeE1EhLi32ELi64ELi256ELb0ELi2EEvPKT_PKT0_S7_ifPKiS9_S9_iPKfiiiPfSC_PS2_PT2_iSB_SB_.has_indirect_call, or(0, .L__assert_fail.has_indirect_call)
	.section	.AMDGPU.csdata,"",@progbits
; Kernel info:
; codeLenInByte = 68
; TotalNumSgprs: 36
; NumVgprs: 51
; ScratchSize: 64
; MemoryBound: 0
; FloatMode: 240
; IeeeMode: 1
; LDSByteSize: 0 bytes/workgroup (compile time only)
; SGPRBlocks: 0
; VGPRBlocks: 3
; NumSGPRsForWavesPerEU: 36
; NumVGPRsForWavesPerEU: 51
; NamedBarCnt: 0
; Occupancy: 16
; WaveLimiterHint : 1
; COMPUTE_PGM_RSRC2:SCRATCH_EN: 1
; COMPUTE_PGM_RSRC2:USER_SGPR: 2
; COMPUTE_PGM_RSRC2:TRAP_HANDLER: 0
; COMPUTE_PGM_RSRC2:TGID_X_EN: 1
; COMPUTE_PGM_RSRC2:TGID_Y_EN: 0
; COMPUTE_PGM_RSRC2:TGID_Z_EN: 0
; COMPUTE_PGM_RSRC2:TIDIG_COMP_CNT: 0
	.section	.text._Z38paged_attention_ll4mi_QKV_mfma4_kernelIDF16_hLN4vllm18Fp8KVCacheDataTypeE1EhLi32ELi64ELi256ELb0ELi3EEvPKT_PKT0_S7_ifPKiS9_S9_iPKfiiiPfSC_PS2_PT2_iSB_SB_,"axG",@progbits,_Z38paged_attention_ll4mi_QKV_mfma4_kernelIDF16_hLN4vllm18Fp8KVCacheDataTypeE1EhLi32ELi64ELi256ELb0ELi3EEvPKT_PKT0_S7_ifPKiS9_S9_iPKfiiiPfSC_PS2_PT2_iSB_SB_,comdat
	.protected	_Z38paged_attention_ll4mi_QKV_mfma4_kernelIDF16_hLN4vllm18Fp8KVCacheDataTypeE1EhLi32ELi64ELi256ELb0ELi3EEvPKT_PKT0_S7_ifPKiS9_S9_iPKfiiiPfSC_PS2_PT2_iSB_SB_ ; -- Begin function _Z38paged_attention_ll4mi_QKV_mfma4_kernelIDF16_hLN4vllm18Fp8KVCacheDataTypeE1EhLi32ELi64ELi256ELb0ELi3EEvPKT_PKT0_S7_ifPKiS9_S9_iPKfiiiPfSC_PS2_PT2_iSB_SB_
	.globl	_Z38paged_attention_ll4mi_QKV_mfma4_kernelIDF16_hLN4vllm18Fp8KVCacheDataTypeE1EhLi32ELi64ELi256ELb0ELi3EEvPKT_PKT0_S7_ifPKiS9_S9_iPKfiiiPfSC_PS2_PT2_iSB_SB_
	.p2align	8
	.type	_Z38paged_attention_ll4mi_QKV_mfma4_kernelIDF16_hLN4vllm18Fp8KVCacheDataTypeE1EhLi32ELi64ELi256ELb0ELi3EEvPKT_PKT0_S7_ifPKiS9_S9_iPKfiiiPfSC_PS2_PT2_iSB_SB_,@function
_Z38paged_attention_ll4mi_QKV_mfma4_kernelIDF16_hLN4vllm18Fp8KVCacheDataTypeE1EhLi32ELi64ELi256ELb0ELi3EEvPKT_PKT0_S7_ifPKiS9_S9_iPKfiiiPfSC_PS2_PT2_iSB_SB_: ; @_Z38paged_attention_ll4mi_QKV_mfma4_kernelIDF16_hLN4vllm18Fp8KVCacheDataTypeE1EhLi32ELi64ELi256ELb0ELi3EEvPKT_PKT0_S7_ifPKiS9_S9_iPKfiiiPfSC_PS2_PT2_iSB_SB_
; %bb.0:
	s_get_pc_i64 s[2:3]
	s_add_nc_u64 s[2:3], s[2:3], __PRETTY_FUNCTION__._Z38paged_attention_ll4mi_QKV_mfma4_kernelIDF16_hLN4vllm18Fp8KVCacheDataTypeE1EhLi32ELi64ELi256ELb0ELi3EEvPKT_PKT0_S7_ifPKiS9_S9_iPKfiiiPfSC_PS2_PT2_iSB_SB_@rel64+4
	s_delay_alu instid0(SALU_CYCLE_1)
	v_dual_mov_b32 v0, 0xbce :: v_dual_mov_b32 v1, s2
	v_mov_b32_e32 v2, s3
	s_add_nc_u64 s[8:9], s[0:1], 0x90
	s_get_pc_i64 s[0:1]
	s_add_nc_u64 s[0:1], s[0:1], __assert_fail@rel64+4
	s_mov_b32 s32, 0
	s_swap_pc_i64 s[30:31], s[0:1]
	.section	.rodata,"a",@progbits
	.p2align	6, 0x0
	.amdhsa_kernel _Z38paged_attention_ll4mi_QKV_mfma4_kernelIDF16_hLN4vllm18Fp8KVCacheDataTypeE1EhLi32ELi64ELi256ELb0ELi3EEvPKT_PKT0_S7_ifPKiS9_S9_iPKfiiiPfSC_PS2_PT2_iSB_SB_
		.amdhsa_group_segment_fixed_size 0
		.amdhsa_private_segment_fixed_size 64
		.amdhsa_kernarg_size 400
		.amdhsa_user_sgpr_count 2
		.amdhsa_user_sgpr_dispatch_ptr 0
		.amdhsa_user_sgpr_queue_ptr 0
		.amdhsa_user_sgpr_kernarg_segment_ptr 1
		.amdhsa_user_sgpr_dispatch_id 0
		.amdhsa_user_sgpr_kernarg_preload_length 0
		.amdhsa_user_sgpr_kernarg_preload_offset 0
		.amdhsa_user_sgpr_private_segment_size 0
		.amdhsa_wavefront_size32 1
		.amdhsa_uses_dynamic_stack 0
		.amdhsa_enable_private_segment 1
		.amdhsa_system_sgpr_workgroup_id_x 1
		.amdhsa_system_sgpr_workgroup_id_y 0
		.amdhsa_system_sgpr_workgroup_id_z 0
		.amdhsa_system_sgpr_workgroup_info 0
		.amdhsa_system_vgpr_workitem_id 0
		.amdhsa_next_free_vgpr 51
		.amdhsa_next_free_sgpr 34
		.amdhsa_named_barrier_count 0
		.amdhsa_reserve_vcc 1
		.amdhsa_float_round_mode_32 0
		.amdhsa_float_round_mode_16_64 0
		.amdhsa_float_denorm_mode_32 3
		.amdhsa_float_denorm_mode_16_64 3
		.amdhsa_fp16_overflow 0
		.amdhsa_memory_ordered 1
		.amdhsa_forward_progress 1
		.amdhsa_inst_pref_size 1
		.amdhsa_round_robin_scheduling 0
		.amdhsa_exception_fp_ieee_invalid_op 0
		.amdhsa_exception_fp_denorm_src 0
		.amdhsa_exception_fp_ieee_div_zero 0
		.amdhsa_exception_fp_ieee_overflow 0
		.amdhsa_exception_fp_ieee_underflow 0
		.amdhsa_exception_fp_ieee_inexact 0
		.amdhsa_exception_int_div_zero 0
	.end_amdhsa_kernel
	.section	.text._Z38paged_attention_ll4mi_QKV_mfma4_kernelIDF16_hLN4vllm18Fp8KVCacheDataTypeE1EhLi32ELi64ELi256ELb0ELi3EEvPKT_PKT0_S7_ifPKiS9_S9_iPKfiiiPfSC_PS2_PT2_iSB_SB_,"axG",@progbits,_Z38paged_attention_ll4mi_QKV_mfma4_kernelIDF16_hLN4vllm18Fp8KVCacheDataTypeE1EhLi32ELi64ELi256ELb0ELi3EEvPKT_PKT0_S7_ifPKiS9_S9_iPKfiiiPfSC_PS2_PT2_iSB_SB_,comdat
.Lfunc_end872:
	.size	_Z38paged_attention_ll4mi_QKV_mfma4_kernelIDF16_hLN4vllm18Fp8KVCacheDataTypeE1EhLi32ELi64ELi256ELb0ELi3EEvPKT_PKT0_S7_ifPKiS9_S9_iPKfiiiPfSC_PS2_PT2_iSB_SB_, .Lfunc_end872-_Z38paged_attention_ll4mi_QKV_mfma4_kernelIDF16_hLN4vllm18Fp8KVCacheDataTypeE1EhLi32ELi64ELi256ELb0ELi3EEvPKT_PKT0_S7_ifPKiS9_S9_iPKfiiiPfSC_PS2_PT2_iSB_SB_
                                        ; -- End function
	.set _Z38paged_attention_ll4mi_QKV_mfma4_kernelIDF16_hLN4vllm18Fp8KVCacheDataTypeE1EhLi32ELi64ELi256ELb0ELi3EEvPKT_PKT0_S7_ifPKiS9_S9_iPKfiiiPfSC_PS2_PT2_iSB_SB_.num_vgpr, max(3, .L__assert_fail.num_vgpr)
	.set _Z38paged_attention_ll4mi_QKV_mfma4_kernelIDF16_hLN4vllm18Fp8KVCacheDataTypeE1EhLi32ELi64ELi256ELb0ELi3EEvPKT_PKT0_S7_ifPKiS9_S9_iPKfiiiPfSC_PS2_PT2_iSB_SB_.num_agpr, max(0, .L__assert_fail.num_agpr)
	.set _Z38paged_attention_ll4mi_QKV_mfma4_kernelIDF16_hLN4vllm18Fp8KVCacheDataTypeE1EhLi32ELi64ELi256ELb0ELi3EEvPKT_PKT0_S7_ifPKiS9_S9_iPKfiiiPfSC_PS2_PT2_iSB_SB_.numbered_sgpr, max(33, .L__assert_fail.numbered_sgpr)
	.set _Z38paged_attention_ll4mi_QKV_mfma4_kernelIDF16_hLN4vllm18Fp8KVCacheDataTypeE1EhLi32ELi64ELi256ELb0ELi3EEvPKT_PKT0_S7_ifPKiS9_S9_iPKfiiiPfSC_PS2_PT2_iSB_SB_.num_named_barrier, max(0, .L__assert_fail.num_named_barrier)
	.set _Z38paged_attention_ll4mi_QKV_mfma4_kernelIDF16_hLN4vllm18Fp8KVCacheDataTypeE1EhLi32ELi64ELi256ELb0ELi3EEvPKT_PKT0_S7_ifPKiS9_S9_iPKfiiiPfSC_PS2_PT2_iSB_SB_.private_seg_size, 0+max(.L__assert_fail.private_seg_size)
	.set _Z38paged_attention_ll4mi_QKV_mfma4_kernelIDF16_hLN4vllm18Fp8KVCacheDataTypeE1EhLi32ELi64ELi256ELb0ELi3EEvPKT_PKT0_S7_ifPKiS9_S9_iPKfiiiPfSC_PS2_PT2_iSB_SB_.uses_vcc, or(1, .L__assert_fail.uses_vcc)
	.set _Z38paged_attention_ll4mi_QKV_mfma4_kernelIDF16_hLN4vllm18Fp8KVCacheDataTypeE1EhLi32ELi64ELi256ELb0ELi3EEvPKT_PKT0_S7_ifPKiS9_S9_iPKfiiiPfSC_PS2_PT2_iSB_SB_.uses_flat_scratch, or(0, .L__assert_fail.uses_flat_scratch)
	.set _Z38paged_attention_ll4mi_QKV_mfma4_kernelIDF16_hLN4vllm18Fp8KVCacheDataTypeE1EhLi32ELi64ELi256ELb0ELi3EEvPKT_PKT0_S7_ifPKiS9_S9_iPKfiiiPfSC_PS2_PT2_iSB_SB_.has_dyn_sized_stack, or(0, .L__assert_fail.has_dyn_sized_stack)
	.set _Z38paged_attention_ll4mi_QKV_mfma4_kernelIDF16_hLN4vllm18Fp8KVCacheDataTypeE1EhLi32ELi64ELi256ELb0ELi3EEvPKT_PKT0_S7_ifPKiS9_S9_iPKfiiiPfSC_PS2_PT2_iSB_SB_.has_recursion, or(0, .L__assert_fail.has_recursion)
	.set _Z38paged_attention_ll4mi_QKV_mfma4_kernelIDF16_hLN4vllm18Fp8KVCacheDataTypeE1EhLi32ELi64ELi256ELb0ELi3EEvPKT_PKT0_S7_ifPKiS9_S9_iPKfiiiPfSC_PS2_PT2_iSB_SB_.has_indirect_call, or(0, .L__assert_fail.has_indirect_call)
	.section	.AMDGPU.csdata,"",@progbits
; Kernel info:
; codeLenInByte = 68
; TotalNumSgprs: 36
; NumVgprs: 51
; ScratchSize: 64
; MemoryBound: 0
; FloatMode: 240
; IeeeMode: 1
; LDSByteSize: 0 bytes/workgroup (compile time only)
; SGPRBlocks: 0
; VGPRBlocks: 3
; NumSGPRsForWavesPerEU: 36
; NumVGPRsForWavesPerEU: 51
; NamedBarCnt: 0
; Occupancy: 16
; WaveLimiterHint : 1
; COMPUTE_PGM_RSRC2:SCRATCH_EN: 1
; COMPUTE_PGM_RSRC2:USER_SGPR: 2
; COMPUTE_PGM_RSRC2:TRAP_HANDLER: 0
; COMPUTE_PGM_RSRC2:TGID_X_EN: 1
; COMPUTE_PGM_RSRC2:TGID_Y_EN: 0
; COMPUTE_PGM_RSRC2:TGID_Z_EN: 0
; COMPUTE_PGM_RSRC2:TIDIG_COMP_CNT: 0
	.section	.text._Z38paged_attention_ll4mi_QKV_mfma4_kernelIDF16_hLN4vllm18Fp8KVCacheDataTypeE1EhLi32ELi64ELi256ELb0ELi4EEvPKT_PKT0_S7_ifPKiS9_S9_iPKfiiiPfSC_PS2_PT2_iSB_SB_,"axG",@progbits,_Z38paged_attention_ll4mi_QKV_mfma4_kernelIDF16_hLN4vllm18Fp8KVCacheDataTypeE1EhLi32ELi64ELi256ELb0ELi4EEvPKT_PKT0_S7_ifPKiS9_S9_iPKfiiiPfSC_PS2_PT2_iSB_SB_,comdat
	.protected	_Z38paged_attention_ll4mi_QKV_mfma4_kernelIDF16_hLN4vllm18Fp8KVCacheDataTypeE1EhLi32ELi64ELi256ELb0ELi4EEvPKT_PKT0_S7_ifPKiS9_S9_iPKfiiiPfSC_PS2_PT2_iSB_SB_ ; -- Begin function _Z38paged_attention_ll4mi_QKV_mfma4_kernelIDF16_hLN4vllm18Fp8KVCacheDataTypeE1EhLi32ELi64ELi256ELb0ELi4EEvPKT_PKT0_S7_ifPKiS9_S9_iPKfiiiPfSC_PS2_PT2_iSB_SB_
	.globl	_Z38paged_attention_ll4mi_QKV_mfma4_kernelIDF16_hLN4vllm18Fp8KVCacheDataTypeE1EhLi32ELi64ELi256ELb0ELi4EEvPKT_PKT0_S7_ifPKiS9_S9_iPKfiiiPfSC_PS2_PT2_iSB_SB_
	.p2align	8
	.type	_Z38paged_attention_ll4mi_QKV_mfma4_kernelIDF16_hLN4vllm18Fp8KVCacheDataTypeE1EhLi32ELi64ELi256ELb0ELi4EEvPKT_PKT0_S7_ifPKiS9_S9_iPKfiiiPfSC_PS2_PT2_iSB_SB_,@function
_Z38paged_attention_ll4mi_QKV_mfma4_kernelIDF16_hLN4vllm18Fp8KVCacheDataTypeE1EhLi32ELi64ELi256ELb0ELi4EEvPKT_PKT0_S7_ifPKiS9_S9_iPKfiiiPfSC_PS2_PT2_iSB_SB_: ; @_Z38paged_attention_ll4mi_QKV_mfma4_kernelIDF16_hLN4vllm18Fp8KVCacheDataTypeE1EhLi32ELi64ELi256ELb0ELi4EEvPKT_PKT0_S7_ifPKiS9_S9_iPKfiiiPfSC_PS2_PT2_iSB_SB_
; %bb.0:
	s_get_pc_i64 s[2:3]
	s_add_nc_u64 s[2:3], s[2:3], __PRETTY_FUNCTION__._Z38paged_attention_ll4mi_QKV_mfma4_kernelIDF16_hLN4vllm18Fp8KVCacheDataTypeE1EhLi32ELi64ELi256ELb0ELi4EEvPKT_PKT0_S7_ifPKiS9_S9_iPKfiiiPfSC_PS2_PT2_iSB_SB_@rel64+4
	s_delay_alu instid0(SALU_CYCLE_1)
	v_dual_mov_b32 v0, 0xbce :: v_dual_mov_b32 v1, s2
	v_mov_b32_e32 v2, s3
	s_add_nc_u64 s[8:9], s[0:1], 0x90
	s_get_pc_i64 s[0:1]
	s_add_nc_u64 s[0:1], s[0:1], __assert_fail@rel64+4
	s_mov_b32 s32, 0
	s_swap_pc_i64 s[30:31], s[0:1]
	.section	.rodata,"a",@progbits
	.p2align	6, 0x0
	.amdhsa_kernel _Z38paged_attention_ll4mi_QKV_mfma4_kernelIDF16_hLN4vllm18Fp8KVCacheDataTypeE1EhLi32ELi64ELi256ELb0ELi4EEvPKT_PKT0_S7_ifPKiS9_S9_iPKfiiiPfSC_PS2_PT2_iSB_SB_
		.amdhsa_group_segment_fixed_size 0
		.amdhsa_private_segment_fixed_size 64
		.amdhsa_kernarg_size 400
		.amdhsa_user_sgpr_count 2
		.amdhsa_user_sgpr_dispatch_ptr 0
		.amdhsa_user_sgpr_queue_ptr 0
		.amdhsa_user_sgpr_kernarg_segment_ptr 1
		.amdhsa_user_sgpr_dispatch_id 0
		.amdhsa_user_sgpr_kernarg_preload_length 0
		.amdhsa_user_sgpr_kernarg_preload_offset 0
		.amdhsa_user_sgpr_private_segment_size 0
		.amdhsa_wavefront_size32 1
		.amdhsa_uses_dynamic_stack 0
		.amdhsa_enable_private_segment 1
		.amdhsa_system_sgpr_workgroup_id_x 1
		.amdhsa_system_sgpr_workgroup_id_y 0
		.amdhsa_system_sgpr_workgroup_id_z 0
		.amdhsa_system_sgpr_workgroup_info 0
		.amdhsa_system_vgpr_workitem_id 0
		.amdhsa_next_free_vgpr 51
		.amdhsa_next_free_sgpr 34
		.amdhsa_named_barrier_count 0
		.amdhsa_reserve_vcc 1
		.amdhsa_float_round_mode_32 0
		.amdhsa_float_round_mode_16_64 0
		.amdhsa_float_denorm_mode_32 3
		.amdhsa_float_denorm_mode_16_64 3
		.amdhsa_fp16_overflow 0
		.amdhsa_memory_ordered 1
		.amdhsa_forward_progress 1
		.amdhsa_inst_pref_size 1
		.amdhsa_round_robin_scheduling 0
		.amdhsa_exception_fp_ieee_invalid_op 0
		.amdhsa_exception_fp_denorm_src 0
		.amdhsa_exception_fp_ieee_div_zero 0
		.amdhsa_exception_fp_ieee_overflow 0
		.amdhsa_exception_fp_ieee_underflow 0
		.amdhsa_exception_fp_ieee_inexact 0
		.amdhsa_exception_int_div_zero 0
	.end_amdhsa_kernel
	.section	.text._Z38paged_attention_ll4mi_QKV_mfma4_kernelIDF16_hLN4vllm18Fp8KVCacheDataTypeE1EhLi32ELi64ELi256ELb0ELi4EEvPKT_PKT0_S7_ifPKiS9_S9_iPKfiiiPfSC_PS2_PT2_iSB_SB_,"axG",@progbits,_Z38paged_attention_ll4mi_QKV_mfma4_kernelIDF16_hLN4vllm18Fp8KVCacheDataTypeE1EhLi32ELi64ELi256ELb0ELi4EEvPKT_PKT0_S7_ifPKiS9_S9_iPKfiiiPfSC_PS2_PT2_iSB_SB_,comdat
.Lfunc_end873:
	.size	_Z38paged_attention_ll4mi_QKV_mfma4_kernelIDF16_hLN4vllm18Fp8KVCacheDataTypeE1EhLi32ELi64ELi256ELb0ELi4EEvPKT_PKT0_S7_ifPKiS9_S9_iPKfiiiPfSC_PS2_PT2_iSB_SB_, .Lfunc_end873-_Z38paged_attention_ll4mi_QKV_mfma4_kernelIDF16_hLN4vllm18Fp8KVCacheDataTypeE1EhLi32ELi64ELi256ELb0ELi4EEvPKT_PKT0_S7_ifPKiS9_S9_iPKfiiiPfSC_PS2_PT2_iSB_SB_
                                        ; -- End function
	.set _Z38paged_attention_ll4mi_QKV_mfma4_kernelIDF16_hLN4vllm18Fp8KVCacheDataTypeE1EhLi32ELi64ELi256ELb0ELi4EEvPKT_PKT0_S7_ifPKiS9_S9_iPKfiiiPfSC_PS2_PT2_iSB_SB_.num_vgpr, max(3, .L__assert_fail.num_vgpr)
	.set _Z38paged_attention_ll4mi_QKV_mfma4_kernelIDF16_hLN4vllm18Fp8KVCacheDataTypeE1EhLi32ELi64ELi256ELb0ELi4EEvPKT_PKT0_S7_ifPKiS9_S9_iPKfiiiPfSC_PS2_PT2_iSB_SB_.num_agpr, max(0, .L__assert_fail.num_agpr)
	.set _Z38paged_attention_ll4mi_QKV_mfma4_kernelIDF16_hLN4vllm18Fp8KVCacheDataTypeE1EhLi32ELi64ELi256ELb0ELi4EEvPKT_PKT0_S7_ifPKiS9_S9_iPKfiiiPfSC_PS2_PT2_iSB_SB_.numbered_sgpr, max(33, .L__assert_fail.numbered_sgpr)
	.set _Z38paged_attention_ll4mi_QKV_mfma4_kernelIDF16_hLN4vllm18Fp8KVCacheDataTypeE1EhLi32ELi64ELi256ELb0ELi4EEvPKT_PKT0_S7_ifPKiS9_S9_iPKfiiiPfSC_PS2_PT2_iSB_SB_.num_named_barrier, max(0, .L__assert_fail.num_named_barrier)
	.set _Z38paged_attention_ll4mi_QKV_mfma4_kernelIDF16_hLN4vllm18Fp8KVCacheDataTypeE1EhLi32ELi64ELi256ELb0ELi4EEvPKT_PKT0_S7_ifPKiS9_S9_iPKfiiiPfSC_PS2_PT2_iSB_SB_.private_seg_size, 0+max(.L__assert_fail.private_seg_size)
	.set _Z38paged_attention_ll4mi_QKV_mfma4_kernelIDF16_hLN4vllm18Fp8KVCacheDataTypeE1EhLi32ELi64ELi256ELb0ELi4EEvPKT_PKT0_S7_ifPKiS9_S9_iPKfiiiPfSC_PS2_PT2_iSB_SB_.uses_vcc, or(1, .L__assert_fail.uses_vcc)
	.set _Z38paged_attention_ll4mi_QKV_mfma4_kernelIDF16_hLN4vllm18Fp8KVCacheDataTypeE1EhLi32ELi64ELi256ELb0ELi4EEvPKT_PKT0_S7_ifPKiS9_S9_iPKfiiiPfSC_PS2_PT2_iSB_SB_.uses_flat_scratch, or(0, .L__assert_fail.uses_flat_scratch)
	.set _Z38paged_attention_ll4mi_QKV_mfma4_kernelIDF16_hLN4vllm18Fp8KVCacheDataTypeE1EhLi32ELi64ELi256ELb0ELi4EEvPKT_PKT0_S7_ifPKiS9_S9_iPKfiiiPfSC_PS2_PT2_iSB_SB_.has_dyn_sized_stack, or(0, .L__assert_fail.has_dyn_sized_stack)
	.set _Z38paged_attention_ll4mi_QKV_mfma4_kernelIDF16_hLN4vllm18Fp8KVCacheDataTypeE1EhLi32ELi64ELi256ELb0ELi4EEvPKT_PKT0_S7_ifPKiS9_S9_iPKfiiiPfSC_PS2_PT2_iSB_SB_.has_recursion, or(0, .L__assert_fail.has_recursion)
	.set _Z38paged_attention_ll4mi_QKV_mfma4_kernelIDF16_hLN4vllm18Fp8KVCacheDataTypeE1EhLi32ELi64ELi256ELb0ELi4EEvPKT_PKT0_S7_ifPKiS9_S9_iPKfiiiPfSC_PS2_PT2_iSB_SB_.has_indirect_call, or(0, .L__assert_fail.has_indirect_call)
	.section	.AMDGPU.csdata,"",@progbits
; Kernel info:
; codeLenInByte = 68
; TotalNumSgprs: 36
; NumVgprs: 51
; ScratchSize: 64
; MemoryBound: 0
; FloatMode: 240
; IeeeMode: 1
; LDSByteSize: 0 bytes/workgroup (compile time only)
; SGPRBlocks: 0
; VGPRBlocks: 3
; NumSGPRsForWavesPerEU: 36
; NumVGPRsForWavesPerEU: 51
; NamedBarCnt: 0
; Occupancy: 16
; WaveLimiterHint : 1
; COMPUTE_PGM_RSRC2:SCRATCH_EN: 1
; COMPUTE_PGM_RSRC2:USER_SGPR: 2
; COMPUTE_PGM_RSRC2:TRAP_HANDLER: 0
; COMPUTE_PGM_RSRC2:TGID_X_EN: 1
; COMPUTE_PGM_RSRC2:TGID_Y_EN: 0
; COMPUTE_PGM_RSRC2:TGID_Z_EN: 0
; COMPUTE_PGM_RSRC2:TIDIG_COMP_CNT: 0
	.section	.text._Z39paged_attention_ll4mi_QKV_mfma16_kernelIDF16_hLN4vllm18Fp8KVCacheDataTypeE1EhLi32ELi64ELi256ELb0ELi5EEvPKT_PKT0_S7_ifPKiS9_S9_iPKfiiiPfSC_PS2_PT2_iSB_SB_,"axG",@progbits,_Z39paged_attention_ll4mi_QKV_mfma16_kernelIDF16_hLN4vllm18Fp8KVCacheDataTypeE1EhLi32ELi64ELi256ELb0ELi5EEvPKT_PKT0_S7_ifPKiS9_S9_iPKfiiiPfSC_PS2_PT2_iSB_SB_,comdat
	.protected	_Z39paged_attention_ll4mi_QKV_mfma16_kernelIDF16_hLN4vllm18Fp8KVCacheDataTypeE1EhLi32ELi64ELi256ELb0ELi5EEvPKT_PKT0_S7_ifPKiS9_S9_iPKfiiiPfSC_PS2_PT2_iSB_SB_ ; -- Begin function _Z39paged_attention_ll4mi_QKV_mfma16_kernelIDF16_hLN4vllm18Fp8KVCacheDataTypeE1EhLi32ELi64ELi256ELb0ELi5EEvPKT_PKT0_S7_ifPKiS9_S9_iPKfiiiPfSC_PS2_PT2_iSB_SB_
	.globl	_Z39paged_attention_ll4mi_QKV_mfma16_kernelIDF16_hLN4vllm18Fp8KVCacheDataTypeE1EhLi32ELi64ELi256ELb0ELi5EEvPKT_PKT0_S7_ifPKiS9_S9_iPKfiiiPfSC_PS2_PT2_iSB_SB_
	.p2align	8
	.type	_Z39paged_attention_ll4mi_QKV_mfma16_kernelIDF16_hLN4vllm18Fp8KVCacheDataTypeE1EhLi32ELi64ELi256ELb0ELi5EEvPKT_PKT0_S7_ifPKiS9_S9_iPKfiiiPfSC_PS2_PT2_iSB_SB_,@function
_Z39paged_attention_ll4mi_QKV_mfma16_kernelIDF16_hLN4vllm18Fp8KVCacheDataTypeE1EhLi32ELi64ELi256ELb0ELi5EEvPKT_PKT0_S7_ifPKiS9_S9_iPKfiiiPfSC_PS2_PT2_iSB_SB_: ; @_Z39paged_attention_ll4mi_QKV_mfma16_kernelIDF16_hLN4vllm18Fp8KVCacheDataTypeE1EhLi32ELi64ELi256ELb0ELi5EEvPKT_PKT0_S7_ifPKiS9_S9_iPKfiiiPfSC_PS2_PT2_iSB_SB_
; %bb.0:
	s_get_pc_i64 s[2:3]
	s_add_nc_u64 s[2:3], s[2:3], __PRETTY_FUNCTION__._Z39paged_attention_ll4mi_QKV_mfma16_kernelIDF16_hLN4vllm18Fp8KVCacheDataTypeE1EhLi32ELi64ELi256ELb0ELi5EEvPKT_PKT0_S7_ifPKiS9_S9_iPKfiiiPfSC_PS2_PT2_iSB_SB_@rel64+4
	s_delay_alu instid0(SALU_CYCLE_1)
	v_dual_mov_b32 v0, 0xbb3 :: v_dual_mov_b32 v1, s2
	v_mov_b32_e32 v2, s3
	s_add_nc_u64 s[8:9], s[0:1], 0x90
	s_get_pc_i64 s[0:1]
	s_add_nc_u64 s[0:1], s[0:1], __assert_fail@rel64+4
	s_mov_b32 s32, 0
	s_swap_pc_i64 s[30:31], s[0:1]
	.section	.rodata,"a",@progbits
	.p2align	6, 0x0
	.amdhsa_kernel _Z39paged_attention_ll4mi_QKV_mfma16_kernelIDF16_hLN4vllm18Fp8KVCacheDataTypeE1EhLi32ELi64ELi256ELb0ELi5EEvPKT_PKT0_S7_ifPKiS9_S9_iPKfiiiPfSC_PS2_PT2_iSB_SB_
		.amdhsa_group_segment_fixed_size 0
		.amdhsa_private_segment_fixed_size 64
		.amdhsa_kernarg_size 400
		.amdhsa_user_sgpr_count 2
		.amdhsa_user_sgpr_dispatch_ptr 0
		.amdhsa_user_sgpr_queue_ptr 0
		.amdhsa_user_sgpr_kernarg_segment_ptr 1
		.amdhsa_user_sgpr_dispatch_id 0
		.amdhsa_user_sgpr_kernarg_preload_length 0
		.amdhsa_user_sgpr_kernarg_preload_offset 0
		.amdhsa_user_sgpr_private_segment_size 0
		.amdhsa_wavefront_size32 1
		.amdhsa_uses_dynamic_stack 0
		.amdhsa_enable_private_segment 1
		.amdhsa_system_sgpr_workgroup_id_x 1
		.amdhsa_system_sgpr_workgroup_id_y 0
		.amdhsa_system_sgpr_workgroup_id_z 0
		.amdhsa_system_sgpr_workgroup_info 0
		.amdhsa_system_vgpr_workitem_id 0
		.amdhsa_next_free_vgpr 51
		.amdhsa_next_free_sgpr 34
		.amdhsa_named_barrier_count 0
		.amdhsa_reserve_vcc 1
		.amdhsa_float_round_mode_32 0
		.amdhsa_float_round_mode_16_64 0
		.amdhsa_float_denorm_mode_32 3
		.amdhsa_float_denorm_mode_16_64 3
		.amdhsa_fp16_overflow 0
		.amdhsa_memory_ordered 1
		.amdhsa_forward_progress 1
		.amdhsa_inst_pref_size 1
		.amdhsa_round_robin_scheduling 0
		.amdhsa_exception_fp_ieee_invalid_op 0
		.amdhsa_exception_fp_denorm_src 0
		.amdhsa_exception_fp_ieee_div_zero 0
		.amdhsa_exception_fp_ieee_overflow 0
		.amdhsa_exception_fp_ieee_underflow 0
		.amdhsa_exception_fp_ieee_inexact 0
		.amdhsa_exception_int_div_zero 0
	.end_amdhsa_kernel
	.section	.text._Z39paged_attention_ll4mi_QKV_mfma16_kernelIDF16_hLN4vllm18Fp8KVCacheDataTypeE1EhLi32ELi64ELi256ELb0ELi5EEvPKT_PKT0_S7_ifPKiS9_S9_iPKfiiiPfSC_PS2_PT2_iSB_SB_,"axG",@progbits,_Z39paged_attention_ll4mi_QKV_mfma16_kernelIDF16_hLN4vllm18Fp8KVCacheDataTypeE1EhLi32ELi64ELi256ELb0ELi5EEvPKT_PKT0_S7_ifPKiS9_S9_iPKfiiiPfSC_PS2_PT2_iSB_SB_,comdat
.Lfunc_end874:
	.size	_Z39paged_attention_ll4mi_QKV_mfma16_kernelIDF16_hLN4vllm18Fp8KVCacheDataTypeE1EhLi32ELi64ELi256ELb0ELi5EEvPKT_PKT0_S7_ifPKiS9_S9_iPKfiiiPfSC_PS2_PT2_iSB_SB_, .Lfunc_end874-_Z39paged_attention_ll4mi_QKV_mfma16_kernelIDF16_hLN4vllm18Fp8KVCacheDataTypeE1EhLi32ELi64ELi256ELb0ELi5EEvPKT_PKT0_S7_ifPKiS9_S9_iPKfiiiPfSC_PS2_PT2_iSB_SB_
                                        ; -- End function
	.set _Z39paged_attention_ll4mi_QKV_mfma16_kernelIDF16_hLN4vllm18Fp8KVCacheDataTypeE1EhLi32ELi64ELi256ELb0ELi5EEvPKT_PKT0_S7_ifPKiS9_S9_iPKfiiiPfSC_PS2_PT2_iSB_SB_.num_vgpr, max(3, .L__assert_fail.num_vgpr)
	.set _Z39paged_attention_ll4mi_QKV_mfma16_kernelIDF16_hLN4vllm18Fp8KVCacheDataTypeE1EhLi32ELi64ELi256ELb0ELi5EEvPKT_PKT0_S7_ifPKiS9_S9_iPKfiiiPfSC_PS2_PT2_iSB_SB_.num_agpr, max(0, .L__assert_fail.num_agpr)
	.set _Z39paged_attention_ll4mi_QKV_mfma16_kernelIDF16_hLN4vllm18Fp8KVCacheDataTypeE1EhLi32ELi64ELi256ELb0ELi5EEvPKT_PKT0_S7_ifPKiS9_S9_iPKfiiiPfSC_PS2_PT2_iSB_SB_.numbered_sgpr, max(33, .L__assert_fail.numbered_sgpr)
	.set _Z39paged_attention_ll4mi_QKV_mfma16_kernelIDF16_hLN4vllm18Fp8KVCacheDataTypeE1EhLi32ELi64ELi256ELb0ELi5EEvPKT_PKT0_S7_ifPKiS9_S9_iPKfiiiPfSC_PS2_PT2_iSB_SB_.num_named_barrier, max(0, .L__assert_fail.num_named_barrier)
	.set _Z39paged_attention_ll4mi_QKV_mfma16_kernelIDF16_hLN4vllm18Fp8KVCacheDataTypeE1EhLi32ELi64ELi256ELb0ELi5EEvPKT_PKT0_S7_ifPKiS9_S9_iPKfiiiPfSC_PS2_PT2_iSB_SB_.private_seg_size, 0+max(.L__assert_fail.private_seg_size)
	.set _Z39paged_attention_ll4mi_QKV_mfma16_kernelIDF16_hLN4vllm18Fp8KVCacheDataTypeE1EhLi32ELi64ELi256ELb0ELi5EEvPKT_PKT0_S7_ifPKiS9_S9_iPKfiiiPfSC_PS2_PT2_iSB_SB_.uses_vcc, or(1, .L__assert_fail.uses_vcc)
	.set _Z39paged_attention_ll4mi_QKV_mfma16_kernelIDF16_hLN4vllm18Fp8KVCacheDataTypeE1EhLi32ELi64ELi256ELb0ELi5EEvPKT_PKT0_S7_ifPKiS9_S9_iPKfiiiPfSC_PS2_PT2_iSB_SB_.uses_flat_scratch, or(0, .L__assert_fail.uses_flat_scratch)
	.set _Z39paged_attention_ll4mi_QKV_mfma16_kernelIDF16_hLN4vllm18Fp8KVCacheDataTypeE1EhLi32ELi64ELi256ELb0ELi5EEvPKT_PKT0_S7_ifPKiS9_S9_iPKfiiiPfSC_PS2_PT2_iSB_SB_.has_dyn_sized_stack, or(0, .L__assert_fail.has_dyn_sized_stack)
	.set _Z39paged_attention_ll4mi_QKV_mfma16_kernelIDF16_hLN4vllm18Fp8KVCacheDataTypeE1EhLi32ELi64ELi256ELb0ELi5EEvPKT_PKT0_S7_ifPKiS9_S9_iPKfiiiPfSC_PS2_PT2_iSB_SB_.has_recursion, or(0, .L__assert_fail.has_recursion)
	.set _Z39paged_attention_ll4mi_QKV_mfma16_kernelIDF16_hLN4vllm18Fp8KVCacheDataTypeE1EhLi32ELi64ELi256ELb0ELi5EEvPKT_PKT0_S7_ifPKiS9_S9_iPKfiiiPfSC_PS2_PT2_iSB_SB_.has_indirect_call, or(0, .L__assert_fail.has_indirect_call)
	.section	.AMDGPU.csdata,"",@progbits
; Kernel info:
; codeLenInByte = 68
; TotalNumSgprs: 36
; NumVgprs: 51
; ScratchSize: 64
; MemoryBound: 0
; FloatMode: 240
; IeeeMode: 1
; LDSByteSize: 0 bytes/workgroup (compile time only)
; SGPRBlocks: 0
; VGPRBlocks: 3
; NumSGPRsForWavesPerEU: 36
; NumVGPRsForWavesPerEU: 51
; NamedBarCnt: 0
; Occupancy: 16
; WaveLimiterHint : 1
; COMPUTE_PGM_RSRC2:SCRATCH_EN: 1
; COMPUTE_PGM_RSRC2:USER_SGPR: 2
; COMPUTE_PGM_RSRC2:TRAP_HANDLER: 0
; COMPUTE_PGM_RSRC2:TGID_X_EN: 1
; COMPUTE_PGM_RSRC2:TGID_Y_EN: 0
; COMPUTE_PGM_RSRC2:TGID_Z_EN: 0
; COMPUTE_PGM_RSRC2:TIDIG_COMP_CNT: 0
	.section	.text._Z39paged_attention_ll4mi_QKV_mfma16_kernelIDF16_hLN4vllm18Fp8KVCacheDataTypeE1EhLi32ELi64ELi256ELb0ELi6EEvPKT_PKT0_S7_ifPKiS9_S9_iPKfiiiPfSC_PS2_PT2_iSB_SB_,"axG",@progbits,_Z39paged_attention_ll4mi_QKV_mfma16_kernelIDF16_hLN4vllm18Fp8KVCacheDataTypeE1EhLi32ELi64ELi256ELb0ELi6EEvPKT_PKT0_S7_ifPKiS9_S9_iPKfiiiPfSC_PS2_PT2_iSB_SB_,comdat
	.protected	_Z39paged_attention_ll4mi_QKV_mfma16_kernelIDF16_hLN4vllm18Fp8KVCacheDataTypeE1EhLi32ELi64ELi256ELb0ELi6EEvPKT_PKT0_S7_ifPKiS9_S9_iPKfiiiPfSC_PS2_PT2_iSB_SB_ ; -- Begin function _Z39paged_attention_ll4mi_QKV_mfma16_kernelIDF16_hLN4vllm18Fp8KVCacheDataTypeE1EhLi32ELi64ELi256ELb0ELi6EEvPKT_PKT0_S7_ifPKiS9_S9_iPKfiiiPfSC_PS2_PT2_iSB_SB_
	.globl	_Z39paged_attention_ll4mi_QKV_mfma16_kernelIDF16_hLN4vllm18Fp8KVCacheDataTypeE1EhLi32ELi64ELi256ELb0ELi6EEvPKT_PKT0_S7_ifPKiS9_S9_iPKfiiiPfSC_PS2_PT2_iSB_SB_
	.p2align	8
	.type	_Z39paged_attention_ll4mi_QKV_mfma16_kernelIDF16_hLN4vllm18Fp8KVCacheDataTypeE1EhLi32ELi64ELi256ELb0ELi6EEvPKT_PKT0_S7_ifPKiS9_S9_iPKfiiiPfSC_PS2_PT2_iSB_SB_,@function
_Z39paged_attention_ll4mi_QKV_mfma16_kernelIDF16_hLN4vllm18Fp8KVCacheDataTypeE1EhLi32ELi64ELi256ELb0ELi6EEvPKT_PKT0_S7_ifPKiS9_S9_iPKfiiiPfSC_PS2_PT2_iSB_SB_: ; @_Z39paged_attention_ll4mi_QKV_mfma16_kernelIDF16_hLN4vllm18Fp8KVCacheDataTypeE1EhLi32ELi64ELi256ELb0ELi6EEvPKT_PKT0_S7_ifPKiS9_S9_iPKfiiiPfSC_PS2_PT2_iSB_SB_
; %bb.0:
	s_get_pc_i64 s[2:3]
	s_add_nc_u64 s[2:3], s[2:3], __PRETTY_FUNCTION__._Z39paged_attention_ll4mi_QKV_mfma16_kernelIDF16_hLN4vllm18Fp8KVCacheDataTypeE1EhLi32ELi64ELi256ELb0ELi6EEvPKT_PKT0_S7_ifPKiS9_S9_iPKfiiiPfSC_PS2_PT2_iSB_SB_@rel64+4
	s_delay_alu instid0(SALU_CYCLE_1)
	v_dual_mov_b32 v0, 0xbb3 :: v_dual_mov_b32 v1, s2
	v_mov_b32_e32 v2, s3
	s_add_nc_u64 s[8:9], s[0:1], 0x90
	s_get_pc_i64 s[0:1]
	s_add_nc_u64 s[0:1], s[0:1], __assert_fail@rel64+4
	s_mov_b32 s32, 0
	s_swap_pc_i64 s[30:31], s[0:1]
	.section	.rodata,"a",@progbits
	.p2align	6, 0x0
	.amdhsa_kernel _Z39paged_attention_ll4mi_QKV_mfma16_kernelIDF16_hLN4vllm18Fp8KVCacheDataTypeE1EhLi32ELi64ELi256ELb0ELi6EEvPKT_PKT0_S7_ifPKiS9_S9_iPKfiiiPfSC_PS2_PT2_iSB_SB_
		.amdhsa_group_segment_fixed_size 0
		.amdhsa_private_segment_fixed_size 64
		.amdhsa_kernarg_size 400
		.amdhsa_user_sgpr_count 2
		.amdhsa_user_sgpr_dispatch_ptr 0
		.amdhsa_user_sgpr_queue_ptr 0
		.amdhsa_user_sgpr_kernarg_segment_ptr 1
		.amdhsa_user_sgpr_dispatch_id 0
		.amdhsa_user_sgpr_kernarg_preload_length 0
		.amdhsa_user_sgpr_kernarg_preload_offset 0
		.amdhsa_user_sgpr_private_segment_size 0
		.amdhsa_wavefront_size32 1
		.amdhsa_uses_dynamic_stack 0
		.amdhsa_enable_private_segment 1
		.amdhsa_system_sgpr_workgroup_id_x 1
		.amdhsa_system_sgpr_workgroup_id_y 0
		.amdhsa_system_sgpr_workgroup_id_z 0
		.amdhsa_system_sgpr_workgroup_info 0
		.amdhsa_system_vgpr_workitem_id 0
		.amdhsa_next_free_vgpr 51
		.amdhsa_next_free_sgpr 34
		.amdhsa_named_barrier_count 0
		.amdhsa_reserve_vcc 1
		.amdhsa_float_round_mode_32 0
		.amdhsa_float_round_mode_16_64 0
		.amdhsa_float_denorm_mode_32 3
		.amdhsa_float_denorm_mode_16_64 3
		.amdhsa_fp16_overflow 0
		.amdhsa_memory_ordered 1
		.amdhsa_forward_progress 1
		.amdhsa_inst_pref_size 1
		.amdhsa_round_robin_scheduling 0
		.amdhsa_exception_fp_ieee_invalid_op 0
		.amdhsa_exception_fp_denorm_src 0
		.amdhsa_exception_fp_ieee_div_zero 0
		.amdhsa_exception_fp_ieee_overflow 0
		.amdhsa_exception_fp_ieee_underflow 0
		.amdhsa_exception_fp_ieee_inexact 0
		.amdhsa_exception_int_div_zero 0
	.end_amdhsa_kernel
	.section	.text._Z39paged_attention_ll4mi_QKV_mfma16_kernelIDF16_hLN4vllm18Fp8KVCacheDataTypeE1EhLi32ELi64ELi256ELb0ELi6EEvPKT_PKT0_S7_ifPKiS9_S9_iPKfiiiPfSC_PS2_PT2_iSB_SB_,"axG",@progbits,_Z39paged_attention_ll4mi_QKV_mfma16_kernelIDF16_hLN4vllm18Fp8KVCacheDataTypeE1EhLi32ELi64ELi256ELb0ELi6EEvPKT_PKT0_S7_ifPKiS9_S9_iPKfiiiPfSC_PS2_PT2_iSB_SB_,comdat
.Lfunc_end875:
	.size	_Z39paged_attention_ll4mi_QKV_mfma16_kernelIDF16_hLN4vllm18Fp8KVCacheDataTypeE1EhLi32ELi64ELi256ELb0ELi6EEvPKT_PKT0_S7_ifPKiS9_S9_iPKfiiiPfSC_PS2_PT2_iSB_SB_, .Lfunc_end875-_Z39paged_attention_ll4mi_QKV_mfma16_kernelIDF16_hLN4vllm18Fp8KVCacheDataTypeE1EhLi32ELi64ELi256ELb0ELi6EEvPKT_PKT0_S7_ifPKiS9_S9_iPKfiiiPfSC_PS2_PT2_iSB_SB_
                                        ; -- End function
	.set _Z39paged_attention_ll4mi_QKV_mfma16_kernelIDF16_hLN4vllm18Fp8KVCacheDataTypeE1EhLi32ELi64ELi256ELb0ELi6EEvPKT_PKT0_S7_ifPKiS9_S9_iPKfiiiPfSC_PS2_PT2_iSB_SB_.num_vgpr, max(3, .L__assert_fail.num_vgpr)
	.set _Z39paged_attention_ll4mi_QKV_mfma16_kernelIDF16_hLN4vllm18Fp8KVCacheDataTypeE1EhLi32ELi64ELi256ELb0ELi6EEvPKT_PKT0_S7_ifPKiS9_S9_iPKfiiiPfSC_PS2_PT2_iSB_SB_.num_agpr, max(0, .L__assert_fail.num_agpr)
	.set _Z39paged_attention_ll4mi_QKV_mfma16_kernelIDF16_hLN4vllm18Fp8KVCacheDataTypeE1EhLi32ELi64ELi256ELb0ELi6EEvPKT_PKT0_S7_ifPKiS9_S9_iPKfiiiPfSC_PS2_PT2_iSB_SB_.numbered_sgpr, max(33, .L__assert_fail.numbered_sgpr)
	.set _Z39paged_attention_ll4mi_QKV_mfma16_kernelIDF16_hLN4vllm18Fp8KVCacheDataTypeE1EhLi32ELi64ELi256ELb0ELi6EEvPKT_PKT0_S7_ifPKiS9_S9_iPKfiiiPfSC_PS2_PT2_iSB_SB_.num_named_barrier, max(0, .L__assert_fail.num_named_barrier)
	.set _Z39paged_attention_ll4mi_QKV_mfma16_kernelIDF16_hLN4vllm18Fp8KVCacheDataTypeE1EhLi32ELi64ELi256ELb0ELi6EEvPKT_PKT0_S7_ifPKiS9_S9_iPKfiiiPfSC_PS2_PT2_iSB_SB_.private_seg_size, 0+max(.L__assert_fail.private_seg_size)
	.set _Z39paged_attention_ll4mi_QKV_mfma16_kernelIDF16_hLN4vllm18Fp8KVCacheDataTypeE1EhLi32ELi64ELi256ELb0ELi6EEvPKT_PKT0_S7_ifPKiS9_S9_iPKfiiiPfSC_PS2_PT2_iSB_SB_.uses_vcc, or(1, .L__assert_fail.uses_vcc)
	.set _Z39paged_attention_ll4mi_QKV_mfma16_kernelIDF16_hLN4vllm18Fp8KVCacheDataTypeE1EhLi32ELi64ELi256ELb0ELi6EEvPKT_PKT0_S7_ifPKiS9_S9_iPKfiiiPfSC_PS2_PT2_iSB_SB_.uses_flat_scratch, or(0, .L__assert_fail.uses_flat_scratch)
	.set _Z39paged_attention_ll4mi_QKV_mfma16_kernelIDF16_hLN4vllm18Fp8KVCacheDataTypeE1EhLi32ELi64ELi256ELb0ELi6EEvPKT_PKT0_S7_ifPKiS9_S9_iPKfiiiPfSC_PS2_PT2_iSB_SB_.has_dyn_sized_stack, or(0, .L__assert_fail.has_dyn_sized_stack)
	.set _Z39paged_attention_ll4mi_QKV_mfma16_kernelIDF16_hLN4vllm18Fp8KVCacheDataTypeE1EhLi32ELi64ELi256ELb0ELi6EEvPKT_PKT0_S7_ifPKiS9_S9_iPKfiiiPfSC_PS2_PT2_iSB_SB_.has_recursion, or(0, .L__assert_fail.has_recursion)
	.set _Z39paged_attention_ll4mi_QKV_mfma16_kernelIDF16_hLN4vllm18Fp8KVCacheDataTypeE1EhLi32ELi64ELi256ELb0ELi6EEvPKT_PKT0_S7_ifPKiS9_S9_iPKfiiiPfSC_PS2_PT2_iSB_SB_.has_indirect_call, or(0, .L__assert_fail.has_indirect_call)
	.section	.AMDGPU.csdata,"",@progbits
; Kernel info:
; codeLenInByte = 68
; TotalNumSgprs: 36
; NumVgprs: 51
; ScratchSize: 64
; MemoryBound: 0
; FloatMode: 240
; IeeeMode: 1
; LDSByteSize: 0 bytes/workgroup (compile time only)
; SGPRBlocks: 0
; VGPRBlocks: 3
; NumSGPRsForWavesPerEU: 36
; NumVGPRsForWavesPerEU: 51
; NamedBarCnt: 0
; Occupancy: 16
; WaveLimiterHint : 1
; COMPUTE_PGM_RSRC2:SCRATCH_EN: 1
; COMPUTE_PGM_RSRC2:USER_SGPR: 2
; COMPUTE_PGM_RSRC2:TRAP_HANDLER: 0
; COMPUTE_PGM_RSRC2:TGID_X_EN: 1
; COMPUTE_PGM_RSRC2:TGID_Y_EN: 0
; COMPUTE_PGM_RSRC2:TGID_Z_EN: 0
; COMPUTE_PGM_RSRC2:TIDIG_COMP_CNT: 0
	.section	.text._Z39paged_attention_ll4mi_QKV_mfma16_kernelIDF16_hLN4vllm18Fp8KVCacheDataTypeE1EhLi32ELi64ELi256ELb0ELi7EEvPKT_PKT0_S7_ifPKiS9_S9_iPKfiiiPfSC_PS2_PT2_iSB_SB_,"axG",@progbits,_Z39paged_attention_ll4mi_QKV_mfma16_kernelIDF16_hLN4vllm18Fp8KVCacheDataTypeE1EhLi32ELi64ELi256ELb0ELi7EEvPKT_PKT0_S7_ifPKiS9_S9_iPKfiiiPfSC_PS2_PT2_iSB_SB_,comdat
	.protected	_Z39paged_attention_ll4mi_QKV_mfma16_kernelIDF16_hLN4vllm18Fp8KVCacheDataTypeE1EhLi32ELi64ELi256ELb0ELi7EEvPKT_PKT0_S7_ifPKiS9_S9_iPKfiiiPfSC_PS2_PT2_iSB_SB_ ; -- Begin function _Z39paged_attention_ll4mi_QKV_mfma16_kernelIDF16_hLN4vllm18Fp8KVCacheDataTypeE1EhLi32ELi64ELi256ELb0ELi7EEvPKT_PKT0_S7_ifPKiS9_S9_iPKfiiiPfSC_PS2_PT2_iSB_SB_
	.globl	_Z39paged_attention_ll4mi_QKV_mfma16_kernelIDF16_hLN4vllm18Fp8KVCacheDataTypeE1EhLi32ELi64ELi256ELb0ELi7EEvPKT_PKT0_S7_ifPKiS9_S9_iPKfiiiPfSC_PS2_PT2_iSB_SB_
	.p2align	8
	.type	_Z39paged_attention_ll4mi_QKV_mfma16_kernelIDF16_hLN4vllm18Fp8KVCacheDataTypeE1EhLi32ELi64ELi256ELb0ELi7EEvPKT_PKT0_S7_ifPKiS9_S9_iPKfiiiPfSC_PS2_PT2_iSB_SB_,@function
_Z39paged_attention_ll4mi_QKV_mfma16_kernelIDF16_hLN4vllm18Fp8KVCacheDataTypeE1EhLi32ELi64ELi256ELb0ELi7EEvPKT_PKT0_S7_ifPKiS9_S9_iPKfiiiPfSC_PS2_PT2_iSB_SB_: ; @_Z39paged_attention_ll4mi_QKV_mfma16_kernelIDF16_hLN4vllm18Fp8KVCacheDataTypeE1EhLi32ELi64ELi256ELb0ELi7EEvPKT_PKT0_S7_ifPKiS9_S9_iPKfiiiPfSC_PS2_PT2_iSB_SB_
; %bb.0:
	s_get_pc_i64 s[2:3]
	s_add_nc_u64 s[2:3], s[2:3], __PRETTY_FUNCTION__._Z39paged_attention_ll4mi_QKV_mfma16_kernelIDF16_hLN4vllm18Fp8KVCacheDataTypeE1EhLi32ELi64ELi256ELb0ELi7EEvPKT_PKT0_S7_ifPKiS9_S9_iPKfiiiPfSC_PS2_PT2_iSB_SB_@rel64+4
	s_delay_alu instid0(SALU_CYCLE_1)
	v_dual_mov_b32 v0, 0xbb3 :: v_dual_mov_b32 v1, s2
	v_mov_b32_e32 v2, s3
	s_add_nc_u64 s[8:9], s[0:1], 0x90
	s_get_pc_i64 s[0:1]
	s_add_nc_u64 s[0:1], s[0:1], __assert_fail@rel64+4
	s_mov_b32 s32, 0
	s_swap_pc_i64 s[30:31], s[0:1]
	.section	.rodata,"a",@progbits
	.p2align	6, 0x0
	.amdhsa_kernel _Z39paged_attention_ll4mi_QKV_mfma16_kernelIDF16_hLN4vllm18Fp8KVCacheDataTypeE1EhLi32ELi64ELi256ELb0ELi7EEvPKT_PKT0_S7_ifPKiS9_S9_iPKfiiiPfSC_PS2_PT2_iSB_SB_
		.amdhsa_group_segment_fixed_size 0
		.amdhsa_private_segment_fixed_size 64
		.amdhsa_kernarg_size 400
		.amdhsa_user_sgpr_count 2
		.amdhsa_user_sgpr_dispatch_ptr 0
		.amdhsa_user_sgpr_queue_ptr 0
		.amdhsa_user_sgpr_kernarg_segment_ptr 1
		.amdhsa_user_sgpr_dispatch_id 0
		.amdhsa_user_sgpr_kernarg_preload_length 0
		.amdhsa_user_sgpr_kernarg_preload_offset 0
		.amdhsa_user_sgpr_private_segment_size 0
		.amdhsa_wavefront_size32 1
		.amdhsa_uses_dynamic_stack 0
		.amdhsa_enable_private_segment 1
		.amdhsa_system_sgpr_workgroup_id_x 1
		.amdhsa_system_sgpr_workgroup_id_y 0
		.amdhsa_system_sgpr_workgroup_id_z 0
		.amdhsa_system_sgpr_workgroup_info 0
		.amdhsa_system_vgpr_workitem_id 0
		.amdhsa_next_free_vgpr 51
		.amdhsa_next_free_sgpr 34
		.amdhsa_named_barrier_count 0
		.amdhsa_reserve_vcc 1
		.amdhsa_float_round_mode_32 0
		.amdhsa_float_round_mode_16_64 0
		.amdhsa_float_denorm_mode_32 3
		.amdhsa_float_denorm_mode_16_64 3
		.amdhsa_fp16_overflow 0
		.amdhsa_memory_ordered 1
		.amdhsa_forward_progress 1
		.amdhsa_inst_pref_size 1
		.amdhsa_round_robin_scheduling 0
		.amdhsa_exception_fp_ieee_invalid_op 0
		.amdhsa_exception_fp_denorm_src 0
		.amdhsa_exception_fp_ieee_div_zero 0
		.amdhsa_exception_fp_ieee_overflow 0
		.amdhsa_exception_fp_ieee_underflow 0
		.amdhsa_exception_fp_ieee_inexact 0
		.amdhsa_exception_int_div_zero 0
	.end_amdhsa_kernel
	.section	.text._Z39paged_attention_ll4mi_QKV_mfma16_kernelIDF16_hLN4vllm18Fp8KVCacheDataTypeE1EhLi32ELi64ELi256ELb0ELi7EEvPKT_PKT0_S7_ifPKiS9_S9_iPKfiiiPfSC_PS2_PT2_iSB_SB_,"axG",@progbits,_Z39paged_attention_ll4mi_QKV_mfma16_kernelIDF16_hLN4vllm18Fp8KVCacheDataTypeE1EhLi32ELi64ELi256ELb0ELi7EEvPKT_PKT0_S7_ifPKiS9_S9_iPKfiiiPfSC_PS2_PT2_iSB_SB_,comdat
.Lfunc_end876:
	.size	_Z39paged_attention_ll4mi_QKV_mfma16_kernelIDF16_hLN4vllm18Fp8KVCacheDataTypeE1EhLi32ELi64ELi256ELb0ELi7EEvPKT_PKT0_S7_ifPKiS9_S9_iPKfiiiPfSC_PS2_PT2_iSB_SB_, .Lfunc_end876-_Z39paged_attention_ll4mi_QKV_mfma16_kernelIDF16_hLN4vllm18Fp8KVCacheDataTypeE1EhLi32ELi64ELi256ELb0ELi7EEvPKT_PKT0_S7_ifPKiS9_S9_iPKfiiiPfSC_PS2_PT2_iSB_SB_
                                        ; -- End function
	.set _Z39paged_attention_ll4mi_QKV_mfma16_kernelIDF16_hLN4vllm18Fp8KVCacheDataTypeE1EhLi32ELi64ELi256ELb0ELi7EEvPKT_PKT0_S7_ifPKiS9_S9_iPKfiiiPfSC_PS2_PT2_iSB_SB_.num_vgpr, max(3, .L__assert_fail.num_vgpr)
	.set _Z39paged_attention_ll4mi_QKV_mfma16_kernelIDF16_hLN4vllm18Fp8KVCacheDataTypeE1EhLi32ELi64ELi256ELb0ELi7EEvPKT_PKT0_S7_ifPKiS9_S9_iPKfiiiPfSC_PS2_PT2_iSB_SB_.num_agpr, max(0, .L__assert_fail.num_agpr)
	.set _Z39paged_attention_ll4mi_QKV_mfma16_kernelIDF16_hLN4vllm18Fp8KVCacheDataTypeE1EhLi32ELi64ELi256ELb0ELi7EEvPKT_PKT0_S7_ifPKiS9_S9_iPKfiiiPfSC_PS2_PT2_iSB_SB_.numbered_sgpr, max(33, .L__assert_fail.numbered_sgpr)
	.set _Z39paged_attention_ll4mi_QKV_mfma16_kernelIDF16_hLN4vllm18Fp8KVCacheDataTypeE1EhLi32ELi64ELi256ELb0ELi7EEvPKT_PKT0_S7_ifPKiS9_S9_iPKfiiiPfSC_PS2_PT2_iSB_SB_.num_named_barrier, max(0, .L__assert_fail.num_named_barrier)
	.set _Z39paged_attention_ll4mi_QKV_mfma16_kernelIDF16_hLN4vllm18Fp8KVCacheDataTypeE1EhLi32ELi64ELi256ELb0ELi7EEvPKT_PKT0_S7_ifPKiS9_S9_iPKfiiiPfSC_PS2_PT2_iSB_SB_.private_seg_size, 0+max(.L__assert_fail.private_seg_size)
	.set _Z39paged_attention_ll4mi_QKV_mfma16_kernelIDF16_hLN4vllm18Fp8KVCacheDataTypeE1EhLi32ELi64ELi256ELb0ELi7EEvPKT_PKT0_S7_ifPKiS9_S9_iPKfiiiPfSC_PS2_PT2_iSB_SB_.uses_vcc, or(1, .L__assert_fail.uses_vcc)
	.set _Z39paged_attention_ll4mi_QKV_mfma16_kernelIDF16_hLN4vllm18Fp8KVCacheDataTypeE1EhLi32ELi64ELi256ELb0ELi7EEvPKT_PKT0_S7_ifPKiS9_S9_iPKfiiiPfSC_PS2_PT2_iSB_SB_.uses_flat_scratch, or(0, .L__assert_fail.uses_flat_scratch)
	.set _Z39paged_attention_ll4mi_QKV_mfma16_kernelIDF16_hLN4vllm18Fp8KVCacheDataTypeE1EhLi32ELi64ELi256ELb0ELi7EEvPKT_PKT0_S7_ifPKiS9_S9_iPKfiiiPfSC_PS2_PT2_iSB_SB_.has_dyn_sized_stack, or(0, .L__assert_fail.has_dyn_sized_stack)
	.set _Z39paged_attention_ll4mi_QKV_mfma16_kernelIDF16_hLN4vllm18Fp8KVCacheDataTypeE1EhLi32ELi64ELi256ELb0ELi7EEvPKT_PKT0_S7_ifPKiS9_S9_iPKfiiiPfSC_PS2_PT2_iSB_SB_.has_recursion, or(0, .L__assert_fail.has_recursion)
	.set _Z39paged_attention_ll4mi_QKV_mfma16_kernelIDF16_hLN4vllm18Fp8KVCacheDataTypeE1EhLi32ELi64ELi256ELb0ELi7EEvPKT_PKT0_S7_ifPKiS9_S9_iPKfiiiPfSC_PS2_PT2_iSB_SB_.has_indirect_call, or(0, .L__assert_fail.has_indirect_call)
	.section	.AMDGPU.csdata,"",@progbits
; Kernel info:
; codeLenInByte = 68
; TotalNumSgprs: 36
; NumVgprs: 51
; ScratchSize: 64
; MemoryBound: 0
; FloatMode: 240
; IeeeMode: 1
; LDSByteSize: 0 bytes/workgroup (compile time only)
; SGPRBlocks: 0
; VGPRBlocks: 3
; NumSGPRsForWavesPerEU: 36
; NumVGPRsForWavesPerEU: 51
; NamedBarCnt: 0
; Occupancy: 16
; WaveLimiterHint : 1
; COMPUTE_PGM_RSRC2:SCRATCH_EN: 1
; COMPUTE_PGM_RSRC2:USER_SGPR: 2
; COMPUTE_PGM_RSRC2:TRAP_HANDLER: 0
; COMPUTE_PGM_RSRC2:TGID_X_EN: 1
; COMPUTE_PGM_RSRC2:TGID_Y_EN: 0
; COMPUTE_PGM_RSRC2:TGID_Z_EN: 0
; COMPUTE_PGM_RSRC2:TIDIG_COMP_CNT: 0
	.section	.text._Z39paged_attention_ll4mi_QKV_mfma16_kernelIDF16_hLN4vllm18Fp8KVCacheDataTypeE1EhLi32ELi64ELi256ELb0ELi8EEvPKT_PKT0_S7_ifPKiS9_S9_iPKfiiiPfSC_PS2_PT2_iSB_SB_,"axG",@progbits,_Z39paged_attention_ll4mi_QKV_mfma16_kernelIDF16_hLN4vllm18Fp8KVCacheDataTypeE1EhLi32ELi64ELi256ELb0ELi8EEvPKT_PKT0_S7_ifPKiS9_S9_iPKfiiiPfSC_PS2_PT2_iSB_SB_,comdat
	.protected	_Z39paged_attention_ll4mi_QKV_mfma16_kernelIDF16_hLN4vllm18Fp8KVCacheDataTypeE1EhLi32ELi64ELi256ELb0ELi8EEvPKT_PKT0_S7_ifPKiS9_S9_iPKfiiiPfSC_PS2_PT2_iSB_SB_ ; -- Begin function _Z39paged_attention_ll4mi_QKV_mfma16_kernelIDF16_hLN4vllm18Fp8KVCacheDataTypeE1EhLi32ELi64ELi256ELb0ELi8EEvPKT_PKT0_S7_ifPKiS9_S9_iPKfiiiPfSC_PS2_PT2_iSB_SB_
	.globl	_Z39paged_attention_ll4mi_QKV_mfma16_kernelIDF16_hLN4vllm18Fp8KVCacheDataTypeE1EhLi32ELi64ELi256ELb0ELi8EEvPKT_PKT0_S7_ifPKiS9_S9_iPKfiiiPfSC_PS2_PT2_iSB_SB_
	.p2align	8
	.type	_Z39paged_attention_ll4mi_QKV_mfma16_kernelIDF16_hLN4vllm18Fp8KVCacheDataTypeE1EhLi32ELi64ELi256ELb0ELi8EEvPKT_PKT0_S7_ifPKiS9_S9_iPKfiiiPfSC_PS2_PT2_iSB_SB_,@function
_Z39paged_attention_ll4mi_QKV_mfma16_kernelIDF16_hLN4vllm18Fp8KVCacheDataTypeE1EhLi32ELi64ELi256ELb0ELi8EEvPKT_PKT0_S7_ifPKiS9_S9_iPKfiiiPfSC_PS2_PT2_iSB_SB_: ; @_Z39paged_attention_ll4mi_QKV_mfma16_kernelIDF16_hLN4vllm18Fp8KVCacheDataTypeE1EhLi32ELi64ELi256ELb0ELi8EEvPKT_PKT0_S7_ifPKiS9_S9_iPKfiiiPfSC_PS2_PT2_iSB_SB_
; %bb.0:
	s_get_pc_i64 s[2:3]
	s_add_nc_u64 s[2:3], s[2:3], __PRETTY_FUNCTION__._Z39paged_attention_ll4mi_QKV_mfma16_kernelIDF16_hLN4vllm18Fp8KVCacheDataTypeE1EhLi32ELi64ELi256ELb0ELi8EEvPKT_PKT0_S7_ifPKiS9_S9_iPKfiiiPfSC_PS2_PT2_iSB_SB_@rel64+4
	s_delay_alu instid0(SALU_CYCLE_1)
	v_dual_mov_b32 v0, 0xbb3 :: v_dual_mov_b32 v1, s2
	v_mov_b32_e32 v2, s3
	s_add_nc_u64 s[8:9], s[0:1], 0x90
	s_get_pc_i64 s[0:1]
	s_add_nc_u64 s[0:1], s[0:1], __assert_fail@rel64+4
	s_mov_b32 s32, 0
	s_swap_pc_i64 s[30:31], s[0:1]
	.section	.rodata,"a",@progbits
	.p2align	6, 0x0
	.amdhsa_kernel _Z39paged_attention_ll4mi_QKV_mfma16_kernelIDF16_hLN4vllm18Fp8KVCacheDataTypeE1EhLi32ELi64ELi256ELb0ELi8EEvPKT_PKT0_S7_ifPKiS9_S9_iPKfiiiPfSC_PS2_PT2_iSB_SB_
		.amdhsa_group_segment_fixed_size 0
		.amdhsa_private_segment_fixed_size 64
		.amdhsa_kernarg_size 400
		.amdhsa_user_sgpr_count 2
		.amdhsa_user_sgpr_dispatch_ptr 0
		.amdhsa_user_sgpr_queue_ptr 0
		.amdhsa_user_sgpr_kernarg_segment_ptr 1
		.amdhsa_user_sgpr_dispatch_id 0
		.amdhsa_user_sgpr_kernarg_preload_length 0
		.amdhsa_user_sgpr_kernarg_preload_offset 0
		.amdhsa_user_sgpr_private_segment_size 0
		.amdhsa_wavefront_size32 1
		.amdhsa_uses_dynamic_stack 0
		.amdhsa_enable_private_segment 1
		.amdhsa_system_sgpr_workgroup_id_x 1
		.amdhsa_system_sgpr_workgroup_id_y 0
		.amdhsa_system_sgpr_workgroup_id_z 0
		.amdhsa_system_sgpr_workgroup_info 0
		.amdhsa_system_vgpr_workitem_id 0
		.amdhsa_next_free_vgpr 51
		.amdhsa_next_free_sgpr 34
		.amdhsa_named_barrier_count 0
		.amdhsa_reserve_vcc 1
		.amdhsa_float_round_mode_32 0
		.amdhsa_float_round_mode_16_64 0
		.amdhsa_float_denorm_mode_32 3
		.amdhsa_float_denorm_mode_16_64 3
		.amdhsa_fp16_overflow 0
		.amdhsa_memory_ordered 1
		.amdhsa_forward_progress 1
		.amdhsa_inst_pref_size 1
		.amdhsa_round_robin_scheduling 0
		.amdhsa_exception_fp_ieee_invalid_op 0
		.amdhsa_exception_fp_denorm_src 0
		.amdhsa_exception_fp_ieee_div_zero 0
		.amdhsa_exception_fp_ieee_overflow 0
		.amdhsa_exception_fp_ieee_underflow 0
		.amdhsa_exception_fp_ieee_inexact 0
		.amdhsa_exception_int_div_zero 0
	.end_amdhsa_kernel
	.section	.text._Z39paged_attention_ll4mi_QKV_mfma16_kernelIDF16_hLN4vllm18Fp8KVCacheDataTypeE1EhLi32ELi64ELi256ELb0ELi8EEvPKT_PKT0_S7_ifPKiS9_S9_iPKfiiiPfSC_PS2_PT2_iSB_SB_,"axG",@progbits,_Z39paged_attention_ll4mi_QKV_mfma16_kernelIDF16_hLN4vllm18Fp8KVCacheDataTypeE1EhLi32ELi64ELi256ELb0ELi8EEvPKT_PKT0_S7_ifPKiS9_S9_iPKfiiiPfSC_PS2_PT2_iSB_SB_,comdat
.Lfunc_end877:
	.size	_Z39paged_attention_ll4mi_QKV_mfma16_kernelIDF16_hLN4vllm18Fp8KVCacheDataTypeE1EhLi32ELi64ELi256ELb0ELi8EEvPKT_PKT0_S7_ifPKiS9_S9_iPKfiiiPfSC_PS2_PT2_iSB_SB_, .Lfunc_end877-_Z39paged_attention_ll4mi_QKV_mfma16_kernelIDF16_hLN4vllm18Fp8KVCacheDataTypeE1EhLi32ELi64ELi256ELb0ELi8EEvPKT_PKT0_S7_ifPKiS9_S9_iPKfiiiPfSC_PS2_PT2_iSB_SB_
                                        ; -- End function
	.set _Z39paged_attention_ll4mi_QKV_mfma16_kernelIDF16_hLN4vllm18Fp8KVCacheDataTypeE1EhLi32ELi64ELi256ELb0ELi8EEvPKT_PKT0_S7_ifPKiS9_S9_iPKfiiiPfSC_PS2_PT2_iSB_SB_.num_vgpr, max(3, .L__assert_fail.num_vgpr)
	.set _Z39paged_attention_ll4mi_QKV_mfma16_kernelIDF16_hLN4vllm18Fp8KVCacheDataTypeE1EhLi32ELi64ELi256ELb0ELi8EEvPKT_PKT0_S7_ifPKiS9_S9_iPKfiiiPfSC_PS2_PT2_iSB_SB_.num_agpr, max(0, .L__assert_fail.num_agpr)
	.set _Z39paged_attention_ll4mi_QKV_mfma16_kernelIDF16_hLN4vllm18Fp8KVCacheDataTypeE1EhLi32ELi64ELi256ELb0ELi8EEvPKT_PKT0_S7_ifPKiS9_S9_iPKfiiiPfSC_PS2_PT2_iSB_SB_.numbered_sgpr, max(33, .L__assert_fail.numbered_sgpr)
	.set _Z39paged_attention_ll4mi_QKV_mfma16_kernelIDF16_hLN4vllm18Fp8KVCacheDataTypeE1EhLi32ELi64ELi256ELb0ELi8EEvPKT_PKT0_S7_ifPKiS9_S9_iPKfiiiPfSC_PS2_PT2_iSB_SB_.num_named_barrier, max(0, .L__assert_fail.num_named_barrier)
	.set _Z39paged_attention_ll4mi_QKV_mfma16_kernelIDF16_hLN4vllm18Fp8KVCacheDataTypeE1EhLi32ELi64ELi256ELb0ELi8EEvPKT_PKT0_S7_ifPKiS9_S9_iPKfiiiPfSC_PS2_PT2_iSB_SB_.private_seg_size, 0+max(.L__assert_fail.private_seg_size)
	.set _Z39paged_attention_ll4mi_QKV_mfma16_kernelIDF16_hLN4vllm18Fp8KVCacheDataTypeE1EhLi32ELi64ELi256ELb0ELi8EEvPKT_PKT0_S7_ifPKiS9_S9_iPKfiiiPfSC_PS2_PT2_iSB_SB_.uses_vcc, or(1, .L__assert_fail.uses_vcc)
	.set _Z39paged_attention_ll4mi_QKV_mfma16_kernelIDF16_hLN4vllm18Fp8KVCacheDataTypeE1EhLi32ELi64ELi256ELb0ELi8EEvPKT_PKT0_S7_ifPKiS9_S9_iPKfiiiPfSC_PS2_PT2_iSB_SB_.uses_flat_scratch, or(0, .L__assert_fail.uses_flat_scratch)
	.set _Z39paged_attention_ll4mi_QKV_mfma16_kernelIDF16_hLN4vllm18Fp8KVCacheDataTypeE1EhLi32ELi64ELi256ELb0ELi8EEvPKT_PKT0_S7_ifPKiS9_S9_iPKfiiiPfSC_PS2_PT2_iSB_SB_.has_dyn_sized_stack, or(0, .L__assert_fail.has_dyn_sized_stack)
	.set _Z39paged_attention_ll4mi_QKV_mfma16_kernelIDF16_hLN4vllm18Fp8KVCacheDataTypeE1EhLi32ELi64ELi256ELb0ELi8EEvPKT_PKT0_S7_ifPKiS9_S9_iPKfiiiPfSC_PS2_PT2_iSB_SB_.has_recursion, or(0, .L__assert_fail.has_recursion)
	.set _Z39paged_attention_ll4mi_QKV_mfma16_kernelIDF16_hLN4vllm18Fp8KVCacheDataTypeE1EhLi32ELi64ELi256ELb0ELi8EEvPKT_PKT0_S7_ifPKiS9_S9_iPKfiiiPfSC_PS2_PT2_iSB_SB_.has_indirect_call, or(0, .L__assert_fail.has_indirect_call)
	.section	.AMDGPU.csdata,"",@progbits
; Kernel info:
; codeLenInByte = 68
; TotalNumSgprs: 36
; NumVgprs: 51
; ScratchSize: 64
; MemoryBound: 0
; FloatMode: 240
; IeeeMode: 1
; LDSByteSize: 0 bytes/workgroup (compile time only)
; SGPRBlocks: 0
; VGPRBlocks: 3
; NumSGPRsForWavesPerEU: 36
; NumVGPRsForWavesPerEU: 51
; NamedBarCnt: 0
; Occupancy: 16
; WaveLimiterHint : 1
; COMPUTE_PGM_RSRC2:SCRATCH_EN: 1
; COMPUTE_PGM_RSRC2:USER_SGPR: 2
; COMPUTE_PGM_RSRC2:TRAP_HANDLER: 0
; COMPUTE_PGM_RSRC2:TGID_X_EN: 1
; COMPUTE_PGM_RSRC2:TGID_Y_EN: 0
; COMPUTE_PGM_RSRC2:TGID_Z_EN: 0
; COMPUTE_PGM_RSRC2:TIDIG_COMP_CNT: 0
	.section	.text._Z39paged_attention_ll4mi_QKV_mfma16_kernelIDF16_hLN4vllm18Fp8KVCacheDataTypeE1EhLi32ELi64ELi256ELb0ELi9EEvPKT_PKT0_S7_ifPKiS9_S9_iPKfiiiPfSC_PS2_PT2_iSB_SB_,"axG",@progbits,_Z39paged_attention_ll4mi_QKV_mfma16_kernelIDF16_hLN4vllm18Fp8KVCacheDataTypeE1EhLi32ELi64ELi256ELb0ELi9EEvPKT_PKT0_S7_ifPKiS9_S9_iPKfiiiPfSC_PS2_PT2_iSB_SB_,comdat
	.protected	_Z39paged_attention_ll4mi_QKV_mfma16_kernelIDF16_hLN4vllm18Fp8KVCacheDataTypeE1EhLi32ELi64ELi256ELb0ELi9EEvPKT_PKT0_S7_ifPKiS9_S9_iPKfiiiPfSC_PS2_PT2_iSB_SB_ ; -- Begin function _Z39paged_attention_ll4mi_QKV_mfma16_kernelIDF16_hLN4vllm18Fp8KVCacheDataTypeE1EhLi32ELi64ELi256ELb0ELi9EEvPKT_PKT0_S7_ifPKiS9_S9_iPKfiiiPfSC_PS2_PT2_iSB_SB_
	.globl	_Z39paged_attention_ll4mi_QKV_mfma16_kernelIDF16_hLN4vllm18Fp8KVCacheDataTypeE1EhLi32ELi64ELi256ELb0ELi9EEvPKT_PKT0_S7_ifPKiS9_S9_iPKfiiiPfSC_PS2_PT2_iSB_SB_
	.p2align	8
	.type	_Z39paged_attention_ll4mi_QKV_mfma16_kernelIDF16_hLN4vllm18Fp8KVCacheDataTypeE1EhLi32ELi64ELi256ELb0ELi9EEvPKT_PKT0_S7_ifPKiS9_S9_iPKfiiiPfSC_PS2_PT2_iSB_SB_,@function
_Z39paged_attention_ll4mi_QKV_mfma16_kernelIDF16_hLN4vllm18Fp8KVCacheDataTypeE1EhLi32ELi64ELi256ELb0ELi9EEvPKT_PKT0_S7_ifPKiS9_S9_iPKfiiiPfSC_PS2_PT2_iSB_SB_: ; @_Z39paged_attention_ll4mi_QKV_mfma16_kernelIDF16_hLN4vllm18Fp8KVCacheDataTypeE1EhLi32ELi64ELi256ELb0ELi9EEvPKT_PKT0_S7_ifPKiS9_S9_iPKfiiiPfSC_PS2_PT2_iSB_SB_
; %bb.0:
	s_get_pc_i64 s[2:3]
	s_add_nc_u64 s[2:3], s[2:3], __PRETTY_FUNCTION__._Z39paged_attention_ll4mi_QKV_mfma16_kernelIDF16_hLN4vllm18Fp8KVCacheDataTypeE1EhLi32ELi64ELi256ELb0ELi9EEvPKT_PKT0_S7_ifPKiS9_S9_iPKfiiiPfSC_PS2_PT2_iSB_SB_@rel64+4
	s_delay_alu instid0(SALU_CYCLE_1)
	v_dual_mov_b32 v0, 0xbb3 :: v_dual_mov_b32 v1, s2
	v_mov_b32_e32 v2, s3
	s_add_nc_u64 s[8:9], s[0:1], 0x90
	s_get_pc_i64 s[0:1]
	s_add_nc_u64 s[0:1], s[0:1], __assert_fail@rel64+4
	s_mov_b32 s32, 0
	s_swap_pc_i64 s[30:31], s[0:1]
	.section	.rodata,"a",@progbits
	.p2align	6, 0x0
	.amdhsa_kernel _Z39paged_attention_ll4mi_QKV_mfma16_kernelIDF16_hLN4vllm18Fp8KVCacheDataTypeE1EhLi32ELi64ELi256ELb0ELi9EEvPKT_PKT0_S7_ifPKiS9_S9_iPKfiiiPfSC_PS2_PT2_iSB_SB_
		.amdhsa_group_segment_fixed_size 0
		.amdhsa_private_segment_fixed_size 64
		.amdhsa_kernarg_size 400
		.amdhsa_user_sgpr_count 2
		.amdhsa_user_sgpr_dispatch_ptr 0
		.amdhsa_user_sgpr_queue_ptr 0
		.amdhsa_user_sgpr_kernarg_segment_ptr 1
		.amdhsa_user_sgpr_dispatch_id 0
		.amdhsa_user_sgpr_kernarg_preload_length 0
		.amdhsa_user_sgpr_kernarg_preload_offset 0
		.amdhsa_user_sgpr_private_segment_size 0
		.amdhsa_wavefront_size32 1
		.amdhsa_uses_dynamic_stack 0
		.amdhsa_enable_private_segment 1
		.amdhsa_system_sgpr_workgroup_id_x 1
		.amdhsa_system_sgpr_workgroup_id_y 0
		.amdhsa_system_sgpr_workgroup_id_z 0
		.amdhsa_system_sgpr_workgroup_info 0
		.amdhsa_system_vgpr_workitem_id 0
		.amdhsa_next_free_vgpr 51
		.amdhsa_next_free_sgpr 34
		.amdhsa_named_barrier_count 0
		.amdhsa_reserve_vcc 1
		.amdhsa_float_round_mode_32 0
		.amdhsa_float_round_mode_16_64 0
		.amdhsa_float_denorm_mode_32 3
		.amdhsa_float_denorm_mode_16_64 3
		.amdhsa_fp16_overflow 0
		.amdhsa_memory_ordered 1
		.amdhsa_forward_progress 1
		.amdhsa_inst_pref_size 1
		.amdhsa_round_robin_scheduling 0
		.amdhsa_exception_fp_ieee_invalid_op 0
		.amdhsa_exception_fp_denorm_src 0
		.amdhsa_exception_fp_ieee_div_zero 0
		.amdhsa_exception_fp_ieee_overflow 0
		.amdhsa_exception_fp_ieee_underflow 0
		.amdhsa_exception_fp_ieee_inexact 0
		.amdhsa_exception_int_div_zero 0
	.end_amdhsa_kernel
	.section	.text._Z39paged_attention_ll4mi_QKV_mfma16_kernelIDF16_hLN4vllm18Fp8KVCacheDataTypeE1EhLi32ELi64ELi256ELb0ELi9EEvPKT_PKT0_S7_ifPKiS9_S9_iPKfiiiPfSC_PS2_PT2_iSB_SB_,"axG",@progbits,_Z39paged_attention_ll4mi_QKV_mfma16_kernelIDF16_hLN4vllm18Fp8KVCacheDataTypeE1EhLi32ELi64ELi256ELb0ELi9EEvPKT_PKT0_S7_ifPKiS9_S9_iPKfiiiPfSC_PS2_PT2_iSB_SB_,comdat
.Lfunc_end878:
	.size	_Z39paged_attention_ll4mi_QKV_mfma16_kernelIDF16_hLN4vllm18Fp8KVCacheDataTypeE1EhLi32ELi64ELi256ELb0ELi9EEvPKT_PKT0_S7_ifPKiS9_S9_iPKfiiiPfSC_PS2_PT2_iSB_SB_, .Lfunc_end878-_Z39paged_attention_ll4mi_QKV_mfma16_kernelIDF16_hLN4vllm18Fp8KVCacheDataTypeE1EhLi32ELi64ELi256ELb0ELi9EEvPKT_PKT0_S7_ifPKiS9_S9_iPKfiiiPfSC_PS2_PT2_iSB_SB_
                                        ; -- End function
	.set _Z39paged_attention_ll4mi_QKV_mfma16_kernelIDF16_hLN4vllm18Fp8KVCacheDataTypeE1EhLi32ELi64ELi256ELb0ELi9EEvPKT_PKT0_S7_ifPKiS9_S9_iPKfiiiPfSC_PS2_PT2_iSB_SB_.num_vgpr, max(3, .L__assert_fail.num_vgpr)
	.set _Z39paged_attention_ll4mi_QKV_mfma16_kernelIDF16_hLN4vllm18Fp8KVCacheDataTypeE1EhLi32ELi64ELi256ELb0ELi9EEvPKT_PKT0_S7_ifPKiS9_S9_iPKfiiiPfSC_PS2_PT2_iSB_SB_.num_agpr, max(0, .L__assert_fail.num_agpr)
	.set _Z39paged_attention_ll4mi_QKV_mfma16_kernelIDF16_hLN4vllm18Fp8KVCacheDataTypeE1EhLi32ELi64ELi256ELb0ELi9EEvPKT_PKT0_S7_ifPKiS9_S9_iPKfiiiPfSC_PS2_PT2_iSB_SB_.numbered_sgpr, max(33, .L__assert_fail.numbered_sgpr)
	.set _Z39paged_attention_ll4mi_QKV_mfma16_kernelIDF16_hLN4vllm18Fp8KVCacheDataTypeE1EhLi32ELi64ELi256ELb0ELi9EEvPKT_PKT0_S7_ifPKiS9_S9_iPKfiiiPfSC_PS2_PT2_iSB_SB_.num_named_barrier, max(0, .L__assert_fail.num_named_barrier)
	.set _Z39paged_attention_ll4mi_QKV_mfma16_kernelIDF16_hLN4vllm18Fp8KVCacheDataTypeE1EhLi32ELi64ELi256ELb0ELi9EEvPKT_PKT0_S7_ifPKiS9_S9_iPKfiiiPfSC_PS2_PT2_iSB_SB_.private_seg_size, 0+max(.L__assert_fail.private_seg_size)
	.set _Z39paged_attention_ll4mi_QKV_mfma16_kernelIDF16_hLN4vllm18Fp8KVCacheDataTypeE1EhLi32ELi64ELi256ELb0ELi9EEvPKT_PKT0_S7_ifPKiS9_S9_iPKfiiiPfSC_PS2_PT2_iSB_SB_.uses_vcc, or(1, .L__assert_fail.uses_vcc)
	.set _Z39paged_attention_ll4mi_QKV_mfma16_kernelIDF16_hLN4vllm18Fp8KVCacheDataTypeE1EhLi32ELi64ELi256ELb0ELi9EEvPKT_PKT0_S7_ifPKiS9_S9_iPKfiiiPfSC_PS2_PT2_iSB_SB_.uses_flat_scratch, or(0, .L__assert_fail.uses_flat_scratch)
	.set _Z39paged_attention_ll4mi_QKV_mfma16_kernelIDF16_hLN4vllm18Fp8KVCacheDataTypeE1EhLi32ELi64ELi256ELb0ELi9EEvPKT_PKT0_S7_ifPKiS9_S9_iPKfiiiPfSC_PS2_PT2_iSB_SB_.has_dyn_sized_stack, or(0, .L__assert_fail.has_dyn_sized_stack)
	.set _Z39paged_attention_ll4mi_QKV_mfma16_kernelIDF16_hLN4vllm18Fp8KVCacheDataTypeE1EhLi32ELi64ELi256ELb0ELi9EEvPKT_PKT0_S7_ifPKiS9_S9_iPKfiiiPfSC_PS2_PT2_iSB_SB_.has_recursion, or(0, .L__assert_fail.has_recursion)
	.set _Z39paged_attention_ll4mi_QKV_mfma16_kernelIDF16_hLN4vllm18Fp8KVCacheDataTypeE1EhLi32ELi64ELi256ELb0ELi9EEvPKT_PKT0_S7_ifPKiS9_S9_iPKfiiiPfSC_PS2_PT2_iSB_SB_.has_indirect_call, or(0, .L__assert_fail.has_indirect_call)
	.section	.AMDGPU.csdata,"",@progbits
; Kernel info:
; codeLenInByte = 68
; TotalNumSgprs: 36
; NumVgprs: 51
; ScratchSize: 64
; MemoryBound: 0
; FloatMode: 240
; IeeeMode: 1
; LDSByteSize: 0 bytes/workgroup (compile time only)
; SGPRBlocks: 0
; VGPRBlocks: 3
; NumSGPRsForWavesPerEU: 36
; NumVGPRsForWavesPerEU: 51
; NamedBarCnt: 0
; Occupancy: 16
; WaveLimiterHint : 1
; COMPUTE_PGM_RSRC2:SCRATCH_EN: 1
; COMPUTE_PGM_RSRC2:USER_SGPR: 2
; COMPUTE_PGM_RSRC2:TRAP_HANDLER: 0
; COMPUTE_PGM_RSRC2:TGID_X_EN: 1
; COMPUTE_PGM_RSRC2:TGID_Y_EN: 0
; COMPUTE_PGM_RSRC2:TGID_Z_EN: 0
; COMPUTE_PGM_RSRC2:TIDIG_COMP_CNT: 0
	.section	.text._Z39paged_attention_ll4mi_QKV_mfma16_kernelIDF16_hLN4vllm18Fp8KVCacheDataTypeE1EhLi32ELi64ELi256ELb0ELi10EEvPKT_PKT0_S7_ifPKiS9_S9_iPKfiiiPfSC_PS2_PT2_iSB_SB_,"axG",@progbits,_Z39paged_attention_ll4mi_QKV_mfma16_kernelIDF16_hLN4vllm18Fp8KVCacheDataTypeE1EhLi32ELi64ELi256ELb0ELi10EEvPKT_PKT0_S7_ifPKiS9_S9_iPKfiiiPfSC_PS2_PT2_iSB_SB_,comdat
	.protected	_Z39paged_attention_ll4mi_QKV_mfma16_kernelIDF16_hLN4vllm18Fp8KVCacheDataTypeE1EhLi32ELi64ELi256ELb0ELi10EEvPKT_PKT0_S7_ifPKiS9_S9_iPKfiiiPfSC_PS2_PT2_iSB_SB_ ; -- Begin function _Z39paged_attention_ll4mi_QKV_mfma16_kernelIDF16_hLN4vllm18Fp8KVCacheDataTypeE1EhLi32ELi64ELi256ELb0ELi10EEvPKT_PKT0_S7_ifPKiS9_S9_iPKfiiiPfSC_PS2_PT2_iSB_SB_
	.globl	_Z39paged_attention_ll4mi_QKV_mfma16_kernelIDF16_hLN4vllm18Fp8KVCacheDataTypeE1EhLi32ELi64ELi256ELb0ELi10EEvPKT_PKT0_S7_ifPKiS9_S9_iPKfiiiPfSC_PS2_PT2_iSB_SB_
	.p2align	8
	.type	_Z39paged_attention_ll4mi_QKV_mfma16_kernelIDF16_hLN4vllm18Fp8KVCacheDataTypeE1EhLi32ELi64ELi256ELb0ELi10EEvPKT_PKT0_S7_ifPKiS9_S9_iPKfiiiPfSC_PS2_PT2_iSB_SB_,@function
_Z39paged_attention_ll4mi_QKV_mfma16_kernelIDF16_hLN4vllm18Fp8KVCacheDataTypeE1EhLi32ELi64ELi256ELb0ELi10EEvPKT_PKT0_S7_ifPKiS9_S9_iPKfiiiPfSC_PS2_PT2_iSB_SB_: ; @_Z39paged_attention_ll4mi_QKV_mfma16_kernelIDF16_hLN4vllm18Fp8KVCacheDataTypeE1EhLi32ELi64ELi256ELb0ELi10EEvPKT_PKT0_S7_ifPKiS9_S9_iPKfiiiPfSC_PS2_PT2_iSB_SB_
; %bb.0:
	s_get_pc_i64 s[2:3]
	s_add_nc_u64 s[2:3], s[2:3], __PRETTY_FUNCTION__._Z39paged_attention_ll4mi_QKV_mfma16_kernelIDF16_hLN4vllm18Fp8KVCacheDataTypeE1EhLi32ELi64ELi256ELb0ELi10EEvPKT_PKT0_S7_ifPKiS9_S9_iPKfiiiPfSC_PS2_PT2_iSB_SB_@rel64+4
	s_delay_alu instid0(SALU_CYCLE_1)
	v_dual_mov_b32 v0, 0xbb3 :: v_dual_mov_b32 v1, s2
	v_mov_b32_e32 v2, s3
	s_add_nc_u64 s[8:9], s[0:1], 0x90
	s_get_pc_i64 s[0:1]
	s_add_nc_u64 s[0:1], s[0:1], __assert_fail@rel64+4
	s_mov_b32 s32, 0
	s_swap_pc_i64 s[30:31], s[0:1]
	.section	.rodata,"a",@progbits
	.p2align	6, 0x0
	.amdhsa_kernel _Z39paged_attention_ll4mi_QKV_mfma16_kernelIDF16_hLN4vllm18Fp8KVCacheDataTypeE1EhLi32ELi64ELi256ELb0ELi10EEvPKT_PKT0_S7_ifPKiS9_S9_iPKfiiiPfSC_PS2_PT2_iSB_SB_
		.amdhsa_group_segment_fixed_size 0
		.amdhsa_private_segment_fixed_size 64
		.amdhsa_kernarg_size 400
		.amdhsa_user_sgpr_count 2
		.amdhsa_user_sgpr_dispatch_ptr 0
		.amdhsa_user_sgpr_queue_ptr 0
		.amdhsa_user_sgpr_kernarg_segment_ptr 1
		.amdhsa_user_sgpr_dispatch_id 0
		.amdhsa_user_sgpr_kernarg_preload_length 0
		.amdhsa_user_sgpr_kernarg_preload_offset 0
		.amdhsa_user_sgpr_private_segment_size 0
		.amdhsa_wavefront_size32 1
		.amdhsa_uses_dynamic_stack 0
		.amdhsa_enable_private_segment 1
		.amdhsa_system_sgpr_workgroup_id_x 1
		.amdhsa_system_sgpr_workgroup_id_y 0
		.amdhsa_system_sgpr_workgroup_id_z 0
		.amdhsa_system_sgpr_workgroup_info 0
		.amdhsa_system_vgpr_workitem_id 0
		.amdhsa_next_free_vgpr 51
		.amdhsa_next_free_sgpr 34
		.amdhsa_named_barrier_count 0
		.amdhsa_reserve_vcc 1
		.amdhsa_float_round_mode_32 0
		.amdhsa_float_round_mode_16_64 0
		.amdhsa_float_denorm_mode_32 3
		.amdhsa_float_denorm_mode_16_64 3
		.amdhsa_fp16_overflow 0
		.amdhsa_memory_ordered 1
		.amdhsa_forward_progress 1
		.amdhsa_inst_pref_size 1
		.amdhsa_round_robin_scheduling 0
		.amdhsa_exception_fp_ieee_invalid_op 0
		.amdhsa_exception_fp_denorm_src 0
		.amdhsa_exception_fp_ieee_div_zero 0
		.amdhsa_exception_fp_ieee_overflow 0
		.amdhsa_exception_fp_ieee_underflow 0
		.amdhsa_exception_fp_ieee_inexact 0
		.amdhsa_exception_int_div_zero 0
	.end_amdhsa_kernel
	.section	.text._Z39paged_attention_ll4mi_QKV_mfma16_kernelIDF16_hLN4vllm18Fp8KVCacheDataTypeE1EhLi32ELi64ELi256ELb0ELi10EEvPKT_PKT0_S7_ifPKiS9_S9_iPKfiiiPfSC_PS2_PT2_iSB_SB_,"axG",@progbits,_Z39paged_attention_ll4mi_QKV_mfma16_kernelIDF16_hLN4vllm18Fp8KVCacheDataTypeE1EhLi32ELi64ELi256ELb0ELi10EEvPKT_PKT0_S7_ifPKiS9_S9_iPKfiiiPfSC_PS2_PT2_iSB_SB_,comdat
.Lfunc_end879:
	.size	_Z39paged_attention_ll4mi_QKV_mfma16_kernelIDF16_hLN4vllm18Fp8KVCacheDataTypeE1EhLi32ELi64ELi256ELb0ELi10EEvPKT_PKT0_S7_ifPKiS9_S9_iPKfiiiPfSC_PS2_PT2_iSB_SB_, .Lfunc_end879-_Z39paged_attention_ll4mi_QKV_mfma16_kernelIDF16_hLN4vllm18Fp8KVCacheDataTypeE1EhLi32ELi64ELi256ELb0ELi10EEvPKT_PKT0_S7_ifPKiS9_S9_iPKfiiiPfSC_PS2_PT2_iSB_SB_
                                        ; -- End function
	.set _Z39paged_attention_ll4mi_QKV_mfma16_kernelIDF16_hLN4vllm18Fp8KVCacheDataTypeE1EhLi32ELi64ELi256ELb0ELi10EEvPKT_PKT0_S7_ifPKiS9_S9_iPKfiiiPfSC_PS2_PT2_iSB_SB_.num_vgpr, max(3, .L__assert_fail.num_vgpr)
	.set _Z39paged_attention_ll4mi_QKV_mfma16_kernelIDF16_hLN4vllm18Fp8KVCacheDataTypeE1EhLi32ELi64ELi256ELb0ELi10EEvPKT_PKT0_S7_ifPKiS9_S9_iPKfiiiPfSC_PS2_PT2_iSB_SB_.num_agpr, max(0, .L__assert_fail.num_agpr)
	.set _Z39paged_attention_ll4mi_QKV_mfma16_kernelIDF16_hLN4vllm18Fp8KVCacheDataTypeE1EhLi32ELi64ELi256ELb0ELi10EEvPKT_PKT0_S7_ifPKiS9_S9_iPKfiiiPfSC_PS2_PT2_iSB_SB_.numbered_sgpr, max(33, .L__assert_fail.numbered_sgpr)
	.set _Z39paged_attention_ll4mi_QKV_mfma16_kernelIDF16_hLN4vllm18Fp8KVCacheDataTypeE1EhLi32ELi64ELi256ELb0ELi10EEvPKT_PKT0_S7_ifPKiS9_S9_iPKfiiiPfSC_PS2_PT2_iSB_SB_.num_named_barrier, max(0, .L__assert_fail.num_named_barrier)
	.set _Z39paged_attention_ll4mi_QKV_mfma16_kernelIDF16_hLN4vllm18Fp8KVCacheDataTypeE1EhLi32ELi64ELi256ELb0ELi10EEvPKT_PKT0_S7_ifPKiS9_S9_iPKfiiiPfSC_PS2_PT2_iSB_SB_.private_seg_size, 0+max(.L__assert_fail.private_seg_size)
	.set _Z39paged_attention_ll4mi_QKV_mfma16_kernelIDF16_hLN4vllm18Fp8KVCacheDataTypeE1EhLi32ELi64ELi256ELb0ELi10EEvPKT_PKT0_S7_ifPKiS9_S9_iPKfiiiPfSC_PS2_PT2_iSB_SB_.uses_vcc, or(1, .L__assert_fail.uses_vcc)
	.set _Z39paged_attention_ll4mi_QKV_mfma16_kernelIDF16_hLN4vllm18Fp8KVCacheDataTypeE1EhLi32ELi64ELi256ELb0ELi10EEvPKT_PKT0_S7_ifPKiS9_S9_iPKfiiiPfSC_PS2_PT2_iSB_SB_.uses_flat_scratch, or(0, .L__assert_fail.uses_flat_scratch)
	.set _Z39paged_attention_ll4mi_QKV_mfma16_kernelIDF16_hLN4vllm18Fp8KVCacheDataTypeE1EhLi32ELi64ELi256ELb0ELi10EEvPKT_PKT0_S7_ifPKiS9_S9_iPKfiiiPfSC_PS2_PT2_iSB_SB_.has_dyn_sized_stack, or(0, .L__assert_fail.has_dyn_sized_stack)
	.set _Z39paged_attention_ll4mi_QKV_mfma16_kernelIDF16_hLN4vllm18Fp8KVCacheDataTypeE1EhLi32ELi64ELi256ELb0ELi10EEvPKT_PKT0_S7_ifPKiS9_S9_iPKfiiiPfSC_PS2_PT2_iSB_SB_.has_recursion, or(0, .L__assert_fail.has_recursion)
	.set _Z39paged_attention_ll4mi_QKV_mfma16_kernelIDF16_hLN4vllm18Fp8KVCacheDataTypeE1EhLi32ELi64ELi256ELb0ELi10EEvPKT_PKT0_S7_ifPKiS9_S9_iPKfiiiPfSC_PS2_PT2_iSB_SB_.has_indirect_call, or(0, .L__assert_fail.has_indirect_call)
	.section	.AMDGPU.csdata,"",@progbits
; Kernel info:
; codeLenInByte = 68
; TotalNumSgprs: 36
; NumVgprs: 51
; ScratchSize: 64
; MemoryBound: 0
; FloatMode: 240
; IeeeMode: 1
; LDSByteSize: 0 bytes/workgroup (compile time only)
; SGPRBlocks: 0
; VGPRBlocks: 3
; NumSGPRsForWavesPerEU: 36
; NumVGPRsForWavesPerEU: 51
; NamedBarCnt: 0
; Occupancy: 16
; WaveLimiterHint : 1
; COMPUTE_PGM_RSRC2:SCRATCH_EN: 1
; COMPUTE_PGM_RSRC2:USER_SGPR: 2
; COMPUTE_PGM_RSRC2:TRAP_HANDLER: 0
; COMPUTE_PGM_RSRC2:TGID_X_EN: 1
; COMPUTE_PGM_RSRC2:TGID_Y_EN: 0
; COMPUTE_PGM_RSRC2:TGID_Z_EN: 0
; COMPUTE_PGM_RSRC2:TIDIG_COMP_CNT: 0
	.section	.text._Z39paged_attention_ll4mi_QKV_mfma16_kernelIDF16_hLN4vllm18Fp8KVCacheDataTypeE1EhLi32ELi64ELi256ELb0ELi11EEvPKT_PKT0_S7_ifPKiS9_S9_iPKfiiiPfSC_PS2_PT2_iSB_SB_,"axG",@progbits,_Z39paged_attention_ll4mi_QKV_mfma16_kernelIDF16_hLN4vllm18Fp8KVCacheDataTypeE1EhLi32ELi64ELi256ELb0ELi11EEvPKT_PKT0_S7_ifPKiS9_S9_iPKfiiiPfSC_PS2_PT2_iSB_SB_,comdat
	.protected	_Z39paged_attention_ll4mi_QKV_mfma16_kernelIDF16_hLN4vllm18Fp8KVCacheDataTypeE1EhLi32ELi64ELi256ELb0ELi11EEvPKT_PKT0_S7_ifPKiS9_S9_iPKfiiiPfSC_PS2_PT2_iSB_SB_ ; -- Begin function _Z39paged_attention_ll4mi_QKV_mfma16_kernelIDF16_hLN4vllm18Fp8KVCacheDataTypeE1EhLi32ELi64ELi256ELb0ELi11EEvPKT_PKT0_S7_ifPKiS9_S9_iPKfiiiPfSC_PS2_PT2_iSB_SB_
	.globl	_Z39paged_attention_ll4mi_QKV_mfma16_kernelIDF16_hLN4vllm18Fp8KVCacheDataTypeE1EhLi32ELi64ELi256ELb0ELi11EEvPKT_PKT0_S7_ifPKiS9_S9_iPKfiiiPfSC_PS2_PT2_iSB_SB_
	.p2align	8
	.type	_Z39paged_attention_ll4mi_QKV_mfma16_kernelIDF16_hLN4vllm18Fp8KVCacheDataTypeE1EhLi32ELi64ELi256ELb0ELi11EEvPKT_PKT0_S7_ifPKiS9_S9_iPKfiiiPfSC_PS2_PT2_iSB_SB_,@function
_Z39paged_attention_ll4mi_QKV_mfma16_kernelIDF16_hLN4vllm18Fp8KVCacheDataTypeE1EhLi32ELi64ELi256ELb0ELi11EEvPKT_PKT0_S7_ifPKiS9_S9_iPKfiiiPfSC_PS2_PT2_iSB_SB_: ; @_Z39paged_attention_ll4mi_QKV_mfma16_kernelIDF16_hLN4vllm18Fp8KVCacheDataTypeE1EhLi32ELi64ELi256ELb0ELi11EEvPKT_PKT0_S7_ifPKiS9_S9_iPKfiiiPfSC_PS2_PT2_iSB_SB_
; %bb.0:
	s_get_pc_i64 s[2:3]
	s_add_nc_u64 s[2:3], s[2:3], __PRETTY_FUNCTION__._Z39paged_attention_ll4mi_QKV_mfma16_kernelIDF16_hLN4vllm18Fp8KVCacheDataTypeE1EhLi32ELi64ELi256ELb0ELi11EEvPKT_PKT0_S7_ifPKiS9_S9_iPKfiiiPfSC_PS2_PT2_iSB_SB_@rel64+4
	s_delay_alu instid0(SALU_CYCLE_1)
	v_dual_mov_b32 v0, 0xbb3 :: v_dual_mov_b32 v1, s2
	v_mov_b32_e32 v2, s3
	s_add_nc_u64 s[8:9], s[0:1], 0x90
	s_get_pc_i64 s[0:1]
	s_add_nc_u64 s[0:1], s[0:1], __assert_fail@rel64+4
	s_mov_b32 s32, 0
	s_swap_pc_i64 s[30:31], s[0:1]
	.section	.rodata,"a",@progbits
	.p2align	6, 0x0
	.amdhsa_kernel _Z39paged_attention_ll4mi_QKV_mfma16_kernelIDF16_hLN4vllm18Fp8KVCacheDataTypeE1EhLi32ELi64ELi256ELb0ELi11EEvPKT_PKT0_S7_ifPKiS9_S9_iPKfiiiPfSC_PS2_PT2_iSB_SB_
		.amdhsa_group_segment_fixed_size 0
		.amdhsa_private_segment_fixed_size 64
		.amdhsa_kernarg_size 400
		.amdhsa_user_sgpr_count 2
		.amdhsa_user_sgpr_dispatch_ptr 0
		.amdhsa_user_sgpr_queue_ptr 0
		.amdhsa_user_sgpr_kernarg_segment_ptr 1
		.amdhsa_user_sgpr_dispatch_id 0
		.amdhsa_user_sgpr_kernarg_preload_length 0
		.amdhsa_user_sgpr_kernarg_preload_offset 0
		.amdhsa_user_sgpr_private_segment_size 0
		.amdhsa_wavefront_size32 1
		.amdhsa_uses_dynamic_stack 0
		.amdhsa_enable_private_segment 1
		.amdhsa_system_sgpr_workgroup_id_x 1
		.amdhsa_system_sgpr_workgroup_id_y 0
		.amdhsa_system_sgpr_workgroup_id_z 0
		.amdhsa_system_sgpr_workgroup_info 0
		.amdhsa_system_vgpr_workitem_id 0
		.amdhsa_next_free_vgpr 51
		.amdhsa_next_free_sgpr 34
		.amdhsa_named_barrier_count 0
		.amdhsa_reserve_vcc 1
		.amdhsa_float_round_mode_32 0
		.amdhsa_float_round_mode_16_64 0
		.amdhsa_float_denorm_mode_32 3
		.amdhsa_float_denorm_mode_16_64 3
		.amdhsa_fp16_overflow 0
		.amdhsa_memory_ordered 1
		.amdhsa_forward_progress 1
		.amdhsa_inst_pref_size 1
		.amdhsa_round_robin_scheduling 0
		.amdhsa_exception_fp_ieee_invalid_op 0
		.amdhsa_exception_fp_denorm_src 0
		.amdhsa_exception_fp_ieee_div_zero 0
		.amdhsa_exception_fp_ieee_overflow 0
		.amdhsa_exception_fp_ieee_underflow 0
		.amdhsa_exception_fp_ieee_inexact 0
		.amdhsa_exception_int_div_zero 0
	.end_amdhsa_kernel
	.section	.text._Z39paged_attention_ll4mi_QKV_mfma16_kernelIDF16_hLN4vllm18Fp8KVCacheDataTypeE1EhLi32ELi64ELi256ELb0ELi11EEvPKT_PKT0_S7_ifPKiS9_S9_iPKfiiiPfSC_PS2_PT2_iSB_SB_,"axG",@progbits,_Z39paged_attention_ll4mi_QKV_mfma16_kernelIDF16_hLN4vllm18Fp8KVCacheDataTypeE1EhLi32ELi64ELi256ELb0ELi11EEvPKT_PKT0_S7_ifPKiS9_S9_iPKfiiiPfSC_PS2_PT2_iSB_SB_,comdat
.Lfunc_end880:
	.size	_Z39paged_attention_ll4mi_QKV_mfma16_kernelIDF16_hLN4vllm18Fp8KVCacheDataTypeE1EhLi32ELi64ELi256ELb0ELi11EEvPKT_PKT0_S7_ifPKiS9_S9_iPKfiiiPfSC_PS2_PT2_iSB_SB_, .Lfunc_end880-_Z39paged_attention_ll4mi_QKV_mfma16_kernelIDF16_hLN4vllm18Fp8KVCacheDataTypeE1EhLi32ELi64ELi256ELb0ELi11EEvPKT_PKT0_S7_ifPKiS9_S9_iPKfiiiPfSC_PS2_PT2_iSB_SB_
                                        ; -- End function
	.set _Z39paged_attention_ll4mi_QKV_mfma16_kernelIDF16_hLN4vllm18Fp8KVCacheDataTypeE1EhLi32ELi64ELi256ELb0ELi11EEvPKT_PKT0_S7_ifPKiS9_S9_iPKfiiiPfSC_PS2_PT2_iSB_SB_.num_vgpr, max(3, .L__assert_fail.num_vgpr)
	.set _Z39paged_attention_ll4mi_QKV_mfma16_kernelIDF16_hLN4vllm18Fp8KVCacheDataTypeE1EhLi32ELi64ELi256ELb0ELi11EEvPKT_PKT0_S7_ifPKiS9_S9_iPKfiiiPfSC_PS2_PT2_iSB_SB_.num_agpr, max(0, .L__assert_fail.num_agpr)
	.set _Z39paged_attention_ll4mi_QKV_mfma16_kernelIDF16_hLN4vllm18Fp8KVCacheDataTypeE1EhLi32ELi64ELi256ELb0ELi11EEvPKT_PKT0_S7_ifPKiS9_S9_iPKfiiiPfSC_PS2_PT2_iSB_SB_.numbered_sgpr, max(33, .L__assert_fail.numbered_sgpr)
	.set _Z39paged_attention_ll4mi_QKV_mfma16_kernelIDF16_hLN4vllm18Fp8KVCacheDataTypeE1EhLi32ELi64ELi256ELb0ELi11EEvPKT_PKT0_S7_ifPKiS9_S9_iPKfiiiPfSC_PS2_PT2_iSB_SB_.num_named_barrier, max(0, .L__assert_fail.num_named_barrier)
	.set _Z39paged_attention_ll4mi_QKV_mfma16_kernelIDF16_hLN4vllm18Fp8KVCacheDataTypeE1EhLi32ELi64ELi256ELb0ELi11EEvPKT_PKT0_S7_ifPKiS9_S9_iPKfiiiPfSC_PS2_PT2_iSB_SB_.private_seg_size, 0+max(.L__assert_fail.private_seg_size)
	.set _Z39paged_attention_ll4mi_QKV_mfma16_kernelIDF16_hLN4vllm18Fp8KVCacheDataTypeE1EhLi32ELi64ELi256ELb0ELi11EEvPKT_PKT0_S7_ifPKiS9_S9_iPKfiiiPfSC_PS2_PT2_iSB_SB_.uses_vcc, or(1, .L__assert_fail.uses_vcc)
	.set _Z39paged_attention_ll4mi_QKV_mfma16_kernelIDF16_hLN4vllm18Fp8KVCacheDataTypeE1EhLi32ELi64ELi256ELb0ELi11EEvPKT_PKT0_S7_ifPKiS9_S9_iPKfiiiPfSC_PS2_PT2_iSB_SB_.uses_flat_scratch, or(0, .L__assert_fail.uses_flat_scratch)
	.set _Z39paged_attention_ll4mi_QKV_mfma16_kernelIDF16_hLN4vllm18Fp8KVCacheDataTypeE1EhLi32ELi64ELi256ELb0ELi11EEvPKT_PKT0_S7_ifPKiS9_S9_iPKfiiiPfSC_PS2_PT2_iSB_SB_.has_dyn_sized_stack, or(0, .L__assert_fail.has_dyn_sized_stack)
	.set _Z39paged_attention_ll4mi_QKV_mfma16_kernelIDF16_hLN4vllm18Fp8KVCacheDataTypeE1EhLi32ELi64ELi256ELb0ELi11EEvPKT_PKT0_S7_ifPKiS9_S9_iPKfiiiPfSC_PS2_PT2_iSB_SB_.has_recursion, or(0, .L__assert_fail.has_recursion)
	.set _Z39paged_attention_ll4mi_QKV_mfma16_kernelIDF16_hLN4vllm18Fp8KVCacheDataTypeE1EhLi32ELi64ELi256ELb0ELi11EEvPKT_PKT0_S7_ifPKiS9_S9_iPKfiiiPfSC_PS2_PT2_iSB_SB_.has_indirect_call, or(0, .L__assert_fail.has_indirect_call)
	.section	.AMDGPU.csdata,"",@progbits
; Kernel info:
; codeLenInByte = 68
; TotalNumSgprs: 36
; NumVgprs: 51
; ScratchSize: 64
; MemoryBound: 0
; FloatMode: 240
; IeeeMode: 1
; LDSByteSize: 0 bytes/workgroup (compile time only)
; SGPRBlocks: 0
; VGPRBlocks: 3
; NumSGPRsForWavesPerEU: 36
; NumVGPRsForWavesPerEU: 51
; NamedBarCnt: 0
; Occupancy: 16
; WaveLimiterHint : 1
; COMPUTE_PGM_RSRC2:SCRATCH_EN: 1
; COMPUTE_PGM_RSRC2:USER_SGPR: 2
; COMPUTE_PGM_RSRC2:TRAP_HANDLER: 0
; COMPUTE_PGM_RSRC2:TGID_X_EN: 1
; COMPUTE_PGM_RSRC2:TGID_Y_EN: 0
; COMPUTE_PGM_RSRC2:TGID_Z_EN: 0
; COMPUTE_PGM_RSRC2:TIDIG_COMP_CNT: 0
	.section	.text._Z39paged_attention_ll4mi_QKV_mfma16_kernelIDF16_hLN4vllm18Fp8KVCacheDataTypeE1EhLi32ELi64ELi256ELb0ELi12EEvPKT_PKT0_S7_ifPKiS9_S9_iPKfiiiPfSC_PS2_PT2_iSB_SB_,"axG",@progbits,_Z39paged_attention_ll4mi_QKV_mfma16_kernelIDF16_hLN4vllm18Fp8KVCacheDataTypeE1EhLi32ELi64ELi256ELb0ELi12EEvPKT_PKT0_S7_ifPKiS9_S9_iPKfiiiPfSC_PS2_PT2_iSB_SB_,comdat
	.protected	_Z39paged_attention_ll4mi_QKV_mfma16_kernelIDF16_hLN4vllm18Fp8KVCacheDataTypeE1EhLi32ELi64ELi256ELb0ELi12EEvPKT_PKT0_S7_ifPKiS9_S9_iPKfiiiPfSC_PS2_PT2_iSB_SB_ ; -- Begin function _Z39paged_attention_ll4mi_QKV_mfma16_kernelIDF16_hLN4vllm18Fp8KVCacheDataTypeE1EhLi32ELi64ELi256ELb0ELi12EEvPKT_PKT0_S7_ifPKiS9_S9_iPKfiiiPfSC_PS2_PT2_iSB_SB_
	.globl	_Z39paged_attention_ll4mi_QKV_mfma16_kernelIDF16_hLN4vllm18Fp8KVCacheDataTypeE1EhLi32ELi64ELi256ELb0ELi12EEvPKT_PKT0_S7_ifPKiS9_S9_iPKfiiiPfSC_PS2_PT2_iSB_SB_
	.p2align	8
	.type	_Z39paged_attention_ll4mi_QKV_mfma16_kernelIDF16_hLN4vllm18Fp8KVCacheDataTypeE1EhLi32ELi64ELi256ELb0ELi12EEvPKT_PKT0_S7_ifPKiS9_S9_iPKfiiiPfSC_PS2_PT2_iSB_SB_,@function
_Z39paged_attention_ll4mi_QKV_mfma16_kernelIDF16_hLN4vllm18Fp8KVCacheDataTypeE1EhLi32ELi64ELi256ELb0ELi12EEvPKT_PKT0_S7_ifPKiS9_S9_iPKfiiiPfSC_PS2_PT2_iSB_SB_: ; @_Z39paged_attention_ll4mi_QKV_mfma16_kernelIDF16_hLN4vllm18Fp8KVCacheDataTypeE1EhLi32ELi64ELi256ELb0ELi12EEvPKT_PKT0_S7_ifPKiS9_S9_iPKfiiiPfSC_PS2_PT2_iSB_SB_
; %bb.0:
	s_get_pc_i64 s[2:3]
	s_add_nc_u64 s[2:3], s[2:3], __PRETTY_FUNCTION__._Z39paged_attention_ll4mi_QKV_mfma16_kernelIDF16_hLN4vllm18Fp8KVCacheDataTypeE1EhLi32ELi64ELi256ELb0ELi12EEvPKT_PKT0_S7_ifPKiS9_S9_iPKfiiiPfSC_PS2_PT2_iSB_SB_@rel64+4
	s_delay_alu instid0(SALU_CYCLE_1)
	v_dual_mov_b32 v0, 0xbb3 :: v_dual_mov_b32 v1, s2
	v_mov_b32_e32 v2, s3
	s_add_nc_u64 s[8:9], s[0:1], 0x90
	s_get_pc_i64 s[0:1]
	s_add_nc_u64 s[0:1], s[0:1], __assert_fail@rel64+4
	s_mov_b32 s32, 0
	s_swap_pc_i64 s[30:31], s[0:1]
	.section	.rodata,"a",@progbits
	.p2align	6, 0x0
	.amdhsa_kernel _Z39paged_attention_ll4mi_QKV_mfma16_kernelIDF16_hLN4vllm18Fp8KVCacheDataTypeE1EhLi32ELi64ELi256ELb0ELi12EEvPKT_PKT0_S7_ifPKiS9_S9_iPKfiiiPfSC_PS2_PT2_iSB_SB_
		.amdhsa_group_segment_fixed_size 0
		.amdhsa_private_segment_fixed_size 64
		.amdhsa_kernarg_size 400
		.amdhsa_user_sgpr_count 2
		.amdhsa_user_sgpr_dispatch_ptr 0
		.amdhsa_user_sgpr_queue_ptr 0
		.amdhsa_user_sgpr_kernarg_segment_ptr 1
		.amdhsa_user_sgpr_dispatch_id 0
		.amdhsa_user_sgpr_kernarg_preload_length 0
		.amdhsa_user_sgpr_kernarg_preload_offset 0
		.amdhsa_user_sgpr_private_segment_size 0
		.amdhsa_wavefront_size32 1
		.amdhsa_uses_dynamic_stack 0
		.amdhsa_enable_private_segment 1
		.amdhsa_system_sgpr_workgroup_id_x 1
		.amdhsa_system_sgpr_workgroup_id_y 0
		.amdhsa_system_sgpr_workgroup_id_z 0
		.amdhsa_system_sgpr_workgroup_info 0
		.amdhsa_system_vgpr_workitem_id 0
		.amdhsa_next_free_vgpr 51
		.amdhsa_next_free_sgpr 34
		.amdhsa_named_barrier_count 0
		.amdhsa_reserve_vcc 1
		.amdhsa_float_round_mode_32 0
		.amdhsa_float_round_mode_16_64 0
		.amdhsa_float_denorm_mode_32 3
		.amdhsa_float_denorm_mode_16_64 3
		.amdhsa_fp16_overflow 0
		.amdhsa_memory_ordered 1
		.amdhsa_forward_progress 1
		.amdhsa_inst_pref_size 1
		.amdhsa_round_robin_scheduling 0
		.amdhsa_exception_fp_ieee_invalid_op 0
		.amdhsa_exception_fp_denorm_src 0
		.amdhsa_exception_fp_ieee_div_zero 0
		.amdhsa_exception_fp_ieee_overflow 0
		.amdhsa_exception_fp_ieee_underflow 0
		.amdhsa_exception_fp_ieee_inexact 0
		.amdhsa_exception_int_div_zero 0
	.end_amdhsa_kernel
	.section	.text._Z39paged_attention_ll4mi_QKV_mfma16_kernelIDF16_hLN4vllm18Fp8KVCacheDataTypeE1EhLi32ELi64ELi256ELb0ELi12EEvPKT_PKT0_S7_ifPKiS9_S9_iPKfiiiPfSC_PS2_PT2_iSB_SB_,"axG",@progbits,_Z39paged_attention_ll4mi_QKV_mfma16_kernelIDF16_hLN4vllm18Fp8KVCacheDataTypeE1EhLi32ELi64ELi256ELb0ELi12EEvPKT_PKT0_S7_ifPKiS9_S9_iPKfiiiPfSC_PS2_PT2_iSB_SB_,comdat
.Lfunc_end881:
	.size	_Z39paged_attention_ll4mi_QKV_mfma16_kernelIDF16_hLN4vllm18Fp8KVCacheDataTypeE1EhLi32ELi64ELi256ELb0ELi12EEvPKT_PKT0_S7_ifPKiS9_S9_iPKfiiiPfSC_PS2_PT2_iSB_SB_, .Lfunc_end881-_Z39paged_attention_ll4mi_QKV_mfma16_kernelIDF16_hLN4vllm18Fp8KVCacheDataTypeE1EhLi32ELi64ELi256ELb0ELi12EEvPKT_PKT0_S7_ifPKiS9_S9_iPKfiiiPfSC_PS2_PT2_iSB_SB_
                                        ; -- End function
	.set _Z39paged_attention_ll4mi_QKV_mfma16_kernelIDF16_hLN4vllm18Fp8KVCacheDataTypeE1EhLi32ELi64ELi256ELb0ELi12EEvPKT_PKT0_S7_ifPKiS9_S9_iPKfiiiPfSC_PS2_PT2_iSB_SB_.num_vgpr, max(3, .L__assert_fail.num_vgpr)
	.set _Z39paged_attention_ll4mi_QKV_mfma16_kernelIDF16_hLN4vllm18Fp8KVCacheDataTypeE1EhLi32ELi64ELi256ELb0ELi12EEvPKT_PKT0_S7_ifPKiS9_S9_iPKfiiiPfSC_PS2_PT2_iSB_SB_.num_agpr, max(0, .L__assert_fail.num_agpr)
	.set _Z39paged_attention_ll4mi_QKV_mfma16_kernelIDF16_hLN4vllm18Fp8KVCacheDataTypeE1EhLi32ELi64ELi256ELb0ELi12EEvPKT_PKT0_S7_ifPKiS9_S9_iPKfiiiPfSC_PS2_PT2_iSB_SB_.numbered_sgpr, max(33, .L__assert_fail.numbered_sgpr)
	.set _Z39paged_attention_ll4mi_QKV_mfma16_kernelIDF16_hLN4vllm18Fp8KVCacheDataTypeE1EhLi32ELi64ELi256ELb0ELi12EEvPKT_PKT0_S7_ifPKiS9_S9_iPKfiiiPfSC_PS2_PT2_iSB_SB_.num_named_barrier, max(0, .L__assert_fail.num_named_barrier)
	.set _Z39paged_attention_ll4mi_QKV_mfma16_kernelIDF16_hLN4vllm18Fp8KVCacheDataTypeE1EhLi32ELi64ELi256ELb0ELi12EEvPKT_PKT0_S7_ifPKiS9_S9_iPKfiiiPfSC_PS2_PT2_iSB_SB_.private_seg_size, 0+max(.L__assert_fail.private_seg_size)
	.set _Z39paged_attention_ll4mi_QKV_mfma16_kernelIDF16_hLN4vllm18Fp8KVCacheDataTypeE1EhLi32ELi64ELi256ELb0ELi12EEvPKT_PKT0_S7_ifPKiS9_S9_iPKfiiiPfSC_PS2_PT2_iSB_SB_.uses_vcc, or(1, .L__assert_fail.uses_vcc)
	.set _Z39paged_attention_ll4mi_QKV_mfma16_kernelIDF16_hLN4vllm18Fp8KVCacheDataTypeE1EhLi32ELi64ELi256ELb0ELi12EEvPKT_PKT0_S7_ifPKiS9_S9_iPKfiiiPfSC_PS2_PT2_iSB_SB_.uses_flat_scratch, or(0, .L__assert_fail.uses_flat_scratch)
	.set _Z39paged_attention_ll4mi_QKV_mfma16_kernelIDF16_hLN4vllm18Fp8KVCacheDataTypeE1EhLi32ELi64ELi256ELb0ELi12EEvPKT_PKT0_S7_ifPKiS9_S9_iPKfiiiPfSC_PS2_PT2_iSB_SB_.has_dyn_sized_stack, or(0, .L__assert_fail.has_dyn_sized_stack)
	.set _Z39paged_attention_ll4mi_QKV_mfma16_kernelIDF16_hLN4vllm18Fp8KVCacheDataTypeE1EhLi32ELi64ELi256ELb0ELi12EEvPKT_PKT0_S7_ifPKiS9_S9_iPKfiiiPfSC_PS2_PT2_iSB_SB_.has_recursion, or(0, .L__assert_fail.has_recursion)
	.set _Z39paged_attention_ll4mi_QKV_mfma16_kernelIDF16_hLN4vllm18Fp8KVCacheDataTypeE1EhLi32ELi64ELi256ELb0ELi12EEvPKT_PKT0_S7_ifPKiS9_S9_iPKfiiiPfSC_PS2_PT2_iSB_SB_.has_indirect_call, or(0, .L__assert_fail.has_indirect_call)
	.section	.AMDGPU.csdata,"",@progbits
; Kernel info:
; codeLenInByte = 68
; TotalNumSgprs: 36
; NumVgprs: 51
; ScratchSize: 64
; MemoryBound: 0
; FloatMode: 240
; IeeeMode: 1
; LDSByteSize: 0 bytes/workgroup (compile time only)
; SGPRBlocks: 0
; VGPRBlocks: 3
; NumSGPRsForWavesPerEU: 36
; NumVGPRsForWavesPerEU: 51
; NamedBarCnt: 0
; Occupancy: 16
; WaveLimiterHint : 1
; COMPUTE_PGM_RSRC2:SCRATCH_EN: 1
; COMPUTE_PGM_RSRC2:USER_SGPR: 2
; COMPUTE_PGM_RSRC2:TRAP_HANDLER: 0
; COMPUTE_PGM_RSRC2:TGID_X_EN: 1
; COMPUTE_PGM_RSRC2:TGID_Y_EN: 0
; COMPUTE_PGM_RSRC2:TGID_Z_EN: 0
; COMPUTE_PGM_RSRC2:TIDIG_COMP_CNT: 0
	.section	.text._Z39paged_attention_ll4mi_QKV_mfma16_kernelIDF16_hLN4vllm18Fp8KVCacheDataTypeE1EhLi32ELi64ELi256ELb0ELi13EEvPKT_PKT0_S7_ifPKiS9_S9_iPKfiiiPfSC_PS2_PT2_iSB_SB_,"axG",@progbits,_Z39paged_attention_ll4mi_QKV_mfma16_kernelIDF16_hLN4vllm18Fp8KVCacheDataTypeE1EhLi32ELi64ELi256ELb0ELi13EEvPKT_PKT0_S7_ifPKiS9_S9_iPKfiiiPfSC_PS2_PT2_iSB_SB_,comdat
	.protected	_Z39paged_attention_ll4mi_QKV_mfma16_kernelIDF16_hLN4vllm18Fp8KVCacheDataTypeE1EhLi32ELi64ELi256ELb0ELi13EEvPKT_PKT0_S7_ifPKiS9_S9_iPKfiiiPfSC_PS2_PT2_iSB_SB_ ; -- Begin function _Z39paged_attention_ll4mi_QKV_mfma16_kernelIDF16_hLN4vllm18Fp8KVCacheDataTypeE1EhLi32ELi64ELi256ELb0ELi13EEvPKT_PKT0_S7_ifPKiS9_S9_iPKfiiiPfSC_PS2_PT2_iSB_SB_
	.globl	_Z39paged_attention_ll4mi_QKV_mfma16_kernelIDF16_hLN4vllm18Fp8KVCacheDataTypeE1EhLi32ELi64ELi256ELb0ELi13EEvPKT_PKT0_S7_ifPKiS9_S9_iPKfiiiPfSC_PS2_PT2_iSB_SB_
	.p2align	8
	.type	_Z39paged_attention_ll4mi_QKV_mfma16_kernelIDF16_hLN4vllm18Fp8KVCacheDataTypeE1EhLi32ELi64ELi256ELb0ELi13EEvPKT_PKT0_S7_ifPKiS9_S9_iPKfiiiPfSC_PS2_PT2_iSB_SB_,@function
_Z39paged_attention_ll4mi_QKV_mfma16_kernelIDF16_hLN4vllm18Fp8KVCacheDataTypeE1EhLi32ELi64ELi256ELb0ELi13EEvPKT_PKT0_S7_ifPKiS9_S9_iPKfiiiPfSC_PS2_PT2_iSB_SB_: ; @_Z39paged_attention_ll4mi_QKV_mfma16_kernelIDF16_hLN4vllm18Fp8KVCacheDataTypeE1EhLi32ELi64ELi256ELb0ELi13EEvPKT_PKT0_S7_ifPKiS9_S9_iPKfiiiPfSC_PS2_PT2_iSB_SB_
; %bb.0:
	s_get_pc_i64 s[2:3]
	s_add_nc_u64 s[2:3], s[2:3], __PRETTY_FUNCTION__._Z39paged_attention_ll4mi_QKV_mfma16_kernelIDF16_hLN4vllm18Fp8KVCacheDataTypeE1EhLi32ELi64ELi256ELb0ELi13EEvPKT_PKT0_S7_ifPKiS9_S9_iPKfiiiPfSC_PS2_PT2_iSB_SB_@rel64+4
	s_delay_alu instid0(SALU_CYCLE_1)
	v_dual_mov_b32 v0, 0xbb3 :: v_dual_mov_b32 v1, s2
	v_mov_b32_e32 v2, s3
	s_add_nc_u64 s[8:9], s[0:1], 0x90
	s_get_pc_i64 s[0:1]
	s_add_nc_u64 s[0:1], s[0:1], __assert_fail@rel64+4
	s_mov_b32 s32, 0
	s_swap_pc_i64 s[30:31], s[0:1]
	.section	.rodata,"a",@progbits
	.p2align	6, 0x0
	.amdhsa_kernel _Z39paged_attention_ll4mi_QKV_mfma16_kernelIDF16_hLN4vllm18Fp8KVCacheDataTypeE1EhLi32ELi64ELi256ELb0ELi13EEvPKT_PKT0_S7_ifPKiS9_S9_iPKfiiiPfSC_PS2_PT2_iSB_SB_
		.amdhsa_group_segment_fixed_size 0
		.amdhsa_private_segment_fixed_size 64
		.amdhsa_kernarg_size 400
		.amdhsa_user_sgpr_count 2
		.amdhsa_user_sgpr_dispatch_ptr 0
		.amdhsa_user_sgpr_queue_ptr 0
		.amdhsa_user_sgpr_kernarg_segment_ptr 1
		.amdhsa_user_sgpr_dispatch_id 0
		.amdhsa_user_sgpr_kernarg_preload_length 0
		.amdhsa_user_sgpr_kernarg_preload_offset 0
		.amdhsa_user_sgpr_private_segment_size 0
		.amdhsa_wavefront_size32 1
		.amdhsa_uses_dynamic_stack 0
		.amdhsa_enable_private_segment 1
		.amdhsa_system_sgpr_workgroup_id_x 1
		.amdhsa_system_sgpr_workgroup_id_y 0
		.amdhsa_system_sgpr_workgroup_id_z 0
		.amdhsa_system_sgpr_workgroup_info 0
		.amdhsa_system_vgpr_workitem_id 0
		.amdhsa_next_free_vgpr 51
		.amdhsa_next_free_sgpr 34
		.amdhsa_named_barrier_count 0
		.amdhsa_reserve_vcc 1
		.amdhsa_float_round_mode_32 0
		.amdhsa_float_round_mode_16_64 0
		.amdhsa_float_denorm_mode_32 3
		.amdhsa_float_denorm_mode_16_64 3
		.amdhsa_fp16_overflow 0
		.amdhsa_memory_ordered 1
		.amdhsa_forward_progress 1
		.amdhsa_inst_pref_size 1
		.amdhsa_round_robin_scheduling 0
		.amdhsa_exception_fp_ieee_invalid_op 0
		.amdhsa_exception_fp_denorm_src 0
		.amdhsa_exception_fp_ieee_div_zero 0
		.amdhsa_exception_fp_ieee_overflow 0
		.amdhsa_exception_fp_ieee_underflow 0
		.amdhsa_exception_fp_ieee_inexact 0
		.amdhsa_exception_int_div_zero 0
	.end_amdhsa_kernel
	.section	.text._Z39paged_attention_ll4mi_QKV_mfma16_kernelIDF16_hLN4vllm18Fp8KVCacheDataTypeE1EhLi32ELi64ELi256ELb0ELi13EEvPKT_PKT0_S7_ifPKiS9_S9_iPKfiiiPfSC_PS2_PT2_iSB_SB_,"axG",@progbits,_Z39paged_attention_ll4mi_QKV_mfma16_kernelIDF16_hLN4vllm18Fp8KVCacheDataTypeE1EhLi32ELi64ELi256ELb0ELi13EEvPKT_PKT0_S7_ifPKiS9_S9_iPKfiiiPfSC_PS2_PT2_iSB_SB_,comdat
.Lfunc_end882:
	.size	_Z39paged_attention_ll4mi_QKV_mfma16_kernelIDF16_hLN4vllm18Fp8KVCacheDataTypeE1EhLi32ELi64ELi256ELb0ELi13EEvPKT_PKT0_S7_ifPKiS9_S9_iPKfiiiPfSC_PS2_PT2_iSB_SB_, .Lfunc_end882-_Z39paged_attention_ll4mi_QKV_mfma16_kernelIDF16_hLN4vllm18Fp8KVCacheDataTypeE1EhLi32ELi64ELi256ELb0ELi13EEvPKT_PKT0_S7_ifPKiS9_S9_iPKfiiiPfSC_PS2_PT2_iSB_SB_
                                        ; -- End function
	.set _Z39paged_attention_ll4mi_QKV_mfma16_kernelIDF16_hLN4vllm18Fp8KVCacheDataTypeE1EhLi32ELi64ELi256ELb0ELi13EEvPKT_PKT0_S7_ifPKiS9_S9_iPKfiiiPfSC_PS2_PT2_iSB_SB_.num_vgpr, max(3, .L__assert_fail.num_vgpr)
	.set _Z39paged_attention_ll4mi_QKV_mfma16_kernelIDF16_hLN4vllm18Fp8KVCacheDataTypeE1EhLi32ELi64ELi256ELb0ELi13EEvPKT_PKT0_S7_ifPKiS9_S9_iPKfiiiPfSC_PS2_PT2_iSB_SB_.num_agpr, max(0, .L__assert_fail.num_agpr)
	.set _Z39paged_attention_ll4mi_QKV_mfma16_kernelIDF16_hLN4vllm18Fp8KVCacheDataTypeE1EhLi32ELi64ELi256ELb0ELi13EEvPKT_PKT0_S7_ifPKiS9_S9_iPKfiiiPfSC_PS2_PT2_iSB_SB_.numbered_sgpr, max(33, .L__assert_fail.numbered_sgpr)
	.set _Z39paged_attention_ll4mi_QKV_mfma16_kernelIDF16_hLN4vllm18Fp8KVCacheDataTypeE1EhLi32ELi64ELi256ELb0ELi13EEvPKT_PKT0_S7_ifPKiS9_S9_iPKfiiiPfSC_PS2_PT2_iSB_SB_.num_named_barrier, max(0, .L__assert_fail.num_named_barrier)
	.set _Z39paged_attention_ll4mi_QKV_mfma16_kernelIDF16_hLN4vllm18Fp8KVCacheDataTypeE1EhLi32ELi64ELi256ELb0ELi13EEvPKT_PKT0_S7_ifPKiS9_S9_iPKfiiiPfSC_PS2_PT2_iSB_SB_.private_seg_size, 0+max(.L__assert_fail.private_seg_size)
	.set _Z39paged_attention_ll4mi_QKV_mfma16_kernelIDF16_hLN4vllm18Fp8KVCacheDataTypeE1EhLi32ELi64ELi256ELb0ELi13EEvPKT_PKT0_S7_ifPKiS9_S9_iPKfiiiPfSC_PS2_PT2_iSB_SB_.uses_vcc, or(1, .L__assert_fail.uses_vcc)
	.set _Z39paged_attention_ll4mi_QKV_mfma16_kernelIDF16_hLN4vllm18Fp8KVCacheDataTypeE1EhLi32ELi64ELi256ELb0ELi13EEvPKT_PKT0_S7_ifPKiS9_S9_iPKfiiiPfSC_PS2_PT2_iSB_SB_.uses_flat_scratch, or(0, .L__assert_fail.uses_flat_scratch)
	.set _Z39paged_attention_ll4mi_QKV_mfma16_kernelIDF16_hLN4vllm18Fp8KVCacheDataTypeE1EhLi32ELi64ELi256ELb0ELi13EEvPKT_PKT0_S7_ifPKiS9_S9_iPKfiiiPfSC_PS2_PT2_iSB_SB_.has_dyn_sized_stack, or(0, .L__assert_fail.has_dyn_sized_stack)
	.set _Z39paged_attention_ll4mi_QKV_mfma16_kernelIDF16_hLN4vllm18Fp8KVCacheDataTypeE1EhLi32ELi64ELi256ELb0ELi13EEvPKT_PKT0_S7_ifPKiS9_S9_iPKfiiiPfSC_PS2_PT2_iSB_SB_.has_recursion, or(0, .L__assert_fail.has_recursion)
	.set _Z39paged_attention_ll4mi_QKV_mfma16_kernelIDF16_hLN4vllm18Fp8KVCacheDataTypeE1EhLi32ELi64ELi256ELb0ELi13EEvPKT_PKT0_S7_ifPKiS9_S9_iPKfiiiPfSC_PS2_PT2_iSB_SB_.has_indirect_call, or(0, .L__assert_fail.has_indirect_call)
	.section	.AMDGPU.csdata,"",@progbits
; Kernel info:
; codeLenInByte = 68
; TotalNumSgprs: 36
; NumVgprs: 51
; ScratchSize: 64
; MemoryBound: 0
; FloatMode: 240
; IeeeMode: 1
; LDSByteSize: 0 bytes/workgroup (compile time only)
; SGPRBlocks: 0
; VGPRBlocks: 3
; NumSGPRsForWavesPerEU: 36
; NumVGPRsForWavesPerEU: 51
; NamedBarCnt: 0
; Occupancy: 16
; WaveLimiterHint : 1
; COMPUTE_PGM_RSRC2:SCRATCH_EN: 1
; COMPUTE_PGM_RSRC2:USER_SGPR: 2
; COMPUTE_PGM_RSRC2:TRAP_HANDLER: 0
; COMPUTE_PGM_RSRC2:TGID_X_EN: 1
; COMPUTE_PGM_RSRC2:TGID_Y_EN: 0
; COMPUTE_PGM_RSRC2:TGID_Z_EN: 0
; COMPUTE_PGM_RSRC2:TIDIG_COMP_CNT: 0
	.section	.text._Z39paged_attention_ll4mi_QKV_mfma16_kernelIDF16_hLN4vllm18Fp8KVCacheDataTypeE1EhLi32ELi64ELi256ELb0ELi14EEvPKT_PKT0_S7_ifPKiS9_S9_iPKfiiiPfSC_PS2_PT2_iSB_SB_,"axG",@progbits,_Z39paged_attention_ll4mi_QKV_mfma16_kernelIDF16_hLN4vllm18Fp8KVCacheDataTypeE1EhLi32ELi64ELi256ELb0ELi14EEvPKT_PKT0_S7_ifPKiS9_S9_iPKfiiiPfSC_PS2_PT2_iSB_SB_,comdat
	.protected	_Z39paged_attention_ll4mi_QKV_mfma16_kernelIDF16_hLN4vllm18Fp8KVCacheDataTypeE1EhLi32ELi64ELi256ELb0ELi14EEvPKT_PKT0_S7_ifPKiS9_S9_iPKfiiiPfSC_PS2_PT2_iSB_SB_ ; -- Begin function _Z39paged_attention_ll4mi_QKV_mfma16_kernelIDF16_hLN4vllm18Fp8KVCacheDataTypeE1EhLi32ELi64ELi256ELb0ELi14EEvPKT_PKT0_S7_ifPKiS9_S9_iPKfiiiPfSC_PS2_PT2_iSB_SB_
	.globl	_Z39paged_attention_ll4mi_QKV_mfma16_kernelIDF16_hLN4vllm18Fp8KVCacheDataTypeE1EhLi32ELi64ELi256ELb0ELi14EEvPKT_PKT0_S7_ifPKiS9_S9_iPKfiiiPfSC_PS2_PT2_iSB_SB_
	.p2align	8
	.type	_Z39paged_attention_ll4mi_QKV_mfma16_kernelIDF16_hLN4vllm18Fp8KVCacheDataTypeE1EhLi32ELi64ELi256ELb0ELi14EEvPKT_PKT0_S7_ifPKiS9_S9_iPKfiiiPfSC_PS2_PT2_iSB_SB_,@function
_Z39paged_attention_ll4mi_QKV_mfma16_kernelIDF16_hLN4vllm18Fp8KVCacheDataTypeE1EhLi32ELi64ELi256ELb0ELi14EEvPKT_PKT0_S7_ifPKiS9_S9_iPKfiiiPfSC_PS2_PT2_iSB_SB_: ; @_Z39paged_attention_ll4mi_QKV_mfma16_kernelIDF16_hLN4vllm18Fp8KVCacheDataTypeE1EhLi32ELi64ELi256ELb0ELi14EEvPKT_PKT0_S7_ifPKiS9_S9_iPKfiiiPfSC_PS2_PT2_iSB_SB_
; %bb.0:
	s_get_pc_i64 s[2:3]
	s_add_nc_u64 s[2:3], s[2:3], __PRETTY_FUNCTION__._Z39paged_attention_ll4mi_QKV_mfma16_kernelIDF16_hLN4vllm18Fp8KVCacheDataTypeE1EhLi32ELi64ELi256ELb0ELi14EEvPKT_PKT0_S7_ifPKiS9_S9_iPKfiiiPfSC_PS2_PT2_iSB_SB_@rel64+4
	s_delay_alu instid0(SALU_CYCLE_1)
	v_dual_mov_b32 v0, 0xbb3 :: v_dual_mov_b32 v1, s2
	v_mov_b32_e32 v2, s3
	s_add_nc_u64 s[8:9], s[0:1], 0x90
	s_get_pc_i64 s[0:1]
	s_add_nc_u64 s[0:1], s[0:1], __assert_fail@rel64+4
	s_mov_b32 s32, 0
	s_swap_pc_i64 s[30:31], s[0:1]
	.section	.rodata,"a",@progbits
	.p2align	6, 0x0
	.amdhsa_kernel _Z39paged_attention_ll4mi_QKV_mfma16_kernelIDF16_hLN4vllm18Fp8KVCacheDataTypeE1EhLi32ELi64ELi256ELb0ELi14EEvPKT_PKT0_S7_ifPKiS9_S9_iPKfiiiPfSC_PS2_PT2_iSB_SB_
		.amdhsa_group_segment_fixed_size 0
		.amdhsa_private_segment_fixed_size 64
		.amdhsa_kernarg_size 400
		.amdhsa_user_sgpr_count 2
		.amdhsa_user_sgpr_dispatch_ptr 0
		.amdhsa_user_sgpr_queue_ptr 0
		.amdhsa_user_sgpr_kernarg_segment_ptr 1
		.amdhsa_user_sgpr_dispatch_id 0
		.amdhsa_user_sgpr_kernarg_preload_length 0
		.amdhsa_user_sgpr_kernarg_preload_offset 0
		.amdhsa_user_sgpr_private_segment_size 0
		.amdhsa_wavefront_size32 1
		.amdhsa_uses_dynamic_stack 0
		.amdhsa_enable_private_segment 1
		.amdhsa_system_sgpr_workgroup_id_x 1
		.amdhsa_system_sgpr_workgroup_id_y 0
		.amdhsa_system_sgpr_workgroup_id_z 0
		.amdhsa_system_sgpr_workgroup_info 0
		.amdhsa_system_vgpr_workitem_id 0
		.amdhsa_next_free_vgpr 51
		.amdhsa_next_free_sgpr 34
		.amdhsa_named_barrier_count 0
		.amdhsa_reserve_vcc 1
		.amdhsa_float_round_mode_32 0
		.amdhsa_float_round_mode_16_64 0
		.amdhsa_float_denorm_mode_32 3
		.amdhsa_float_denorm_mode_16_64 3
		.amdhsa_fp16_overflow 0
		.amdhsa_memory_ordered 1
		.amdhsa_forward_progress 1
		.amdhsa_inst_pref_size 1
		.amdhsa_round_robin_scheduling 0
		.amdhsa_exception_fp_ieee_invalid_op 0
		.amdhsa_exception_fp_denorm_src 0
		.amdhsa_exception_fp_ieee_div_zero 0
		.amdhsa_exception_fp_ieee_overflow 0
		.amdhsa_exception_fp_ieee_underflow 0
		.amdhsa_exception_fp_ieee_inexact 0
		.amdhsa_exception_int_div_zero 0
	.end_amdhsa_kernel
	.section	.text._Z39paged_attention_ll4mi_QKV_mfma16_kernelIDF16_hLN4vllm18Fp8KVCacheDataTypeE1EhLi32ELi64ELi256ELb0ELi14EEvPKT_PKT0_S7_ifPKiS9_S9_iPKfiiiPfSC_PS2_PT2_iSB_SB_,"axG",@progbits,_Z39paged_attention_ll4mi_QKV_mfma16_kernelIDF16_hLN4vllm18Fp8KVCacheDataTypeE1EhLi32ELi64ELi256ELb0ELi14EEvPKT_PKT0_S7_ifPKiS9_S9_iPKfiiiPfSC_PS2_PT2_iSB_SB_,comdat
.Lfunc_end883:
	.size	_Z39paged_attention_ll4mi_QKV_mfma16_kernelIDF16_hLN4vllm18Fp8KVCacheDataTypeE1EhLi32ELi64ELi256ELb0ELi14EEvPKT_PKT0_S7_ifPKiS9_S9_iPKfiiiPfSC_PS2_PT2_iSB_SB_, .Lfunc_end883-_Z39paged_attention_ll4mi_QKV_mfma16_kernelIDF16_hLN4vllm18Fp8KVCacheDataTypeE1EhLi32ELi64ELi256ELb0ELi14EEvPKT_PKT0_S7_ifPKiS9_S9_iPKfiiiPfSC_PS2_PT2_iSB_SB_
                                        ; -- End function
	.set _Z39paged_attention_ll4mi_QKV_mfma16_kernelIDF16_hLN4vllm18Fp8KVCacheDataTypeE1EhLi32ELi64ELi256ELb0ELi14EEvPKT_PKT0_S7_ifPKiS9_S9_iPKfiiiPfSC_PS2_PT2_iSB_SB_.num_vgpr, max(3, .L__assert_fail.num_vgpr)
	.set _Z39paged_attention_ll4mi_QKV_mfma16_kernelIDF16_hLN4vllm18Fp8KVCacheDataTypeE1EhLi32ELi64ELi256ELb0ELi14EEvPKT_PKT0_S7_ifPKiS9_S9_iPKfiiiPfSC_PS2_PT2_iSB_SB_.num_agpr, max(0, .L__assert_fail.num_agpr)
	.set _Z39paged_attention_ll4mi_QKV_mfma16_kernelIDF16_hLN4vllm18Fp8KVCacheDataTypeE1EhLi32ELi64ELi256ELb0ELi14EEvPKT_PKT0_S7_ifPKiS9_S9_iPKfiiiPfSC_PS2_PT2_iSB_SB_.numbered_sgpr, max(33, .L__assert_fail.numbered_sgpr)
	.set _Z39paged_attention_ll4mi_QKV_mfma16_kernelIDF16_hLN4vllm18Fp8KVCacheDataTypeE1EhLi32ELi64ELi256ELb0ELi14EEvPKT_PKT0_S7_ifPKiS9_S9_iPKfiiiPfSC_PS2_PT2_iSB_SB_.num_named_barrier, max(0, .L__assert_fail.num_named_barrier)
	.set _Z39paged_attention_ll4mi_QKV_mfma16_kernelIDF16_hLN4vllm18Fp8KVCacheDataTypeE1EhLi32ELi64ELi256ELb0ELi14EEvPKT_PKT0_S7_ifPKiS9_S9_iPKfiiiPfSC_PS2_PT2_iSB_SB_.private_seg_size, 0+max(.L__assert_fail.private_seg_size)
	.set _Z39paged_attention_ll4mi_QKV_mfma16_kernelIDF16_hLN4vllm18Fp8KVCacheDataTypeE1EhLi32ELi64ELi256ELb0ELi14EEvPKT_PKT0_S7_ifPKiS9_S9_iPKfiiiPfSC_PS2_PT2_iSB_SB_.uses_vcc, or(1, .L__assert_fail.uses_vcc)
	.set _Z39paged_attention_ll4mi_QKV_mfma16_kernelIDF16_hLN4vllm18Fp8KVCacheDataTypeE1EhLi32ELi64ELi256ELb0ELi14EEvPKT_PKT0_S7_ifPKiS9_S9_iPKfiiiPfSC_PS2_PT2_iSB_SB_.uses_flat_scratch, or(0, .L__assert_fail.uses_flat_scratch)
	.set _Z39paged_attention_ll4mi_QKV_mfma16_kernelIDF16_hLN4vllm18Fp8KVCacheDataTypeE1EhLi32ELi64ELi256ELb0ELi14EEvPKT_PKT0_S7_ifPKiS9_S9_iPKfiiiPfSC_PS2_PT2_iSB_SB_.has_dyn_sized_stack, or(0, .L__assert_fail.has_dyn_sized_stack)
	.set _Z39paged_attention_ll4mi_QKV_mfma16_kernelIDF16_hLN4vllm18Fp8KVCacheDataTypeE1EhLi32ELi64ELi256ELb0ELi14EEvPKT_PKT0_S7_ifPKiS9_S9_iPKfiiiPfSC_PS2_PT2_iSB_SB_.has_recursion, or(0, .L__assert_fail.has_recursion)
	.set _Z39paged_attention_ll4mi_QKV_mfma16_kernelIDF16_hLN4vllm18Fp8KVCacheDataTypeE1EhLi32ELi64ELi256ELb0ELi14EEvPKT_PKT0_S7_ifPKiS9_S9_iPKfiiiPfSC_PS2_PT2_iSB_SB_.has_indirect_call, or(0, .L__assert_fail.has_indirect_call)
	.section	.AMDGPU.csdata,"",@progbits
; Kernel info:
; codeLenInByte = 68
; TotalNumSgprs: 36
; NumVgprs: 51
; ScratchSize: 64
; MemoryBound: 0
; FloatMode: 240
; IeeeMode: 1
; LDSByteSize: 0 bytes/workgroup (compile time only)
; SGPRBlocks: 0
; VGPRBlocks: 3
; NumSGPRsForWavesPerEU: 36
; NumVGPRsForWavesPerEU: 51
; NamedBarCnt: 0
; Occupancy: 16
; WaveLimiterHint : 1
; COMPUTE_PGM_RSRC2:SCRATCH_EN: 1
; COMPUTE_PGM_RSRC2:USER_SGPR: 2
; COMPUTE_PGM_RSRC2:TRAP_HANDLER: 0
; COMPUTE_PGM_RSRC2:TGID_X_EN: 1
; COMPUTE_PGM_RSRC2:TGID_Y_EN: 0
; COMPUTE_PGM_RSRC2:TGID_Z_EN: 0
; COMPUTE_PGM_RSRC2:TIDIG_COMP_CNT: 0
	.section	.text._Z39paged_attention_ll4mi_QKV_mfma16_kernelIDF16_hLN4vllm18Fp8KVCacheDataTypeE1EhLi32ELi64ELi256ELb0ELi15EEvPKT_PKT0_S7_ifPKiS9_S9_iPKfiiiPfSC_PS2_PT2_iSB_SB_,"axG",@progbits,_Z39paged_attention_ll4mi_QKV_mfma16_kernelIDF16_hLN4vllm18Fp8KVCacheDataTypeE1EhLi32ELi64ELi256ELb0ELi15EEvPKT_PKT0_S7_ifPKiS9_S9_iPKfiiiPfSC_PS2_PT2_iSB_SB_,comdat
	.protected	_Z39paged_attention_ll4mi_QKV_mfma16_kernelIDF16_hLN4vllm18Fp8KVCacheDataTypeE1EhLi32ELi64ELi256ELb0ELi15EEvPKT_PKT0_S7_ifPKiS9_S9_iPKfiiiPfSC_PS2_PT2_iSB_SB_ ; -- Begin function _Z39paged_attention_ll4mi_QKV_mfma16_kernelIDF16_hLN4vllm18Fp8KVCacheDataTypeE1EhLi32ELi64ELi256ELb0ELi15EEvPKT_PKT0_S7_ifPKiS9_S9_iPKfiiiPfSC_PS2_PT2_iSB_SB_
	.globl	_Z39paged_attention_ll4mi_QKV_mfma16_kernelIDF16_hLN4vllm18Fp8KVCacheDataTypeE1EhLi32ELi64ELi256ELb0ELi15EEvPKT_PKT0_S7_ifPKiS9_S9_iPKfiiiPfSC_PS2_PT2_iSB_SB_
	.p2align	8
	.type	_Z39paged_attention_ll4mi_QKV_mfma16_kernelIDF16_hLN4vllm18Fp8KVCacheDataTypeE1EhLi32ELi64ELi256ELb0ELi15EEvPKT_PKT0_S7_ifPKiS9_S9_iPKfiiiPfSC_PS2_PT2_iSB_SB_,@function
_Z39paged_attention_ll4mi_QKV_mfma16_kernelIDF16_hLN4vllm18Fp8KVCacheDataTypeE1EhLi32ELi64ELi256ELb0ELi15EEvPKT_PKT0_S7_ifPKiS9_S9_iPKfiiiPfSC_PS2_PT2_iSB_SB_: ; @_Z39paged_attention_ll4mi_QKV_mfma16_kernelIDF16_hLN4vllm18Fp8KVCacheDataTypeE1EhLi32ELi64ELi256ELb0ELi15EEvPKT_PKT0_S7_ifPKiS9_S9_iPKfiiiPfSC_PS2_PT2_iSB_SB_
; %bb.0:
	s_get_pc_i64 s[2:3]
	s_add_nc_u64 s[2:3], s[2:3], __PRETTY_FUNCTION__._Z39paged_attention_ll4mi_QKV_mfma16_kernelIDF16_hLN4vllm18Fp8KVCacheDataTypeE1EhLi32ELi64ELi256ELb0ELi15EEvPKT_PKT0_S7_ifPKiS9_S9_iPKfiiiPfSC_PS2_PT2_iSB_SB_@rel64+4
	s_delay_alu instid0(SALU_CYCLE_1)
	v_dual_mov_b32 v0, 0xbb3 :: v_dual_mov_b32 v1, s2
	v_mov_b32_e32 v2, s3
	s_add_nc_u64 s[8:9], s[0:1], 0x90
	s_get_pc_i64 s[0:1]
	s_add_nc_u64 s[0:1], s[0:1], __assert_fail@rel64+4
	s_mov_b32 s32, 0
	s_swap_pc_i64 s[30:31], s[0:1]
	.section	.rodata,"a",@progbits
	.p2align	6, 0x0
	.amdhsa_kernel _Z39paged_attention_ll4mi_QKV_mfma16_kernelIDF16_hLN4vllm18Fp8KVCacheDataTypeE1EhLi32ELi64ELi256ELb0ELi15EEvPKT_PKT0_S7_ifPKiS9_S9_iPKfiiiPfSC_PS2_PT2_iSB_SB_
		.amdhsa_group_segment_fixed_size 0
		.amdhsa_private_segment_fixed_size 64
		.amdhsa_kernarg_size 400
		.amdhsa_user_sgpr_count 2
		.amdhsa_user_sgpr_dispatch_ptr 0
		.amdhsa_user_sgpr_queue_ptr 0
		.amdhsa_user_sgpr_kernarg_segment_ptr 1
		.amdhsa_user_sgpr_dispatch_id 0
		.amdhsa_user_sgpr_kernarg_preload_length 0
		.amdhsa_user_sgpr_kernarg_preload_offset 0
		.amdhsa_user_sgpr_private_segment_size 0
		.amdhsa_wavefront_size32 1
		.amdhsa_uses_dynamic_stack 0
		.amdhsa_enable_private_segment 1
		.amdhsa_system_sgpr_workgroup_id_x 1
		.amdhsa_system_sgpr_workgroup_id_y 0
		.amdhsa_system_sgpr_workgroup_id_z 0
		.amdhsa_system_sgpr_workgroup_info 0
		.amdhsa_system_vgpr_workitem_id 0
		.amdhsa_next_free_vgpr 51
		.amdhsa_next_free_sgpr 34
		.amdhsa_named_barrier_count 0
		.amdhsa_reserve_vcc 1
		.amdhsa_float_round_mode_32 0
		.amdhsa_float_round_mode_16_64 0
		.amdhsa_float_denorm_mode_32 3
		.amdhsa_float_denorm_mode_16_64 3
		.amdhsa_fp16_overflow 0
		.amdhsa_memory_ordered 1
		.amdhsa_forward_progress 1
		.amdhsa_inst_pref_size 1
		.amdhsa_round_robin_scheduling 0
		.amdhsa_exception_fp_ieee_invalid_op 0
		.amdhsa_exception_fp_denorm_src 0
		.amdhsa_exception_fp_ieee_div_zero 0
		.amdhsa_exception_fp_ieee_overflow 0
		.amdhsa_exception_fp_ieee_underflow 0
		.amdhsa_exception_fp_ieee_inexact 0
		.amdhsa_exception_int_div_zero 0
	.end_amdhsa_kernel
	.section	.text._Z39paged_attention_ll4mi_QKV_mfma16_kernelIDF16_hLN4vllm18Fp8KVCacheDataTypeE1EhLi32ELi64ELi256ELb0ELi15EEvPKT_PKT0_S7_ifPKiS9_S9_iPKfiiiPfSC_PS2_PT2_iSB_SB_,"axG",@progbits,_Z39paged_attention_ll4mi_QKV_mfma16_kernelIDF16_hLN4vllm18Fp8KVCacheDataTypeE1EhLi32ELi64ELi256ELb0ELi15EEvPKT_PKT0_S7_ifPKiS9_S9_iPKfiiiPfSC_PS2_PT2_iSB_SB_,comdat
.Lfunc_end884:
	.size	_Z39paged_attention_ll4mi_QKV_mfma16_kernelIDF16_hLN4vllm18Fp8KVCacheDataTypeE1EhLi32ELi64ELi256ELb0ELi15EEvPKT_PKT0_S7_ifPKiS9_S9_iPKfiiiPfSC_PS2_PT2_iSB_SB_, .Lfunc_end884-_Z39paged_attention_ll4mi_QKV_mfma16_kernelIDF16_hLN4vllm18Fp8KVCacheDataTypeE1EhLi32ELi64ELi256ELb0ELi15EEvPKT_PKT0_S7_ifPKiS9_S9_iPKfiiiPfSC_PS2_PT2_iSB_SB_
                                        ; -- End function
	.set _Z39paged_attention_ll4mi_QKV_mfma16_kernelIDF16_hLN4vllm18Fp8KVCacheDataTypeE1EhLi32ELi64ELi256ELb0ELi15EEvPKT_PKT0_S7_ifPKiS9_S9_iPKfiiiPfSC_PS2_PT2_iSB_SB_.num_vgpr, max(3, .L__assert_fail.num_vgpr)
	.set _Z39paged_attention_ll4mi_QKV_mfma16_kernelIDF16_hLN4vllm18Fp8KVCacheDataTypeE1EhLi32ELi64ELi256ELb0ELi15EEvPKT_PKT0_S7_ifPKiS9_S9_iPKfiiiPfSC_PS2_PT2_iSB_SB_.num_agpr, max(0, .L__assert_fail.num_agpr)
	.set _Z39paged_attention_ll4mi_QKV_mfma16_kernelIDF16_hLN4vllm18Fp8KVCacheDataTypeE1EhLi32ELi64ELi256ELb0ELi15EEvPKT_PKT0_S7_ifPKiS9_S9_iPKfiiiPfSC_PS2_PT2_iSB_SB_.numbered_sgpr, max(33, .L__assert_fail.numbered_sgpr)
	.set _Z39paged_attention_ll4mi_QKV_mfma16_kernelIDF16_hLN4vllm18Fp8KVCacheDataTypeE1EhLi32ELi64ELi256ELb0ELi15EEvPKT_PKT0_S7_ifPKiS9_S9_iPKfiiiPfSC_PS2_PT2_iSB_SB_.num_named_barrier, max(0, .L__assert_fail.num_named_barrier)
	.set _Z39paged_attention_ll4mi_QKV_mfma16_kernelIDF16_hLN4vllm18Fp8KVCacheDataTypeE1EhLi32ELi64ELi256ELb0ELi15EEvPKT_PKT0_S7_ifPKiS9_S9_iPKfiiiPfSC_PS2_PT2_iSB_SB_.private_seg_size, 0+max(.L__assert_fail.private_seg_size)
	.set _Z39paged_attention_ll4mi_QKV_mfma16_kernelIDF16_hLN4vllm18Fp8KVCacheDataTypeE1EhLi32ELi64ELi256ELb0ELi15EEvPKT_PKT0_S7_ifPKiS9_S9_iPKfiiiPfSC_PS2_PT2_iSB_SB_.uses_vcc, or(1, .L__assert_fail.uses_vcc)
	.set _Z39paged_attention_ll4mi_QKV_mfma16_kernelIDF16_hLN4vllm18Fp8KVCacheDataTypeE1EhLi32ELi64ELi256ELb0ELi15EEvPKT_PKT0_S7_ifPKiS9_S9_iPKfiiiPfSC_PS2_PT2_iSB_SB_.uses_flat_scratch, or(0, .L__assert_fail.uses_flat_scratch)
	.set _Z39paged_attention_ll4mi_QKV_mfma16_kernelIDF16_hLN4vllm18Fp8KVCacheDataTypeE1EhLi32ELi64ELi256ELb0ELi15EEvPKT_PKT0_S7_ifPKiS9_S9_iPKfiiiPfSC_PS2_PT2_iSB_SB_.has_dyn_sized_stack, or(0, .L__assert_fail.has_dyn_sized_stack)
	.set _Z39paged_attention_ll4mi_QKV_mfma16_kernelIDF16_hLN4vllm18Fp8KVCacheDataTypeE1EhLi32ELi64ELi256ELb0ELi15EEvPKT_PKT0_S7_ifPKiS9_S9_iPKfiiiPfSC_PS2_PT2_iSB_SB_.has_recursion, or(0, .L__assert_fail.has_recursion)
	.set _Z39paged_attention_ll4mi_QKV_mfma16_kernelIDF16_hLN4vllm18Fp8KVCacheDataTypeE1EhLi32ELi64ELi256ELb0ELi15EEvPKT_PKT0_S7_ifPKiS9_S9_iPKfiiiPfSC_PS2_PT2_iSB_SB_.has_indirect_call, or(0, .L__assert_fail.has_indirect_call)
	.section	.AMDGPU.csdata,"",@progbits
; Kernel info:
; codeLenInByte = 68
; TotalNumSgprs: 36
; NumVgprs: 51
; ScratchSize: 64
; MemoryBound: 0
; FloatMode: 240
; IeeeMode: 1
; LDSByteSize: 0 bytes/workgroup (compile time only)
; SGPRBlocks: 0
; VGPRBlocks: 3
; NumSGPRsForWavesPerEU: 36
; NumVGPRsForWavesPerEU: 51
; NamedBarCnt: 0
; Occupancy: 16
; WaveLimiterHint : 1
; COMPUTE_PGM_RSRC2:SCRATCH_EN: 1
; COMPUTE_PGM_RSRC2:USER_SGPR: 2
; COMPUTE_PGM_RSRC2:TRAP_HANDLER: 0
; COMPUTE_PGM_RSRC2:TGID_X_EN: 1
; COMPUTE_PGM_RSRC2:TGID_Y_EN: 0
; COMPUTE_PGM_RSRC2:TGID_Z_EN: 0
; COMPUTE_PGM_RSRC2:TIDIG_COMP_CNT: 0
	.section	.text._Z39paged_attention_ll4mi_QKV_mfma16_kernelIDF16_hLN4vllm18Fp8KVCacheDataTypeE1EhLi32ELi64ELi256ELb0ELi16EEvPKT_PKT0_S7_ifPKiS9_S9_iPKfiiiPfSC_PS2_PT2_iSB_SB_,"axG",@progbits,_Z39paged_attention_ll4mi_QKV_mfma16_kernelIDF16_hLN4vllm18Fp8KVCacheDataTypeE1EhLi32ELi64ELi256ELb0ELi16EEvPKT_PKT0_S7_ifPKiS9_S9_iPKfiiiPfSC_PS2_PT2_iSB_SB_,comdat
	.protected	_Z39paged_attention_ll4mi_QKV_mfma16_kernelIDF16_hLN4vllm18Fp8KVCacheDataTypeE1EhLi32ELi64ELi256ELb0ELi16EEvPKT_PKT0_S7_ifPKiS9_S9_iPKfiiiPfSC_PS2_PT2_iSB_SB_ ; -- Begin function _Z39paged_attention_ll4mi_QKV_mfma16_kernelIDF16_hLN4vllm18Fp8KVCacheDataTypeE1EhLi32ELi64ELi256ELb0ELi16EEvPKT_PKT0_S7_ifPKiS9_S9_iPKfiiiPfSC_PS2_PT2_iSB_SB_
	.globl	_Z39paged_attention_ll4mi_QKV_mfma16_kernelIDF16_hLN4vllm18Fp8KVCacheDataTypeE1EhLi32ELi64ELi256ELb0ELi16EEvPKT_PKT0_S7_ifPKiS9_S9_iPKfiiiPfSC_PS2_PT2_iSB_SB_
	.p2align	8
	.type	_Z39paged_attention_ll4mi_QKV_mfma16_kernelIDF16_hLN4vllm18Fp8KVCacheDataTypeE1EhLi32ELi64ELi256ELb0ELi16EEvPKT_PKT0_S7_ifPKiS9_S9_iPKfiiiPfSC_PS2_PT2_iSB_SB_,@function
_Z39paged_attention_ll4mi_QKV_mfma16_kernelIDF16_hLN4vllm18Fp8KVCacheDataTypeE1EhLi32ELi64ELi256ELb0ELi16EEvPKT_PKT0_S7_ifPKiS9_S9_iPKfiiiPfSC_PS2_PT2_iSB_SB_: ; @_Z39paged_attention_ll4mi_QKV_mfma16_kernelIDF16_hLN4vllm18Fp8KVCacheDataTypeE1EhLi32ELi64ELi256ELb0ELi16EEvPKT_PKT0_S7_ifPKiS9_S9_iPKfiiiPfSC_PS2_PT2_iSB_SB_
; %bb.0:
	s_get_pc_i64 s[2:3]
	s_add_nc_u64 s[2:3], s[2:3], __PRETTY_FUNCTION__._Z39paged_attention_ll4mi_QKV_mfma16_kernelIDF16_hLN4vllm18Fp8KVCacheDataTypeE1EhLi32ELi64ELi256ELb0ELi16EEvPKT_PKT0_S7_ifPKiS9_S9_iPKfiiiPfSC_PS2_PT2_iSB_SB_@rel64+4
	s_delay_alu instid0(SALU_CYCLE_1)
	v_dual_mov_b32 v0, 0xbb3 :: v_dual_mov_b32 v1, s2
	v_mov_b32_e32 v2, s3
	s_add_nc_u64 s[8:9], s[0:1], 0x90
	s_get_pc_i64 s[0:1]
	s_add_nc_u64 s[0:1], s[0:1], __assert_fail@rel64+4
	s_mov_b32 s32, 0
	s_swap_pc_i64 s[30:31], s[0:1]
	.section	.rodata,"a",@progbits
	.p2align	6, 0x0
	.amdhsa_kernel _Z39paged_attention_ll4mi_QKV_mfma16_kernelIDF16_hLN4vllm18Fp8KVCacheDataTypeE1EhLi32ELi64ELi256ELb0ELi16EEvPKT_PKT0_S7_ifPKiS9_S9_iPKfiiiPfSC_PS2_PT2_iSB_SB_
		.amdhsa_group_segment_fixed_size 0
		.amdhsa_private_segment_fixed_size 64
		.amdhsa_kernarg_size 400
		.amdhsa_user_sgpr_count 2
		.amdhsa_user_sgpr_dispatch_ptr 0
		.amdhsa_user_sgpr_queue_ptr 0
		.amdhsa_user_sgpr_kernarg_segment_ptr 1
		.amdhsa_user_sgpr_dispatch_id 0
		.amdhsa_user_sgpr_kernarg_preload_length 0
		.amdhsa_user_sgpr_kernarg_preload_offset 0
		.amdhsa_user_sgpr_private_segment_size 0
		.amdhsa_wavefront_size32 1
		.amdhsa_uses_dynamic_stack 0
		.amdhsa_enable_private_segment 1
		.amdhsa_system_sgpr_workgroup_id_x 1
		.amdhsa_system_sgpr_workgroup_id_y 0
		.amdhsa_system_sgpr_workgroup_id_z 0
		.amdhsa_system_sgpr_workgroup_info 0
		.amdhsa_system_vgpr_workitem_id 0
		.amdhsa_next_free_vgpr 51
		.amdhsa_next_free_sgpr 34
		.amdhsa_named_barrier_count 0
		.amdhsa_reserve_vcc 1
		.amdhsa_float_round_mode_32 0
		.amdhsa_float_round_mode_16_64 0
		.amdhsa_float_denorm_mode_32 3
		.amdhsa_float_denorm_mode_16_64 3
		.amdhsa_fp16_overflow 0
		.amdhsa_memory_ordered 1
		.amdhsa_forward_progress 1
		.amdhsa_inst_pref_size 1
		.amdhsa_round_robin_scheduling 0
		.amdhsa_exception_fp_ieee_invalid_op 0
		.amdhsa_exception_fp_denorm_src 0
		.amdhsa_exception_fp_ieee_div_zero 0
		.amdhsa_exception_fp_ieee_overflow 0
		.amdhsa_exception_fp_ieee_underflow 0
		.amdhsa_exception_fp_ieee_inexact 0
		.amdhsa_exception_int_div_zero 0
	.end_amdhsa_kernel
	.section	.text._Z39paged_attention_ll4mi_QKV_mfma16_kernelIDF16_hLN4vllm18Fp8KVCacheDataTypeE1EhLi32ELi64ELi256ELb0ELi16EEvPKT_PKT0_S7_ifPKiS9_S9_iPKfiiiPfSC_PS2_PT2_iSB_SB_,"axG",@progbits,_Z39paged_attention_ll4mi_QKV_mfma16_kernelIDF16_hLN4vllm18Fp8KVCacheDataTypeE1EhLi32ELi64ELi256ELb0ELi16EEvPKT_PKT0_S7_ifPKiS9_S9_iPKfiiiPfSC_PS2_PT2_iSB_SB_,comdat
.Lfunc_end885:
	.size	_Z39paged_attention_ll4mi_QKV_mfma16_kernelIDF16_hLN4vllm18Fp8KVCacheDataTypeE1EhLi32ELi64ELi256ELb0ELi16EEvPKT_PKT0_S7_ifPKiS9_S9_iPKfiiiPfSC_PS2_PT2_iSB_SB_, .Lfunc_end885-_Z39paged_attention_ll4mi_QKV_mfma16_kernelIDF16_hLN4vllm18Fp8KVCacheDataTypeE1EhLi32ELi64ELi256ELb0ELi16EEvPKT_PKT0_S7_ifPKiS9_S9_iPKfiiiPfSC_PS2_PT2_iSB_SB_
                                        ; -- End function
	.set _Z39paged_attention_ll4mi_QKV_mfma16_kernelIDF16_hLN4vllm18Fp8KVCacheDataTypeE1EhLi32ELi64ELi256ELb0ELi16EEvPKT_PKT0_S7_ifPKiS9_S9_iPKfiiiPfSC_PS2_PT2_iSB_SB_.num_vgpr, max(3, .L__assert_fail.num_vgpr)
	.set _Z39paged_attention_ll4mi_QKV_mfma16_kernelIDF16_hLN4vllm18Fp8KVCacheDataTypeE1EhLi32ELi64ELi256ELb0ELi16EEvPKT_PKT0_S7_ifPKiS9_S9_iPKfiiiPfSC_PS2_PT2_iSB_SB_.num_agpr, max(0, .L__assert_fail.num_agpr)
	.set _Z39paged_attention_ll4mi_QKV_mfma16_kernelIDF16_hLN4vllm18Fp8KVCacheDataTypeE1EhLi32ELi64ELi256ELb0ELi16EEvPKT_PKT0_S7_ifPKiS9_S9_iPKfiiiPfSC_PS2_PT2_iSB_SB_.numbered_sgpr, max(33, .L__assert_fail.numbered_sgpr)
	.set _Z39paged_attention_ll4mi_QKV_mfma16_kernelIDF16_hLN4vllm18Fp8KVCacheDataTypeE1EhLi32ELi64ELi256ELb0ELi16EEvPKT_PKT0_S7_ifPKiS9_S9_iPKfiiiPfSC_PS2_PT2_iSB_SB_.num_named_barrier, max(0, .L__assert_fail.num_named_barrier)
	.set _Z39paged_attention_ll4mi_QKV_mfma16_kernelIDF16_hLN4vllm18Fp8KVCacheDataTypeE1EhLi32ELi64ELi256ELb0ELi16EEvPKT_PKT0_S7_ifPKiS9_S9_iPKfiiiPfSC_PS2_PT2_iSB_SB_.private_seg_size, 0+max(.L__assert_fail.private_seg_size)
	.set _Z39paged_attention_ll4mi_QKV_mfma16_kernelIDF16_hLN4vllm18Fp8KVCacheDataTypeE1EhLi32ELi64ELi256ELb0ELi16EEvPKT_PKT0_S7_ifPKiS9_S9_iPKfiiiPfSC_PS2_PT2_iSB_SB_.uses_vcc, or(1, .L__assert_fail.uses_vcc)
	.set _Z39paged_attention_ll4mi_QKV_mfma16_kernelIDF16_hLN4vllm18Fp8KVCacheDataTypeE1EhLi32ELi64ELi256ELb0ELi16EEvPKT_PKT0_S7_ifPKiS9_S9_iPKfiiiPfSC_PS2_PT2_iSB_SB_.uses_flat_scratch, or(0, .L__assert_fail.uses_flat_scratch)
	.set _Z39paged_attention_ll4mi_QKV_mfma16_kernelIDF16_hLN4vllm18Fp8KVCacheDataTypeE1EhLi32ELi64ELi256ELb0ELi16EEvPKT_PKT0_S7_ifPKiS9_S9_iPKfiiiPfSC_PS2_PT2_iSB_SB_.has_dyn_sized_stack, or(0, .L__assert_fail.has_dyn_sized_stack)
	.set _Z39paged_attention_ll4mi_QKV_mfma16_kernelIDF16_hLN4vllm18Fp8KVCacheDataTypeE1EhLi32ELi64ELi256ELb0ELi16EEvPKT_PKT0_S7_ifPKiS9_S9_iPKfiiiPfSC_PS2_PT2_iSB_SB_.has_recursion, or(0, .L__assert_fail.has_recursion)
	.set _Z39paged_attention_ll4mi_QKV_mfma16_kernelIDF16_hLN4vllm18Fp8KVCacheDataTypeE1EhLi32ELi64ELi256ELb0ELi16EEvPKT_PKT0_S7_ifPKiS9_S9_iPKfiiiPfSC_PS2_PT2_iSB_SB_.has_indirect_call, or(0, .L__assert_fail.has_indirect_call)
	.section	.AMDGPU.csdata,"",@progbits
; Kernel info:
; codeLenInByte = 68
; TotalNumSgprs: 36
; NumVgprs: 51
; ScratchSize: 64
; MemoryBound: 0
; FloatMode: 240
; IeeeMode: 1
; LDSByteSize: 0 bytes/workgroup (compile time only)
; SGPRBlocks: 0
; VGPRBlocks: 3
; NumSGPRsForWavesPerEU: 36
; NumVGPRsForWavesPerEU: 51
; NamedBarCnt: 0
; Occupancy: 16
; WaveLimiterHint : 1
; COMPUTE_PGM_RSRC2:SCRATCH_EN: 1
; COMPUTE_PGM_RSRC2:USER_SGPR: 2
; COMPUTE_PGM_RSRC2:TRAP_HANDLER: 0
; COMPUTE_PGM_RSRC2:TGID_X_EN: 1
; COMPUTE_PGM_RSRC2:TGID_Y_EN: 0
; COMPUTE_PGM_RSRC2:TGID_Z_EN: 0
; COMPUTE_PGM_RSRC2:TIDIG_COMP_CNT: 0
	.section	.text._Z39paged_attention_ll4mi_QKV_mfma16_kernelIDF16_hLN4vllm18Fp8KVCacheDataTypeE1EhLi32ELi64ELi256ELb0ELi1EEvPKT_PKT0_S7_ifPKiS9_S9_iPKfiiiPfSC_PS2_PT2_iSB_SB_,"axG",@progbits,_Z39paged_attention_ll4mi_QKV_mfma16_kernelIDF16_hLN4vllm18Fp8KVCacheDataTypeE1EhLi32ELi64ELi256ELb0ELi1EEvPKT_PKT0_S7_ifPKiS9_S9_iPKfiiiPfSC_PS2_PT2_iSB_SB_,comdat
	.protected	_Z39paged_attention_ll4mi_QKV_mfma16_kernelIDF16_hLN4vllm18Fp8KVCacheDataTypeE1EhLi32ELi64ELi256ELb0ELi1EEvPKT_PKT0_S7_ifPKiS9_S9_iPKfiiiPfSC_PS2_PT2_iSB_SB_ ; -- Begin function _Z39paged_attention_ll4mi_QKV_mfma16_kernelIDF16_hLN4vllm18Fp8KVCacheDataTypeE1EhLi32ELi64ELi256ELb0ELi1EEvPKT_PKT0_S7_ifPKiS9_S9_iPKfiiiPfSC_PS2_PT2_iSB_SB_
	.globl	_Z39paged_attention_ll4mi_QKV_mfma16_kernelIDF16_hLN4vllm18Fp8KVCacheDataTypeE1EhLi32ELi64ELi256ELb0ELi1EEvPKT_PKT0_S7_ifPKiS9_S9_iPKfiiiPfSC_PS2_PT2_iSB_SB_
	.p2align	8
	.type	_Z39paged_attention_ll4mi_QKV_mfma16_kernelIDF16_hLN4vllm18Fp8KVCacheDataTypeE1EhLi32ELi64ELi256ELb0ELi1EEvPKT_PKT0_S7_ifPKiS9_S9_iPKfiiiPfSC_PS2_PT2_iSB_SB_,@function
_Z39paged_attention_ll4mi_QKV_mfma16_kernelIDF16_hLN4vllm18Fp8KVCacheDataTypeE1EhLi32ELi64ELi256ELb0ELi1EEvPKT_PKT0_S7_ifPKiS9_S9_iPKfiiiPfSC_PS2_PT2_iSB_SB_: ; @_Z39paged_attention_ll4mi_QKV_mfma16_kernelIDF16_hLN4vllm18Fp8KVCacheDataTypeE1EhLi32ELi64ELi256ELb0ELi1EEvPKT_PKT0_S7_ifPKiS9_S9_iPKfiiiPfSC_PS2_PT2_iSB_SB_
; %bb.0:
	s_get_pc_i64 s[2:3]
	s_add_nc_u64 s[2:3], s[2:3], __PRETTY_FUNCTION__._Z39paged_attention_ll4mi_QKV_mfma16_kernelIDF16_hLN4vllm18Fp8KVCacheDataTypeE1EhLi32ELi64ELi256ELb0ELi1EEvPKT_PKT0_S7_ifPKiS9_S9_iPKfiiiPfSC_PS2_PT2_iSB_SB_@rel64+4
	s_delay_alu instid0(SALU_CYCLE_1)
	v_dual_mov_b32 v0, 0xbb3 :: v_dual_mov_b32 v1, s2
	v_mov_b32_e32 v2, s3
	s_add_nc_u64 s[8:9], s[0:1], 0x90
	s_get_pc_i64 s[0:1]
	s_add_nc_u64 s[0:1], s[0:1], __assert_fail@rel64+4
	s_mov_b32 s32, 0
	s_swap_pc_i64 s[30:31], s[0:1]
	.section	.rodata,"a",@progbits
	.p2align	6, 0x0
	.amdhsa_kernel _Z39paged_attention_ll4mi_QKV_mfma16_kernelIDF16_hLN4vllm18Fp8KVCacheDataTypeE1EhLi32ELi64ELi256ELb0ELi1EEvPKT_PKT0_S7_ifPKiS9_S9_iPKfiiiPfSC_PS2_PT2_iSB_SB_
		.amdhsa_group_segment_fixed_size 0
		.amdhsa_private_segment_fixed_size 64
		.amdhsa_kernarg_size 400
		.amdhsa_user_sgpr_count 2
		.amdhsa_user_sgpr_dispatch_ptr 0
		.amdhsa_user_sgpr_queue_ptr 0
		.amdhsa_user_sgpr_kernarg_segment_ptr 1
		.amdhsa_user_sgpr_dispatch_id 0
		.amdhsa_user_sgpr_kernarg_preload_length 0
		.amdhsa_user_sgpr_kernarg_preload_offset 0
		.amdhsa_user_sgpr_private_segment_size 0
		.amdhsa_wavefront_size32 1
		.amdhsa_uses_dynamic_stack 0
		.amdhsa_enable_private_segment 1
		.amdhsa_system_sgpr_workgroup_id_x 1
		.amdhsa_system_sgpr_workgroup_id_y 0
		.amdhsa_system_sgpr_workgroup_id_z 0
		.amdhsa_system_sgpr_workgroup_info 0
		.amdhsa_system_vgpr_workitem_id 0
		.amdhsa_next_free_vgpr 51
		.amdhsa_next_free_sgpr 34
		.amdhsa_named_barrier_count 0
		.amdhsa_reserve_vcc 1
		.amdhsa_float_round_mode_32 0
		.amdhsa_float_round_mode_16_64 0
		.amdhsa_float_denorm_mode_32 3
		.amdhsa_float_denorm_mode_16_64 3
		.amdhsa_fp16_overflow 0
		.amdhsa_memory_ordered 1
		.amdhsa_forward_progress 1
		.amdhsa_inst_pref_size 1
		.amdhsa_round_robin_scheduling 0
		.amdhsa_exception_fp_ieee_invalid_op 0
		.amdhsa_exception_fp_denorm_src 0
		.amdhsa_exception_fp_ieee_div_zero 0
		.amdhsa_exception_fp_ieee_overflow 0
		.amdhsa_exception_fp_ieee_underflow 0
		.amdhsa_exception_fp_ieee_inexact 0
		.amdhsa_exception_int_div_zero 0
	.end_amdhsa_kernel
	.section	.text._Z39paged_attention_ll4mi_QKV_mfma16_kernelIDF16_hLN4vllm18Fp8KVCacheDataTypeE1EhLi32ELi64ELi256ELb0ELi1EEvPKT_PKT0_S7_ifPKiS9_S9_iPKfiiiPfSC_PS2_PT2_iSB_SB_,"axG",@progbits,_Z39paged_attention_ll4mi_QKV_mfma16_kernelIDF16_hLN4vllm18Fp8KVCacheDataTypeE1EhLi32ELi64ELi256ELb0ELi1EEvPKT_PKT0_S7_ifPKiS9_S9_iPKfiiiPfSC_PS2_PT2_iSB_SB_,comdat
.Lfunc_end886:
	.size	_Z39paged_attention_ll4mi_QKV_mfma16_kernelIDF16_hLN4vllm18Fp8KVCacheDataTypeE1EhLi32ELi64ELi256ELb0ELi1EEvPKT_PKT0_S7_ifPKiS9_S9_iPKfiiiPfSC_PS2_PT2_iSB_SB_, .Lfunc_end886-_Z39paged_attention_ll4mi_QKV_mfma16_kernelIDF16_hLN4vllm18Fp8KVCacheDataTypeE1EhLi32ELi64ELi256ELb0ELi1EEvPKT_PKT0_S7_ifPKiS9_S9_iPKfiiiPfSC_PS2_PT2_iSB_SB_
                                        ; -- End function
	.set _Z39paged_attention_ll4mi_QKV_mfma16_kernelIDF16_hLN4vllm18Fp8KVCacheDataTypeE1EhLi32ELi64ELi256ELb0ELi1EEvPKT_PKT0_S7_ifPKiS9_S9_iPKfiiiPfSC_PS2_PT2_iSB_SB_.num_vgpr, max(3, .L__assert_fail.num_vgpr)
	.set _Z39paged_attention_ll4mi_QKV_mfma16_kernelIDF16_hLN4vllm18Fp8KVCacheDataTypeE1EhLi32ELi64ELi256ELb0ELi1EEvPKT_PKT0_S7_ifPKiS9_S9_iPKfiiiPfSC_PS2_PT2_iSB_SB_.num_agpr, max(0, .L__assert_fail.num_agpr)
	.set _Z39paged_attention_ll4mi_QKV_mfma16_kernelIDF16_hLN4vllm18Fp8KVCacheDataTypeE1EhLi32ELi64ELi256ELb0ELi1EEvPKT_PKT0_S7_ifPKiS9_S9_iPKfiiiPfSC_PS2_PT2_iSB_SB_.numbered_sgpr, max(33, .L__assert_fail.numbered_sgpr)
	.set _Z39paged_attention_ll4mi_QKV_mfma16_kernelIDF16_hLN4vllm18Fp8KVCacheDataTypeE1EhLi32ELi64ELi256ELb0ELi1EEvPKT_PKT0_S7_ifPKiS9_S9_iPKfiiiPfSC_PS2_PT2_iSB_SB_.num_named_barrier, max(0, .L__assert_fail.num_named_barrier)
	.set _Z39paged_attention_ll4mi_QKV_mfma16_kernelIDF16_hLN4vllm18Fp8KVCacheDataTypeE1EhLi32ELi64ELi256ELb0ELi1EEvPKT_PKT0_S7_ifPKiS9_S9_iPKfiiiPfSC_PS2_PT2_iSB_SB_.private_seg_size, 0+max(.L__assert_fail.private_seg_size)
	.set _Z39paged_attention_ll4mi_QKV_mfma16_kernelIDF16_hLN4vllm18Fp8KVCacheDataTypeE1EhLi32ELi64ELi256ELb0ELi1EEvPKT_PKT0_S7_ifPKiS9_S9_iPKfiiiPfSC_PS2_PT2_iSB_SB_.uses_vcc, or(1, .L__assert_fail.uses_vcc)
	.set _Z39paged_attention_ll4mi_QKV_mfma16_kernelIDF16_hLN4vllm18Fp8KVCacheDataTypeE1EhLi32ELi64ELi256ELb0ELi1EEvPKT_PKT0_S7_ifPKiS9_S9_iPKfiiiPfSC_PS2_PT2_iSB_SB_.uses_flat_scratch, or(0, .L__assert_fail.uses_flat_scratch)
	.set _Z39paged_attention_ll4mi_QKV_mfma16_kernelIDF16_hLN4vllm18Fp8KVCacheDataTypeE1EhLi32ELi64ELi256ELb0ELi1EEvPKT_PKT0_S7_ifPKiS9_S9_iPKfiiiPfSC_PS2_PT2_iSB_SB_.has_dyn_sized_stack, or(0, .L__assert_fail.has_dyn_sized_stack)
	.set _Z39paged_attention_ll4mi_QKV_mfma16_kernelIDF16_hLN4vllm18Fp8KVCacheDataTypeE1EhLi32ELi64ELi256ELb0ELi1EEvPKT_PKT0_S7_ifPKiS9_S9_iPKfiiiPfSC_PS2_PT2_iSB_SB_.has_recursion, or(0, .L__assert_fail.has_recursion)
	.set _Z39paged_attention_ll4mi_QKV_mfma16_kernelIDF16_hLN4vllm18Fp8KVCacheDataTypeE1EhLi32ELi64ELi256ELb0ELi1EEvPKT_PKT0_S7_ifPKiS9_S9_iPKfiiiPfSC_PS2_PT2_iSB_SB_.has_indirect_call, or(0, .L__assert_fail.has_indirect_call)
	.section	.AMDGPU.csdata,"",@progbits
; Kernel info:
; codeLenInByte = 68
; TotalNumSgprs: 36
; NumVgprs: 51
; ScratchSize: 64
; MemoryBound: 0
; FloatMode: 240
; IeeeMode: 1
; LDSByteSize: 0 bytes/workgroup (compile time only)
; SGPRBlocks: 0
; VGPRBlocks: 3
; NumSGPRsForWavesPerEU: 36
; NumVGPRsForWavesPerEU: 51
; NamedBarCnt: 0
; Occupancy: 16
; WaveLimiterHint : 1
; COMPUTE_PGM_RSRC2:SCRATCH_EN: 1
; COMPUTE_PGM_RSRC2:USER_SGPR: 2
; COMPUTE_PGM_RSRC2:TRAP_HANDLER: 0
; COMPUTE_PGM_RSRC2:TGID_X_EN: 1
; COMPUTE_PGM_RSRC2:TGID_Y_EN: 0
; COMPUTE_PGM_RSRC2:TGID_Z_EN: 0
; COMPUTE_PGM_RSRC2:TIDIG_COMP_CNT: 0
	.section	.text._Z39paged_attention_ll4mi_QKV_mfma16_kernelIDF16_hLN4vllm18Fp8KVCacheDataTypeE1EhLi32ELi64ELi256ELb0ELi2EEvPKT_PKT0_S7_ifPKiS9_S9_iPKfiiiPfSC_PS2_PT2_iSB_SB_,"axG",@progbits,_Z39paged_attention_ll4mi_QKV_mfma16_kernelIDF16_hLN4vllm18Fp8KVCacheDataTypeE1EhLi32ELi64ELi256ELb0ELi2EEvPKT_PKT0_S7_ifPKiS9_S9_iPKfiiiPfSC_PS2_PT2_iSB_SB_,comdat
	.protected	_Z39paged_attention_ll4mi_QKV_mfma16_kernelIDF16_hLN4vllm18Fp8KVCacheDataTypeE1EhLi32ELi64ELi256ELb0ELi2EEvPKT_PKT0_S7_ifPKiS9_S9_iPKfiiiPfSC_PS2_PT2_iSB_SB_ ; -- Begin function _Z39paged_attention_ll4mi_QKV_mfma16_kernelIDF16_hLN4vllm18Fp8KVCacheDataTypeE1EhLi32ELi64ELi256ELb0ELi2EEvPKT_PKT0_S7_ifPKiS9_S9_iPKfiiiPfSC_PS2_PT2_iSB_SB_
	.globl	_Z39paged_attention_ll4mi_QKV_mfma16_kernelIDF16_hLN4vllm18Fp8KVCacheDataTypeE1EhLi32ELi64ELi256ELb0ELi2EEvPKT_PKT0_S7_ifPKiS9_S9_iPKfiiiPfSC_PS2_PT2_iSB_SB_
	.p2align	8
	.type	_Z39paged_attention_ll4mi_QKV_mfma16_kernelIDF16_hLN4vllm18Fp8KVCacheDataTypeE1EhLi32ELi64ELi256ELb0ELi2EEvPKT_PKT0_S7_ifPKiS9_S9_iPKfiiiPfSC_PS2_PT2_iSB_SB_,@function
_Z39paged_attention_ll4mi_QKV_mfma16_kernelIDF16_hLN4vllm18Fp8KVCacheDataTypeE1EhLi32ELi64ELi256ELb0ELi2EEvPKT_PKT0_S7_ifPKiS9_S9_iPKfiiiPfSC_PS2_PT2_iSB_SB_: ; @_Z39paged_attention_ll4mi_QKV_mfma16_kernelIDF16_hLN4vllm18Fp8KVCacheDataTypeE1EhLi32ELi64ELi256ELb0ELi2EEvPKT_PKT0_S7_ifPKiS9_S9_iPKfiiiPfSC_PS2_PT2_iSB_SB_
; %bb.0:
	s_get_pc_i64 s[2:3]
	s_add_nc_u64 s[2:3], s[2:3], __PRETTY_FUNCTION__._Z39paged_attention_ll4mi_QKV_mfma16_kernelIDF16_hLN4vllm18Fp8KVCacheDataTypeE1EhLi32ELi64ELi256ELb0ELi2EEvPKT_PKT0_S7_ifPKiS9_S9_iPKfiiiPfSC_PS2_PT2_iSB_SB_@rel64+4
	s_delay_alu instid0(SALU_CYCLE_1)
	v_dual_mov_b32 v0, 0xbb3 :: v_dual_mov_b32 v1, s2
	v_mov_b32_e32 v2, s3
	s_add_nc_u64 s[8:9], s[0:1], 0x90
	s_get_pc_i64 s[0:1]
	s_add_nc_u64 s[0:1], s[0:1], __assert_fail@rel64+4
	s_mov_b32 s32, 0
	s_swap_pc_i64 s[30:31], s[0:1]
	.section	.rodata,"a",@progbits
	.p2align	6, 0x0
	.amdhsa_kernel _Z39paged_attention_ll4mi_QKV_mfma16_kernelIDF16_hLN4vllm18Fp8KVCacheDataTypeE1EhLi32ELi64ELi256ELb0ELi2EEvPKT_PKT0_S7_ifPKiS9_S9_iPKfiiiPfSC_PS2_PT2_iSB_SB_
		.amdhsa_group_segment_fixed_size 0
		.amdhsa_private_segment_fixed_size 64
		.amdhsa_kernarg_size 400
		.amdhsa_user_sgpr_count 2
		.amdhsa_user_sgpr_dispatch_ptr 0
		.amdhsa_user_sgpr_queue_ptr 0
		.amdhsa_user_sgpr_kernarg_segment_ptr 1
		.amdhsa_user_sgpr_dispatch_id 0
		.amdhsa_user_sgpr_kernarg_preload_length 0
		.amdhsa_user_sgpr_kernarg_preload_offset 0
		.amdhsa_user_sgpr_private_segment_size 0
		.amdhsa_wavefront_size32 1
		.amdhsa_uses_dynamic_stack 0
		.amdhsa_enable_private_segment 1
		.amdhsa_system_sgpr_workgroup_id_x 1
		.amdhsa_system_sgpr_workgroup_id_y 0
		.amdhsa_system_sgpr_workgroup_id_z 0
		.amdhsa_system_sgpr_workgroup_info 0
		.amdhsa_system_vgpr_workitem_id 0
		.amdhsa_next_free_vgpr 51
		.amdhsa_next_free_sgpr 34
		.amdhsa_named_barrier_count 0
		.amdhsa_reserve_vcc 1
		.amdhsa_float_round_mode_32 0
		.amdhsa_float_round_mode_16_64 0
		.amdhsa_float_denorm_mode_32 3
		.amdhsa_float_denorm_mode_16_64 3
		.amdhsa_fp16_overflow 0
		.amdhsa_memory_ordered 1
		.amdhsa_forward_progress 1
		.amdhsa_inst_pref_size 1
		.amdhsa_round_robin_scheduling 0
		.amdhsa_exception_fp_ieee_invalid_op 0
		.amdhsa_exception_fp_denorm_src 0
		.amdhsa_exception_fp_ieee_div_zero 0
		.amdhsa_exception_fp_ieee_overflow 0
		.amdhsa_exception_fp_ieee_underflow 0
		.amdhsa_exception_fp_ieee_inexact 0
		.amdhsa_exception_int_div_zero 0
	.end_amdhsa_kernel
	.section	.text._Z39paged_attention_ll4mi_QKV_mfma16_kernelIDF16_hLN4vllm18Fp8KVCacheDataTypeE1EhLi32ELi64ELi256ELb0ELi2EEvPKT_PKT0_S7_ifPKiS9_S9_iPKfiiiPfSC_PS2_PT2_iSB_SB_,"axG",@progbits,_Z39paged_attention_ll4mi_QKV_mfma16_kernelIDF16_hLN4vllm18Fp8KVCacheDataTypeE1EhLi32ELi64ELi256ELb0ELi2EEvPKT_PKT0_S7_ifPKiS9_S9_iPKfiiiPfSC_PS2_PT2_iSB_SB_,comdat
.Lfunc_end887:
	.size	_Z39paged_attention_ll4mi_QKV_mfma16_kernelIDF16_hLN4vllm18Fp8KVCacheDataTypeE1EhLi32ELi64ELi256ELb0ELi2EEvPKT_PKT0_S7_ifPKiS9_S9_iPKfiiiPfSC_PS2_PT2_iSB_SB_, .Lfunc_end887-_Z39paged_attention_ll4mi_QKV_mfma16_kernelIDF16_hLN4vllm18Fp8KVCacheDataTypeE1EhLi32ELi64ELi256ELb0ELi2EEvPKT_PKT0_S7_ifPKiS9_S9_iPKfiiiPfSC_PS2_PT2_iSB_SB_
                                        ; -- End function
	.set _Z39paged_attention_ll4mi_QKV_mfma16_kernelIDF16_hLN4vllm18Fp8KVCacheDataTypeE1EhLi32ELi64ELi256ELb0ELi2EEvPKT_PKT0_S7_ifPKiS9_S9_iPKfiiiPfSC_PS2_PT2_iSB_SB_.num_vgpr, max(3, .L__assert_fail.num_vgpr)
	.set _Z39paged_attention_ll4mi_QKV_mfma16_kernelIDF16_hLN4vllm18Fp8KVCacheDataTypeE1EhLi32ELi64ELi256ELb0ELi2EEvPKT_PKT0_S7_ifPKiS9_S9_iPKfiiiPfSC_PS2_PT2_iSB_SB_.num_agpr, max(0, .L__assert_fail.num_agpr)
	.set _Z39paged_attention_ll4mi_QKV_mfma16_kernelIDF16_hLN4vllm18Fp8KVCacheDataTypeE1EhLi32ELi64ELi256ELb0ELi2EEvPKT_PKT0_S7_ifPKiS9_S9_iPKfiiiPfSC_PS2_PT2_iSB_SB_.numbered_sgpr, max(33, .L__assert_fail.numbered_sgpr)
	.set _Z39paged_attention_ll4mi_QKV_mfma16_kernelIDF16_hLN4vllm18Fp8KVCacheDataTypeE1EhLi32ELi64ELi256ELb0ELi2EEvPKT_PKT0_S7_ifPKiS9_S9_iPKfiiiPfSC_PS2_PT2_iSB_SB_.num_named_barrier, max(0, .L__assert_fail.num_named_barrier)
	.set _Z39paged_attention_ll4mi_QKV_mfma16_kernelIDF16_hLN4vllm18Fp8KVCacheDataTypeE1EhLi32ELi64ELi256ELb0ELi2EEvPKT_PKT0_S7_ifPKiS9_S9_iPKfiiiPfSC_PS2_PT2_iSB_SB_.private_seg_size, 0+max(.L__assert_fail.private_seg_size)
	.set _Z39paged_attention_ll4mi_QKV_mfma16_kernelIDF16_hLN4vllm18Fp8KVCacheDataTypeE1EhLi32ELi64ELi256ELb0ELi2EEvPKT_PKT0_S7_ifPKiS9_S9_iPKfiiiPfSC_PS2_PT2_iSB_SB_.uses_vcc, or(1, .L__assert_fail.uses_vcc)
	.set _Z39paged_attention_ll4mi_QKV_mfma16_kernelIDF16_hLN4vllm18Fp8KVCacheDataTypeE1EhLi32ELi64ELi256ELb0ELi2EEvPKT_PKT0_S7_ifPKiS9_S9_iPKfiiiPfSC_PS2_PT2_iSB_SB_.uses_flat_scratch, or(0, .L__assert_fail.uses_flat_scratch)
	.set _Z39paged_attention_ll4mi_QKV_mfma16_kernelIDF16_hLN4vllm18Fp8KVCacheDataTypeE1EhLi32ELi64ELi256ELb0ELi2EEvPKT_PKT0_S7_ifPKiS9_S9_iPKfiiiPfSC_PS2_PT2_iSB_SB_.has_dyn_sized_stack, or(0, .L__assert_fail.has_dyn_sized_stack)
	.set _Z39paged_attention_ll4mi_QKV_mfma16_kernelIDF16_hLN4vllm18Fp8KVCacheDataTypeE1EhLi32ELi64ELi256ELb0ELi2EEvPKT_PKT0_S7_ifPKiS9_S9_iPKfiiiPfSC_PS2_PT2_iSB_SB_.has_recursion, or(0, .L__assert_fail.has_recursion)
	.set _Z39paged_attention_ll4mi_QKV_mfma16_kernelIDF16_hLN4vllm18Fp8KVCacheDataTypeE1EhLi32ELi64ELi256ELb0ELi2EEvPKT_PKT0_S7_ifPKiS9_S9_iPKfiiiPfSC_PS2_PT2_iSB_SB_.has_indirect_call, or(0, .L__assert_fail.has_indirect_call)
	.section	.AMDGPU.csdata,"",@progbits
; Kernel info:
; codeLenInByte = 68
; TotalNumSgprs: 36
; NumVgprs: 51
; ScratchSize: 64
; MemoryBound: 0
; FloatMode: 240
; IeeeMode: 1
; LDSByteSize: 0 bytes/workgroup (compile time only)
; SGPRBlocks: 0
; VGPRBlocks: 3
; NumSGPRsForWavesPerEU: 36
; NumVGPRsForWavesPerEU: 51
; NamedBarCnt: 0
; Occupancy: 16
; WaveLimiterHint : 1
; COMPUTE_PGM_RSRC2:SCRATCH_EN: 1
; COMPUTE_PGM_RSRC2:USER_SGPR: 2
; COMPUTE_PGM_RSRC2:TRAP_HANDLER: 0
; COMPUTE_PGM_RSRC2:TGID_X_EN: 1
; COMPUTE_PGM_RSRC2:TGID_Y_EN: 0
; COMPUTE_PGM_RSRC2:TGID_Z_EN: 0
; COMPUTE_PGM_RSRC2:TIDIG_COMP_CNT: 0
	.section	.text._Z39paged_attention_ll4mi_QKV_mfma16_kernelIDF16_hLN4vllm18Fp8KVCacheDataTypeE1EhLi32ELi64ELi256ELb0ELi3EEvPKT_PKT0_S7_ifPKiS9_S9_iPKfiiiPfSC_PS2_PT2_iSB_SB_,"axG",@progbits,_Z39paged_attention_ll4mi_QKV_mfma16_kernelIDF16_hLN4vllm18Fp8KVCacheDataTypeE1EhLi32ELi64ELi256ELb0ELi3EEvPKT_PKT0_S7_ifPKiS9_S9_iPKfiiiPfSC_PS2_PT2_iSB_SB_,comdat
	.protected	_Z39paged_attention_ll4mi_QKV_mfma16_kernelIDF16_hLN4vllm18Fp8KVCacheDataTypeE1EhLi32ELi64ELi256ELb0ELi3EEvPKT_PKT0_S7_ifPKiS9_S9_iPKfiiiPfSC_PS2_PT2_iSB_SB_ ; -- Begin function _Z39paged_attention_ll4mi_QKV_mfma16_kernelIDF16_hLN4vllm18Fp8KVCacheDataTypeE1EhLi32ELi64ELi256ELb0ELi3EEvPKT_PKT0_S7_ifPKiS9_S9_iPKfiiiPfSC_PS2_PT2_iSB_SB_
	.globl	_Z39paged_attention_ll4mi_QKV_mfma16_kernelIDF16_hLN4vllm18Fp8KVCacheDataTypeE1EhLi32ELi64ELi256ELb0ELi3EEvPKT_PKT0_S7_ifPKiS9_S9_iPKfiiiPfSC_PS2_PT2_iSB_SB_
	.p2align	8
	.type	_Z39paged_attention_ll4mi_QKV_mfma16_kernelIDF16_hLN4vllm18Fp8KVCacheDataTypeE1EhLi32ELi64ELi256ELb0ELi3EEvPKT_PKT0_S7_ifPKiS9_S9_iPKfiiiPfSC_PS2_PT2_iSB_SB_,@function
_Z39paged_attention_ll4mi_QKV_mfma16_kernelIDF16_hLN4vllm18Fp8KVCacheDataTypeE1EhLi32ELi64ELi256ELb0ELi3EEvPKT_PKT0_S7_ifPKiS9_S9_iPKfiiiPfSC_PS2_PT2_iSB_SB_: ; @_Z39paged_attention_ll4mi_QKV_mfma16_kernelIDF16_hLN4vllm18Fp8KVCacheDataTypeE1EhLi32ELi64ELi256ELb0ELi3EEvPKT_PKT0_S7_ifPKiS9_S9_iPKfiiiPfSC_PS2_PT2_iSB_SB_
; %bb.0:
	s_get_pc_i64 s[2:3]
	s_add_nc_u64 s[2:3], s[2:3], __PRETTY_FUNCTION__._Z39paged_attention_ll4mi_QKV_mfma16_kernelIDF16_hLN4vllm18Fp8KVCacheDataTypeE1EhLi32ELi64ELi256ELb0ELi3EEvPKT_PKT0_S7_ifPKiS9_S9_iPKfiiiPfSC_PS2_PT2_iSB_SB_@rel64+4
	s_delay_alu instid0(SALU_CYCLE_1)
	v_dual_mov_b32 v0, 0xbb3 :: v_dual_mov_b32 v1, s2
	v_mov_b32_e32 v2, s3
	s_add_nc_u64 s[8:9], s[0:1], 0x90
	s_get_pc_i64 s[0:1]
	s_add_nc_u64 s[0:1], s[0:1], __assert_fail@rel64+4
	s_mov_b32 s32, 0
	s_swap_pc_i64 s[30:31], s[0:1]
	.section	.rodata,"a",@progbits
	.p2align	6, 0x0
	.amdhsa_kernel _Z39paged_attention_ll4mi_QKV_mfma16_kernelIDF16_hLN4vllm18Fp8KVCacheDataTypeE1EhLi32ELi64ELi256ELb0ELi3EEvPKT_PKT0_S7_ifPKiS9_S9_iPKfiiiPfSC_PS2_PT2_iSB_SB_
		.amdhsa_group_segment_fixed_size 0
		.amdhsa_private_segment_fixed_size 64
		.amdhsa_kernarg_size 400
		.amdhsa_user_sgpr_count 2
		.amdhsa_user_sgpr_dispatch_ptr 0
		.amdhsa_user_sgpr_queue_ptr 0
		.amdhsa_user_sgpr_kernarg_segment_ptr 1
		.amdhsa_user_sgpr_dispatch_id 0
		.amdhsa_user_sgpr_kernarg_preload_length 0
		.amdhsa_user_sgpr_kernarg_preload_offset 0
		.amdhsa_user_sgpr_private_segment_size 0
		.amdhsa_wavefront_size32 1
		.amdhsa_uses_dynamic_stack 0
		.amdhsa_enable_private_segment 1
		.amdhsa_system_sgpr_workgroup_id_x 1
		.amdhsa_system_sgpr_workgroup_id_y 0
		.amdhsa_system_sgpr_workgroup_id_z 0
		.amdhsa_system_sgpr_workgroup_info 0
		.amdhsa_system_vgpr_workitem_id 0
		.amdhsa_next_free_vgpr 51
		.amdhsa_next_free_sgpr 34
		.amdhsa_named_barrier_count 0
		.amdhsa_reserve_vcc 1
		.amdhsa_float_round_mode_32 0
		.amdhsa_float_round_mode_16_64 0
		.amdhsa_float_denorm_mode_32 3
		.amdhsa_float_denorm_mode_16_64 3
		.amdhsa_fp16_overflow 0
		.amdhsa_memory_ordered 1
		.amdhsa_forward_progress 1
		.amdhsa_inst_pref_size 1
		.amdhsa_round_robin_scheduling 0
		.amdhsa_exception_fp_ieee_invalid_op 0
		.amdhsa_exception_fp_denorm_src 0
		.amdhsa_exception_fp_ieee_div_zero 0
		.amdhsa_exception_fp_ieee_overflow 0
		.amdhsa_exception_fp_ieee_underflow 0
		.amdhsa_exception_fp_ieee_inexact 0
		.amdhsa_exception_int_div_zero 0
	.end_amdhsa_kernel
	.section	.text._Z39paged_attention_ll4mi_QKV_mfma16_kernelIDF16_hLN4vllm18Fp8KVCacheDataTypeE1EhLi32ELi64ELi256ELb0ELi3EEvPKT_PKT0_S7_ifPKiS9_S9_iPKfiiiPfSC_PS2_PT2_iSB_SB_,"axG",@progbits,_Z39paged_attention_ll4mi_QKV_mfma16_kernelIDF16_hLN4vllm18Fp8KVCacheDataTypeE1EhLi32ELi64ELi256ELb0ELi3EEvPKT_PKT0_S7_ifPKiS9_S9_iPKfiiiPfSC_PS2_PT2_iSB_SB_,comdat
.Lfunc_end888:
	.size	_Z39paged_attention_ll4mi_QKV_mfma16_kernelIDF16_hLN4vllm18Fp8KVCacheDataTypeE1EhLi32ELi64ELi256ELb0ELi3EEvPKT_PKT0_S7_ifPKiS9_S9_iPKfiiiPfSC_PS2_PT2_iSB_SB_, .Lfunc_end888-_Z39paged_attention_ll4mi_QKV_mfma16_kernelIDF16_hLN4vllm18Fp8KVCacheDataTypeE1EhLi32ELi64ELi256ELb0ELi3EEvPKT_PKT0_S7_ifPKiS9_S9_iPKfiiiPfSC_PS2_PT2_iSB_SB_
                                        ; -- End function
	.set _Z39paged_attention_ll4mi_QKV_mfma16_kernelIDF16_hLN4vllm18Fp8KVCacheDataTypeE1EhLi32ELi64ELi256ELb0ELi3EEvPKT_PKT0_S7_ifPKiS9_S9_iPKfiiiPfSC_PS2_PT2_iSB_SB_.num_vgpr, max(3, .L__assert_fail.num_vgpr)
	.set _Z39paged_attention_ll4mi_QKV_mfma16_kernelIDF16_hLN4vllm18Fp8KVCacheDataTypeE1EhLi32ELi64ELi256ELb0ELi3EEvPKT_PKT0_S7_ifPKiS9_S9_iPKfiiiPfSC_PS2_PT2_iSB_SB_.num_agpr, max(0, .L__assert_fail.num_agpr)
	.set _Z39paged_attention_ll4mi_QKV_mfma16_kernelIDF16_hLN4vllm18Fp8KVCacheDataTypeE1EhLi32ELi64ELi256ELb0ELi3EEvPKT_PKT0_S7_ifPKiS9_S9_iPKfiiiPfSC_PS2_PT2_iSB_SB_.numbered_sgpr, max(33, .L__assert_fail.numbered_sgpr)
	.set _Z39paged_attention_ll4mi_QKV_mfma16_kernelIDF16_hLN4vllm18Fp8KVCacheDataTypeE1EhLi32ELi64ELi256ELb0ELi3EEvPKT_PKT0_S7_ifPKiS9_S9_iPKfiiiPfSC_PS2_PT2_iSB_SB_.num_named_barrier, max(0, .L__assert_fail.num_named_barrier)
	.set _Z39paged_attention_ll4mi_QKV_mfma16_kernelIDF16_hLN4vllm18Fp8KVCacheDataTypeE1EhLi32ELi64ELi256ELb0ELi3EEvPKT_PKT0_S7_ifPKiS9_S9_iPKfiiiPfSC_PS2_PT2_iSB_SB_.private_seg_size, 0+max(.L__assert_fail.private_seg_size)
	.set _Z39paged_attention_ll4mi_QKV_mfma16_kernelIDF16_hLN4vllm18Fp8KVCacheDataTypeE1EhLi32ELi64ELi256ELb0ELi3EEvPKT_PKT0_S7_ifPKiS9_S9_iPKfiiiPfSC_PS2_PT2_iSB_SB_.uses_vcc, or(1, .L__assert_fail.uses_vcc)
	.set _Z39paged_attention_ll4mi_QKV_mfma16_kernelIDF16_hLN4vllm18Fp8KVCacheDataTypeE1EhLi32ELi64ELi256ELb0ELi3EEvPKT_PKT0_S7_ifPKiS9_S9_iPKfiiiPfSC_PS2_PT2_iSB_SB_.uses_flat_scratch, or(0, .L__assert_fail.uses_flat_scratch)
	.set _Z39paged_attention_ll4mi_QKV_mfma16_kernelIDF16_hLN4vllm18Fp8KVCacheDataTypeE1EhLi32ELi64ELi256ELb0ELi3EEvPKT_PKT0_S7_ifPKiS9_S9_iPKfiiiPfSC_PS2_PT2_iSB_SB_.has_dyn_sized_stack, or(0, .L__assert_fail.has_dyn_sized_stack)
	.set _Z39paged_attention_ll4mi_QKV_mfma16_kernelIDF16_hLN4vllm18Fp8KVCacheDataTypeE1EhLi32ELi64ELi256ELb0ELi3EEvPKT_PKT0_S7_ifPKiS9_S9_iPKfiiiPfSC_PS2_PT2_iSB_SB_.has_recursion, or(0, .L__assert_fail.has_recursion)
	.set _Z39paged_attention_ll4mi_QKV_mfma16_kernelIDF16_hLN4vllm18Fp8KVCacheDataTypeE1EhLi32ELi64ELi256ELb0ELi3EEvPKT_PKT0_S7_ifPKiS9_S9_iPKfiiiPfSC_PS2_PT2_iSB_SB_.has_indirect_call, or(0, .L__assert_fail.has_indirect_call)
	.section	.AMDGPU.csdata,"",@progbits
; Kernel info:
; codeLenInByte = 68
; TotalNumSgprs: 36
; NumVgprs: 51
; ScratchSize: 64
; MemoryBound: 0
; FloatMode: 240
; IeeeMode: 1
; LDSByteSize: 0 bytes/workgroup (compile time only)
; SGPRBlocks: 0
; VGPRBlocks: 3
; NumSGPRsForWavesPerEU: 36
; NumVGPRsForWavesPerEU: 51
; NamedBarCnt: 0
; Occupancy: 16
; WaveLimiterHint : 1
; COMPUTE_PGM_RSRC2:SCRATCH_EN: 1
; COMPUTE_PGM_RSRC2:USER_SGPR: 2
; COMPUTE_PGM_RSRC2:TRAP_HANDLER: 0
; COMPUTE_PGM_RSRC2:TGID_X_EN: 1
; COMPUTE_PGM_RSRC2:TGID_Y_EN: 0
; COMPUTE_PGM_RSRC2:TGID_Z_EN: 0
; COMPUTE_PGM_RSRC2:TIDIG_COMP_CNT: 0
	.section	.text._Z39paged_attention_ll4mi_QKV_mfma16_kernelIDF16_hLN4vllm18Fp8KVCacheDataTypeE1EhLi32ELi64ELi256ELb0ELi4EEvPKT_PKT0_S7_ifPKiS9_S9_iPKfiiiPfSC_PS2_PT2_iSB_SB_,"axG",@progbits,_Z39paged_attention_ll4mi_QKV_mfma16_kernelIDF16_hLN4vllm18Fp8KVCacheDataTypeE1EhLi32ELi64ELi256ELb0ELi4EEvPKT_PKT0_S7_ifPKiS9_S9_iPKfiiiPfSC_PS2_PT2_iSB_SB_,comdat
	.protected	_Z39paged_attention_ll4mi_QKV_mfma16_kernelIDF16_hLN4vllm18Fp8KVCacheDataTypeE1EhLi32ELi64ELi256ELb0ELi4EEvPKT_PKT0_S7_ifPKiS9_S9_iPKfiiiPfSC_PS2_PT2_iSB_SB_ ; -- Begin function _Z39paged_attention_ll4mi_QKV_mfma16_kernelIDF16_hLN4vllm18Fp8KVCacheDataTypeE1EhLi32ELi64ELi256ELb0ELi4EEvPKT_PKT0_S7_ifPKiS9_S9_iPKfiiiPfSC_PS2_PT2_iSB_SB_
	.globl	_Z39paged_attention_ll4mi_QKV_mfma16_kernelIDF16_hLN4vllm18Fp8KVCacheDataTypeE1EhLi32ELi64ELi256ELb0ELi4EEvPKT_PKT0_S7_ifPKiS9_S9_iPKfiiiPfSC_PS2_PT2_iSB_SB_
	.p2align	8
	.type	_Z39paged_attention_ll4mi_QKV_mfma16_kernelIDF16_hLN4vllm18Fp8KVCacheDataTypeE1EhLi32ELi64ELi256ELb0ELi4EEvPKT_PKT0_S7_ifPKiS9_S9_iPKfiiiPfSC_PS2_PT2_iSB_SB_,@function
_Z39paged_attention_ll4mi_QKV_mfma16_kernelIDF16_hLN4vllm18Fp8KVCacheDataTypeE1EhLi32ELi64ELi256ELb0ELi4EEvPKT_PKT0_S7_ifPKiS9_S9_iPKfiiiPfSC_PS2_PT2_iSB_SB_: ; @_Z39paged_attention_ll4mi_QKV_mfma16_kernelIDF16_hLN4vllm18Fp8KVCacheDataTypeE1EhLi32ELi64ELi256ELb0ELi4EEvPKT_PKT0_S7_ifPKiS9_S9_iPKfiiiPfSC_PS2_PT2_iSB_SB_
; %bb.0:
	s_get_pc_i64 s[2:3]
	s_add_nc_u64 s[2:3], s[2:3], __PRETTY_FUNCTION__._Z39paged_attention_ll4mi_QKV_mfma16_kernelIDF16_hLN4vllm18Fp8KVCacheDataTypeE1EhLi32ELi64ELi256ELb0ELi4EEvPKT_PKT0_S7_ifPKiS9_S9_iPKfiiiPfSC_PS2_PT2_iSB_SB_@rel64+4
	s_delay_alu instid0(SALU_CYCLE_1)
	v_dual_mov_b32 v0, 0xbb3 :: v_dual_mov_b32 v1, s2
	v_mov_b32_e32 v2, s3
	s_add_nc_u64 s[8:9], s[0:1], 0x90
	s_get_pc_i64 s[0:1]
	s_add_nc_u64 s[0:1], s[0:1], __assert_fail@rel64+4
	s_mov_b32 s32, 0
	s_swap_pc_i64 s[30:31], s[0:1]
	.section	.rodata,"a",@progbits
	.p2align	6, 0x0
	.amdhsa_kernel _Z39paged_attention_ll4mi_QKV_mfma16_kernelIDF16_hLN4vllm18Fp8KVCacheDataTypeE1EhLi32ELi64ELi256ELb0ELi4EEvPKT_PKT0_S7_ifPKiS9_S9_iPKfiiiPfSC_PS2_PT2_iSB_SB_
		.amdhsa_group_segment_fixed_size 0
		.amdhsa_private_segment_fixed_size 64
		.amdhsa_kernarg_size 400
		.amdhsa_user_sgpr_count 2
		.amdhsa_user_sgpr_dispatch_ptr 0
		.amdhsa_user_sgpr_queue_ptr 0
		.amdhsa_user_sgpr_kernarg_segment_ptr 1
		.amdhsa_user_sgpr_dispatch_id 0
		.amdhsa_user_sgpr_kernarg_preload_length 0
		.amdhsa_user_sgpr_kernarg_preload_offset 0
		.amdhsa_user_sgpr_private_segment_size 0
		.amdhsa_wavefront_size32 1
		.amdhsa_uses_dynamic_stack 0
		.amdhsa_enable_private_segment 1
		.amdhsa_system_sgpr_workgroup_id_x 1
		.amdhsa_system_sgpr_workgroup_id_y 0
		.amdhsa_system_sgpr_workgroup_id_z 0
		.amdhsa_system_sgpr_workgroup_info 0
		.amdhsa_system_vgpr_workitem_id 0
		.amdhsa_next_free_vgpr 51
		.amdhsa_next_free_sgpr 34
		.amdhsa_named_barrier_count 0
		.amdhsa_reserve_vcc 1
		.amdhsa_float_round_mode_32 0
		.amdhsa_float_round_mode_16_64 0
		.amdhsa_float_denorm_mode_32 3
		.amdhsa_float_denorm_mode_16_64 3
		.amdhsa_fp16_overflow 0
		.amdhsa_memory_ordered 1
		.amdhsa_forward_progress 1
		.amdhsa_inst_pref_size 1
		.amdhsa_round_robin_scheduling 0
		.amdhsa_exception_fp_ieee_invalid_op 0
		.amdhsa_exception_fp_denorm_src 0
		.amdhsa_exception_fp_ieee_div_zero 0
		.amdhsa_exception_fp_ieee_overflow 0
		.amdhsa_exception_fp_ieee_underflow 0
		.amdhsa_exception_fp_ieee_inexact 0
		.amdhsa_exception_int_div_zero 0
	.end_amdhsa_kernel
	.section	.text._Z39paged_attention_ll4mi_QKV_mfma16_kernelIDF16_hLN4vllm18Fp8KVCacheDataTypeE1EhLi32ELi64ELi256ELb0ELi4EEvPKT_PKT0_S7_ifPKiS9_S9_iPKfiiiPfSC_PS2_PT2_iSB_SB_,"axG",@progbits,_Z39paged_attention_ll4mi_QKV_mfma16_kernelIDF16_hLN4vllm18Fp8KVCacheDataTypeE1EhLi32ELi64ELi256ELb0ELi4EEvPKT_PKT0_S7_ifPKiS9_S9_iPKfiiiPfSC_PS2_PT2_iSB_SB_,comdat
.Lfunc_end889:
	.size	_Z39paged_attention_ll4mi_QKV_mfma16_kernelIDF16_hLN4vllm18Fp8KVCacheDataTypeE1EhLi32ELi64ELi256ELb0ELi4EEvPKT_PKT0_S7_ifPKiS9_S9_iPKfiiiPfSC_PS2_PT2_iSB_SB_, .Lfunc_end889-_Z39paged_attention_ll4mi_QKV_mfma16_kernelIDF16_hLN4vllm18Fp8KVCacheDataTypeE1EhLi32ELi64ELi256ELb0ELi4EEvPKT_PKT0_S7_ifPKiS9_S9_iPKfiiiPfSC_PS2_PT2_iSB_SB_
                                        ; -- End function
	.set _Z39paged_attention_ll4mi_QKV_mfma16_kernelIDF16_hLN4vllm18Fp8KVCacheDataTypeE1EhLi32ELi64ELi256ELb0ELi4EEvPKT_PKT0_S7_ifPKiS9_S9_iPKfiiiPfSC_PS2_PT2_iSB_SB_.num_vgpr, max(3, .L__assert_fail.num_vgpr)
	.set _Z39paged_attention_ll4mi_QKV_mfma16_kernelIDF16_hLN4vllm18Fp8KVCacheDataTypeE1EhLi32ELi64ELi256ELb0ELi4EEvPKT_PKT0_S7_ifPKiS9_S9_iPKfiiiPfSC_PS2_PT2_iSB_SB_.num_agpr, max(0, .L__assert_fail.num_agpr)
	.set _Z39paged_attention_ll4mi_QKV_mfma16_kernelIDF16_hLN4vllm18Fp8KVCacheDataTypeE1EhLi32ELi64ELi256ELb0ELi4EEvPKT_PKT0_S7_ifPKiS9_S9_iPKfiiiPfSC_PS2_PT2_iSB_SB_.numbered_sgpr, max(33, .L__assert_fail.numbered_sgpr)
	.set _Z39paged_attention_ll4mi_QKV_mfma16_kernelIDF16_hLN4vllm18Fp8KVCacheDataTypeE1EhLi32ELi64ELi256ELb0ELi4EEvPKT_PKT0_S7_ifPKiS9_S9_iPKfiiiPfSC_PS2_PT2_iSB_SB_.num_named_barrier, max(0, .L__assert_fail.num_named_barrier)
	.set _Z39paged_attention_ll4mi_QKV_mfma16_kernelIDF16_hLN4vllm18Fp8KVCacheDataTypeE1EhLi32ELi64ELi256ELb0ELi4EEvPKT_PKT0_S7_ifPKiS9_S9_iPKfiiiPfSC_PS2_PT2_iSB_SB_.private_seg_size, 0+max(.L__assert_fail.private_seg_size)
	.set _Z39paged_attention_ll4mi_QKV_mfma16_kernelIDF16_hLN4vllm18Fp8KVCacheDataTypeE1EhLi32ELi64ELi256ELb0ELi4EEvPKT_PKT0_S7_ifPKiS9_S9_iPKfiiiPfSC_PS2_PT2_iSB_SB_.uses_vcc, or(1, .L__assert_fail.uses_vcc)
	.set _Z39paged_attention_ll4mi_QKV_mfma16_kernelIDF16_hLN4vllm18Fp8KVCacheDataTypeE1EhLi32ELi64ELi256ELb0ELi4EEvPKT_PKT0_S7_ifPKiS9_S9_iPKfiiiPfSC_PS2_PT2_iSB_SB_.uses_flat_scratch, or(0, .L__assert_fail.uses_flat_scratch)
	.set _Z39paged_attention_ll4mi_QKV_mfma16_kernelIDF16_hLN4vllm18Fp8KVCacheDataTypeE1EhLi32ELi64ELi256ELb0ELi4EEvPKT_PKT0_S7_ifPKiS9_S9_iPKfiiiPfSC_PS2_PT2_iSB_SB_.has_dyn_sized_stack, or(0, .L__assert_fail.has_dyn_sized_stack)
	.set _Z39paged_attention_ll4mi_QKV_mfma16_kernelIDF16_hLN4vllm18Fp8KVCacheDataTypeE1EhLi32ELi64ELi256ELb0ELi4EEvPKT_PKT0_S7_ifPKiS9_S9_iPKfiiiPfSC_PS2_PT2_iSB_SB_.has_recursion, or(0, .L__assert_fail.has_recursion)
	.set _Z39paged_attention_ll4mi_QKV_mfma16_kernelIDF16_hLN4vllm18Fp8KVCacheDataTypeE1EhLi32ELi64ELi256ELb0ELi4EEvPKT_PKT0_S7_ifPKiS9_S9_iPKfiiiPfSC_PS2_PT2_iSB_SB_.has_indirect_call, or(0, .L__assert_fail.has_indirect_call)
	.section	.AMDGPU.csdata,"",@progbits
; Kernel info:
; codeLenInByte = 68
; TotalNumSgprs: 36
; NumVgprs: 51
; ScratchSize: 64
; MemoryBound: 0
; FloatMode: 240
; IeeeMode: 1
; LDSByteSize: 0 bytes/workgroup (compile time only)
; SGPRBlocks: 0
; VGPRBlocks: 3
; NumSGPRsForWavesPerEU: 36
; NumVGPRsForWavesPerEU: 51
; NamedBarCnt: 0
; Occupancy: 16
; WaveLimiterHint : 1
; COMPUTE_PGM_RSRC2:SCRATCH_EN: 1
; COMPUTE_PGM_RSRC2:USER_SGPR: 2
; COMPUTE_PGM_RSRC2:TRAP_HANDLER: 0
; COMPUTE_PGM_RSRC2:TGID_X_EN: 1
; COMPUTE_PGM_RSRC2:TGID_Y_EN: 0
; COMPUTE_PGM_RSRC2:TGID_Z_EN: 0
; COMPUTE_PGM_RSRC2:TIDIG_COMP_CNT: 0
	.section	.text._Z38paged_attention_ll4mi_QKV_mfma4_kernelIDF16_hLN4vllm18Fp8KVCacheDataTypeE1EDF16_Li32ELi64ELi256ELb1ELi1EEvPKT_PKT0_S7_ifPKiS9_S9_iPKfiiiPfSC_PS2_PT2_iSB_SB_,"axG",@progbits,_Z38paged_attention_ll4mi_QKV_mfma4_kernelIDF16_hLN4vllm18Fp8KVCacheDataTypeE1EDF16_Li32ELi64ELi256ELb1ELi1EEvPKT_PKT0_S7_ifPKiS9_S9_iPKfiiiPfSC_PS2_PT2_iSB_SB_,comdat
	.protected	_Z38paged_attention_ll4mi_QKV_mfma4_kernelIDF16_hLN4vllm18Fp8KVCacheDataTypeE1EDF16_Li32ELi64ELi256ELb1ELi1EEvPKT_PKT0_S7_ifPKiS9_S9_iPKfiiiPfSC_PS2_PT2_iSB_SB_ ; -- Begin function _Z38paged_attention_ll4mi_QKV_mfma4_kernelIDF16_hLN4vllm18Fp8KVCacheDataTypeE1EDF16_Li32ELi64ELi256ELb1ELi1EEvPKT_PKT0_S7_ifPKiS9_S9_iPKfiiiPfSC_PS2_PT2_iSB_SB_
	.globl	_Z38paged_attention_ll4mi_QKV_mfma4_kernelIDF16_hLN4vllm18Fp8KVCacheDataTypeE1EDF16_Li32ELi64ELi256ELb1ELi1EEvPKT_PKT0_S7_ifPKiS9_S9_iPKfiiiPfSC_PS2_PT2_iSB_SB_
	.p2align	8
	.type	_Z38paged_attention_ll4mi_QKV_mfma4_kernelIDF16_hLN4vllm18Fp8KVCacheDataTypeE1EDF16_Li32ELi64ELi256ELb1ELi1EEvPKT_PKT0_S7_ifPKiS9_S9_iPKfiiiPfSC_PS2_PT2_iSB_SB_,@function
_Z38paged_attention_ll4mi_QKV_mfma4_kernelIDF16_hLN4vllm18Fp8KVCacheDataTypeE1EDF16_Li32ELi64ELi256ELb1ELi1EEvPKT_PKT0_S7_ifPKiS9_S9_iPKfiiiPfSC_PS2_PT2_iSB_SB_: ; @_Z38paged_attention_ll4mi_QKV_mfma4_kernelIDF16_hLN4vllm18Fp8KVCacheDataTypeE1EDF16_Li32ELi64ELi256ELb1ELi1EEvPKT_PKT0_S7_ifPKiS9_S9_iPKfiiiPfSC_PS2_PT2_iSB_SB_
; %bb.0:
	s_get_pc_i64 s[2:3]
	s_add_nc_u64 s[2:3], s[2:3], __PRETTY_FUNCTION__._Z38paged_attention_ll4mi_QKV_mfma4_kernelIDF16_hLN4vllm18Fp8KVCacheDataTypeE1EDF16_Li32ELi64ELi256ELb1ELi1EEvPKT_PKT0_S7_ifPKiS9_S9_iPKfiiiPfSC_PS2_PT2_iSB_SB_@rel64+4
	s_delay_alu instid0(SALU_CYCLE_1)
	v_dual_mov_b32 v0, 0xbce :: v_dual_mov_b32 v1, s2
	v_mov_b32_e32 v2, s3
	s_add_nc_u64 s[8:9], s[0:1], 0x90
	s_get_pc_i64 s[0:1]
	s_add_nc_u64 s[0:1], s[0:1], __assert_fail@rel64+4
	s_mov_b32 s32, 0
	s_swap_pc_i64 s[30:31], s[0:1]
	.section	.rodata,"a",@progbits
	.p2align	6, 0x0
	.amdhsa_kernel _Z38paged_attention_ll4mi_QKV_mfma4_kernelIDF16_hLN4vllm18Fp8KVCacheDataTypeE1EDF16_Li32ELi64ELi256ELb1ELi1EEvPKT_PKT0_S7_ifPKiS9_S9_iPKfiiiPfSC_PS2_PT2_iSB_SB_
		.amdhsa_group_segment_fixed_size 0
		.amdhsa_private_segment_fixed_size 64
		.amdhsa_kernarg_size 400
		.amdhsa_user_sgpr_count 2
		.amdhsa_user_sgpr_dispatch_ptr 0
		.amdhsa_user_sgpr_queue_ptr 0
		.amdhsa_user_sgpr_kernarg_segment_ptr 1
		.amdhsa_user_sgpr_dispatch_id 0
		.amdhsa_user_sgpr_kernarg_preload_length 0
		.amdhsa_user_sgpr_kernarg_preload_offset 0
		.amdhsa_user_sgpr_private_segment_size 0
		.amdhsa_wavefront_size32 1
		.amdhsa_uses_dynamic_stack 0
		.amdhsa_enable_private_segment 1
		.amdhsa_system_sgpr_workgroup_id_x 1
		.amdhsa_system_sgpr_workgroup_id_y 0
		.amdhsa_system_sgpr_workgroup_id_z 0
		.amdhsa_system_sgpr_workgroup_info 0
		.amdhsa_system_vgpr_workitem_id 0
		.amdhsa_next_free_vgpr 51
		.amdhsa_next_free_sgpr 34
		.amdhsa_named_barrier_count 0
		.amdhsa_reserve_vcc 1
		.amdhsa_float_round_mode_32 0
		.amdhsa_float_round_mode_16_64 0
		.amdhsa_float_denorm_mode_32 3
		.amdhsa_float_denorm_mode_16_64 3
		.amdhsa_fp16_overflow 0
		.amdhsa_memory_ordered 1
		.amdhsa_forward_progress 1
		.amdhsa_inst_pref_size 1
		.amdhsa_round_robin_scheduling 0
		.amdhsa_exception_fp_ieee_invalid_op 0
		.amdhsa_exception_fp_denorm_src 0
		.amdhsa_exception_fp_ieee_div_zero 0
		.amdhsa_exception_fp_ieee_overflow 0
		.amdhsa_exception_fp_ieee_underflow 0
		.amdhsa_exception_fp_ieee_inexact 0
		.amdhsa_exception_int_div_zero 0
	.end_amdhsa_kernel
	.section	.text._Z38paged_attention_ll4mi_QKV_mfma4_kernelIDF16_hLN4vllm18Fp8KVCacheDataTypeE1EDF16_Li32ELi64ELi256ELb1ELi1EEvPKT_PKT0_S7_ifPKiS9_S9_iPKfiiiPfSC_PS2_PT2_iSB_SB_,"axG",@progbits,_Z38paged_attention_ll4mi_QKV_mfma4_kernelIDF16_hLN4vllm18Fp8KVCacheDataTypeE1EDF16_Li32ELi64ELi256ELb1ELi1EEvPKT_PKT0_S7_ifPKiS9_S9_iPKfiiiPfSC_PS2_PT2_iSB_SB_,comdat
.Lfunc_end890:
	.size	_Z38paged_attention_ll4mi_QKV_mfma4_kernelIDF16_hLN4vllm18Fp8KVCacheDataTypeE1EDF16_Li32ELi64ELi256ELb1ELi1EEvPKT_PKT0_S7_ifPKiS9_S9_iPKfiiiPfSC_PS2_PT2_iSB_SB_, .Lfunc_end890-_Z38paged_attention_ll4mi_QKV_mfma4_kernelIDF16_hLN4vllm18Fp8KVCacheDataTypeE1EDF16_Li32ELi64ELi256ELb1ELi1EEvPKT_PKT0_S7_ifPKiS9_S9_iPKfiiiPfSC_PS2_PT2_iSB_SB_
                                        ; -- End function
	.set _Z38paged_attention_ll4mi_QKV_mfma4_kernelIDF16_hLN4vllm18Fp8KVCacheDataTypeE1EDF16_Li32ELi64ELi256ELb1ELi1EEvPKT_PKT0_S7_ifPKiS9_S9_iPKfiiiPfSC_PS2_PT2_iSB_SB_.num_vgpr, max(3, .L__assert_fail.num_vgpr)
	.set _Z38paged_attention_ll4mi_QKV_mfma4_kernelIDF16_hLN4vllm18Fp8KVCacheDataTypeE1EDF16_Li32ELi64ELi256ELb1ELi1EEvPKT_PKT0_S7_ifPKiS9_S9_iPKfiiiPfSC_PS2_PT2_iSB_SB_.num_agpr, max(0, .L__assert_fail.num_agpr)
	.set _Z38paged_attention_ll4mi_QKV_mfma4_kernelIDF16_hLN4vllm18Fp8KVCacheDataTypeE1EDF16_Li32ELi64ELi256ELb1ELi1EEvPKT_PKT0_S7_ifPKiS9_S9_iPKfiiiPfSC_PS2_PT2_iSB_SB_.numbered_sgpr, max(33, .L__assert_fail.numbered_sgpr)
	.set _Z38paged_attention_ll4mi_QKV_mfma4_kernelIDF16_hLN4vllm18Fp8KVCacheDataTypeE1EDF16_Li32ELi64ELi256ELb1ELi1EEvPKT_PKT0_S7_ifPKiS9_S9_iPKfiiiPfSC_PS2_PT2_iSB_SB_.num_named_barrier, max(0, .L__assert_fail.num_named_barrier)
	.set _Z38paged_attention_ll4mi_QKV_mfma4_kernelIDF16_hLN4vllm18Fp8KVCacheDataTypeE1EDF16_Li32ELi64ELi256ELb1ELi1EEvPKT_PKT0_S7_ifPKiS9_S9_iPKfiiiPfSC_PS2_PT2_iSB_SB_.private_seg_size, 0+max(.L__assert_fail.private_seg_size)
	.set _Z38paged_attention_ll4mi_QKV_mfma4_kernelIDF16_hLN4vllm18Fp8KVCacheDataTypeE1EDF16_Li32ELi64ELi256ELb1ELi1EEvPKT_PKT0_S7_ifPKiS9_S9_iPKfiiiPfSC_PS2_PT2_iSB_SB_.uses_vcc, or(1, .L__assert_fail.uses_vcc)
	.set _Z38paged_attention_ll4mi_QKV_mfma4_kernelIDF16_hLN4vllm18Fp8KVCacheDataTypeE1EDF16_Li32ELi64ELi256ELb1ELi1EEvPKT_PKT0_S7_ifPKiS9_S9_iPKfiiiPfSC_PS2_PT2_iSB_SB_.uses_flat_scratch, or(0, .L__assert_fail.uses_flat_scratch)
	.set _Z38paged_attention_ll4mi_QKV_mfma4_kernelIDF16_hLN4vllm18Fp8KVCacheDataTypeE1EDF16_Li32ELi64ELi256ELb1ELi1EEvPKT_PKT0_S7_ifPKiS9_S9_iPKfiiiPfSC_PS2_PT2_iSB_SB_.has_dyn_sized_stack, or(0, .L__assert_fail.has_dyn_sized_stack)
	.set _Z38paged_attention_ll4mi_QKV_mfma4_kernelIDF16_hLN4vllm18Fp8KVCacheDataTypeE1EDF16_Li32ELi64ELi256ELb1ELi1EEvPKT_PKT0_S7_ifPKiS9_S9_iPKfiiiPfSC_PS2_PT2_iSB_SB_.has_recursion, or(0, .L__assert_fail.has_recursion)
	.set _Z38paged_attention_ll4mi_QKV_mfma4_kernelIDF16_hLN4vllm18Fp8KVCacheDataTypeE1EDF16_Li32ELi64ELi256ELb1ELi1EEvPKT_PKT0_S7_ifPKiS9_S9_iPKfiiiPfSC_PS2_PT2_iSB_SB_.has_indirect_call, or(0, .L__assert_fail.has_indirect_call)
	.section	.AMDGPU.csdata,"",@progbits
; Kernel info:
; codeLenInByte = 68
; TotalNumSgprs: 36
; NumVgprs: 51
; ScratchSize: 64
; MemoryBound: 0
; FloatMode: 240
; IeeeMode: 1
; LDSByteSize: 0 bytes/workgroup (compile time only)
; SGPRBlocks: 0
; VGPRBlocks: 3
; NumSGPRsForWavesPerEU: 36
; NumVGPRsForWavesPerEU: 51
; NamedBarCnt: 0
; Occupancy: 16
; WaveLimiterHint : 1
; COMPUTE_PGM_RSRC2:SCRATCH_EN: 1
; COMPUTE_PGM_RSRC2:USER_SGPR: 2
; COMPUTE_PGM_RSRC2:TRAP_HANDLER: 0
; COMPUTE_PGM_RSRC2:TGID_X_EN: 1
; COMPUTE_PGM_RSRC2:TGID_Y_EN: 0
; COMPUTE_PGM_RSRC2:TGID_Z_EN: 0
; COMPUTE_PGM_RSRC2:TIDIG_COMP_CNT: 0
	.section	.text._Z38paged_attention_ll4mi_QKV_mfma4_kernelIDF16_hLN4vllm18Fp8KVCacheDataTypeE1EDF16_Li32ELi64ELi256ELb1ELi2EEvPKT_PKT0_S7_ifPKiS9_S9_iPKfiiiPfSC_PS2_PT2_iSB_SB_,"axG",@progbits,_Z38paged_attention_ll4mi_QKV_mfma4_kernelIDF16_hLN4vllm18Fp8KVCacheDataTypeE1EDF16_Li32ELi64ELi256ELb1ELi2EEvPKT_PKT0_S7_ifPKiS9_S9_iPKfiiiPfSC_PS2_PT2_iSB_SB_,comdat
	.protected	_Z38paged_attention_ll4mi_QKV_mfma4_kernelIDF16_hLN4vllm18Fp8KVCacheDataTypeE1EDF16_Li32ELi64ELi256ELb1ELi2EEvPKT_PKT0_S7_ifPKiS9_S9_iPKfiiiPfSC_PS2_PT2_iSB_SB_ ; -- Begin function _Z38paged_attention_ll4mi_QKV_mfma4_kernelIDF16_hLN4vllm18Fp8KVCacheDataTypeE1EDF16_Li32ELi64ELi256ELb1ELi2EEvPKT_PKT0_S7_ifPKiS9_S9_iPKfiiiPfSC_PS2_PT2_iSB_SB_
	.globl	_Z38paged_attention_ll4mi_QKV_mfma4_kernelIDF16_hLN4vllm18Fp8KVCacheDataTypeE1EDF16_Li32ELi64ELi256ELb1ELi2EEvPKT_PKT0_S7_ifPKiS9_S9_iPKfiiiPfSC_PS2_PT2_iSB_SB_
	.p2align	8
	.type	_Z38paged_attention_ll4mi_QKV_mfma4_kernelIDF16_hLN4vllm18Fp8KVCacheDataTypeE1EDF16_Li32ELi64ELi256ELb1ELi2EEvPKT_PKT0_S7_ifPKiS9_S9_iPKfiiiPfSC_PS2_PT2_iSB_SB_,@function
_Z38paged_attention_ll4mi_QKV_mfma4_kernelIDF16_hLN4vllm18Fp8KVCacheDataTypeE1EDF16_Li32ELi64ELi256ELb1ELi2EEvPKT_PKT0_S7_ifPKiS9_S9_iPKfiiiPfSC_PS2_PT2_iSB_SB_: ; @_Z38paged_attention_ll4mi_QKV_mfma4_kernelIDF16_hLN4vllm18Fp8KVCacheDataTypeE1EDF16_Li32ELi64ELi256ELb1ELi2EEvPKT_PKT0_S7_ifPKiS9_S9_iPKfiiiPfSC_PS2_PT2_iSB_SB_
; %bb.0:
	s_get_pc_i64 s[2:3]
	s_add_nc_u64 s[2:3], s[2:3], __PRETTY_FUNCTION__._Z38paged_attention_ll4mi_QKV_mfma4_kernelIDF16_hLN4vllm18Fp8KVCacheDataTypeE1EDF16_Li32ELi64ELi256ELb1ELi2EEvPKT_PKT0_S7_ifPKiS9_S9_iPKfiiiPfSC_PS2_PT2_iSB_SB_@rel64+4
	s_delay_alu instid0(SALU_CYCLE_1)
	v_dual_mov_b32 v0, 0xbce :: v_dual_mov_b32 v1, s2
	v_mov_b32_e32 v2, s3
	s_add_nc_u64 s[8:9], s[0:1], 0x90
	s_get_pc_i64 s[0:1]
	s_add_nc_u64 s[0:1], s[0:1], __assert_fail@rel64+4
	s_mov_b32 s32, 0
	s_swap_pc_i64 s[30:31], s[0:1]
	.section	.rodata,"a",@progbits
	.p2align	6, 0x0
	.amdhsa_kernel _Z38paged_attention_ll4mi_QKV_mfma4_kernelIDF16_hLN4vllm18Fp8KVCacheDataTypeE1EDF16_Li32ELi64ELi256ELb1ELi2EEvPKT_PKT0_S7_ifPKiS9_S9_iPKfiiiPfSC_PS2_PT2_iSB_SB_
		.amdhsa_group_segment_fixed_size 0
		.amdhsa_private_segment_fixed_size 64
		.amdhsa_kernarg_size 400
		.amdhsa_user_sgpr_count 2
		.amdhsa_user_sgpr_dispatch_ptr 0
		.amdhsa_user_sgpr_queue_ptr 0
		.amdhsa_user_sgpr_kernarg_segment_ptr 1
		.amdhsa_user_sgpr_dispatch_id 0
		.amdhsa_user_sgpr_kernarg_preload_length 0
		.amdhsa_user_sgpr_kernarg_preload_offset 0
		.amdhsa_user_sgpr_private_segment_size 0
		.amdhsa_wavefront_size32 1
		.amdhsa_uses_dynamic_stack 0
		.amdhsa_enable_private_segment 1
		.amdhsa_system_sgpr_workgroup_id_x 1
		.amdhsa_system_sgpr_workgroup_id_y 0
		.amdhsa_system_sgpr_workgroup_id_z 0
		.amdhsa_system_sgpr_workgroup_info 0
		.amdhsa_system_vgpr_workitem_id 0
		.amdhsa_next_free_vgpr 51
		.amdhsa_next_free_sgpr 34
		.amdhsa_named_barrier_count 0
		.amdhsa_reserve_vcc 1
		.amdhsa_float_round_mode_32 0
		.amdhsa_float_round_mode_16_64 0
		.amdhsa_float_denorm_mode_32 3
		.amdhsa_float_denorm_mode_16_64 3
		.amdhsa_fp16_overflow 0
		.amdhsa_memory_ordered 1
		.amdhsa_forward_progress 1
		.amdhsa_inst_pref_size 1
		.amdhsa_round_robin_scheduling 0
		.amdhsa_exception_fp_ieee_invalid_op 0
		.amdhsa_exception_fp_denorm_src 0
		.amdhsa_exception_fp_ieee_div_zero 0
		.amdhsa_exception_fp_ieee_overflow 0
		.amdhsa_exception_fp_ieee_underflow 0
		.amdhsa_exception_fp_ieee_inexact 0
		.amdhsa_exception_int_div_zero 0
	.end_amdhsa_kernel
	.section	.text._Z38paged_attention_ll4mi_QKV_mfma4_kernelIDF16_hLN4vllm18Fp8KVCacheDataTypeE1EDF16_Li32ELi64ELi256ELb1ELi2EEvPKT_PKT0_S7_ifPKiS9_S9_iPKfiiiPfSC_PS2_PT2_iSB_SB_,"axG",@progbits,_Z38paged_attention_ll4mi_QKV_mfma4_kernelIDF16_hLN4vllm18Fp8KVCacheDataTypeE1EDF16_Li32ELi64ELi256ELb1ELi2EEvPKT_PKT0_S7_ifPKiS9_S9_iPKfiiiPfSC_PS2_PT2_iSB_SB_,comdat
.Lfunc_end891:
	.size	_Z38paged_attention_ll4mi_QKV_mfma4_kernelIDF16_hLN4vllm18Fp8KVCacheDataTypeE1EDF16_Li32ELi64ELi256ELb1ELi2EEvPKT_PKT0_S7_ifPKiS9_S9_iPKfiiiPfSC_PS2_PT2_iSB_SB_, .Lfunc_end891-_Z38paged_attention_ll4mi_QKV_mfma4_kernelIDF16_hLN4vllm18Fp8KVCacheDataTypeE1EDF16_Li32ELi64ELi256ELb1ELi2EEvPKT_PKT0_S7_ifPKiS9_S9_iPKfiiiPfSC_PS2_PT2_iSB_SB_
                                        ; -- End function
	.set _Z38paged_attention_ll4mi_QKV_mfma4_kernelIDF16_hLN4vllm18Fp8KVCacheDataTypeE1EDF16_Li32ELi64ELi256ELb1ELi2EEvPKT_PKT0_S7_ifPKiS9_S9_iPKfiiiPfSC_PS2_PT2_iSB_SB_.num_vgpr, max(3, .L__assert_fail.num_vgpr)
	.set _Z38paged_attention_ll4mi_QKV_mfma4_kernelIDF16_hLN4vllm18Fp8KVCacheDataTypeE1EDF16_Li32ELi64ELi256ELb1ELi2EEvPKT_PKT0_S7_ifPKiS9_S9_iPKfiiiPfSC_PS2_PT2_iSB_SB_.num_agpr, max(0, .L__assert_fail.num_agpr)
	.set _Z38paged_attention_ll4mi_QKV_mfma4_kernelIDF16_hLN4vllm18Fp8KVCacheDataTypeE1EDF16_Li32ELi64ELi256ELb1ELi2EEvPKT_PKT0_S7_ifPKiS9_S9_iPKfiiiPfSC_PS2_PT2_iSB_SB_.numbered_sgpr, max(33, .L__assert_fail.numbered_sgpr)
	.set _Z38paged_attention_ll4mi_QKV_mfma4_kernelIDF16_hLN4vllm18Fp8KVCacheDataTypeE1EDF16_Li32ELi64ELi256ELb1ELi2EEvPKT_PKT0_S7_ifPKiS9_S9_iPKfiiiPfSC_PS2_PT2_iSB_SB_.num_named_barrier, max(0, .L__assert_fail.num_named_barrier)
	.set _Z38paged_attention_ll4mi_QKV_mfma4_kernelIDF16_hLN4vllm18Fp8KVCacheDataTypeE1EDF16_Li32ELi64ELi256ELb1ELi2EEvPKT_PKT0_S7_ifPKiS9_S9_iPKfiiiPfSC_PS2_PT2_iSB_SB_.private_seg_size, 0+max(.L__assert_fail.private_seg_size)
	.set _Z38paged_attention_ll4mi_QKV_mfma4_kernelIDF16_hLN4vllm18Fp8KVCacheDataTypeE1EDF16_Li32ELi64ELi256ELb1ELi2EEvPKT_PKT0_S7_ifPKiS9_S9_iPKfiiiPfSC_PS2_PT2_iSB_SB_.uses_vcc, or(1, .L__assert_fail.uses_vcc)
	.set _Z38paged_attention_ll4mi_QKV_mfma4_kernelIDF16_hLN4vllm18Fp8KVCacheDataTypeE1EDF16_Li32ELi64ELi256ELb1ELi2EEvPKT_PKT0_S7_ifPKiS9_S9_iPKfiiiPfSC_PS2_PT2_iSB_SB_.uses_flat_scratch, or(0, .L__assert_fail.uses_flat_scratch)
	.set _Z38paged_attention_ll4mi_QKV_mfma4_kernelIDF16_hLN4vllm18Fp8KVCacheDataTypeE1EDF16_Li32ELi64ELi256ELb1ELi2EEvPKT_PKT0_S7_ifPKiS9_S9_iPKfiiiPfSC_PS2_PT2_iSB_SB_.has_dyn_sized_stack, or(0, .L__assert_fail.has_dyn_sized_stack)
	.set _Z38paged_attention_ll4mi_QKV_mfma4_kernelIDF16_hLN4vllm18Fp8KVCacheDataTypeE1EDF16_Li32ELi64ELi256ELb1ELi2EEvPKT_PKT0_S7_ifPKiS9_S9_iPKfiiiPfSC_PS2_PT2_iSB_SB_.has_recursion, or(0, .L__assert_fail.has_recursion)
	.set _Z38paged_attention_ll4mi_QKV_mfma4_kernelIDF16_hLN4vllm18Fp8KVCacheDataTypeE1EDF16_Li32ELi64ELi256ELb1ELi2EEvPKT_PKT0_S7_ifPKiS9_S9_iPKfiiiPfSC_PS2_PT2_iSB_SB_.has_indirect_call, or(0, .L__assert_fail.has_indirect_call)
	.section	.AMDGPU.csdata,"",@progbits
; Kernel info:
; codeLenInByte = 68
; TotalNumSgprs: 36
; NumVgprs: 51
; ScratchSize: 64
; MemoryBound: 0
; FloatMode: 240
; IeeeMode: 1
; LDSByteSize: 0 bytes/workgroup (compile time only)
; SGPRBlocks: 0
; VGPRBlocks: 3
; NumSGPRsForWavesPerEU: 36
; NumVGPRsForWavesPerEU: 51
; NamedBarCnt: 0
; Occupancy: 16
; WaveLimiterHint : 1
; COMPUTE_PGM_RSRC2:SCRATCH_EN: 1
; COMPUTE_PGM_RSRC2:USER_SGPR: 2
; COMPUTE_PGM_RSRC2:TRAP_HANDLER: 0
; COMPUTE_PGM_RSRC2:TGID_X_EN: 1
; COMPUTE_PGM_RSRC2:TGID_Y_EN: 0
; COMPUTE_PGM_RSRC2:TGID_Z_EN: 0
; COMPUTE_PGM_RSRC2:TIDIG_COMP_CNT: 0
	.section	.text._Z38paged_attention_ll4mi_QKV_mfma4_kernelIDF16_hLN4vllm18Fp8KVCacheDataTypeE1EDF16_Li32ELi64ELi256ELb1ELi3EEvPKT_PKT0_S7_ifPKiS9_S9_iPKfiiiPfSC_PS2_PT2_iSB_SB_,"axG",@progbits,_Z38paged_attention_ll4mi_QKV_mfma4_kernelIDF16_hLN4vllm18Fp8KVCacheDataTypeE1EDF16_Li32ELi64ELi256ELb1ELi3EEvPKT_PKT0_S7_ifPKiS9_S9_iPKfiiiPfSC_PS2_PT2_iSB_SB_,comdat
	.protected	_Z38paged_attention_ll4mi_QKV_mfma4_kernelIDF16_hLN4vllm18Fp8KVCacheDataTypeE1EDF16_Li32ELi64ELi256ELb1ELi3EEvPKT_PKT0_S7_ifPKiS9_S9_iPKfiiiPfSC_PS2_PT2_iSB_SB_ ; -- Begin function _Z38paged_attention_ll4mi_QKV_mfma4_kernelIDF16_hLN4vllm18Fp8KVCacheDataTypeE1EDF16_Li32ELi64ELi256ELb1ELi3EEvPKT_PKT0_S7_ifPKiS9_S9_iPKfiiiPfSC_PS2_PT2_iSB_SB_
	.globl	_Z38paged_attention_ll4mi_QKV_mfma4_kernelIDF16_hLN4vllm18Fp8KVCacheDataTypeE1EDF16_Li32ELi64ELi256ELb1ELi3EEvPKT_PKT0_S7_ifPKiS9_S9_iPKfiiiPfSC_PS2_PT2_iSB_SB_
	.p2align	8
	.type	_Z38paged_attention_ll4mi_QKV_mfma4_kernelIDF16_hLN4vllm18Fp8KVCacheDataTypeE1EDF16_Li32ELi64ELi256ELb1ELi3EEvPKT_PKT0_S7_ifPKiS9_S9_iPKfiiiPfSC_PS2_PT2_iSB_SB_,@function
_Z38paged_attention_ll4mi_QKV_mfma4_kernelIDF16_hLN4vllm18Fp8KVCacheDataTypeE1EDF16_Li32ELi64ELi256ELb1ELi3EEvPKT_PKT0_S7_ifPKiS9_S9_iPKfiiiPfSC_PS2_PT2_iSB_SB_: ; @_Z38paged_attention_ll4mi_QKV_mfma4_kernelIDF16_hLN4vllm18Fp8KVCacheDataTypeE1EDF16_Li32ELi64ELi256ELb1ELi3EEvPKT_PKT0_S7_ifPKiS9_S9_iPKfiiiPfSC_PS2_PT2_iSB_SB_
; %bb.0:
	s_get_pc_i64 s[2:3]
	s_add_nc_u64 s[2:3], s[2:3], __PRETTY_FUNCTION__._Z38paged_attention_ll4mi_QKV_mfma4_kernelIDF16_hLN4vllm18Fp8KVCacheDataTypeE1EDF16_Li32ELi64ELi256ELb1ELi3EEvPKT_PKT0_S7_ifPKiS9_S9_iPKfiiiPfSC_PS2_PT2_iSB_SB_@rel64+4
	s_delay_alu instid0(SALU_CYCLE_1)
	v_dual_mov_b32 v0, 0xbce :: v_dual_mov_b32 v1, s2
	v_mov_b32_e32 v2, s3
	s_add_nc_u64 s[8:9], s[0:1], 0x90
	s_get_pc_i64 s[0:1]
	s_add_nc_u64 s[0:1], s[0:1], __assert_fail@rel64+4
	s_mov_b32 s32, 0
	s_swap_pc_i64 s[30:31], s[0:1]
	.section	.rodata,"a",@progbits
	.p2align	6, 0x0
	.amdhsa_kernel _Z38paged_attention_ll4mi_QKV_mfma4_kernelIDF16_hLN4vllm18Fp8KVCacheDataTypeE1EDF16_Li32ELi64ELi256ELb1ELi3EEvPKT_PKT0_S7_ifPKiS9_S9_iPKfiiiPfSC_PS2_PT2_iSB_SB_
		.amdhsa_group_segment_fixed_size 0
		.amdhsa_private_segment_fixed_size 64
		.amdhsa_kernarg_size 400
		.amdhsa_user_sgpr_count 2
		.amdhsa_user_sgpr_dispatch_ptr 0
		.amdhsa_user_sgpr_queue_ptr 0
		.amdhsa_user_sgpr_kernarg_segment_ptr 1
		.amdhsa_user_sgpr_dispatch_id 0
		.amdhsa_user_sgpr_kernarg_preload_length 0
		.amdhsa_user_sgpr_kernarg_preload_offset 0
		.amdhsa_user_sgpr_private_segment_size 0
		.amdhsa_wavefront_size32 1
		.amdhsa_uses_dynamic_stack 0
		.amdhsa_enable_private_segment 1
		.amdhsa_system_sgpr_workgroup_id_x 1
		.amdhsa_system_sgpr_workgroup_id_y 0
		.amdhsa_system_sgpr_workgroup_id_z 0
		.amdhsa_system_sgpr_workgroup_info 0
		.amdhsa_system_vgpr_workitem_id 0
		.amdhsa_next_free_vgpr 51
		.amdhsa_next_free_sgpr 34
		.amdhsa_named_barrier_count 0
		.amdhsa_reserve_vcc 1
		.amdhsa_float_round_mode_32 0
		.amdhsa_float_round_mode_16_64 0
		.amdhsa_float_denorm_mode_32 3
		.amdhsa_float_denorm_mode_16_64 3
		.amdhsa_fp16_overflow 0
		.amdhsa_memory_ordered 1
		.amdhsa_forward_progress 1
		.amdhsa_inst_pref_size 1
		.amdhsa_round_robin_scheduling 0
		.amdhsa_exception_fp_ieee_invalid_op 0
		.amdhsa_exception_fp_denorm_src 0
		.amdhsa_exception_fp_ieee_div_zero 0
		.amdhsa_exception_fp_ieee_overflow 0
		.amdhsa_exception_fp_ieee_underflow 0
		.amdhsa_exception_fp_ieee_inexact 0
		.amdhsa_exception_int_div_zero 0
	.end_amdhsa_kernel
	.section	.text._Z38paged_attention_ll4mi_QKV_mfma4_kernelIDF16_hLN4vllm18Fp8KVCacheDataTypeE1EDF16_Li32ELi64ELi256ELb1ELi3EEvPKT_PKT0_S7_ifPKiS9_S9_iPKfiiiPfSC_PS2_PT2_iSB_SB_,"axG",@progbits,_Z38paged_attention_ll4mi_QKV_mfma4_kernelIDF16_hLN4vllm18Fp8KVCacheDataTypeE1EDF16_Li32ELi64ELi256ELb1ELi3EEvPKT_PKT0_S7_ifPKiS9_S9_iPKfiiiPfSC_PS2_PT2_iSB_SB_,comdat
.Lfunc_end892:
	.size	_Z38paged_attention_ll4mi_QKV_mfma4_kernelIDF16_hLN4vllm18Fp8KVCacheDataTypeE1EDF16_Li32ELi64ELi256ELb1ELi3EEvPKT_PKT0_S7_ifPKiS9_S9_iPKfiiiPfSC_PS2_PT2_iSB_SB_, .Lfunc_end892-_Z38paged_attention_ll4mi_QKV_mfma4_kernelIDF16_hLN4vllm18Fp8KVCacheDataTypeE1EDF16_Li32ELi64ELi256ELb1ELi3EEvPKT_PKT0_S7_ifPKiS9_S9_iPKfiiiPfSC_PS2_PT2_iSB_SB_
                                        ; -- End function
	.set _Z38paged_attention_ll4mi_QKV_mfma4_kernelIDF16_hLN4vllm18Fp8KVCacheDataTypeE1EDF16_Li32ELi64ELi256ELb1ELi3EEvPKT_PKT0_S7_ifPKiS9_S9_iPKfiiiPfSC_PS2_PT2_iSB_SB_.num_vgpr, max(3, .L__assert_fail.num_vgpr)
	.set _Z38paged_attention_ll4mi_QKV_mfma4_kernelIDF16_hLN4vllm18Fp8KVCacheDataTypeE1EDF16_Li32ELi64ELi256ELb1ELi3EEvPKT_PKT0_S7_ifPKiS9_S9_iPKfiiiPfSC_PS2_PT2_iSB_SB_.num_agpr, max(0, .L__assert_fail.num_agpr)
	.set _Z38paged_attention_ll4mi_QKV_mfma4_kernelIDF16_hLN4vllm18Fp8KVCacheDataTypeE1EDF16_Li32ELi64ELi256ELb1ELi3EEvPKT_PKT0_S7_ifPKiS9_S9_iPKfiiiPfSC_PS2_PT2_iSB_SB_.numbered_sgpr, max(33, .L__assert_fail.numbered_sgpr)
	.set _Z38paged_attention_ll4mi_QKV_mfma4_kernelIDF16_hLN4vllm18Fp8KVCacheDataTypeE1EDF16_Li32ELi64ELi256ELb1ELi3EEvPKT_PKT0_S7_ifPKiS9_S9_iPKfiiiPfSC_PS2_PT2_iSB_SB_.num_named_barrier, max(0, .L__assert_fail.num_named_barrier)
	.set _Z38paged_attention_ll4mi_QKV_mfma4_kernelIDF16_hLN4vllm18Fp8KVCacheDataTypeE1EDF16_Li32ELi64ELi256ELb1ELi3EEvPKT_PKT0_S7_ifPKiS9_S9_iPKfiiiPfSC_PS2_PT2_iSB_SB_.private_seg_size, 0+max(.L__assert_fail.private_seg_size)
	.set _Z38paged_attention_ll4mi_QKV_mfma4_kernelIDF16_hLN4vllm18Fp8KVCacheDataTypeE1EDF16_Li32ELi64ELi256ELb1ELi3EEvPKT_PKT0_S7_ifPKiS9_S9_iPKfiiiPfSC_PS2_PT2_iSB_SB_.uses_vcc, or(1, .L__assert_fail.uses_vcc)
	.set _Z38paged_attention_ll4mi_QKV_mfma4_kernelIDF16_hLN4vllm18Fp8KVCacheDataTypeE1EDF16_Li32ELi64ELi256ELb1ELi3EEvPKT_PKT0_S7_ifPKiS9_S9_iPKfiiiPfSC_PS2_PT2_iSB_SB_.uses_flat_scratch, or(0, .L__assert_fail.uses_flat_scratch)
	.set _Z38paged_attention_ll4mi_QKV_mfma4_kernelIDF16_hLN4vllm18Fp8KVCacheDataTypeE1EDF16_Li32ELi64ELi256ELb1ELi3EEvPKT_PKT0_S7_ifPKiS9_S9_iPKfiiiPfSC_PS2_PT2_iSB_SB_.has_dyn_sized_stack, or(0, .L__assert_fail.has_dyn_sized_stack)
	.set _Z38paged_attention_ll4mi_QKV_mfma4_kernelIDF16_hLN4vllm18Fp8KVCacheDataTypeE1EDF16_Li32ELi64ELi256ELb1ELi3EEvPKT_PKT0_S7_ifPKiS9_S9_iPKfiiiPfSC_PS2_PT2_iSB_SB_.has_recursion, or(0, .L__assert_fail.has_recursion)
	.set _Z38paged_attention_ll4mi_QKV_mfma4_kernelIDF16_hLN4vllm18Fp8KVCacheDataTypeE1EDF16_Li32ELi64ELi256ELb1ELi3EEvPKT_PKT0_S7_ifPKiS9_S9_iPKfiiiPfSC_PS2_PT2_iSB_SB_.has_indirect_call, or(0, .L__assert_fail.has_indirect_call)
	.section	.AMDGPU.csdata,"",@progbits
; Kernel info:
; codeLenInByte = 68
; TotalNumSgprs: 36
; NumVgprs: 51
; ScratchSize: 64
; MemoryBound: 0
; FloatMode: 240
; IeeeMode: 1
; LDSByteSize: 0 bytes/workgroup (compile time only)
; SGPRBlocks: 0
; VGPRBlocks: 3
; NumSGPRsForWavesPerEU: 36
; NumVGPRsForWavesPerEU: 51
; NamedBarCnt: 0
; Occupancy: 16
; WaveLimiterHint : 1
; COMPUTE_PGM_RSRC2:SCRATCH_EN: 1
; COMPUTE_PGM_RSRC2:USER_SGPR: 2
; COMPUTE_PGM_RSRC2:TRAP_HANDLER: 0
; COMPUTE_PGM_RSRC2:TGID_X_EN: 1
; COMPUTE_PGM_RSRC2:TGID_Y_EN: 0
; COMPUTE_PGM_RSRC2:TGID_Z_EN: 0
; COMPUTE_PGM_RSRC2:TIDIG_COMP_CNT: 0
	.section	.text._Z38paged_attention_ll4mi_QKV_mfma4_kernelIDF16_hLN4vllm18Fp8KVCacheDataTypeE1EDF16_Li32ELi64ELi256ELb1ELi4EEvPKT_PKT0_S7_ifPKiS9_S9_iPKfiiiPfSC_PS2_PT2_iSB_SB_,"axG",@progbits,_Z38paged_attention_ll4mi_QKV_mfma4_kernelIDF16_hLN4vllm18Fp8KVCacheDataTypeE1EDF16_Li32ELi64ELi256ELb1ELi4EEvPKT_PKT0_S7_ifPKiS9_S9_iPKfiiiPfSC_PS2_PT2_iSB_SB_,comdat
	.protected	_Z38paged_attention_ll4mi_QKV_mfma4_kernelIDF16_hLN4vllm18Fp8KVCacheDataTypeE1EDF16_Li32ELi64ELi256ELb1ELi4EEvPKT_PKT0_S7_ifPKiS9_S9_iPKfiiiPfSC_PS2_PT2_iSB_SB_ ; -- Begin function _Z38paged_attention_ll4mi_QKV_mfma4_kernelIDF16_hLN4vllm18Fp8KVCacheDataTypeE1EDF16_Li32ELi64ELi256ELb1ELi4EEvPKT_PKT0_S7_ifPKiS9_S9_iPKfiiiPfSC_PS2_PT2_iSB_SB_
	.globl	_Z38paged_attention_ll4mi_QKV_mfma4_kernelIDF16_hLN4vllm18Fp8KVCacheDataTypeE1EDF16_Li32ELi64ELi256ELb1ELi4EEvPKT_PKT0_S7_ifPKiS9_S9_iPKfiiiPfSC_PS2_PT2_iSB_SB_
	.p2align	8
	.type	_Z38paged_attention_ll4mi_QKV_mfma4_kernelIDF16_hLN4vllm18Fp8KVCacheDataTypeE1EDF16_Li32ELi64ELi256ELb1ELi4EEvPKT_PKT0_S7_ifPKiS9_S9_iPKfiiiPfSC_PS2_PT2_iSB_SB_,@function
_Z38paged_attention_ll4mi_QKV_mfma4_kernelIDF16_hLN4vllm18Fp8KVCacheDataTypeE1EDF16_Li32ELi64ELi256ELb1ELi4EEvPKT_PKT0_S7_ifPKiS9_S9_iPKfiiiPfSC_PS2_PT2_iSB_SB_: ; @_Z38paged_attention_ll4mi_QKV_mfma4_kernelIDF16_hLN4vllm18Fp8KVCacheDataTypeE1EDF16_Li32ELi64ELi256ELb1ELi4EEvPKT_PKT0_S7_ifPKiS9_S9_iPKfiiiPfSC_PS2_PT2_iSB_SB_
; %bb.0:
	s_get_pc_i64 s[2:3]
	s_add_nc_u64 s[2:3], s[2:3], __PRETTY_FUNCTION__._Z38paged_attention_ll4mi_QKV_mfma4_kernelIDF16_hLN4vllm18Fp8KVCacheDataTypeE1EDF16_Li32ELi64ELi256ELb1ELi4EEvPKT_PKT0_S7_ifPKiS9_S9_iPKfiiiPfSC_PS2_PT2_iSB_SB_@rel64+4
	s_delay_alu instid0(SALU_CYCLE_1)
	v_dual_mov_b32 v0, 0xbce :: v_dual_mov_b32 v1, s2
	v_mov_b32_e32 v2, s3
	s_add_nc_u64 s[8:9], s[0:1], 0x90
	s_get_pc_i64 s[0:1]
	s_add_nc_u64 s[0:1], s[0:1], __assert_fail@rel64+4
	s_mov_b32 s32, 0
	s_swap_pc_i64 s[30:31], s[0:1]
	.section	.rodata,"a",@progbits
	.p2align	6, 0x0
	.amdhsa_kernel _Z38paged_attention_ll4mi_QKV_mfma4_kernelIDF16_hLN4vllm18Fp8KVCacheDataTypeE1EDF16_Li32ELi64ELi256ELb1ELi4EEvPKT_PKT0_S7_ifPKiS9_S9_iPKfiiiPfSC_PS2_PT2_iSB_SB_
		.amdhsa_group_segment_fixed_size 0
		.amdhsa_private_segment_fixed_size 64
		.amdhsa_kernarg_size 400
		.amdhsa_user_sgpr_count 2
		.amdhsa_user_sgpr_dispatch_ptr 0
		.amdhsa_user_sgpr_queue_ptr 0
		.amdhsa_user_sgpr_kernarg_segment_ptr 1
		.amdhsa_user_sgpr_dispatch_id 0
		.amdhsa_user_sgpr_kernarg_preload_length 0
		.amdhsa_user_sgpr_kernarg_preload_offset 0
		.amdhsa_user_sgpr_private_segment_size 0
		.amdhsa_wavefront_size32 1
		.amdhsa_uses_dynamic_stack 0
		.amdhsa_enable_private_segment 1
		.amdhsa_system_sgpr_workgroup_id_x 1
		.amdhsa_system_sgpr_workgroup_id_y 0
		.amdhsa_system_sgpr_workgroup_id_z 0
		.amdhsa_system_sgpr_workgroup_info 0
		.amdhsa_system_vgpr_workitem_id 0
		.amdhsa_next_free_vgpr 51
		.amdhsa_next_free_sgpr 34
		.amdhsa_named_barrier_count 0
		.amdhsa_reserve_vcc 1
		.amdhsa_float_round_mode_32 0
		.amdhsa_float_round_mode_16_64 0
		.amdhsa_float_denorm_mode_32 3
		.amdhsa_float_denorm_mode_16_64 3
		.amdhsa_fp16_overflow 0
		.amdhsa_memory_ordered 1
		.amdhsa_forward_progress 1
		.amdhsa_inst_pref_size 1
		.amdhsa_round_robin_scheduling 0
		.amdhsa_exception_fp_ieee_invalid_op 0
		.amdhsa_exception_fp_denorm_src 0
		.amdhsa_exception_fp_ieee_div_zero 0
		.amdhsa_exception_fp_ieee_overflow 0
		.amdhsa_exception_fp_ieee_underflow 0
		.amdhsa_exception_fp_ieee_inexact 0
		.amdhsa_exception_int_div_zero 0
	.end_amdhsa_kernel
	.section	.text._Z38paged_attention_ll4mi_QKV_mfma4_kernelIDF16_hLN4vllm18Fp8KVCacheDataTypeE1EDF16_Li32ELi64ELi256ELb1ELi4EEvPKT_PKT0_S7_ifPKiS9_S9_iPKfiiiPfSC_PS2_PT2_iSB_SB_,"axG",@progbits,_Z38paged_attention_ll4mi_QKV_mfma4_kernelIDF16_hLN4vllm18Fp8KVCacheDataTypeE1EDF16_Li32ELi64ELi256ELb1ELi4EEvPKT_PKT0_S7_ifPKiS9_S9_iPKfiiiPfSC_PS2_PT2_iSB_SB_,comdat
.Lfunc_end893:
	.size	_Z38paged_attention_ll4mi_QKV_mfma4_kernelIDF16_hLN4vllm18Fp8KVCacheDataTypeE1EDF16_Li32ELi64ELi256ELb1ELi4EEvPKT_PKT0_S7_ifPKiS9_S9_iPKfiiiPfSC_PS2_PT2_iSB_SB_, .Lfunc_end893-_Z38paged_attention_ll4mi_QKV_mfma4_kernelIDF16_hLN4vllm18Fp8KVCacheDataTypeE1EDF16_Li32ELi64ELi256ELb1ELi4EEvPKT_PKT0_S7_ifPKiS9_S9_iPKfiiiPfSC_PS2_PT2_iSB_SB_
                                        ; -- End function
	.set _Z38paged_attention_ll4mi_QKV_mfma4_kernelIDF16_hLN4vllm18Fp8KVCacheDataTypeE1EDF16_Li32ELi64ELi256ELb1ELi4EEvPKT_PKT0_S7_ifPKiS9_S9_iPKfiiiPfSC_PS2_PT2_iSB_SB_.num_vgpr, max(3, .L__assert_fail.num_vgpr)
	.set _Z38paged_attention_ll4mi_QKV_mfma4_kernelIDF16_hLN4vllm18Fp8KVCacheDataTypeE1EDF16_Li32ELi64ELi256ELb1ELi4EEvPKT_PKT0_S7_ifPKiS9_S9_iPKfiiiPfSC_PS2_PT2_iSB_SB_.num_agpr, max(0, .L__assert_fail.num_agpr)
	.set _Z38paged_attention_ll4mi_QKV_mfma4_kernelIDF16_hLN4vllm18Fp8KVCacheDataTypeE1EDF16_Li32ELi64ELi256ELb1ELi4EEvPKT_PKT0_S7_ifPKiS9_S9_iPKfiiiPfSC_PS2_PT2_iSB_SB_.numbered_sgpr, max(33, .L__assert_fail.numbered_sgpr)
	.set _Z38paged_attention_ll4mi_QKV_mfma4_kernelIDF16_hLN4vllm18Fp8KVCacheDataTypeE1EDF16_Li32ELi64ELi256ELb1ELi4EEvPKT_PKT0_S7_ifPKiS9_S9_iPKfiiiPfSC_PS2_PT2_iSB_SB_.num_named_barrier, max(0, .L__assert_fail.num_named_barrier)
	.set _Z38paged_attention_ll4mi_QKV_mfma4_kernelIDF16_hLN4vllm18Fp8KVCacheDataTypeE1EDF16_Li32ELi64ELi256ELb1ELi4EEvPKT_PKT0_S7_ifPKiS9_S9_iPKfiiiPfSC_PS2_PT2_iSB_SB_.private_seg_size, 0+max(.L__assert_fail.private_seg_size)
	.set _Z38paged_attention_ll4mi_QKV_mfma4_kernelIDF16_hLN4vllm18Fp8KVCacheDataTypeE1EDF16_Li32ELi64ELi256ELb1ELi4EEvPKT_PKT0_S7_ifPKiS9_S9_iPKfiiiPfSC_PS2_PT2_iSB_SB_.uses_vcc, or(1, .L__assert_fail.uses_vcc)
	.set _Z38paged_attention_ll4mi_QKV_mfma4_kernelIDF16_hLN4vllm18Fp8KVCacheDataTypeE1EDF16_Li32ELi64ELi256ELb1ELi4EEvPKT_PKT0_S7_ifPKiS9_S9_iPKfiiiPfSC_PS2_PT2_iSB_SB_.uses_flat_scratch, or(0, .L__assert_fail.uses_flat_scratch)
	.set _Z38paged_attention_ll4mi_QKV_mfma4_kernelIDF16_hLN4vllm18Fp8KVCacheDataTypeE1EDF16_Li32ELi64ELi256ELb1ELi4EEvPKT_PKT0_S7_ifPKiS9_S9_iPKfiiiPfSC_PS2_PT2_iSB_SB_.has_dyn_sized_stack, or(0, .L__assert_fail.has_dyn_sized_stack)
	.set _Z38paged_attention_ll4mi_QKV_mfma4_kernelIDF16_hLN4vllm18Fp8KVCacheDataTypeE1EDF16_Li32ELi64ELi256ELb1ELi4EEvPKT_PKT0_S7_ifPKiS9_S9_iPKfiiiPfSC_PS2_PT2_iSB_SB_.has_recursion, or(0, .L__assert_fail.has_recursion)
	.set _Z38paged_attention_ll4mi_QKV_mfma4_kernelIDF16_hLN4vllm18Fp8KVCacheDataTypeE1EDF16_Li32ELi64ELi256ELb1ELi4EEvPKT_PKT0_S7_ifPKiS9_S9_iPKfiiiPfSC_PS2_PT2_iSB_SB_.has_indirect_call, or(0, .L__assert_fail.has_indirect_call)
	.section	.AMDGPU.csdata,"",@progbits
; Kernel info:
; codeLenInByte = 68
; TotalNumSgprs: 36
; NumVgprs: 51
; ScratchSize: 64
; MemoryBound: 0
; FloatMode: 240
; IeeeMode: 1
; LDSByteSize: 0 bytes/workgroup (compile time only)
; SGPRBlocks: 0
; VGPRBlocks: 3
; NumSGPRsForWavesPerEU: 36
; NumVGPRsForWavesPerEU: 51
; NamedBarCnt: 0
; Occupancy: 16
; WaveLimiterHint : 1
; COMPUTE_PGM_RSRC2:SCRATCH_EN: 1
; COMPUTE_PGM_RSRC2:USER_SGPR: 2
; COMPUTE_PGM_RSRC2:TRAP_HANDLER: 0
; COMPUTE_PGM_RSRC2:TGID_X_EN: 1
; COMPUTE_PGM_RSRC2:TGID_Y_EN: 0
; COMPUTE_PGM_RSRC2:TGID_Z_EN: 0
; COMPUTE_PGM_RSRC2:TIDIG_COMP_CNT: 0
	.section	.text._Z39paged_attention_ll4mi_QKV_mfma16_kernelIDF16_hLN4vllm18Fp8KVCacheDataTypeE1EDF16_Li32ELi64ELi256ELb1ELi5EEvPKT_PKT0_S7_ifPKiS9_S9_iPKfiiiPfSC_PS2_PT2_iSB_SB_,"axG",@progbits,_Z39paged_attention_ll4mi_QKV_mfma16_kernelIDF16_hLN4vllm18Fp8KVCacheDataTypeE1EDF16_Li32ELi64ELi256ELb1ELi5EEvPKT_PKT0_S7_ifPKiS9_S9_iPKfiiiPfSC_PS2_PT2_iSB_SB_,comdat
	.protected	_Z39paged_attention_ll4mi_QKV_mfma16_kernelIDF16_hLN4vllm18Fp8KVCacheDataTypeE1EDF16_Li32ELi64ELi256ELb1ELi5EEvPKT_PKT0_S7_ifPKiS9_S9_iPKfiiiPfSC_PS2_PT2_iSB_SB_ ; -- Begin function _Z39paged_attention_ll4mi_QKV_mfma16_kernelIDF16_hLN4vllm18Fp8KVCacheDataTypeE1EDF16_Li32ELi64ELi256ELb1ELi5EEvPKT_PKT0_S7_ifPKiS9_S9_iPKfiiiPfSC_PS2_PT2_iSB_SB_
	.globl	_Z39paged_attention_ll4mi_QKV_mfma16_kernelIDF16_hLN4vllm18Fp8KVCacheDataTypeE1EDF16_Li32ELi64ELi256ELb1ELi5EEvPKT_PKT0_S7_ifPKiS9_S9_iPKfiiiPfSC_PS2_PT2_iSB_SB_
	.p2align	8
	.type	_Z39paged_attention_ll4mi_QKV_mfma16_kernelIDF16_hLN4vllm18Fp8KVCacheDataTypeE1EDF16_Li32ELi64ELi256ELb1ELi5EEvPKT_PKT0_S7_ifPKiS9_S9_iPKfiiiPfSC_PS2_PT2_iSB_SB_,@function
_Z39paged_attention_ll4mi_QKV_mfma16_kernelIDF16_hLN4vllm18Fp8KVCacheDataTypeE1EDF16_Li32ELi64ELi256ELb1ELi5EEvPKT_PKT0_S7_ifPKiS9_S9_iPKfiiiPfSC_PS2_PT2_iSB_SB_: ; @_Z39paged_attention_ll4mi_QKV_mfma16_kernelIDF16_hLN4vllm18Fp8KVCacheDataTypeE1EDF16_Li32ELi64ELi256ELb1ELi5EEvPKT_PKT0_S7_ifPKiS9_S9_iPKfiiiPfSC_PS2_PT2_iSB_SB_
; %bb.0:
	s_get_pc_i64 s[2:3]
	s_add_nc_u64 s[2:3], s[2:3], __PRETTY_FUNCTION__._Z39paged_attention_ll4mi_QKV_mfma16_kernelIDF16_hLN4vllm18Fp8KVCacheDataTypeE1EDF16_Li32ELi64ELi256ELb1ELi5EEvPKT_PKT0_S7_ifPKiS9_S9_iPKfiiiPfSC_PS2_PT2_iSB_SB_@rel64+4
	s_delay_alu instid0(SALU_CYCLE_1)
	v_dual_mov_b32 v0, 0xbb3 :: v_dual_mov_b32 v1, s2
	v_mov_b32_e32 v2, s3
	s_add_nc_u64 s[8:9], s[0:1], 0x90
	s_get_pc_i64 s[0:1]
	s_add_nc_u64 s[0:1], s[0:1], __assert_fail@rel64+4
	s_mov_b32 s32, 0
	s_swap_pc_i64 s[30:31], s[0:1]
	.section	.rodata,"a",@progbits
	.p2align	6, 0x0
	.amdhsa_kernel _Z39paged_attention_ll4mi_QKV_mfma16_kernelIDF16_hLN4vllm18Fp8KVCacheDataTypeE1EDF16_Li32ELi64ELi256ELb1ELi5EEvPKT_PKT0_S7_ifPKiS9_S9_iPKfiiiPfSC_PS2_PT2_iSB_SB_
		.amdhsa_group_segment_fixed_size 0
		.amdhsa_private_segment_fixed_size 64
		.amdhsa_kernarg_size 400
		.amdhsa_user_sgpr_count 2
		.amdhsa_user_sgpr_dispatch_ptr 0
		.amdhsa_user_sgpr_queue_ptr 0
		.amdhsa_user_sgpr_kernarg_segment_ptr 1
		.amdhsa_user_sgpr_dispatch_id 0
		.amdhsa_user_sgpr_kernarg_preload_length 0
		.amdhsa_user_sgpr_kernarg_preload_offset 0
		.amdhsa_user_sgpr_private_segment_size 0
		.amdhsa_wavefront_size32 1
		.amdhsa_uses_dynamic_stack 0
		.amdhsa_enable_private_segment 1
		.amdhsa_system_sgpr_workgroup_id_x 1
		.amdhsa_system_sgpr_workgroup_id_y 0
		.amdhsa_system_sgpr_workgroup_id_z 0
		.amdhsa_system_sgpr_workgroup_info 0
		.amdhsa_system_vgpr_workitem_id 0
		.amdhsa_next_free_vgpr 51
		.amdhsa_next_free_sgpr 34
		.amdhsa_named_barrier_count 0
		.amdhsa_reserve_vcc 1
		.amdhsa_float_round_mode_32 0
		.amdhsa_float_round_mode_16_64 0
		.amdhsa_float_denorm_mode_32 3
		.amdhsa_float_denorm_mode_16_64 3
		.amdhsa_fp16_overflow 0
		.amdhsa_memory_ordered 1
		.amdhsa_forward_progress 1
		.amdhsa_inst_pref_size 1
		.amdhsa_round_robin_scheduling 0
		.amdhsa_exception_fp_ieee_invalid_op 0
		.amdhsa_exception_fp_denorm_src 0
		.amdhsa_exception_fp_ieee_div_zero 0
		.amdhsa_exception_fp_ieee_overflow 0
		.amdhsa_exception_fp_ieee_underflow 0
		.amdhsa_exception_fp_ieee_inexact 0
		.amdhsa_exception_int_div_zero 0
	.end_amdhsa_kernel
	.section	.text._Z39paged_attention_ll4mi_QKV_mfma16_kernelIDF16_hLN4vllm18Fp8KVCacheDataTypeE1EDF16_Li32ELi64ELi256ELb1ELi5EEvPKT_PKT0_S7_ifPKiS9_S9_iPKfiiiPfSC_PS2_PT2_iSB_SB_,"axG",@progbits,_Z39paged_attention_ll4mi_QKV_mfma16_kernelIDF16_hLN4vllm18Fp8KVCacheDataTypeE1EDF16_Li32ELi64ELi256ELb1ELi5EEvPKT_PKT0_S7_ifPKiS9_S9_iPKfiiiPfSC_PS2_PT2_iSB_SB_,comdat
.Lfunc_end894:
	.size	_Z39paged_attention_ll4mi_QKV_mfma16_kernelIDF16_hLN4vllm18Fp8KVCacheDataTypeE1EDF16_Li32ELi64ELi256ELb1ELi5EEvPKT_PKT0_S7_ifPKiS9_S9_iPKfiiiPfSC_PS2_PT2_iSB_SB_, .Lfunc_end894-_Z39paged_attention_ll4mi_QKV_mfma16_kernelIDF16_hLN4vllm18Fp8KVCacheDataTypeE1EDF16_Li32ELi64ELi256ELb1ELi5EEvPKT_PKT0_S7_ifPKiS9_S9_iPKfiiiPfSC_PS2_PT2_iSB_SB_
                                        ; -- End function
	.set _Z39paged_attention_ll4mi_QKV_mfma16_kernelIDF16_hLN4vllm18Fp8KVCacheDataTypeE1EDF16_Li32ELi64ELi256ELb1ELi5EEvPKT_PKT0_S7_ifPKiS9_S9_iPKfiiiPfSC_PS2_PT2_iSB_SB_.num_vgpr, max(3, .L__assert_fail.num_vgpr)
	.set _Z39paged_attention_ll4mi_QKV_mfma16_kernelIDF16_hLN4vllm18Fp8KVCacheDataTypeE1EDF16_Li32ELi64ELi256ELb1ELi5EEvPKT_PKT0_S7_ifPKiS9_S9_iPKfiiiPfSC_PS2_PT2_iSB_SB_.num_agpr, max(0, .L__assert_fail.num_agpr)
	.set _Z39paged_attention_ll4mi_QKV_mfma16_kernelIDF16_hLN4vllm18Fp8KVCacheDataTypeE1EDF16_Li32ELi64ELi256ELb1ELi5EEvPKT_PKT0_S7_ifPKiS9_S9_iPKfiiiPfSC_PS2_PT2_iSB_SB_.numbered_sgpr, max(33, .L__assert_fail.numbered_sgpr)
	.set _Z39paged_attention_ll4mi_QKV_mfma16_kernelIDF16_hLN4vllm18Fp8KVCacheDataTypeE1EDF16_Li32ELi64ELi256ELb1ELi5EEvPKT_PKT0_S7_ifPKiS9_S9_iPKfiiiPfSC_PS2_PT2_iSB_SB_.num_named_barrier, max(0, .L__assert_fail.num_named_barrier)
	.set _Z39paged_attention_ll4mi_QKV_mfma16_kernelIDF16_hLN4vllm18Fp8KVCacheDataTypeE1EDF16_Li32ELi64ELi256ELb1ELi5EEvPKT_PKT0_S7_ifPKiS9_S9_iPKfiiiPfSC_PS2_PT2_iSB_SB_.private_seg_size, 0+max(.L__assert_fail.private_seg_size)
	.set _Z39paged_attention_ll4mi_QKV_mfma16_kernelIDF16_hLN4vllm18Fp8KVCacheDataTypeE1EDF16_Li32ELi64ELi256ELb1ELi5EEvPKT_PKT0_S7_ifPKiS9_S9_iPKfiiiPfSC_PS2_PT2_iSB_SB_.uses_vcc, or(1, .L__assert_fail.uses_vcc)
	.set _Z39paged_attention_ll4mi_QKV_mfma16_kernelIDF16_hLN4vllm18Fp8KVCacheDataTypeE1EDF16_Li32ELi64ELi256ELb1ELi5EEvPKT_PKT0_S7_ifPKiS9_S9_iPKfiiiPfSC_PS2_PT2_iSB_SB_.uses_flat_scratch, or(0, .L__assert_fail.uses_flat_scratch)
	.set _Z39paged_attention_ll4mi_QKV_mfma16_kernelIDF16_hLN4vllm18Fp8KVCacheDataTypeE1EDF16_Li32ELi64ELi256ELb1ELi5EEvPKT_PKT0_S7_ifPKiS9_S9_iPKfiiiPfSC_PS2_PT2_iSB_SB_.has_dyn_sized_stack, or(0, .L__assert_fail.has_dyn_sized_stack)
	.set _Z39paged_attention_ll4mi_QKV_mfma16_kernelIDF16_hLN4vllm18Fp8KVCacheDataTypeE1EDF16_Li32ELi64ELi256ELb1ELi5EEvPKT_PKT0_S7_ifPKiS9_S9_iPKfiiiPfSC_PS2_PT2_iSB_SB_.has_recursion, or(0, .L__assert_fail.has_recursion)
	.set _Z39paged_attention_ll4mi_QKV_mfma16_kernelIDF16_hLN4vllm18Fp8KVCacheDataTypeE1EDF16_Li32ELi64ELi256ELb1ELi5EEvPKT_PKT0_S7_ifPKiS9_S9_iPKfiiiPfSC_PS2_PT2_iSB_SB_.has_indirect_call, or(0, .L__assert_fail.has_indirect_call)
	.section	.AMDGPU.csdata,"",@progbits
; Kernel info:
; codeLenInByte = 68
; TotalNumSgprs: 36
; NumVgprs: 51
; ScratchSize: 64
; MemoryBound: 0
; FloatMode: 240
; IeeeMode: 1
; LDSByteSize: 0 bytes/workgroup (compile time only)
; SGPRBlocks: 0
; VGPRBlocks: 3
; NumSGPRsForWavesPerEU: 36
; NumVGPRsForWavesPerEU: 51
; NamedBarCnt: 0
; Occupancy: 16
; WaveLimiterHint : 1
; COMPUTE_PGM_RSRC2:SCRATCH_EN: 1
; COMPUTE_PGM_RSRC2:USER_SGPR: 2
; COMPUTE_PGM_RSRC2:TRAP_HANDLER: 0
; COMPUTE_PGM_RSRC2:TGID_X_EN: 1
; COMPUTE_PGM_RSRC2:TGID_Y_EN: 0
; COMPUTE_PGM_RSRC2:TGID_Z_EN: 0
; COMPUTE_PGM_RSRC2:TIDIG_COMP_CNT: 0
	.section	.text._Z39paged_attention_ll4mi_QKV_mfma16_kernelIDF16_hLN4vllm18Fp8KVCacheDataTypeE1EDF16_Li32ELi64ELi256ELb1ELi6EEvPKT_PKT0_S7_ifPKiS9_S9_iPKfiiiPfSC_PS2_PT2_iSB_SB_,"axG",@progbits,_Z39paged_attention_ll4mi_QKV_mfma16_kernelIDF16_hLN4vllm18Fp8KVCacheDataTypeE1EDF16_Li32ELi64ELi256ELb1ELi6EEvPKT_PKT0_S7_ifPKiS9_S9_iPKfiiiPfSC_PS2_PT2_iSB_SB_,comdat
	.protected	_Z39paged_attention_ll4mi_QKV_mfma16_kernelIDF16_hLN4vllm18Fp8KVCacheDataTypeE1EDF16_Li32ELi64ELi256ELb1ELi6EEvPKT_PKT0_S7_ifPKiS9_S9_iPKfiiiPfSC_PS2_PT2_iSB_SB_ ; -- Begin function _Z39paged_attention_ll4mi_QKV_mfma16_kernelIDF16_hLN4vllm18Fp8KVCacheDataTypeE1EDF16_Li32ELi64ELi256ELb1ELi6EEvPKT_PKT0_S7_ifPKiS9_S9_iPKfiiiPfSC_PS2_PT2_iSB_SB_
	.globl	_Z39paged_attention_ll4mi_QKV_mfma16_kernelIDF16_hLN4vllm18Fp8KVCacheDataTypeE1EDF16_Li32ELi64ELi256ELb1ELi6EEvPKT_PKT0_S7_ifPKiS9_S9_iPKfiiiPfSC_PS2_PT2_iSB_SB_
	.p2align	8
	.type	_Z39paged_attention_ll4mi_QKV_mfma16_kernelIDF16_hLN4vllm18Fp8KVCacheDataTypeE1EDF16_Li32ELi64ELi256ELb1ELi6EEvPKT_PKT0_S7_ifPKiS9_S9_iPKfiiiPfSC_PS2_PT2_iSB_SB_,@function
_Z39paged_attention_ll4mi_QKV_mfma16_kernelIDF16_hLN4vllm18Fp8KVCacheDataTypeE1EDF16_Li32ELi64ELi256ELb1ELi6EEvPKT_PKT0_S7_ifPKiS9_S9_iPKfiiiPfSC_PS2_PT2_iSB_SB_: ; @_Z39paged_attention_ll4mi_QKV_mfma16_kernelIDF16_hLN4vllm18Fp8KVCacheDataTypeE1EDF16_Li32ELi64ELi256ELb1ELi6EEvPKT_PKT0_S7_ifPKiS9_S9_iPKfiiiPfSC_PS2_PT2_iSB_SB_
; %bb.0:
	s_get_pc_i64 s[2:3]
	s_add_nc_u64 s[2:3], s[2:3], __PRETTY_FUNCTION__._Z39paged_attention_ll4mi_QKV_mfma16_kernelIDF16_hLN4vllm18Fp8KVCacheDataTypeE1EDF16_Li32ELi64ELi256ELb1ELi6EEvPKT_PKT0_S7_ifPKiS9_S9_iPKfiiiPfSC_PS2_PT2_iSB_SB_@rel64+4
	s_delay_alu instid0(SALU_CYCLE_1)
	v_dual_mov_b32 v0, 0xbb3 :: v_dual_mov_b32 v1, s2
	v_mov_b32_e32 v2, s3
	s_add_nc_u64 s[8:9], s[0:1], 0x90
	s_get_pc_i64 s[0:1]
	s_add_nc_u64 s[0:1], s[0:1], __assert_fail@rel64+4
	s_mov_b32 s32, 0
	s_swap_pc_i64 s[30:31], s[0:1]
	.section	.rodata,"a",@progbits
	.p2align	6, 0x0
	.amdhsa_kernel _Z39paged_attention_ll4mi_QKV_mfma16_kernelIDF16_hLN4vllm18Fp8KVCacheDataTypeE1EDF16_Li32ELi64ELi256ELb1ELi6EEvPKT_PKT0_S7_ifPKiS9_S9_iPKfiiiPfSC_PS2_PT2_iSB_SB_
		.amdhsa_group_segment_fixed_size 0
		.amdhsa_private_segment_fixed_size 64
		.amdhsa_kernarg_size 400
		.amdhsa_user_sgpr_count 2
		.amdhsa_user_sgpr_dispatch_ptr 0
		.amdhsa_user_sgpr_queue_ptr 0
		.amdhsa_user_sgpr_kernarg_segment_ptr 1
		.amdhsa_user_sgpr_dispatch_id 0
		.amdhsa_user_sgpr_kernarg_preload_length 0
		.amdhsa_user_sgpr_kernarg_preload_offset 0
		.amdhsa_user_sgpr_private_segment_size 0
		.amdhsa_wavefront_size32 1
		.amdhsa_uses_dynamic_stack 0
		.amdhsa_enable_private_segment 1
		.amdhsa_system_sgpr_workgroup_id_x 1
		.amdhsa_system_sgpr_workgroup_id_y 0
		.amdhsa_system_sgpr_workgroup_id_z 0
		.amdhsa_system_sgpr_workgroup_info 0
		.amdhsa_system_vgpr_workitem_id 0
		.amdhsa_next_free_vgpr 51
		.amdhsa_next_free_sgpr 34
		.amdhsa_named_barrier_count 0
		.amdhsa_reserve_vcc 1
		.amdhsa_float_round_mode_32 0
		.amdhsa_float_round_mode_16_64 0
		.amdhsa_float_denorm_mode_32 3
		.amdhsa_float_denorm_mode_16_64 3
		.amdhsa_fp16_overflow 0
		.amdhsa_memory_ordered 1
		.amdhsa_forward_progress 1
		.amdhsa_inst_pref_size 1
		.amdhsa_round_robin_scheduling 0
		.amdhsa_exception_fp_ieee_invalid_op 0
		.amdhsa_exception_fp_denorm_src 0
		.amdhsa_exception_fp_ieee_div_zero 0
		.amdhsa_exception_fp_ieee_overflow 0
		.amdhsa_exception_fp_ieee_underflow 0
		.amdhsa_exception_fp_ieee_inexact 0
		.amdhsa_exception_int_div_zero 0
	.end_amdhsa_kernel
	.section	.text._Z39paged_attention_ll4mi_QKV_mfma16_kernelIDF16_hLN4vllm18Fp8KVCacheDataTypeE1EDF16_Li32ELi64ELi256ELb1ELi6EEvPKT_PKT0_S7_ifPKiS9_S9_iPKfiiiPfSC_PS2_PT2_iSB_SB_,"axG",@progbits,_Z39paged_attention_ll4mi_QKV_mfma16_kernelIDF16_hLN4vllm18Fp8KVCacheDataTypeE1EDF16_Li32ELi64ELi256ELb1ELi6EEvPKT_PKT0_S7_ifPKiS9_S9_iPKfiiiPfSC_PS2_PT2_iSB_SB_,comdat
.Lfunc_end895:
	.size	_Z39paged_attention_ll4mi_QKV_mfma16_kernelIDF16_hLN4vllm18Fp8KVCacheDataTypeE1EDF16_Li32ELi64ELi256ELb1ELi6EEvPKT_PKT0_S7_ifPKiS9_S9_iPKfiiiPfSC_PS2_PT2_iSB_SB_, .Lfunc_end895-_Z39paged_attention_ll4mi_QKV_mfma16_kernelIDF16_hLN4vllm18Fp8KVCacheDataTypeE1EDF16_Li32ELi64ELi256ELb1ELi6EEvPKT_PKT0_S7_ifPKiS9_S9_iPKfiiiPfSC_PS2_PT2_iSB_SB_
                                        ; -- End function
	.set _Z39paged_attention_ll4mi_QKV_mfma16_kernelIDF16_hLN4vllm18Fp8KVCacheDataTypeE1EDF16_Li32ELi64ELi256ELb1ELi6EEvPKT_PKT0_S7_ifPKiS9_S9_iPKfiiiPfSC_PS2_PT2_iSB_SB_.num_vgpr, max(3, .L__assert_fail.num_vgpr)
	.set _Z39paged_attention_ll4mi_QKV_mfma16_kernelIDF16_hLN4vllm18Fp8KVCacheDataTypeE1EDF16_Li32ELi64ELi256ELb1ELi6EEvPKT_PKT0_S7_ifPKiS9_S9_iPKfiiiPfSC_PS2_PT2_iSB_SB_.num_agpr, max(0, .L__assert_fail.num_agpr)
	.set _Z39paged_attention_ll4mi_QKV_mfma16_kernelIDF16_hLN4vllm18Fp8KVCacheDataTypeE1EDF16_Li32ELi64ELi256ELb1ELi6EEvPKT_PKT0_S7_ifPKiS9_S9_iPKfiiiPfSC_PS2_PT2_iSB_SB_.numbered_sgpr, max(33, .L__assert_fail.numbered_sgpr)
	.set _Z39paged_attention_ll4mi_QKV_mfma16_kernelIDF16_hLN4vllm18Fp8KVCacheDataTypeE1EDF16_Li32ELi64ELi256ELb1ELi6EEvPKT_PKT0_S7_ifPKiS9_S9_iPKfiiiPfSC_PS2_PT2_iSB_SB_.num_named_barrier, max(0, .L__assert_fail.num_named_barrier)
	.set _Z39paged_attention_ll4mi_QKV_mfma16_kernelIDF16_hLN4vllm18Fp8KVCacheDataTypeE1EDF16_Li32ELi64ELi256ELb1ELi6EEvPKT_PKT0_S7_ifPKiS9_S9_iPKfiiiPfSC_PS2_PT2_iSB_SB_.private_seg_size, 0+max(.L__assert_fail.private_seg_size)
	.set _Z39paged_attention_ll4mi_QKV_mfma16_kernelIDF16_hLN4vllm18Fp8KVCacheDataTypeE1EDF16_Li32ELi64ELi256ELb1ELi6EEvPKT_PKT0_S7_ifPKiS9_S9_iPKfiiiPfSC_PS2_PT2_iSB_SB_.uses_vcc, or(1, .L__assert_fail.uses_vcc)
	.set _Z39paged_attention_ll4mi_QKV_mfma16_kernelIDF16_hLN4vllm18Fp8KVCacheDataTypeE1EDF16_Li32ELi64ELi256ELb1ELi6EEvPKT_PKT0_S7_ifPKiS9_S9_iPKfiiiPfSC_PS2_PT2_iSB_SB_.uses_flat_scratch, or(0, .L__assert_fail.uses_flat_scratch)
	.set _Z39paged_attention_ll4mi_QKV_mfma16_kernelIDF16_hLN4vllm18Fp8KVCacheDataTypeE1EDF16_Li32ELi64ELi256ELb1ELi6EEvPKT_PKT0_S7_ifPKiS9_S9_iPKfiiiPfSC_PS2_PT2_iSB_SB_.has_dyn_sized_stack, or(0, .L__assert_fail.has_dyn_sized_stack)
	.set _Z39paged_attention_ll4mi_QKV_mfma16_kernelIDF16_hLN4vllm18Fp8KVCacheDataTypeE1EDF16_Li32ELi64ELi256ELb1ELi6EEvPKT_PKT0_S7_ifPKiS9_S9_iPKfiiiPfSC_PS2_PT2_iSB_SB_.has_recursion, or(0, .L__assert_fail.has_recursion)
	.set _Z39paged_attention_ll4mi_QKV_mfma16_kernelIDF16_hLN4vllm18Fp8KVCacheDataTypeE1EDF16_Li32ELi64ELi256ELb1ELi6EEvPKT_PKT0_S7_ifPKiS9_S9_iPKfiiiPfSC_PS2_PT2_iSB_SB_.has_indirect_call, or(0, .L__assert_fail.has_indirect_call)
	.section	.AMDGPU.csdata,"",@progbits
; Kernel info:
; codeLenInByte = 68
; TotalNumSgprs: 36
; NumVgprs: 51
; ScratchSize: 64
; MemoryBound: 0
; FloatMode: 240
; IeeeMode: 1
; LDSByteSize: 0 bytes/workgroup (compile time only)
; SGPRBlocks: 0
; VGPRBlocks: 3
; NumSGPRsForWavesPerEU: 36
; NumVGPRsForWavesPerEU: 51
; NamedBarCnt: 0
; Occupancy: 16
; WaveLimiterHint : 1
; COMPUTE_PGM_RSRC2:SCRATCH_EN: 1
; COMPUTE_PGM_RSRC2:USER_SGPR: 2
; COMPUTE_PGM_RSRC2:TRAP_HANDLER: 0
; COMPUTE_PGM_RSRC2:TGID_X_EN: 1
; COMPUTE_PGM_RSRC2:TGID_Y_EN: 0
; COMPUTE_PGM_RSRC2:TGID_Z_EN: 0
; COMPUTE_PGM_RSRC2:TIDIG_COMP_CNT: 0
	.section	.text._Z39paged_attention_ll4mi_QKV_mfma16_kernelIDF16_hLN4vllm18Fp8KVCacheDataTypeE1EDF16_Li32ELi64ELi256ELb1ELi7EEvPKT_PKT0_S7_ifPKiS9_S9_iPKfiiiPfSC_PS2_PT2_iSB_SB_,"axG",@progbits,_Z39paged_attention_ll4mi_QKV_mfma16_kernelIDF16_hLN4vllm18Fp8KVCacheDataTypeE1EDF16_Li32ELi64ELi256ELb1ELi7EEvPKT_PKT0_S7_ifPKiS9_S9_iPKfiiiPfSC_PS2_PT2_iSB_SB_,comdat
	.protected	_Z39paged_attention_ll4mi_QKV_mfma16_kernelIDF16_hLN4vllm18Fp8KVCacheDataTypeE1EDF16_Li32ELi64ELi256ELb1ELi7EEvPKT_PKT0_S7_ifPKiS9_S9_iPKfiiiPfSC_PS2_PT2_iSB_SB_ ; -- Begin function _Z39paged_attention_ll4mi_QKV_mfma16_kernelIDF16_hLN4vllm18Fp8KVCacheDataTypeE1EDF16_Li32ELi64ELi256ELb1ELi7EEvPKT_PKT0_S7_ifPKiS9_S9_iPKfiiiPfSC_PS2_PT2_iSB_SB_
	.globl	_Z39paged_attention_ll4mi_QKV_mfma16_kernelIDF16_hLN4vllm18Fp8KVCacheDataTypeE1EDF16_Li32ELi64ELi256ELb1ELi7EEvPKT_PKT0_S7_ifPKiS9_S9_iPKfiiiPfSC_PS2_PT2_iSB_SB_
	.p2align	8
	.type	_Z39paged_attention_ll4mi_QKV_mfma16_kernelIDF16_hLN4vllm18Fp8KVCacheDataTypeE1EDF16_Li32ELi64ELi256ELb1ELi7EEvPKT_PKT0_S7_ifPKiS9_S9_iPKfiiiPfSC_PS2_PT2_iSB_SB_,@function
_Z39paged_attention_ll4mi_QKV_mfma16_kernelIDF16_hLN4vllm18Fp8KVCacheDataTypeE1EDF16_Li32ELi64ELi256ELb1ELi7EEvPKT_PKT0_S7_ifPKiS9_S9_iPKfiiiPfSC_PS2_PT2_iSB_SB_: ; @_Z39paged_attention_ll4mi_QKV_mfma16_kernelIDF16_hLN4vllm18Fp8KVCacheDataTypeE1EDF16_Li32ELi64ELi256ELb1ELi7EEvPKT_PKT0_S7_ifPKiS9_S9_iPKfiiiPfSC_PS2_PT2_iSB_SB_
; %bb.0:
	s_get_pc_i64 s[2:3]
	s_add_nc_u64 s[2:3], s[2:3], __PRETTY_FUNCTION__._Z39paged_attention_ll4mi_QKV_mfma16_kernelIDF16_hLN4vllm18Fp8KVCacheDataTypeE1EDF16_Li32ELi64ELi256ELb1ELi7EEvPKT_PKT0_S7_ifPKiS9_S9_iPKfiiiPfSC_PS2_PT2_iSB_SB_@rel64+4
	s_delay_alu instid0(SALU_CYCLE_1)
	v_dual_mov_b32 v0, 0xbb3 :: v_dual_mov_b32 v1, s2
	v_mov_b32_e32 v2, s3
	s_add_nc_u64 s[8:9], s[0:1], 0x90
	s_get_pc_i64 s[0:1]
	s_add_nc_u64 s[0:1], s[0:1], __assert_fail@rel64+4
	s_mov_b32 s32, 0
	s_swap_pc_i64 s[30:31], s[0:1]
	.section	.rodata,"a",@progbits
	.p2align	6, 0x0
	.amdhsa_kernel _Z39paged_attention_ll4mi_QKV_mfma16_kernelIDF16_hLN4vllm18Fp8KVCacheDataTypeE1EDF16_Li32ELi64ELi256ELb1ELi7EEvPKT_PKT0_S7_ifPKiS9_S9_iPKfiiiPfSC_PS2_PT2_iSB_SB_
		.amdhsa_group_segment_fixed_size 0
		.amdhsa_private_segment_fixed_size 64
		.amdhsa_kernarg_size 400
		.amdhsa_user_sgpr_count 2
		.amdhsa_user_sgpr_dispatch_ptr 0
		.amdhsa_user_sgpr_queue_ptr 0
		.amdhsa_user_sgpr_kernarg_segment_ptr 1
		.amdhsa_user_sgpr_dispatch_id 0
		.amdhsa_user_sgpr_kernarg_preload_length 0
		.amdhsa_user_sgpr_kernarg_preload_offset 0
		.amdhsa_user_sgpr_private_segment_size 0
		.amdhsa_wavefront_size32 1
		.amdhsa_uses_dynamic_stack 0
		.amdhsa_enable_private_segment 1
		.amdhsa_system_sgpr_workgroup_id_x 1
		.amdhsa_system_sgpr_workgroup_id_y 0
		.amdhsa_system_sgpr_workgroup_id_z 0
		.amdhsa_system_sgpr_workgroup_info 0
		.amdhsa_system_vgpr_workitem_id 0
		.amdhsa_next_free_vgpr 51
		.amdhsa_next_free_sgpr 34
		.amdhsa_named_barrier_count 0
		.amdhsa_reserve_vcc 1
		.amdhsa_float_round_mode_32 0
		.amdhsa_float_round_mode_16_64 0
		.amdhsa_float_denorm_mode_32 3
		.amdhsa_float_denorm_mode_16_64 3
		.amdhsa_fp16_overflow 0
		.amdhsa_memory_ordered 1
		.amdhsa_forward_progress 1
		.amdhsa_inst_pref_size 1
		.amdhsa_round_robin_scheduling 0
		.amdhsa_exception_fp_ieee_invalid_op 0
		.amdhsa_exception_fp_denorm_src 0
		.amdhsa_exception_fp_ieee_div_zero 0
		.amdhsa_exception_fp_ieee_overflow 0
		.amdhsa_exception_fp_ieee_underflow 0
		.amdhsa_exception_fp_ieee_inexact 0
		.amdhsa_exception_int_div_zero 0
	.end_amdhsa_kernel
	.section	.text._Z39paged_attention_ll4mi_QKV_mfma16_kernelIDF16_hLN4vllm18Fp8KVCacheDataTypeE1EDF16_Li32ELi64ELi256ELb1ELi7EEvPKT_PKT0_S7_ifPKiS9_S9_iPKfiiiPfSC_PS2_PT2_iSB_SB_,"axG",@progbits,_Z39paged_attention_ll4mi_QKV_mfma16_kernelIDF16_hLN4vllm18Fp8KVCacheDataTypeE1EDF16_Li32ELi64ELi256ELb1ELi7EEvPKT_PKT0_S7_ifPKiS9_S9_iPKfiiiPfSC_PS2_PT2_iSB_SB_,comdat
.Lfunc_end896:
	.size	_Z39paged_attention_ll4mi_QKV_mfma16_kernelIDF16_hLN4vllm18Fp8KVCacheDataTypeE1EDF16_Li32ELi64ELi256ELb1ELi7EEvPKT_PKT0_S7_ifPKiS9_S9_iPKfiiiPfSC_PS2_PT2_iSB_SB_, .Lfunc_end896-_Z39paged_attention_ll4mi_QKV_mfma16_kernelIDF16_hLN4vllm18Fp8KVCacheDataTypeE1EDF16_Li32ELi64ELi256ELb1ELi7EEvPKT_PKT0_S7_ifPKiS9_S9_iPKfiiiPfSC_PS2_PT2_iSB_SB_
                                        ; -- End function
	.set _Z39paged_attention_ll4mi_QKV_mfma16_kernelIDF16_hLN4vllm18Fp8KVCacheDataTypeE1EDF16_Li32ELi64ELi256ELb1ELi7EEvPKT_PKT0_S7_ifPKiS9_S9_iPKfiiiPfSC_PS2_PT2_iSB_SB_.num_vgpr, max(3, .L__assert_fail.num_vgpr)
	.set _Z39paged_attention_ll4mi_QKV_mfma16_kernelIDF16_hLN4vllm18Fp8KVCacheDataTypeE1EDF16_Li32ELi64ELi256ELb1ELi7EEvPKT_PKT0_S7_ifPKiS9_S9_iPKfiiiPfSC_PS2_PT2_iSB_SB_.num_agpr, max(0, .L__assert_fail.num_agpr)
	.set _Z39paged_attention_ll4mi_QKV_mfma16_kernelIDF16_hLN4vllm18Fp8KVCacheDataTypeE1EDF16_Li32ELi64ELi256ELb1ELi7EEvPKT_PKT0_S7_ifPKiS9_S9_iPKfiiiPfSC_PS2_PT2_iSB_SB_.numbered_sgpr, max(33, .L__assert_fail.numbered_sgpr)
	.set _Z39paged_attention_ll4mi_QKV_mfma16_kernelIDF16_hLN4vllm18Fp8KVCacheDataTypeE1EDF16_Li32ELi64ELi256ELb1ELi7EEvPKT_PKT0_S7_ifPKiS9_S9_iPKfiiiPfSC_PS2_PT2_iSB_SB_.num_named_barrier, max(0, .L__assert_fail.num_named_barrier)
	.set _Z39paged_attention_ll4mi_QKV_mfma16_kernelIDF16_hLN4vllm18Fp8KVCacheDataTypeE1EDF16_Li32ELi64ELi256ELb1ELi7EEvPKT_PKT0_S7_ifPKiS9_S9_iPKfiiiPfSC_PS2_PT2_iSB_SB_.private_seg_size, 0+max(.L__assert_fail.private_seg_size)
	.set _Z39paged_attention_ll4mi_QKV_mfma16_kernelIDF16_hLN4vllm18Fp8KVCacheDataTypeE1EDF16_Li32ELi64ELi256ELb1ELi7EEvPKT_PKT0_S7_ifPKiS9_S9_iPKfiiiPfSC_PS2_PT2_iSB_SB_.uses_vcc, or(1, .L__assert_fail.uses_vcc)
	.set _Z39paged_attention_ll4mi_QKV_mfma16_kernelIDF16_hLN4vllm18Fp8KVCacheDataTypeE1EDF16_Li32ELi64ELi256ELb1ELi7EEvPKT_PKT0_S7_ifPKiS9_S9_iPKfiiiPfSC_PS2_PT2_iSB_SB_.uses_flat_scratch, or(0, .L__assert_fail.uses_flat_scratch)
	.set _Z39paged_attention_ll4mi_QKV_mfma16_kernelIDF16_hLN4vllm18Fp8KVCacheDataTypeE1EDF16_Li32ELi64ELi256ELb1ELi7EEvPKT_PKT0_S7_ifPKiS9_S9_iPKfiiiPfSC_PS2_PT2_iSB_SB_.has_dyn_sized_stack, or(0, .L__assert_fail.has_dyn_sized_stack)
	.set _Z39paged_attention_ll4mi_QKV_mfma16_kernelIDF16_hLN4vllm18Fp8KVCacheDataTypeE1EDF16_Li32ELi64ELi256ELb1ELi7EEvPKT_PKT0_S7_ifPKiS9_S9_iPKfiiiPfSC_PS2_PT2_iSB_SB_.has_recursion, or(0, .L__assert_fail.has_recursion)
	.set _Z39paged_attention_ll4mi_QKV_mfma16_kernelIDF16_hLN4vllm18Fp8KVCacheDataTypeE1EDF16_Li32ELi64ELi256ELb1ELi7EEvPKT_PKT0_S7_ifPKiS9_S9_iPKfiiiPfSC_PS2_PT2_iSB_SB_.has_indirect_call, or(0, .L__assert_fail.has_indirect_call)
	.section	.AMDGPU.csdata,"",@progbits
; Kernel info:
; codeLenInByte = 68
; TotalNumSgprs: 36
; NumVgprs: 51
; ScratchSize: 64
; MemoryBound: 0
; FloatMode: 240
; IeeeMode: 1
; LDSByteSize: 0 bytes/workgroup (compile time only)
; SGPRBlocks: 0
; VGPRBlocks: 3
; NumSGPRsForWavesPerEU: 36
; NumVGPRsForWavesPerEU: 51
; NamedBarCnt: 0
; Occupancy: 16
; WaveLimiterHint : 1
; COMPUTE_PGM_RSRC2:SCRATCH_EN: 1
; COMPUTE_PGM_RSRC2:USER_SGPR: 2
; COMPUTE_PGM_RSRC2:TRAP_HANDLER: 0
; COMPUTE_PGM_RSRC2:TGID_X_EN: 1
; COMPUTE_PGM_RSRC2:TGID_Y_EN: 0
; COMPUTE_PGM_RSRC2:TGID_Z_EN: 0
; COMPUTE_PGM_RSRC2:TIDIG_COMP_CNT: 0
	.section	.text._Z39paged_attention_ll4mi_QKV_mfma16_kernelIDF16_hLN4vllm18Fp8KVCacheDataTypeE1EDF16_Li32ELi64ELi256ELb1ELi8EEvPKT_PKT0_S7_ifPKiS9_S9_iPKfiiiPfSC_PS2_PT2_iSB_SB_,"axG",@progbits,_Z39paged_attention_ll4mi_QKV_mfma16_kernelIDF16_hLN4vllm18Fp8KVCacheDataTypeE1EDF16_Li32ELi64ELi256ELb1ELi8EEvPKT_PKT0_S7_ifPKiS9_S9_iPKfiiiPfSC_PS2_PT2_iSB_SB_,comdat
	.protected	_Z39paged_attention_ll4mi_QKV_mfma16_kernelIDF16_hLN4vllm18Fp8KVCacheDataTypeE1EDF16_Li32ELi64ELi256ELb1ELi8EEvPKT_PKT0_S7_ifPKiS9_S9_iPKfiiiPfSC_PS2_PT2_iSB_SB_ ; -- Begin function _Z39paged_attention_ll4mi_QKV_mfma16_kernelIDF16_hLN4vllm18Fp8KVCacheDataTypeE1EDF16_Li32ELi64ELi256ELb1ELi8EEvPKT_PKT0_S7_ifPKiS9_S9_iPKfiiiPfSC_PS2_PT2_iSB_SB_
	.globl	_Z39paged_attention_ll4mi_QKV_mfma16_kernelIDF16_hLN4vllm18Fp8KVCacheDataTypeE1EDF16_Li32ELi64ELi256ELb1ELi8EEvPKT_PKT0_S7_ifPKiS9_S9_iPKfiiiPfSC_PS2_PT2_iSB_SB_
	.p2align	8
	.type	_Z39paged_attention_ll4mi_QKV_mfma16_kernelIDF16_hLN4vllm18Fp8KVCacheDataTypeE1EDF16_Li32ELi64ELi256ELb1ELi8EEvPKT_PKT0_S7_ifPKiS9_S9_iPKfiiiPfSC_PS2_PT2_iSB_SB_,@function
_Z39paged_attention_ll4mi_QKV_mfma16_kernelIDF16_hLN4vllm18Fp8KVCacheDataTypeE1EDF16_Li32ELi64ELi256ELb1ELi8EEvPKT_PKT0_S7_ifPKiS9_S9_iPKfiiiPfSC_PS2_PT2_iSB_SB_: ; @_Z39paged_attention_ll4mi_QKV_mfma16_kernelIDF16_hLN4vllm18Fp8KVCacheDataTypeE1EDF16_Li32ELi64ELi256ELb1ELi8EEvPKT_PKT0_S7_ifPKiS9_S9_iPKfiiiPfSC_PS2_PT2_iSB_SB_
; %bb.0:
	s_get_pc_i64 s[2:3]
	s_add_nc_u64 s[2:3], s[2:3], __PRETTY_FUNCTION__._Z39paged_attention_ll4mi_QKV_mfma16_kernelIDF16_hLN4vllm18Fp8KVCacheDataTypeE1EDF16_Li32ELi64ELi256ELb1ELi8EEvPKT_PKT0_S7_ifPKiS9_S9_iPKfiiiPfSC_PS2_PT2_iSB_SB_@rel64+4
	s_delay_alu instid0(SALU_CYCLE_1)
	v_dual_mov_b32 v0, 0xbb3 :: v_dual_mov_b32 v1, s2
	v_mov_b32_e32 v2, s3
	s_add_nc_u64 s[8:9], s[0:1], 0x90
	s_get_pc_i64 s[0:1]
	s_add_nc_u64 s[0:1], s[0:1], __assert_fail@rel64+4
	s_mov_b32 s32, 0
	s_swap_pc_i64 s[30:31], s[0:1]
	.section	.rodata,"a",@progbits
	.p2align	6, 0x0
	.amdhsa_kernel _Z39paged_attention_ll4mi_QKV_mfma16_kernelIDF16_hLN4vllm18Fp8KVCacheDataTypeE1EDF16_Li32ELi64ELi256ELb1ELi8EEvPKT_PKT0_S7_ifPKiS9_S9_iPKfiiiPfSC_PS2_PT2_iSB_SB_
		.amdhsa_group_segment_fixed_size 0
		.amdhsa_private_segment_fixed_size 64
		.amdhsa_kernarg_size 400
		.amdhsa_user_sgpr_count 2
		.amdhsa_user_sgpr_dispatch_ptr 0
		.amdhsa_user_sgpr_queue_ptr 0
		.amdhsa_user_sgpr_kernarg_segment_ptr 1
		.amdhsa_user_sgpr_dispatch_id 0
		.amdhsa_user_sgpr_kernarg_preload_length 0
		.amdhsa_user_sgpr_kernarg_preload_offset 0
		.amdhsa_user_sgpr_private_segment_size 0
		.amdhsa_wavefront_size32 1
		.amdhsa_uses_dynamic_stack 0
		.amdhsa_enable_private_segment 1
		.amdhsa_system_sgpr_workgroup_id_x 1
		.amdhsa_system_sgpr_workgroup_id_y 0
		.amdhsa_system_sgpr_workgroup_id_z 0
		.amdhsa_system_sgpr_workgroup_info 0
		.amdhsa_system_vgpr_workitem_id 0
		.amdhsa_next_free_vgpr 51
		.amdhsa_next_free_sgpr 34
		.amdhsa_named_barrier_count 0
		.amdhsa_reserve_vcc 1
		.amdhsa_float_round_mode_32 0
		.amdhsa_float_round_mode_16_64 0
		.amdhsa_float_denorm_mode_32 3
		.amdhsa_float_denorm_mode_16_64 3
		.amdhsa_fp16_overflow 0
		.amdhsa_memory_ordered 1
		.amdhsa_forward_progress 1
		.amdhsa_inst_pref_size 1
		.amdhsa_round_robin_scheduling 0
		.amdhsa_exception_fp_ieee_invalid_op 0
		.amdhsa_exception_fp_denorm_src 0
		.amdhsa_exception_fp_ieee_div_zero 0
		.amdhsa_exception_fp_ieee_overflow 0
		.amdhsa_exception_fp_ieee_underflow 0
		.amdhsa_exception_fp_ieee_inexact 0
		.amdhsa_exception_int_div_zero 0
	.end_amdhsa_kernel
	.section	.text._Z39paged_attention_ll4mi_QKV_mfma16_kernelIDF16_hLN4vllm18Fp8KVCacheDataTypeE1EDF16_Li32ELi64ELi256ELb1ELi8EEvPKT_PKT0_S7_ifPKiS9_S9_iPKfiiiPfSC_PS2_PT2_iSB_SB_,"axG",@progbits,_Z39paged_attention_ll4mi_QKV_mfma16_kernelIDF16_hLN4vllm18Fp8KVCacheDataTypeE1EDF16_Li32ELi64ELi256ELb1ELi8EEvPKT_PKT0_S7_ifPKiS9_S9_iPKfiiiPfSC_PS2_PT2_iSB_SB_,comdat
.Lfunc_end897:
	.size	_Z39paged_attention_ll4mi_QKV_mfma16_kernelIDF16_hLN4vllm18Fp8KVCacheDataTypeE1EDF16_Li32ELi64ELi256ELb1ELi8EEvPKT_PKT0_S7_ifPKiS9_S9_iPKfiiiPfSC_PS2_PT2_iSB_SB_, .Lfunc_end897-_Z39paged_attention_ll4mi_QKV_mfma16_kernelIDF16_hLN4vllm18Fp8KVCacheDataTypeE1EDF16_Li32ELi64ELi256ELb1ELi8EEvPKT_PKT0_S7_ifPKiS9_S9_iPKfiiiPfSC_PS2_PT2_iSB_SB_
                                        ; -- End function
	.set _Z39paged_attention_ll4mi_QKV_mfma16_kernelIDF16_hLN4vllm18Fp8KVCacheDataTypeE1EDF16_Li32ELi64ELi256ELb1ELi8EEvPKT_PKT0_S7_ifPKiS9_S9_iPKfiiiPfSC_PS2_PT2_iSB_SB_.num_vgpr, max(3, .L__assert_fail.num_vgpr)
	.set _Z39paged_attention_ll4mi_QKV_mfma16_kernelIDF16_hLN4vllm18Fp8KVCacheDataTypeE1EDF16_Li32ELi64ELi256ELb1ELi8EEvPKT_PKT0_S7_ifPKiS9_S9_iPKfiiiPfSC_PS2_PT2_iSB_SB_.num_agpr, max(0, .L__assert_fail.num_agpr)
	.set _Z39paged_attention_ll4mi_QKV_mfma16_kernelIDF16_hLN4vllm18Fp8KVCacheDataTypeE1EDF16_Li32ELi64ELi256ELb1ELi8EEvPKT_PKT0_S7_ifPKiS9_S9_iPKfiiiPfSC_PS2_PT2_iSB_SB_.numbered_sgpr, max(33, .L__assert_fail.numbered_sgpr)
	.set _Z39paged_attention_ll4mi_QKV_mfma16_kernelIDF16_hLN4vllm18Fp8KVCacheDataTypeE1EDF16_Li32ELi64ELi256ELb1ELi8EEvPKT_PKT0_S7_ifPKiS9_S9_iPKfiiiPfSC_PS2_PT2_iSB_SB_.num_named_barrier, max(0, .L__assert_fail.num_named_barrier)
	.set _Z39paged_attention_ll4mi_QKV_mfma16_kernelIDF16_hLN4vllm18Fp8KVCacheDataTypeE1EDF16_Li32ELi64ELi256ELb1ELi8EEvPKT_PKT0_S7_ifPKiS9_S9_iPKfiiiPfSC_PS2_PT2_iSB_SB_.private_seg_size, 0+max(.L__assert_fail.private_seg_size)
	.set _Z39paged_attention_ll4mi_QKV_mfma16_kernelIDF16_hLN4vllm18Fp8KVCacheDataTypeE1EDF16_Li32ELi64ELi256ELb1ELi8EEvPKT_PKT0_S7_ifPKiS9_S9_iPKfiiiPfSC_PS2_PT2_iSB_SB_.uses_vcc, or(1, .L__assert_fail.uses_vcc)
	.set _Z39paged_attention_ll4mi_QKV_mfma16_kernelIDF16_hLN4vllm18Fp8KVCacheDataTypeE1EDF16_Li32ELi64ELi256ELb1ELi8EEvPKT_PKT0_S7_ifPKiS9_S9_iPKfiiiPfSC_PS2_PT2_iSB_SB_.uses_flat_scratch, or(0, .L__assert_fail.uses_flat_scratch)
	.set _Z39paged_attention_ll4mi_QKV_mfma16_kernelIDF16_hLN4vllm18Fp8KVCacheDataTypeE1EDF16_Li32ELi64ELi256ELb1ELi8EEvPKT_PKT0_S7_ifPKiS9_S9_iPKfiiiPfSC_PS2_PT2_iSB_SB_.has_dyn_sized_stack, or(0, .L__assert_fail.has_dyn_sized_stack)
	.set _Z39paged_attention_ll4mi_QKV_mfma16_kernelIDF16_hLN4vllm18Fp8KVCacheDataTypeE1EDF16_Li32ELi64ELi256ELb1ELi8EEvPKT_PKT0_S7_ifPKiS9_S9_iPKfiiiPfSC_PS2_PT2_iSB_SB_.has_recursion, or(0, .L__assert_fail.has_recursion)
	.set _Z39paged_attention_ll4mi_QKV_mfma16_kernelIDF16_hLN4vllm18Fp8KVCacheDataTypeE1EDF16_Li32ELi64ELi256ELb1ELi8EEvPKT_PKT0_S7_ifPKiS9_S9_iPKfiiiPfSC_PS2_PT2_iSB_SB_.has_indirect_call, or(0, .L__assert_fail.has_indirect_call)
	.section	.AMDGPU.csdata,"",@progbits
; Kernel info:
; codeLenInByte = 68
; TotalNumSgprs: 36
; NumVgprs: 51
; ScratchSize: 64
; MemoryBound: 0
; FloatMode: 240
; IeeeMode: 1
; LDSByteSize: 0 bytes/workgroup (compile time only)
; SGPRBlocks: 0
; VGPRBlocks: 3
; NumSGPRsForWavesPerEU: 36
; NumVGPRsForWavesPerEU: 51
; NamedBarCnt: 0
; Occupancy: 16
; WaveLimiterHint : 1
; COMPUTE_PGM_RSRC2:SCRATCH_EN: 1
; COMPUTE_PGM_RSRC2:USER_SGPR: 2
; COMPUTE_PGM_RSRC2:TRAP_HANDLER: 0
; COMPUTE_PGM_RSRC2:TGID_X_EN: 1
; COMPUTE_PGM_RSRC2:TGID_Y_EN: 0
; COMPUTE_PGM_RSRC2:TGID_Z_EN: 0
; COMPUTE_PGM_RSRC2:TIDIG_COMP_CNT: 0
	.section	.text._Z39paged_attention_ll4mi_QKV_mfma16_kernelIDF16_hLN4vllm18Fp8KVCacheDataTypeE1EDF16_Li32ELi64ELi256ELb1ELi9EEvPKT_PKT0_S7_ifPKiS9_S9_iPKfiiiPfSC_PS2_PT2_iSB_SB_,"axG",@progbits,_Z39paged_attention_ll4mi_QKV_mfma16_kernelIDF16_hLN4vllm18Fp8KVCacheDataTypeE1EDF16_Li32ELi64ELi256ELb1ELi9EEvPKT_PKT0_S7_ifPKiS9_S9_iPKfiiiPfSC_PS2_PT2_iSB_SB_,comdat
	.protected	_Z39paged_attention_ll4mi_QKV_mfma16_kernelIDF16_hLN4vllm18Fp8KVCacheDataTypeE1EDF16_Li32ELi64ELi256ELb1ELi9EEvPKT_PKT0_S7_ifPKiS9_S9_iPKfiiiPfSC_PS2_PT2_iSB_SB_ ; -- Begin function _Z39paged_attention_ll4mi_QKV_mfma16_kernelIDF16_hLN4vllm18Fp8KVCacheDataTypeE1EDF16_Li32ELi64ELi256ELb1ELi9EEvPKT_PKT0_S7_ifPKiS9_S9_iPKfiiiPfSC_PS2_PT2_iSB_SB_
	.globl	_Z39paged_attention_ll4mi_QKV_mfma16_kernelIDF16_hLN4vllm18Fp8KVCacheDataTypeE1EDF16_Li32ELi64ELi256ELb1ELi9EEvPKT_PKT0_S7_ifPKiS9_S9_iPKfiiiPfSC_PS2_PT2_iSB_SB_
	.p2align	8
	.type	_Z39paged_attention_ll4mi_QKV_mfma16_kernelIDF16_hLN4vllm18Fp8KVCacheDataTypeE1EDF16_Li32ELi64ELi256ELb1ELi9EEvPKT_PKT0_S7_ifPKiS9_S9_iPKfiiiPfSC_PS2_PT2_iSB_SB_,@function
_Z39paged_attention_ll4mi_QKV_mfma16_kernelIDF16_hLN4vllm18Fp8KVCacheDataTypeE1EDF16_Li32ELi64ELi256ELb1ELi9EEvPKT_PKT0_S7_ifPKiS9_S9_iPKfiiiPfSC_PS2_PT2_iSB_SB_: ; @_Z39paged_attention_ll4mi_QKV_mfma16_kernelIDF16_hLN4vllm18Fp8KVCacheDataTypeE1EDF16_Li32ELi64ELi256ELb1ELi9EEvPKT_PKT0_S7_ifPKiS9_S9_iPKfiiiPfSC_PS2_PT2_iSB_SB_
; %bb.0:
	s_get_pc_i64 s[2:3]
	s_add_nc_u64 s[2:3], s[2:3], __PRETTY_FUNCTION__._Z39paged_attention_ll4mi_QKV_mfma16_kernelIDF16_hLN4vllm18Fp8KVCacheDataTypeE1EDF16_Li32ELi64ELi256ELb1ELi9EEvPKT_PKT0_S7_ifPKiS9_S9_iPKfiiiPfSC_PS2_PT2_iSB_SB_@rel64+4
	s_delay_alu instid0(SALU_CYCLE_1)
	v_dual_mov_b32 v0, 0xbb3 :: v_dual_mov_b32 v1, s2
	v_mov_b32_e32 v2, s3
	s_add_nc_u64 s[8:9], s[0:1], 0x90
	s_get_pc_i64 s[0:1]
	s_add_nc_u64 s[0:1], s[0:1], __assert_fail@rel64+4
	s_mov_b32 s32, 0
	s_swap_pc_i64 s[30:31], s[0:1]
	.section	.rodata,"a",@progbits
	.p2align	6, 0x0
	.amdhsa_kernel _Z39paged_attention_ll4mi_QKV_mfma16_kernelIDF16_hLN4vllm18Fp8KVCacheDataTypeE1EDF16_Li32ELi64ELi256ELb1ELi9EEvPKT_PKT0_S7_ifPKiS9_S9_iPKfiiiPfSC_PS2_PT2_iSB_SB_
		.amdhsa_group_segment_fixed_size 0
		.amdhsa_private_segment_fixed_size 64
		.amdhsa_kernarg_size 400
		.amdhsa_user_sgpr_count 2
		.amdhsa_user_sgpr_dispatch_ptr 0
		.amdhsa_user_sgpr_queue_ptr 0
		.amdhsa_user_sgpr_kernarg_segment_ptr 1
		.amdhsa_user_sgpr_dispatch_id 0
		.amdhsa_user_sgpr_kernarg_preload_length 0
		.amdhsa_user_sgpr_kernarg_preload_offset 0
		.amdhsa_user_sgpr_private_segment_size 0
		.amdhsa_wavefront_size32 1
		.amdhsa_uses_dynamic_stack 0
		.amdhsa_enable_private_segment 1
		.amdhsa_system_sgpr_workgroup_id_x 1
		.amdhsa_system_sgpr_workgroup_id_y 0
		.amdhsa_system_sgpr_workgroup_id_z 0
		.amdhsa_system_sgpr_workgroup_info 0
		.amdhsa_system_vgpr_workitem_id 0
		.amdhsa_next_free_vgpr 51
		.amdhsa_next_free_sgpr 34
		.amdhsa_named_barrier_count 0
		.amdhsa_reserve_vcc 1
		.amdhsa_float_round_mode_32 0
		.amdhsa_float_round_mode_16_64 0
		.amdhsa_float_denorm_mode_32 3
		.amdhsa_float_denorm_mode_16_64 3
		.amdhsa_fp16_overflow 0
		.amdhsa_memory_ordered 1
		.amdhsa_forward_progress 1
		.amdhsa_inst_pref_size 1
		.amdhsa_round_robin_scheduling 0
		.amdhsa_exception_fp_ieee_invalid_op 0
		.amdhsa_exception_fp_denorm_src 0
		.amdhsa_exception_fp_ieee_div_zero 0
		.amdhsa_exception_fp_ieee_overflow 0
		.amdhsa_exception_fp_ieee_underflow 0
		.amdhsa_exception_fp_ieee_inexact 0
		.amdhsa_exception_int_div_zero 0
	.end_amdhsa_kernel
	.section	.text._Z39paged_attention_ll4mi_QKV_mfma16_kernelIDF16_hLN4vllm18Fp8KVCacheDataTypeE1EDF16_Li32ELi64ELi256ELb1ELi9EEvPKT_PKT0_S7_ifPKiS9_S9_iPKfiiiPfSC_PS2_PT2_iSB_SB_,"axG",@progbits,_Z39paged_attention_ll4mi_QKV_mfma16_kernelIDF16_hLN4vllm18Fp8KVCacheDataTypeE1EDF16_Li32ELi64ELi256ELb1ELi9EEvPKT_PKT0_S7_ifPKiS9_S9_iPKfiiiPfSC_PS2_PT2_iSB_SB_,comdat
.Lfunc_end898:
	.size	_Z39paged_attention_ll4mi_QKV_mfma16_kernelIDF16_hLN4vllm18Fp8KVCacheDataTypeE1EDF16_Li32ELi64ELi256ELb1ELi9EEvPKT_PKT0_S7_ifPKiS9_S9_iPKfiiiPfSC_PS2_PT2_iSB_SB_, .Lfunc_end898-_Z39paged_attention_ll4mi_QKV_mfma16_kernelIDF16_hLN4vllm18Fp8KVCacheDataTypeE1EDF16_Li32ELi64ELi256ELb1ELi9EEvPKT_PKT0_S7_ifPKiS9_S9_iPKfiiiPfSC_PS2_PT2_iSB_SB_
                                        ; -- End function
	.set _Z39paged_attention_ll4mi_QKV_mfma16_kernelIDF16_hLN4vllm18Fp8KVCacheDataTypeE1EDF16_Li32ELi64ELi256ELb1ELi9EEvPKT_PKT0_S7_ifPKiS9_S9_iPKfiiiPfSC_PS2_PT2_iSB_SB_.num_vgpr, max(3, .L__assert_fail.num_vgpr)
	.set _Z39paged_attention_ll4mi_QKV_mfma16_kernelIDF16_hLN4vllm18Fp8KVCacheDataTypeE1EDF16_Li32ELi64ELi256ELb1ELi9EEvPKT_PKT0_S7_ifPKiS9_S9_iPKfiiiPfSC_PS2_PT2_iSB_SB_.num_agpr, max(0, .L__assert_fail.num_agpr)
	.set _Z39paged_attention_ll4mi_QKV_mfma16_kernelIDF16_hLN4vllm18Fp8KVCacheDataTypeE1EDF16_Li32ELi64ELi256ELb1ELi9EEvPKT_PKT0_S7_ifPKiS9_S9_iPKfiiiPfSC_PS2_PT2_iSB_SB_.numbered_sgpr, max(33, .L__assert_fail.numbered_sgpr)
	.set _Z39paged_attention_ll4mi_QKV_mfma16_kernelIDF16_hLN4vllm18Fp8KVCacheDataTypeE1EDF16_Li32ELi64ELi256ELb1ELi9EEvPKT_PKT0_S7_ifPKiS9_S9_iPKfiiiPfSC_PS2_PT2_iSB_SB_.num_named_barrier, max(0, .L__assert_fail.num_named_barrier)
	.set _Z39paged_attention_ll4mi_QKV_mfma16_kernelIDF16_hLN4vllm18Fp8KVCacheDataTypeE1EDF16_Li32ELi64ELi256ELb1ELi9EEvPKT_PKT0_S7_ifPKiS9_S9_iPKfiiiPfSC_PS2_PT2_iSB_SB_.private_seg_size, 0+max(.L__assert_fail.private_seg_size)
	.set _Z39paged_attention_ll4mi_QKV_mfma16_kernelIDF16_hLN4vllm18Fp8KVCacheDataTypeE1EDF16_Li32ELi64ELi256ELb1ELi9EEvPKT_PKT0_S7_ifPKiS9_S9_iPKfiiiPfSC_PS2_PT2_iSB_SB_.uses_vcc, or(1, .L__assert_fail.uses_vcc)
	.set _Z39paged_attention_ll4mi_QKV_mfma16_kernelIDF16_hLN4vllm18Fp8KVCacheDataTypeE1EDF16_Li32ELi64ELi256ELb1ELi9EEvPKT_PKT0_S7_ifPKiS9_S9_iPKfiiiPfSC_PS2_PT2_iSB_SB_.uses_flat_scratch, or(0, .L__assert_fail.uses_flat_scratch)
	.set _Z39paged_attention_ll4mi_QKV_mfma16_kernelIDF16_hLN4vllm18Fp8KVCacheDataTypeE1EDF16_Li32ELi64ELi256ELb1ELi9EEvPKT_PKT0_S7_ifPKiS9_S9_iPKfiiiPfSC_PS2_PT2_iSB_SB_.has_dyn_sized_stack, or(0, .L__assert_fail.has_dyn_sized_stack)
	.set _Z39paged_attention_ll4mi_QKV_mfma16_kernelIDF16_hLN4vllm18Fp8KVCacheDataTypeE1EDF16_Li32ELi64ELi256ELb1ELi9EEvPKT_PKT0_S7_ifPKiS9_S9_iPKfiiiPfSC_PS2_PT2_iSB_SB_.has_recursion, or(0, .L__assert_fail.has_recursion)
	.set _Z39paged_attention_ll4mi_QKV_mfma16_kernelIDF16_hLN4vllm18Fp8KVCacheDataTypeE1EDF16_Li32ELi64ELi256ELb1ELi9EEvPKT_PKT0_S7_ifPKiS9_S9_iPKfiiiPfSC_PS2_PT2_iSB_SB_.has_indirect_call, or(0, .L__assert_fail.has_indirect_call)
	.section	.AMDGPU.csdata,"",@progbits
; Kernel info:
; codeLenInByte = 68
; TotalNumSgprs: 36
; NumVgprs: 51
; ScratchSize: 64
; MemoryBound: 0
; FloatMode: 240
; IeeeMode: 1
; LDSByteSize: 0 bytes/workgroup (compile time only)
; SGPRBlocks: 0
; VGPRBlocks: 3
; NumSGPRsForWavesPerEU: 36
; NumVGPRsForWavesPerEU: 51
; NamedBarCnt: 0
; Occupancy: 16
; WaveLimiterHint : 1
; COMPUTE_PGM_RSRC2:SCRATCH_EN: 1
; COMPUTE_PGM_RSRC2:USER_SGPR: 2
; COMPUTE_PGM_RSRC2:TRAP_HANDLER: 0
; COMPUTE_PGM_RSRC2:TGID_X_EN: 1
; COMPUTE_PGM_RSRC2:TGID_Y_EN: 0
; COMPUTE_PGM_RSRC2:TGID_Z_EN: 0
; COMPUTE_PGM_RSRC2:TIDIG_COMP_CNT: 0
	.section	.text._Z39paged_attention_ll4mi_QKV_mfma16_kernelIDF16_hLN4vllm18Fp8KVCacheDataTypeE1EDF16_Li32ELi64ELi256ELb1ELi10EEvPKT_PKT0_S7_ifPKiS9_S9_iPKfiiiPfSC_PS2_PT2_iSB_SB_,"axG",@progbits,_Z39paged_attention_ll4mi_QKV_mfma16_kernelIDF16_hLN4vllm18Fp8KVCacheDataTypeE1EDF16_Li32ELi64ELi256ELb1ELi10EEvPKT_PKT0_S7_ifPKiS9_S9_iPKfiiiPfSC_PS2_PT2_iSB_SB_,comdat
	.protected	_Z39paged_attention_ll4mi_QKV_mfma16_kernelIDF16_hLN4vllm18Fp8KVCacheDataTypeE1EDF16_Li32ELi64ELi256ELb1ELi10EEvPKT_PKT0_S7_ifPKiS9_S9_iPKfiiiPfSC_PS2_PT2_iSB_SB_ ; -- Begin function _Z39paged_attention_ll4mi_QKV_mfma16_kernelIDF16_hLN4vllm18Fp8KVCacheDataTypeE1EDF16_Li32ELi64ELi256ELb1ELi10EEvPKT_PKT0_S7_ifPKiS9_S9_iPKfiiiPfSC_PS2_PT2_iSB_SB_
	.globl	_Z39paged_attention_ll4mi_QKV_mfma16_kernelIDF16_hLN4vllm18Fp8KVCacheDataTypeE1EDF16_Li32ELi64ELi256ELb1ELi10EEvPKT_PKT0_S7_ifPKiS9_S9_iPKfiiiPfSC_PS2_PT2_iSB_SB_
	.p2align	8
	.type	_Z39paged_attention_ll4mi_QKV_mfma16_kernelIDF16_hLN4vllm18Fp8KVCacheDataTypeE1EDF16_Li32ELi64ELi256ELb1ELi10EEvPKT_PKT0_S7_ifPKiS9_S9_iPKfiiiPfSC_PS2_PT2_iSB_SB_,@function
_Z39paged_attention_ll4mi_QKV_mfma16_kernelIDF16_hLN4vllm18Fp8KVCacheDataTypeE1EDF16_Li32ELi64ELi256ELb1ELi10EEvPKT_PKT0_S7_ifPKiS9_S9_iPKfiiiPfSC_PS2_PT2_iSB_SB_: ; @_Z39paged_attention_ll4mi_QKV_mfma16_kernelIDF16_hLN4vllm18Fp8KVCacheDataTypeE1EDF16_Li32ELi64ELi256ELb1ELi10EEvPKT_PKT0_S7_ifPKiS9_S9_iPKfiiiPfSC_PS2_PT2_iSB_SB_
; %bb.0:
	s_get_pc_i64 s[2:3]
	s_add_nc_u64 s[2:3], s[2:3], __PRETTY_FUNCTION__._Z39paged_attention_ll4mi_QKV_mfma16_kernelIDF16_hLN4vllm18Fp8KVCacheDataTypeE1EDF16_Li32ELi64ELi256ELb1ELi10EEvPKT_PKT0_S7_ifPKiS9_S9_iPKfiiiPfSC_PS2_PT2_iSB_SB_@rel64+4
	s_delay_alu instid0(SALU_CYCLE_1)
	v_dual_mov_b32 v0, 0xbb3 :: v_dual_mov_b32 v1, s2
	v_mov_b32_e32 v2, s3
	s_add_nc_u64 s[8:9], s[0:1], 0x90
	s_get_pc_i64 s[0:1]
	s_add_nc_u64 s[0:1], s[0:1], __assert_fail@rel64+4
	s_mov_b32 s32, 0
	s_swap_pc_i64 s[30:31], s[0:1]
	.section	.rodata,"a",@progbits
	.p2align	6, 0x0
	.amdhsa_kernel _Z39paged_attention_ll4mi_QKV_mfma16_kernelIDF16_hLN4vllm18Fp8KVCacheDataTypeE1EDF16_Li32ELi64ELi256ELb1ELi10EEvPKT_PKT0_S7_ifPKiS9_S9_iPKfiiiPfSC_PS2_PT2_iSB_SB_
		.amdhsa_group_segment_fixed_size 0
		.amdhsa_private_segment_fixed_size 64
		.amdhsa_kernarg_size 400
		.amdhsa_user_sgpr_count 2
		.amdhsa_user_sgpr_dispatch_ptr 0
		.amdhsa_user_sgpr_queue_ptr 0
		.amdhsa_user_sgpr_kernarg_segment_ptr 1
		.amdhsa_user_sgpr_dispatch_id 0
		.amdhsa_user_sgpr_kernarg_preload_length 0
		.amdhsa_user_sgpr_kernarg_preload_offset 0
		.amdhsa_user_sgpr_private_segment_size 0
		.amdhsa_wavefront_size32 1
		.amdhsa_uses_dynamic_stack 0
		.amdhsa_enable_private_segment 1
		.amdhsa_system_sgpr_workgroup_id_x 1
		.amdhsa_system_sgpr_workgroup_id_y 0
		.amdhsa_system_sgpr_workgroup_id_z 0
		.amdhsa_system_sgpr_workgroup_info 0
		.amdhsa_system_vgpr_workitem_id 0
		.amdhsa_next_free_vgpr 51
		.amdhsa_next_free_sgpr 34
		.amdhsa_named_barrier_count 0
		.amdhsa_reserve_vcc 1
		.amdhsa_float_round_mode_32 0
		.amdhsa_float_round_mode_16_64 0
		.amdhsa_float_denorm_mode_32 3
		.amdhsa_float_denorm_mode_16_64 3
		.amdhsa_fp16_overflow 0
		.amdhsa_memory_ordered 1
		.amdhsa_forward_progress 1
		.amdhsa_inst_pref_size 1
		.amdhsa_round_robin_scheduling 0
		.amdhsa_exception_fp_ieee_invalid_op 0
		.amdhsa_exception_fp_denorm_src 0
		.amdhsa_exception_fp_ieee_div_zero 0
		.amdhsa_exception_fp_ieee_overflow 0
		.amdhsa_exception_fp_ieee_underflow 0
		.amdhsa_exception_fp_ieee_inexact 0
		.amdhsa_exception_int_div_zero 0
	.end_amdhsa_kernel
	.section	.text._Z39paged_attention_ll4mi_QKV_mfma16_kernelIDF16_hLN4vllm18Fp8KVCacheDataTypeE1EDF16_Li32ELi64ELi256ELb1ELi10EEvPKT_PKT0_S7_ifPKiS9_S9_iPKfiiiPfSC_PS2_PT2_iSB_SB_,"axG",@progbits,_Z39paged_attention_ll4mi_QKV_mfma16_kernelIDF16_hLN4vllm18Fp8KVCacheDataTypeE1EDF16_Li32ELi64ELi256ELb1ELi10EEvPKT_PKT0_S7_ifPKiS9_S9_iPKfiiiPfSC_PS2_PT2_iSB_SB_,comdat
.Lfunc_end899:
	.size	_Z39paged_attention_ll4mi_QKV_mfma16_kernelIDF16_hLN4vllm18Fp8KVCacheDataTypeE1EDF16_Li32ELi64ELi256ELb1ELi10EEvPKT_PKT0_S7_ifPKiS9_S9_iPKfiiiPfSC_PS2_PT2_iSB_SB_, .Lfunc_end899-_Z39paged_attention_ll4mi_QKV_mfma16_kernelIDF16_hLN4vllm18Fp8KVCacheDataTypeE1EDF16_Li32ELi64ELi256ELb1ELi10EEvPKT_PKT0_S7_ifPKiS9_S9_iPKfiiiPfSC_PS2_PT2_iSB_SB_
                                        ; -- End function
	.set _Z39paged_attention_ll4mi_QKV_mfma16_kernelIDF16_hLN4vllm18Fp8KVCacheDataTypeE1EDF16_Li32ELi64ELi256ELb1ELi10EEvPKT_PKT0_S7_ifPKiS9_S9_iPKfiiiPfSC_PS2_PT2_iSB_SB_.num_vgpr, max(3, .L__assert_fail.num_vgpr)
	.set _Z39paged_attention_ll4mi_QKV_mfma16_kernelIDF16_hLN4vllm18Fp8KVCacheDataTypeE1EDF16_Li32ELi64ELi256ELb1ELi10EEvPKT_PKT0_S7_ifPKiS9_S9_iPKfiiiPfSC_PS2_PT2_iSB_SB_.num_agpr, max(0, .L__assert_fail.num_agpr)
	.set _Z39paged_attention_ll4mi_QKV_mfma16_kernelIDF16_hLN4vllm18Fp8KVCacheDataTypeE1EDF16_Li32ELi64ELi256ELb1ELi10EEvPKT_PKT0_S7_ifPKiS9_S9_iPKfiiiPfSC_PS2_PT2_iSB_SB_.numbered_sgpr, max(33, .L__assert_fail.numbered_sgpr)
	.set _Z39paged_attention_ll4mi_QKV_mfma16_kernelIDF16_hLN4vllm18Fp8KVCacheDataTypeE1EDF16_Li32ELi64ELi256ELb1ELi10EEvPKT_PKT0_S7_ifPKiS9_S9_iPKfiiiPfSC_PS2_PT2_iSB_SB_.num_named_barrier, max(0, .L__assert_fail.num_named_barrier)
	.set _Z39paged_attention_ll4mi_QKV_mfma16_kernelIDF16_hLN4vllm18Fp8KVCacheDataTypeE1EDF16_Li32ELi64ELi256ELb1ELi10EEvPKT_PKT0_S7_ifPKiS9_S9_iPKfiiiPfSC_PS2_PT2_iSB_SB_.private_seg_size, 0+max(.L__assert_fail.private_seg_size)
	.set _Z39paged_attention_ll4mi_QKV_mfma16_kernelIDF16_hLN4vllm18Fp8KVCacheDataTypeE1EDF16_Li32ELi64ELi256ELb1ELi10EEvPKT_PKT0_S7_ifPKiS9_S9_iPKfiiiPfSC_PS2_PT2_iSB_SB_.uses_vcc, or(1, .L__assert_fail.uses_vcc)
	.set _Z39paged_attention_ll4mi_QKV_mfma16_kernelIDF16_hLN4vllm18Fp8KVCacheDataTypeE1EDF16_Li32ELi64ELi256ELb1ELi10EEvPKT_PKT0_S7_ifPKiS9_S9_iPKfiiiPfSC_PS2_PT2_iSB_SB_.uses_flat_scratch, or(0, .L__assert_fail.uses_flat_scratch)
	.set _Z39paged_attention_ll4mi_QKV_mfma16_kernelIDF16_hLN4vllm18Fp8KVCacheDataTypeE1EDF16_Li32ELi64ELi256ELb1ELi10EEvPKT_PKT0_S7_ifPKiS9_S9_iPKfiiiPfSC_PS2_PT2_iSB_SB_.has_dyn_sized_stack, or(0, .L__assert_fail.has_dyn_sized_stack)
	.set _Z39paged_attention_ll4mi_QKV_mfma16_kernelIDF16_hLN4vllm18Fp8KVCacheDataTypeE1EDF16_Li32ELi64ELi256ELb1ELi10EEvPKT_PKT0_S7_ifPKiS9_S9_iPKfiiiPfSC_PS2_PT2_iSB_SB_.has_recursion, or(0, .L__assert_fail.has_recursion)
	.set _Z39paged_attention_ll4mi_QKV_mfma16_kernelIDF16_hLN4vllm18Fp8KVCacheDataTypeE1EDF16_Li32ELi64ELi256ELb1ELi10EEvPKT_PKT0_S7_ifPKiS9_S9_iPKfiiiPfSC_PS2_PT2_iSB_SB_.has_indirect_call, or(0, .L__assert_fail.has_indirect_call)
	.section	.AMDGPU.csdata,"",@progbits
; Kernel info:
; codeLenInByte = 68
; TotalNumSgprs: 36
; NumVgprs: 51
; ScratchSize: 64
; MemoryBound: 0
; FloatMode: 240
; IeeeMode: 1
; LDSByteSize: 0 bytes/workgroup (compile time only)
; SGPRBlocks: 0
; VGPRBlocks: 3
; NumSGPRsForWavesPerEU: 36
; NumVGPRsForWavesPerEU: 51
; NamedBarCnt: 0
; Occupancy: 16
; WaveLimiterHint : 1
; COMPUTE_PGM_RSRC2:SCRATCH_EN: 1
; COMPUTE_PGM_RSRC2:USER_SGPR: 2
; COMPUTE_PGM_RSRC2:TRAP_HANDLER: 0
; COMPUTE_PGM_RSRC2:TGID_X_EN: 1
; COMPUTE_PGM_RSRC2:TGID_Y_EN: 0
; COMPUTE_PGM_RSRC2:TGID_Z_EN: 0
; COMPUTE_PGM_RSRC2:TIDIG_COMP_CNT: 0
	.section	.text._Z39paged_attention_ll4mi_QKV_mfma16_kernelIDF16_hLN4vllm18Fp8KVCacheDataTypeE1EDF16_Li32ELi64ELi256ELb1ELi11EEvPKT_PKT0_S7_ifPKiS9_S9_iPKfiiiPfSC_PS2_PT2_iSB_SB_,"axG",@progbits,_Z39paged_attention_ll4mi_QKV_mfma16_kernelIDF16_hLN4vllm18Fp8KVCacheDataTypeE1EDF16_Li32ELi64ELi256ELb1ELi11EEvPKT_PKT0_S7_ifPKiS9_S9_iPKfiiiPfSC_PS2_PT2_iSB_SB_,comdat
	.protected	_Z39paged_attention_ll4mi_QKV_mfma16_kernelIDF16_hLN4vllm18Fp8KVCacheDataTypeE1EDF16_Li32ELi64ELi256ELb1ELi11EEvPKT_PKT0_S7_ifPKiS9_S9_iPKfiiiPfSC_PS2_PT2_iSB_SB_ ; -- Begin function _Z39paged_attention_ll4mi_QKV_mfma16_kernelIDF16_hLN4vllm18Fp8KVCacheDataTypeE1EDF16_Li32ELi64ELi256ELb1ELi11EEvPKT_PKT0_S7_ifPKiS9_S9_iPKfiiiPfSC_PS2_PT2_iSB_SB_
	.globl	_Z39paged_attention_ll4mi_QKV_mfma16_kernelIDF16_hLN4vllm18Fp8KVCacheDataTypeE1EDF16_Li32ELi64ELi256ELb1ELi11EEvPKT_PKT0_S7_ifPKiS9_S9_iPKfiiiPfSC_PS2_PT2_iSB_SB_
	.p2align	8
	.type	_Z39paged_attention_ll4mi_QKV_mfma16_kernelIDF16_hLN4vllm18Fp8KVCacheDataTypeE1EDF16_Li32ELi64ELi256ELb1ELi11EEvPKT_PKT0_S7_ifPKiS9_S9_iPKfiiiPfSC_PS2_PT2_iSB_SB_,@function
_Z39paged_attention_ll4mi_QKV_mfma16_kernelIDF16_hLN4vllm18Fp8KVCacheDataTypeE1EDF16_Li32ELi64ELi256ELb1ELi11EEvPKT_PKT0_S7_ifPKiS9_S9_iPKfiiiPfSC_PS2_PT2_iSB_SB_: ; @_Z39paged_attention_ll4mi_QKV_mfma16_kernelIDF16_hLN4vllm18Fp8KVCacheDataTypeE1EDF16_Li32ELi64ELi256ELb1ELi11EEvPKT_PKT0_S7_ifPKiS9_S9_iPKfiiiPfSC_PS2_PT2_iSB_SB_
; %bb.0:
	s_get_pc_i64 s[2:3]
	s_add_nc_u64 s[2:3], s[2:3], __PRETTY_FUNCTION__._Z39paged_attention_ll4mi_QKV_mfma16_kernelIDF16_hLN4vllm18Fp8KVCacheDataTypeE1EDF16_Li32ELi64ELi256ELb1ELi11EEvPKT_PKT0_S7_ifPKiS9_S9_iPKfiiiPfSC_PS2_PT2_iSB_SB_@rel64+4
	s_delay_alu instid0(SALU_CYCLE_1)
	v_dual_mov_b32 v0, 0xbb3 :: v_dual_mov_b32 v1, s2
	v_mov_b32_e32 v2, s3
	s_add_nc_u64 s[8:9], s[0:1], 0x90
	s_get_pc_i64 s[0:1]
	s_add_nc_u64 s[0:1], s[0:1], __assert_fail@rel64+4
	s_mov_b32 s32, 0
	s_swap_pc_i64 s[30:31], s[0:1]
	.section	.rodata,"a",@progbits
	.p2align	6, 0x0
	.amdhsa_kernel _Z39paged_attention_ll4mi_QKV_mfma16_kernelIDF16_hLN4vllm18Fp8KVCacheDataTypeE1EDF16_Li32ELi64ELi256ELb1ELi11EEvPKT_PKT0_S7_ifPKiS9_S9_iPKfiiiPfSC_PS2_PT2_iSB_SB_
		.amdhsa_group_segment_fixed_size 0
		.amdhsa_private_segment_fixed_size 64
		.amdhsa_kernarg_size 400
		.amdhsa_user_sgpr_count 2
		.amdhsa_user_sgpr_dispatch_ptr 0
		.amdhsa_user_sgpr_queue_ptr 0
		.amdhsa_user_sgpr_kernarg_segment_ptr 1
		.amdhsa_user_sgpr_dispatch_id 0
		.amdhsa_user_sgpr_kernarg_preload_length 0
		.amdhsa_user_sgpr_kernarg_preload_offset 0
		.amdhsa_user_sgpr_private_segment_size 0
		.amdhsa_wavefront_size32 1
		.amdhsa_uses_dynamic_stack 0
		.amdhsa_enable_private_segment 1
		.amdhsa_system_sgpr_workgroup_id_x 1
		.amdhsa_system_sgpr_workgroup_id_y 0
		.amdhsa_system_sgpr_workgroup_id_z 0
		.amdhsa_system_sgpr_workgroup_info 0
		.amdhsa_system_vgpr_workitem_id 0
		.amdhsa_next_free_vgpr 51
		.amdhsa_next_free_sgpr 34
		.amdhsa_named_barrier_count 0
		.amdhsa_reserve_vcc 1
		.amdhsa_float_round_mode_32 0
		.amdhsa_float_round_mode_16_64 0
		.amdhsa_float_denorm_mode_32 3
		.amdhsa_float_denorm_mode_16_64 3
		.amdhsa_fp16_overflow 0
		.amdhsa_memory_ordered 1
		.amdhsa_forward_progress 1
		.amdhsa_inst_pref_size 1
		.amdhsa_round_robin_scheduling 0
		.amdhsa_exception_fp_ieee_invalid_op 0
		.amdhsa_exception_fp_denorm_src 0
		.amdhsa_exception_fp_ieee_div_zero 0
		.amdhsa_exception_fp_ieee_overflow 0
		.amdhsa_exception_fp_ieee_underflow 0
		.amdhsa_exception_fp_ieee_inexact 0
		.amdhsa_exception_int_div_zero 0
	.end_amdhsa_kernel
	.section	.text._Z39paged_attention_ll4mi_QKV_mfma16_kernelIDF16_hLN4vllm18Fp8KVCacheDataTypeE1EDF16_Li32ELi64ELi256ELb1ELi11EEvPKT_PKT0_S7_ifPKiS9_S9_iPKfiiiPfSC_PS2_PT2_iSB_SB_,"axG",@progbits,_Z39paged_attention_ll4mi_QKV_mfma16_kernelIDF16_hLN4vllm18Fp8KVCacheDataTypeE1EDF16_Li32ELi64ELi256ELb1ELi11EEvPKT_PKT0_S7_ifPKiS9_S9_iPKfiiiPfSC_PS2_PT2_iSB_SB_,comdat
.Lfunc_end900:
	.size	_Z39paged_attention_ll4mi_QKV_mfma16_kernelIDF16_hLN4vllm18Fp8KVCacheDataTypeE1EDF16_Li32ELi64ELi256ELb1ELi11EEvPKT_PKT0_S7_ifPKiS9_S9_iPKfiiiPfSC_PS2_PT2_iSB_SB_, .Lfunc_end900-_Z39paged_attention_ll4mi_QKV_mfma16_kernelIDF16_hLN4vllm18Fp8KVCacheDataTypeE1EDF16_Li32ELi64ELi256ELb1ELi11EEvPKT_PKT0_S7_ifPKiS9_S9_iPKfiiiPfSC_PS2_PT2_iSB_SB_
                                        ; -- End function
	.set _Z39paged_attention_ll4mi_QKV_mfma16_kernelIDF16_hLN4vllm18Fp8KVCacheDataTypeE1EDF16_Li32ELi64ELi256ELb1ELi11EEvPKT_PKT0_S7_ifPKiS9_S9_iPKfiiiPfSC_PS2_PT2_iSB_SB_.num_vgpr, max(3, .L__assert_fail.num_vgpr)
	.set _Z39paged_attention_ll4mi_QKV_mfma16_kernelIDF16_hLN4vllm18Fp8KVCacheDataTypeE1EDF16_Li32ELi64ELi256ELb1ELi11EEvPKT_PKT0_S7_ifPKiS9_S9_iPKfiiiPfSC_PS2_PT2_iSB_SB_.num_agpr, max(0, .L__assert_fail.num_agpr)
	.set _Z39paged_attention_ll4mi_QKV_mfma16_kernelIDF16_hLN4vllm18Fp8KVCacheDataTypeE1EDF16_Li32ELi64ELi256ELb1ELi11EEvPKT_PKT0_S7_ifPKiS9_S9_iPKfiiiPfSC_PS2_PT2_iSB_SB_.numbered_sgpr, max(33, .L__assert_fail.numbered_sgpr)
	.set _Z39paged_attention_ll4mi_QKV_mfma16_kernelIDF16_hLN4vllm18Fp8KVCacheDataTypeE1EDF16_Li32ELi64ELi256ELb1ELi11EEvPKT_PKT0_S7_ifPKiS9_S9_iPKfiiiPfSC_PS2_PT2_iSB_SB_.num_named_barrier, max(0, .L__assert_fail.num_named_barrier)
	.set _Z39paged_attention_ll4mi_QKV_mfma16_kernelIDF16_hLN4vllm18Fp8KVCacheDataTypeE1EDF16_Li32ELi64ELi256ELb1ELi11EEvPKT_PKT0_S7_ifPKiS9_S9_iPKfiiiPfSC_PS2_PT2_iSB_SB_.private_seg_size, 0+max(.L__assert_fail.private_seg_size)
	.set _Z39paged_attention_ll4mi_QKV_mfma16_kernelIDF16_hLN4vllm18Fp8KVCacheDataTypeE1EDF16_Li32ELi64ELi256ELb1ELi11EEvPKT_PKT0_S7_ifPKiS9_S9_iPKfiiiPfSC_PS2_PT2_iSB_SB_.uses_vcc, or(1, .L__assert_fail.uses_vcc)
	.set _Z39paged_attention_ll4mi_QKV_mfma16_kernelIDF16_hLN4vllm18Fp8KVCacheDataTypeE1EDF16_Li32ELi64ELi256ELb1ELi11EEvPKT_PKT0_S7_ifPKiS9_S9_iPKfiiiPfSC_PS2_PT2_iSB_SB_.uses_flat_scratch, or(0, .L__assert_fail.uses_flat_scratch)
	.set _Z39paged_attention_ll4mi_QKV_mfma16_kernelIDF16_hLN4vllm18Fp8KVCacheDataTypeE1EDF16_Li32ELi64ELi256ELb1ELi11EEvPKT_PKT0_S7_ifPKiS9_S9_iPKfiiiPfSC_PS2_PT2_iSB_SB_.has_dyn_sized_stack, or(0, .L__assert_fail.has_dyn_sized_stack)
	.set _Z39paged_attention_ll4mi_QKV_mfma16_kernelIDF16_hLN4vllm18Fp8KVCacheDataTypeE1EDF16_Li32ELi64ELi256ELb1ELi11EEvPKT_PKT0_S7_ifPKiS9_S9_iPKfiiiPfSC_PS2_PT2_iSB_SB_.has_recursion, or(0, .L__assert_fail.has_recursion)
	.set _Z39paged_attention_ll4mi_QKV_mfma16_kernelIDF16_hLN4vllm18Fp8KVCacheDataTypeE1EDF16_Li32ELi64ELi256ELb1ELi11EEvPKT_PKT0_S7_ifPKiS9_S9_iPKfiiiPfSC_PS2_PT2_iSB_SB_.has_indirect_call, or(0, .L__assert_fail.has_indirect_call)
	.section	.AMDGPU.csdata,"",@progbits
; Kernel info:
; codeLenInByte = 68
; TotalNumSgprs: 36
; NumVgprs: 51
; ScratchSize: 64
; MemoryBound: 0
; FloatMode: 240
; IeeeMode: 1
; LDSByteSize: 0 bytes/workgroup (compile time only)
; SGPRBlocks: 0
; VGPRBlocks: 3
; NumSGPRsForWavesPerEU: 36
; NumVGPRsForWavesPerEU: 51
; NamedBarCnt: 0
; Occupancy: 16
; WaveLimiterHint : 1
; COMPUTE_PGM_RSRC2:SCRATCH_EN: 1
; COMPUTE_PGM_RSRC2:USER_SGPR: 2
; COMPUTE_PGM_RSRC2:TRAP_HANDLER: 0
; COMPUTE_PGM_RSRC2:TGID_X_EN: 1
; COMPUTE_PGM_RSRC2:TGID_Y_EN: 0
; COMPUTE_PGM_RSRC2:TGID_Z_EN: 0
; COMPUTE_PGM_RSRC2:TIDIG_COMP_CNT: 0
	.section	.text._Z39paged_attention_ll4mi_QKV_mfma16_kernelIDF16_hLN4vllm18Fp8KVCacheDataTypeE1EDF16_Li32ELi64ELi256ELb1ELi12EEvPKT_PKT0_S7_ifPKiS9_S9_iPKfiiiPfSC_PS2_PT2_iSB_SB_,"axG",@progbits,_Z39paged_attention_ll4mi_QKV_mfma16_kernelIDF16_hLN4vllm18Fp8KVCacheDataTypeE1EDF16_Li32ELi64ELi256ELb1ELi12EEvPKT_PKT0_S7_ifPKiS9_S9_iPKfiiiPfSC_PS2_PT2_iSB_SB_,comdat
	.protected	_Z39paged_attention_ll4mi_QKV_mfma16_kernelIDF16_hLN4vllm18Fp8KVCacheDataTypeE1EDF16_Li32ELi64ELi256ELb1ELi12EEvPKT_PKT0_S7_ifPKiS9_S9_iPKfiiiPfSC_PS2_PT2_iSB_SB_ ; -- Begin function _Z39paged_attention_ll4mi_QKV_mfma16_kernelIDF16_hLN4vllm18Fp8KVCacheDataTypeE1EDF16_Li32ELi64ELi256ELb1ELi12EEvPKT_PKT0_S7_ifPKiS9_S9_iPKfiiiPfSC_PS2_PT2_iSB_SB_
	.globl	_Z39paged_attention_ll4mi_QKV_mfma16_kernelIDF16_hLN4vllm18Fp8KVCacheDataTypeE1EDF16_Li32ELi64ELi256ELb1ELi12EEvPKT_PKT0_S7_ifPKiS9_S9_iPKfiiiPfSC_PS2_PT2_iSB_SB_
	.p2align	8
	.type	_Z39paged_attention_ll4mi_QKV_mfma16_kernelIDF16_hLN4vllm18Fp8KVCacheDataTypeE1EDF16_Li32ELi64ELi256ELb1ELi12EEvPKT_PKT0_S7_ifPKiS9_S9_iPKfiiiPfSC_PS2_PT2_iSB_SB_,@function
_Z39paged_attention_ll4mi_QKV_mfma16_kernelIDF16_hLN4vllm18Fp8KVCacheDataTypeE1EDF16_Li32ELi64ELi256ELb1ELi12EEvPKT_PKT0_S7_ifPKiS9_S9_iPKfiiiPfSC_PS2_PT2_iSB_SB_: ; @_Z39paged_attention_ll4mi_QKV_mfma16_kernelIDF16_hLN4vllm18Fp8KVCacheDataTypeE1EDF16_Li32ELi64ELi256ELb1ELi12EEvPKT_PKT0_S7_ifPKiS9_S9_iPKfiiiPfSC_PS2_PT2_iSB_SB_
; %bb.0:
	s_get_pc_i64 s[2:3]
	s_add_nc_u64 s[2:3], s[2:3], __PRETTY_FUNCTION__._Z39paged_attention_ll4mi_QKV_mfma16_kernelIDF16_hLN4vllm18Fp8KVCacheDataTypeE1EDF16_Li32ELi64ELi256ELb1ELi12EEvPKT_PKT0_S7_ifPKiS9_S9_iPKfiiiPfSC_PS2_PT2_iSB_SB_@rel64+4
	s_delay_alu instid0(SALU_CYCLE_1)
	v_dual_mov_b32 v0, 0xbb3 :: v_dual_mov_b32 v1, s2
	v_mov_b32_e32 v2, s3
	s_add_nc_u64 s[8:9], s[0:1], 0x90
	s_get_pc_i64 s[0:1]
	s_add_nc_u64 s[0:1], s[0:1], __assert_fail@rel64+4
	s_mov_b32 s32, 0
	s_swap_pc_i64 s[30:31], s[0:1]
	.section	.rodata,"a",@progbits
	.p2align	6, 0x0
	.amdhsa_kernel _Z39paged_attention_ll4mi_QKV_mfma16_kernelIDF16_hLN4vllm18Fp8KVCacheDataTypeE1EDF16_Li32ELi64ELi256ELb1ELi12EEvPKT_PKT0_S7_ifPKiS9_S9_iPKfiiiPfSC_PS2_PT2_iSB_SB_
		.amdhsa_group_segment_fixed_size 0
		.amdhsa_private_segment_fixed_size 64
		.amdhsa_kernarg_size 400
		.amdhsa_user_sgpr_count 2
		.amdhsa_user_sgpr_dispatch_ptr 0
		.amdhsa_user_sgpr_queue_ptr 0
		.amdhsa_user_sgpr_kernarg_segment_ptr 1
		.amdhsa_user_sgpr_dispatch_id 0
		.amdhsa_user_sgpr_kernarg_preload_length 0
		.amdhsa_user_sgpr_kernarg_preload_offset 0
		.amdhsa_user_sgpr_private_segment_size 0
		.amdhsa_wavefront_size32 1
		.amdhsa_uses_dynamic_stack 0
		.amdhsa_enable_private_segment 1
		.amdhsa_system_sgpr_workgroup_id_x 1
		.amdhsa_system_sgpr_workgroup_id_y 0
		.amdhsa_system_sgpr_workgroup_id_z 0
		.amdhsa_system_sgpr_workgroup_info 0
		.amdhsa_system_vgpr_workitem_id 0
		.amdhsa_next_free_vgpr 51
		.amdhsa_next_free_sgpr 34
		.amdhsa_named_barrier_count 0
		.amdhsa_reserve_vcc 1
		.amdhsa_float_round_mode_32 0
		.amdhsa_float_round_mode_16_64 0
		.amdhsa_float_denorm_mode_32 3
		.amdhsa_float_denorm_mode_16_64 3
		.amdhsa_fp16_overflow 0
		.amdhsa_memory_ordered 1
		.amdhsa_forward_progress 1
		.amdhsa_inst_pref_size 1
		.amdhsa_round_robin_scheduling 0
		.amdhsa_exception_fp_ieee_invalid_op 0
		.amdhsa_exception_fp_denorm_src 0
		.amdhsa_exception_fp_ieee_div_zero 0
		.amdhsa_exception_fp_ieee_overflow 0
		.amdhsa_exception_fp_ieee_underflow 0
		.amdhsa_exception_fp_ieee_inexact 0
		.amdhsa_exception_int_div_zero 0
	.end_amdhsa_kernel
	.section	.text._Z39paged_attention_ll4mi_QKV_mfma16_kernelIDF16_hLN4vllm18Fp8KVCacheDataTypeE1EDF16_Li32ELi64ELi256ELb1ELi12EEvPKT_PKT0_S7_ifPKiS9_S9_iPKfiiiPfSC_PS2_PT2_iSB_SB_,"axG",@progbits,_Z39paged_attention_ll4mi_QKV_mfma16_kernelIDF16_hLN4vllm18Fp8KVCacheDataTypeE1EDF16_Li32ELi64ELi256ELb1ELi12EEvPKT_PKT0_S7_ifPKiS9_S9_iPKfiiiPfSC_PS2_PT2_iSB_SB_,comdat
.Lfunc_end901:
	.size	_Z39paged_attention_ll4mi_QKV_mfma16_kernelIDF16_hLN4vllm18Fp8KVCacheDataTypeE1EDF16_Li32ELi64ELi256ELb1ELi12EEvPKT_PKT0_S7_ifPKiS9_S9_iPKfiiiPfSC_PS2_PT2_iSB_SB_, .Lfunc_end901-_Z39paged_attention_ll4mi_QKV_mfma16_kernelIDF16_hLN4vllm18Fp8KVCacheDataTypeE1EDF16_Li32ELi64ELi256ELb1ELi12EEvPKT_PKT0_S7_ifPKiS9_S9_iPKfiiiPfSC_PS2_PT2_iSB_SB_
                                        ; -- End function
	.set _Z39paged_attention_ll4mi_QKV_mfma16_kernelIDF16_hLN4vllm18Fp8KVCacheDataTypeE1EDF16_Li32ELi64ELi256ELb1ELi12EEvPKT_PKT0_S7_ifPKiS9_S9_iPKfiiiPfSC_PS2_PT2_iSB_SB_.num_vgpr, max(3, .L__assert_fail.num_vgpr)
	.set _Z39paged_attention_ll4mi_QKV_mfma16_kernelIDF16_hLN4vllm18Fp8KVCacheDataTypeE1EDF16_Li32ELi64ELi256ELb1ELi12EEvPKT_PKT0_S7_ifPKiS9_S9_iPKfiiiPfSC_PS2_PT2_iSB_SB_.num_agpr, max(0, .L__assert_fail.num_agpr)
	.set _Z39paged_attention_ll4mi_QKV_mfma16_kernelIDF16_hLN4vllm18Fp8KVCacheDataTypeE1EDF16_Li32ELi64ELi256ELb1ELi12EEvPKT_PKT0_S7_ifPKiS9_S9_iPKfiiiPfSC_PS2_PT2_iSB_SB_.numbered_sgpr, max(33, .L__assert_fail.numbered_sgpr)
	.set _Z39paged_attention_ll4mi_QKV_mfma16_kernelIDF16_hLN4vllm18Fp8KVCacheDataTypeE1EDF16_Li32ELi64ELi256ELb1ELi12EEvPKT_PKT0_S7_ifPKiS9_S9_iPKfiiiPfSC_PS2_PT2_iSB_SB_.num_named_barrier, max(0, .L__assert_fail.num_named_barrier)
	.set _Z39paged_attention_ll4mi_QKV_mfma16_kernelIDF16_hLN4vllm18Fp8KVCacheDataTypeE1EDF16_Li32ELi64ELi256ELb1ELi12EEvPKT_PKT0_S7_ifPKiS9_S9_iPKfiiiPfSC_PS2_PT2_iSB_SB_.private_seg_size, 0+max(.L__assert_fail.private_seg_size)
	.set _Z39paged_attention_ll4mi_QKV_mfma16_kernelIDF16_hLN4vllm18Fp8KVCacheDataTypeE1EDF16_Li32ELi64ELi256ELb1ELi12EEvPKT_PKT0_S7_ifPKiS9_S9_iPKfiiiPfSC_PS2_PT2_iSB_SB_.uses_vcc, or(1, .L__assert_fail.uses_vcc)
	.set _Z39paged_attention_ll4mi_QKV_mfma16_kernelIDF16_hLN4vllm18Fp8KVCacheDataTypeE1EDF16_Li32ELi64ELi256ELb1ELi12EEvPKT_PKT0_S7_ifPKiS9_S9_iPKfiiiPfSC_PS2_PT2_iSB_SB_.uses_flat_scratch, or(0, .L__assert_fail.uses_flat_scratch)
	.set _Z39paged_attention_ll4mi_QKV_mfma16_kernelIDF16_hLN4vllm18Fp8KVCacheDataTypeE1EDF16_Li32ELi64ELi256ELb1ELi12EEvPKT_PKT0_S7_ifPKiS9_S9_iPKfiiiPfSC_PS2_PT2_iSB_SB_.has_dyn_sized_stack, or(0, .L__assert_fail.has_dyn_sized_stack)
	.set _Z39paged_attention_ll4mi_QKV_mfma16_kernelIDF16_hLN4vllm18Fp8KVCacheDataTypeE1EDF16_Li32ELi64ELi256ELb1ELi12EEvPKT_PKT0_S7_ifPKiS9_S9_iPKfiiiPfSC_PS2_PT2_iSB_SB_.has_recursion, or(0, .L__assert_fail.has_recursion)
	.set _Z39paged_attention_ll4mi_QKV_mfma16_kernelIDF16_hLN4vllm18Fp8KVCacheDataTypeE1EDF16_Li32ELi64ELi256ELb1ELi12EEvPKT_PKT0_S7_ifPKiS9_S9_iPKfiiiPfSC_PS2_PT2_iSB_SB_.has_indirect_call, or(0, .L__assert_fail.has_indirect_call)
	.section	.AMDGPU.csdata,"",@progbits
; Kernel info:
; codeLenInByte = 68
; TotalNumSgprs: 36
; NumVgprs: 51
; ScratchSize: 64
; MemoryBound: 0
; FloatMode: 240
; IeeeMode: 1
; LDSByteSize: 0 bytes/workgroup (compile time only)
; SGPRBlocks: 0
; VGPRBlocks: 3
; NumSGPRsForWavesPerEU: 36
; NumVGPRsForWavesPerEU: 51
; NamedBarCnt: 0
; Occupancy: 16
; WaveLimiterHint : 1
; COMPUTE_PGM_RSRC2:SCRATCH_EN: 1
; COMPUTE_PGM_RSRC2:USER_SGPR: 2
; COMPUTE_PGM_RSRC2:TRAP_HANDLER: 0
; COMPUTE_PGM_RSRC2:TGID_X_EN: 1
; COMPUTE_PGM_RSRC2:TGID_Y_EN: 0
; COMPUTE_PGM_RSRC2:TGID_Z_EN: 0
; COMPUTE_PGM_RSRC2:TIDIG_COMP_CNT: 0
	.section	.text._Z39paged_attention_ll4mi_QKV_mfma16_kernelIDF16_hLN4vllm18Fp8KVCacheDataTypeE1EDF16_Li32ELi64ELi256ELb1ELi13EEvPKT_PKT0_S7_ifPKiS9_S9_iPKfiiiPfSC_PS2_PT2_iSB_SB_,"axG",@progbits,_Z39paged_attention_ll4mi_QKV_mfma16_kernelIDF16_hLN4vllm18Fp8KVCacheDataTypeE1EDF16_Li32ELi64ELi256ELb1ELi13EEvPKT_PKT0_S7_ifPKiS9_S9_iPKfiiiPfSC_PS2_PT2_iSB_SB_,comdat
	.protected	_Z39paged_attention_ll4mi_QKV_mfma16_kernelIDF16_hLN4vllm18Fp8KVCacheDataTypeE1EDF16_Li32ELi64ELi256ELb1ELi13EEvPKT_PKT0_S7_ifPKiS9_S9_iPKfiiiPfSC_PS2_PT2_iSB_SB_ ; -- Begin function _Z39paged_attention_ll4mi_QKV_mfma16_kernelIDF16_hLN4vllm18Fp8KVCacheDataTypeE1EDF16_Li32ELi64ELi256ELb1ELi13EEvPKT_PKT0_S7_ifPKiS9_S9_iPKfiiiPfSC_PS2_PT2_iSB_SB_
	.globl	_Z39paged_attention_ll4mi_QKV_mfma16_kernelIDF16_hLN4vllm18Fp8KVCacheDataTypeE1EDF16_Li32ELi64ELi256ELb1ELi13EEvPKT_PKT0_S7_ifPKiS9_S9_iPKfiiiPfSC_PS2_PT2_iSB_SB_
	.p2align	8
	.type	_Z39paged_attention_ll4mi_QKV_mfma16_kernelIDF16_hLN4vllm18Fp8KVCacheDataTypeE1EDF16_Li32ELi64ELi256ELb1ELi13EEvPKT_PKT0_S7_ifPKiS9_S9_iPKfiiiPfSC_PS2_PT2_iSB_SB_,@function
_Z39paged_attention_ll4mi_QKV_mfma16_kernelIDF16_hLN4vllm18Fp8KVCacheDataTypeE1EDF16_Li32ELi64ELi256ELb1ELi13EEvPKT_PKT0_S7_ifPKiS9_S9_iPKfiiiPfSC_PS2_PT2_iSB_SB_: ; @_Z39paged_attention_ll4mi_QKV_mfma16_kernelIDF16_hLN4vllm18Fp8KVCacheDataTypeE1EDF16_Li32ELi64ELi256ELb1ELi13EEvPKT_PKT0_S7_ifPKiS9_S9_iPKfiiiPfSC_PS2_PT2_iSB_SB_
; %bb.0:
	s_get_pc_i64 s[2:3]
	s_add_nc_u64 s[2:3], s[2:3], __PRETTY_FUNCTION__._Z39paged_attention_ll4mi_QKV_mfma16_kernelIDF16_hLN4vllm18Fp8KVCacheDataTypeE1EDF16_Li32ELi64ELi256ELb1ELi13EEvPKT_PKT0_S7_ifPKiS9_S9_iPKfiiiPfSC_PS2_PT2_iSB_SB_@rel64+4
	s_delay_alu instid0(SALU_CYCLE_1)
	v_dual_mov_b32 v0, 0xbb3 :: v_dual_mov_b32 v1, s2
	v_mov_b32_e32 v2, s3
	s_add_nc_u64 s[8:9], s[0:1], 0x90
	s_get_pc_i64 s[0:1]
	s_add_nc_u64 s[0:1], s[0:1], __assert_fail@rel64+4
	s_mov_b32 s32, 0
	s_swap_pc_i64 s[30:31], s[0:1]
	.section	.rodata,"a",@progbits
	.p2align	6, 0x0
	.amdhsa_kernel _Z39paged_attention_ll4mi_QKV_mfma16_kernelIDF16_hLN4vllm18Fp8KVCacheDataTypeE1EDF16_Li32ELi64ELi256ELb1ELi13EEvPKT_PKT0_S7_ifPKiS9_S9_iPKfiiiPfSC_PS2_PT2_iSB_SB_
		.amdhsa_group_segment_fixed_size 0
		.amdhsa_private_segment_fixed_size 64
		.amdhsa_kernarg_size 400
		.amdhsa_user_sgpr_count 2
		.amdhsa_user_sgpr_dispatch_ptr 0
		.amdhsa_user_sgpr_queue_ptr 0
		.amdhsa_user_sgpr_kernarg_segment_ptr 1
		.amdhsa_user_sgpr_dispatch_id 0
		.amdhsa_user_sgpr_kernarg_preload_length 0
		.amdhsa_user_sgpr_kernarg_preload_offset 0
		.amdhsa_user_sgpr_private_segment_size 0
		.amdhsa_wavefront_size32 1
		.amdhsa_uses_dynamic_stack 0
		.amdhsa_enable_private_segment 1
		.amdhsa_system_sgpr_workgroup_id_x 1
		.amdhsa_system_sgpr_workgroup_id_y 0
		.amdhsa_system_sgpr_workgroup_id_z 0
		.amdhsa_system_sgpr_workgroup_info 0
		.amdhsa_system_vgpr_workitem_id 0
		.amdhsa_next_free_vgpr 51
		.amdhsa_next_free_sgpr 34
		.amdhsa_named_barrier_count 0
		.amdhsa_reserve_vcc 1
		.amdhsa_float_round_mode_32 0
		.amdhsa_float_round_mode_16_64 0
		.amdhsa_float_denorm_mode_32 3
		.amdhsa_float_denorm_mode_16_64 3
		.amdhsa_fp16_overflow 0
		.amdhsa_memory_ordered 1
		.amdhsa_forward_progress 1
		.amdhsa_inst_pref_size 1
		.amdhsa_round_robin_scheduling 0
		.amdhsa_exception_fp_ieee_invalid_op 0
		.amdhsa_exception_fp_denorm_src 0
		.amdhsa_exception_fp_ieee_div_zero 0
		.amdhsa_exception_fp_ieee_overflow 0
		.amdhsa_exception_fp_ieee_underflow 0
		.amdhsa_exception_fp_ieee_inexact 0
		.amdhsa_exception_int_div_zero 0
	.end_amdhsa_kernel
	.section	.text._Z39paged_attention_ll4mi_QKV_mfma16_kernelIDF16_hLN4vllm18Fp8KVCacheDataTypeE1EDF16_Li32ELi64ELi256ELb1ELi13EEvPKT_PKT0_S7_ifPKiS9_S9_iPKfiiiPfSC_PS2_PT2_iSB_SB_,"axG",@progbits,_Z39paged_attention_ll4mi_QKV_mfma16_kernelIDF16_hLN4vllm18Fp8KVCacheDataTypeE1EDF16_Li32ELi64ELi256ELb1ELi13EEvPKT_PKT0_S7_ifPKiS9_S9_iPKfiiiPfSC_PS2_PT2_iSB_SB_,comdat
.Lfunc_end902:
	.size	_Z39paged_attention_ll4mi_QKV_mfma16_kernelIDF16_hLN4vllm18Fp8KVCacheDataTypeE1EDF16_Li32ELi64ELi256ELb1ELi13EEvPKT_PKT0_S7_ifPKiS9_S9_iPKfiiiPfSC_PS2_PT2_iSB_SB_, .Lfunc_end902-_Z39paged_attention_ll4mi_QKV_mfma16_kernelIDF16_hLN4vllm18Fp8KVCacheDataTypeE1EDF16_Li32ELi64ELi256ELb1ELi13EEvPKT_PKT0_S7_ifPKiS9_S9_iPKfiiiPfSC_PS2_PT2_iSB_SB_
                                        ; -- End function
	.set _Z39paged_attention_ll4mi_QKV_mfma16_kernelIDF16_hLN4vllm18Fp8KVCacheDataTypeE1EDF16_Li32ELi64ELi256ELb1ELi13EEvPKT_PKT0_S7_ifPKiS9_S9_iPKfiiiPfSC_PS2_PT2_iSB_SB_.num_vgpr, max(3, .L__assert_fail.num_vgpr)
	.set _Z39paged_attention_ll4mi_QKV_mfma16_kernelIDF16_hLN4vllm18Fp8KVCacheDataTypeE1EDF16_Li32ELi64ELi256ELb1ELi13EEvPKT_PKT0_S7_ifPKiS9_S9_iPKfiiiPfSC_PS2_PT2_iSB_SB_.num_agpr, max(0, .L__assert_fail.num_agpr)
	.set _Z39paged_attention_ll4mi_QKV_mfma16_kernelIDF16_hLN4vllm18Fp8KVCacheDataTypeE1EDF16_Li32ELi64ELi256ELb1ELi13EEvPKT_PKT0_S7_ifPKiS9_S9_iPKfiiiPfSC_PS2_PT2_iSB_SB_.numbered_sgpr, max(33, .L__assert_fail.numbered_sgpr)
	.set _Z39paged_attention_ll4mi_QKV_mfma16_kernelIDF16_hLN4vllm18Fp8KVCacheDataTypeE1EDF16_Li32ELi64ELi256ELb1ELi13EEvPKT_PKT0_S7_ifPKiS9_S9_iPKfiiiPfSC_PS2_PT2_iSB_SB_.num_named_barrier, max(0, .L__assert_fail.num_named_barrier)
	.set _Z39paged_attention_ll4mi_QKV_mfma16_kernelIDF16_hLN4vllm18Fp8KVCacheDataTypeE1EDF16_Li32ELi64ELi256ELb1ELi13EEvPKT_PKT0_S7_ifPKiS9_S9_iPKfiiiPfSC_PS2_PT2_iSB_SB_.private_seg_size, 0+max(.L__assert_fail.private_seg_size)
	.set _Z39paged_attention_ll4mi_QKV_mfma16_kernelIDF16_hLN4vllm18Fp8KVCacheDataTypeE1EDF16_Li32ELi64ELi256ELb1ELi13EEvPKT_PKT0_S7_ifPKiS9_S9_iPKfiiiPfSC_PS2_PT2_iSB_SB_.uses_vcc, or(1, .L__assert_fail.uses_vcc)
	.set _Z39paged_attention_ll4mi_QKV_mfma16_kernelIDF16_hLN4vllm18Fp8KVCacheDataTypeE1EDF16_Li32ELi64ELi256ELb1ELi13EEvPKT_PKT0_S7_ifPKiS9_S9_iPKfiiiPfSC_PS2_PT2_iSB_SB_.uses_flat_scratch, or(0, .L__assert_fail.uses_flat_scratch)
	.set _Z39paged_attention_ll4mi_QKV_mfma16_kernelIDF16_hLN4vllm18Fp8KVCacheDataTypeE1EDF16_Li32ELi64ELi256ELb1ELi13EEvPKT_PKT0_S7_ifPKiS9_S9_iPKfiiiPfSC_PS2_PT2_iSB_SB_.has_dyn_sized_stack, or(0, .L__assert_fail.has_dyn_sized_stack)
	.set _Z39paged_attention_ll4mi_QKV_mfma16_kernelIDF16_hLN4vllm18Fp8KVCacheDataTypeE1EDF16_Li32ELi64ELi256ELb1ELi13EEvPKT_PKT0_S7_ifPKiS9_S9_iPKfiiiPfSC_PS2_PT2_iSB_SB_.has_recursion, or(0, .L__assert_fail.has_recursion)
	.set _Z39paged_attention_ll4mi_QKV_mfma16_kernelIDF16_hLN4vllm18Fp8KVCacheDataTypeE1EDF16_Li32ELi64ELi256ELb1ELi13EEvPKT_PKT0_S7_ifPKiS9_S9_iPKfiiiPfSC_PS2_PT2_iSB_SB_.has_indirect_call, or(0, .L__assert_fail.has_indirect_call)
	.section	.AMDGPU.csdata,"",@progbits
; Kernel info:
; codeLenInByte = 68
; TotalNumSgprs: 36
; NumVgprs: 51
; ScratchSize: 64
; MemoryBound: 0
; FloatMode: 240
; IeeeMode: 1
; LDSByteSize: 0 bytes/workgroup (compile time only)
; SGPRBlocks: 0
; VGPRBlocks: 3
; NumSGPRsForWavesPerEU: 36
; NumVGPRsForWavesPerEU: 51
; NamedBarCnt: 0
; Occupancy: 16
; WaveLimiterHint : 1
; COMPUTE_PGM_RSRC2:SCRATCH_EN: 1
; COMPUTE_PGM_RSRC2:USER_SGPR: 2
; COMPUTE_PGM_RSRC2:TRAP_HANDLER: 0
; COMPUTE_PGM_RSRC2:TGID_X_EN: 1
; COMPUTE_PGM_RSRC2:TGID_Y_EN: 0
; COMPUTE_PGM_RSRC2:TGID_Z_EN: 0
; COMPUTE_PGM_RSRC2:TIDIG_COMP_CNT: 0
	.section	.text._Z39paged_attention_ll4mi_QKV_mfma16_kernelIDF16_hLN4vllm18Fp8KVCacheDataTypeE1EDF16_Li32ELi64ELi256ELb1ELi14EEvPKT_PKT0_S7_ifPKiS9_S9_iPKfiiiPfSC_PS2_PT2_iSB_SB_,"axG",@progbits,_Z39paged_attention_ll4mi_QKV_mfma16_kernelIDF16_hLN4vllm18Fp8KVCacheDataTypeE1EDF16_Li32ELi64ELi256ELb1ELi14EEvPKT_PKT0_S7_ifPKiS9_S9_iPKfiiiPfSC_PS2_PT2_iSB_SB_,comdat
	.protected	_Z39paged_attention_ll4mi_QKV_mfma16_kernelIDF16_hLN4vllm18Fp8KVCacheDataTypeE1EDF16_Li32ELi64ELi256ELb1ELi14EEvPKT_PKT0_S7_ifPKiS9_S9_iPKfiiiPfSC_PS2_PT2_iSB_SB_ ; -- Begin function _Z39paged_attention_ll4mi_QKV_mfma16_kernelIDF16_hLN4vllm18Fp8KVCacheDataTypeE1EDF16_Li32ELi64ELi256ELb1ELi14EEvPKT_PKT0_S7_ifPKiS9_S9_iPKfiiiPfSC_PS2_PT2_iSB_SB_
	.globl	_Z39paged_attention_ll4mi_QKV_mfma16_kernelIDF16_hLN4vllm18Fp8KVCacheDataTypeE1EDF16_Li32ELi64ELi256ELb1ELi14EEvPKT_PKT0_S7_ifPKiS9_S9_iPKfiiiPfSC_PS2_PT2_iSB_SB_
	.p2align	8
	.type	_Z39paged_attention_ll4mi_QKV_mfma16_kernelIDF16_hLN4vllm18Fp8KVCacheDataTypeE1EDF16_Li32ELi64ELi256ELb1ELi14EEvPKT_PKT0_S7_ifPKiS9_S9_iPKfiiiPfSC_PS2_PT2_iSB_SB_,@function
_Z39paged_attention_ll4mi_QKV_mfma16_kernelIDF16_hLN4vllm18Fp8KVCacheDataTypeE1EDF16_Li32ELi64ELi256ELb1ELi14EEvPKT_PKT0_S7_ifPKiS9_S9_iPKfiiiPfSC_PS2_PT2_iSB_SB_: ; @_Z39paged_attention_ll4mi_QKV_mfma16_kernelIDF16_hLN4vllm18Fp8KVCacheDataTypeE1EDF16_Li32ELi64ELi256ELb1ELi14EEvPKT_PKT0_S7_ifPKiS9_S9_iPKfiiiPfSC_PS2_PT2_iSB_SB_
; %bb.0:
	s_get_pc_i64 s[2:3]
	s_add_nc_u64 s[2:3], s[2:3], __PRETTY_FUNCTION__._Z39paged_attention_ll4mi_QKV_mfma16_kernelIDF16_hLN4vllm18Fp8KVCacheDataTypeE1EDF16_Li32ELi64ELi256ELb1ELi14EEvPKT_PKT0_S7_ifPKiS9_S9_iPKfiiiPfSC_PS2_PT2_iSB_SB_@rel64+4
	s_delay_alu instid0(SALU_CYCLE_1)
	v_dual_mov_b32 v0, 0xbb3 :: v_dual_mov_b32 v1, s2
	v_mov_b32_e32 v2, s3
	s_add_nc_u64 s[8:9], s[0:1], 0x90
	s_get_pc_i64 s[0:1]
	s_add_nc_u64 s[0:1], s[0:1], __assert_fail@rel64+4
	s_mov_b32 s32, 0
	s_swap_pc_i64 s[30:31], s[0:1]
	.section	.rodata,"a",@progbits
	.p2align	6, 0x0
	.amdhsa_kernel _Z39paged_attention_ll4mi_QKV_mfma16_kernelIDF16_hLN4vllm18Fp8KVCacheDataTypeE1EDF16_Li32ELi64ELi256ELb1ELi14EEvPKT_PKT0_S7_ifPKiS9_S9_iPKfiiiPfSC_PS2_PT2_iSB_SB_
		.amdhsa_group_segment_fixed_size 0
		.amdhsa_private_segment_fixed_size 64
		.amdhsa_kernarg_size 400
		.amdhsa_user_sgpr_count 2
		.amdhsa_user_sgpr_dispatch_ptr 0
		.amdhsa_user_sgpr_queue_ptr 0
		.amdhsa_user_sgpr_kernarg_segment_ptr 1
		.amdhsa_user_sgpr_dispatch_id 0
		.amdhsa_user_sgpr_kernarg_preload_length 0
		.amdhsa_user_sgpr_kernarg_preload_offset 0
		.amdhsa_user_sgpr_private_segment_size 0
		.amdhsa_wavefront_size32 1
		.amdhsa_uses_dynamic_stack 0
		.amdhsa_enable_private_segment 1
		.amdhsa_system_sgpr_workgroup_id_x 1
		.amdhsa_system_sgpr_workgroup_id_y 0
		.amdhsa_system_sgpr_workgroup_id_z 0
		.amdhsa_system_sgpr_workgroup_info 0
		.amdhsa_system_vgpr_workitem_id 0
		.amdhsa_next_free_vgpr 51
		.amdhsa_next_free_sgpr 34
		.amdhsa_named_barrier_count 0
		.amdhsa_reserve_vcc 1
		.amdhsa_float_round_mode_32 0
		.amdhsa_float_round_mode_16_64 0
		.amdhsa_float_denorm_mode_32 3
		.amdhsa_float_denorm_mode_16_64 3
		.amdhsa_fp16_overflow 0
		.amdhsa_memory_ordered 1
		.amdhsa_forward_progress 1
		.amdhsa_inst_pref_size 1
		.amdhsa_round_robin_scheduling 0
		.amdhsa_exception_fp_ieee_invalid_op 0
		.amdhsa_exception_fp_denorm_src 0
		.amdhsa_exception_fp_ieee_div_zero 0
		.amdhsa_exception_fp_ieee_overflow 0
		.amdhsa_exception_fp_ieee_underflow 0
		.amdhsa_exception_fp_ieee_inexact 0
		.amdhsa_exception_int_div_zero 0
	.end_amdhsa_kernel
	.section	.text._Z39paged_attention_ll4mi_QKV_mfma16_kernelIDF16_hLN4vllm18Fp8KVCacheDataTypeE1EDF16_Li32ELi64ELi256ELb1ELi14EEvPKT_PKT0_S7_ifPKiS9_S9_iPKfiiiPfSC_PS2_PT2_iSB_SB_,"axG",@progbits,_Z39paged_attention_ll4mi_QKV_mfma16_kernelIDF16_hLN4vllm18Fp8KVCacheDataTypeE1EDF16_Li32ELi64ELi256ELb1ELi14EEvPKT_PKT0_S7_ifPKiS9_S9_iPKfiiiPfSC_PS2_PT2_iSB_SB_,comdat
.Lfunc_end903:
	.size	_Z39paged_attention_ll4mi_QKV_mfma16_kernelIDF16_hLN4vllm18Fp8KVCacheDataTypeE1EDF16_Li32ELi64ELi256ELb1ELi14EEvPKT_PKT0_S7_ifPKiS9_S9_iPKfiiiPfSC_PS2_PT2_iSB_SB_, .Lfunc_end903-_Z39paged_attention_ll4mi_QKV_mfma16_kernelIDF16_hLN4vllm18Fp8KVCacheDataTypeE1EDF16_Li32ELi64ELi256ELb1ELi14EEvPKT_PKT0_S7_ifPKiS9_S9_iPKfiiiPfSC_PS2_PT2_iSB_SB_
                                        ; -- End function
	.set _Z39paged_attention_ll4mi_QKV_mfma16_kernelIDF16_hLN4vllm18Fp8KVCacheDataTypeE1EDF16_Li32ELi64ELi256ELb1ELi14EEvPKT_PKT0_S7_ifPKiS9_S9_iPKfiiiPfSC_PS2_PT2_iSB_SB_.num_vgpr, max(3, .L__assert_fail.num_vgpr)
	.set _Z39paged_attention_ll4mi_QKV_mfma16_kernelIDF16_hLN4vllm18Fp8KVCacheDataTypeE1EDF16_Li32ELi64ELi256ELb1ELi14EEvPKT_PKT0_S7_ifPKiS9_S9_iPKfiiiPfSC_PS2_PT2_iSB_SB_.num_agpr, max(0, .L__assert_fail.num_agpr)
	.set _Z39paged_attention_ll4mi_QKV_mfma16_kernelIDF16_hLN4vllm18Fp8KVCacheDataTypeE1EDF16_Li32ELi64ELi256ELb1ELi14EEvPKT_PKT0_S7_ifPKiS9_S9_iPKfiiiPfSC_PS2_PT2_iSB_SB_.numbered_sgpr, max(33, .L__assert_fail.numbered_sgpr)
	.set _Z39paged_attention_ll4mi_QKV_mfma16_kernelIDF16_hLN4vllm18Fp8KVCacheDataTypeE1EDF16_Li32ELi64ELi256ELb1ELi14EEvPKT_PKT0_S7_ifPKiS9_S9_iPKfiiiPfSC_PS2_PT2_iSB_SB_.num_named_barrier, max(0, .L__assert_fail.num_named_barrier)
	.set _Z39paged_attention_ll4mi_QKV_mfma16_kernelIDF16_hLN4vllm18Fp8KVCacheDataTypeE1EDF16_Li32ELi64ELi256ELb1ELi14EEvPKT_PKT0_S7_ifPKiS9_S9_iPKfiiiPfSC_PS2_PT2_iSB_SB_.private_seg_size, 0+max(.L__assert_fail.private_seg_size)
	.set _Z39paged_attention_ll4mi_QKV_mfma16_kernelIDF16_hLN4vllm18Fp8KVCacheDataTypeE1EDF16_Li32ELi64ELi256ELb1ELi14EEvPKT_PKT0_S7_ifPKiS9_S9_iPKfiiiPfSC_PS2_PT2_iSB_SB_.uses_vcc, or(1, .L__assert_fail.uses_vcc)
	.set _Z39paged_attention_ll4mi_QKV_mfma16_kernelIDF16_hLN4vllm18Fp8KVCacheDataTypeE1EDF16_Li32ELi64ELi256ELb1ELi14EEvPKT_PKT0_S7_ifPKiS9_S9_iPKfiiiPfSC_PS2_PT2_iSB_SB_.uses_flat_scratch, or(0, .L__assert_fail.uses_flat_scratch)
	.set _Z39paged_attention_ll4mi_QKV_mfma16_kernelIDF16_hLN4vllm18Fp8KVCacheDataTypeE1EDF16_Li32ELi64ELi256ELb1ELi14EEvPKT_PKT0_S7_ifPKiS9_S9_iPKfiiiPfSC_PS2_PT2_iSB_SB_.has_dyn_sized_stack, or(0, .L__assert_fail.has_dyn_sized_stack)
	.set _Z39paged_attention_ll4mi_QKV_mfma16_kernelIDF16_hLN4vllm18Fp8KVCacheDataTypeE1EDF16_Li32ELi64ELi256ELb1ELi14EEvPKT_PKT0_S7_ifPKiS9_S9_iPKfiiiPfSC_PS2_PT2_iSB_SB_.has_recursion, or(0, .L__assert_fail.has_recursion)
	.set _Z39paged_attention_ll4mi_QKV_mfma16_kernelIDF16_hLN4vllm18Fp8KVCacheDataTypeE1EDF16_Li32ELi64ELi256ELb1ELi14EEvPKT_PKT0_S7_ifPKiS9_S9_iPKfiiiPfSC_PS2_PT2_iSB_SB_.has_indirect_call, or(0, .L__assert_fail.has_indirect_call)
	.section	.AMDGPU.csdata,"",@progbits
; Kernel info:
; codeLenInByte = 68
; TotalNumSgprs: 36
; NumVgprs: 51
; ScratchSize: 64
; MemoryBound: 0
; FloatMode: 240
; IeeeMode: 1
; LDSByteSize: 0 bytes/workgroup (compile time only)
; SGPRBlocks: 0
; VGPRBlocks: 3
; NumSGPRsForWavesPerEU: 36
; NumVGPRsForWavesPerEU: 51
; NamedBarCnt: 0
; Occupancy: 16
; WaveLimiterHint : 1
; COMPUTE_PGM_RSRC2:SCRATCH_EN: 1
; COMPUTE_PGM_RSRC2:USER_SGPR: 2
; COMPUTE_PGM_RSRC2:TRAP_HANDLER: 0
; COMPUTE_PGM_RSRC2:TGID_X_EN: 1
; COMPUTE_PGM_RSRC2:TGID_Y_EN: 0
; COMPUTE_PGM_RSRC2:TGID_Z_EN: 0
; COMPUTE_PGM_RSRC2:TIDIG_COMP_CNT: 0
	.section	.text._Z39paged_attention_ll4mi_QKV_mfma16_kernelIDF16_hLN4vllm18Fp8KVCacheDataTypeE1EDF16_Li32ELi64ELi256ELb1ELi15EEvPKT_PKT0_S7_ifPKiS9_S9_iPKfiiiPfSC_PS2_PT2_iSB_SB_,"axG",@progbits,_Z39paged_attention_ll4mi_QKV_mfma16_kernelIDF16_hLN4vllm18Fp8KVCacheDataTypeE1EDF16_Li32ELi64ELi256ELb1ELi15EEvPKT_PKT0_S7_ifPKiS9_S9_iPKfiiiPfSC_PS2_PT2_iSB_SB_,comdat
	.protected	_Z39paged_attention_ll4mi_QKV_mfma16_kernelIDF16_hLN4vllm18Fp8KVCacheDataTypeE1EDF16_Li32ELi64ELi256ELb1ELi15EEvPKT_PKT0_S7_ifPKiS9_S9_iPKfiiiPfSC_PS2_PT2_iSB_SB_ ; -- Begin function _Z39paged_attention_ll4mi_QKV_mfma16_kernelIDF16_hLN4vllm18Fp8KVCacheDataTypeE1EDF16_Li32ELi64ELi256ELb1ELi15EEvPKT_PKT0_S7_ifPKiS9_S9_iPKfiiiPfSC_PS2_PT2_iSB_SB_
	.globl	_Z39paged_attention_ll4mi_QKV_mfma16_kernelIDF16_hLN4vllm18Fp8KVCacheDataTypeE1EDF16_Li32ELi64ELi256ELb1ELi15EEvPKT_PKT0_S7_ifPKiS9_S9_iPKfiiiPfSC_PS2_PT2_iSB_SB_
	.p2align	8
	.type	_Z39paged_attention_ll4mi_QKV_mfma16_kernelIDF16_hLN4vllm18Fp8KVCacheDataTypeE1EDF16_Li32ELi64ELi256ELb1ELi15EEvPKT_PKT0_S7_ifPKiS9_S9_iPKfiiiPfSC_PS2_PT2_iSB_SB_,@function
_Z39paged_attention_ll4mi_QKV_mfma16_kernelIDF16_hLN4vllm18Fp8KVCacheDataTypeE1EDF16_Li32ELi64ELi256ELb1ELi15EEvPKT_PKT0_S7_ifPKiS9_S9_iPKfiiiPfSC_PS2_PT2_iSB_SB_: ; @_Z39paged_attention_ll4mi_QKV_mfma16_kernelIDF16_hLN4vllm18Fp8KVCacheDataTypeE1EDF16_Li32ELi64ELi256ELb1ELi15EEvPKT_PKT0_S7_ifPKiS9_S9_iPKfiiiPfSC_PS2_PT2_iSB_SB_
; %bb.0:
	s_get_pc_i64 s[2:3]
	s_add_nc_u64 s[2:3], s[2:3], __PRETTY_FUNCTION__._Z39paged_attention_ll4mi_QKV_mfma16_kernelIDF16_hLN4vllm18Fp8KVCacheDataTypeE1EDF16_Li32ELi64ELi256ELb1ELi15EEvPKT_PKT0_S7_ifPKiS9_S9_iPKfiiiPfSC_PS2_PT2_iSB_SB_@rel64+4
	s_delay_alu instid0(SALU_CYCLE_1)
	v_dual_mov_b32 v0, 0xbb3 :: v_dual_mov_b32 v1, s2
	v_mov_b32_e32 v2, s3
	s_add_nc_u64 s[8:9], s[0:1], 0x90
	s_get_pc_i64 s[0:1]
	s_add_nc_u64 s[0:1], s[0:1], __assert_fail@rel64+4
	s_mov_b32 s32, 0
	s_swap_pc_i64 s[30:31], s[0:1]
	.section	.rodata,"a",@progbits
	.p2align	6, 0x0
	.amdhsa_kernel _Z39paged_attention_ll4mi_QKV_mfma16_kernelIDF16_hLN4vllm18Fp8KVCacheDataTypeE1EDF16_Li32ELi64ELi256ELb1ELi15EEvPKT_PKT0_S7_ifPKiS9_S9_iPKfiiiPfSC_PS2_PT2_iSB_SB_
		.amdhsa_group_segment_fixed_size 0
		.amdhsa_private_segment_fixed_size 64
		.amdhsa_kernarg_size 400
		.amdhsa_user_sgpr_count 2
		.amdhsa_user_sgpr_dispatch_ptr 0
		.amdhsa_user_sgpr_queue_ptr 0
		.amdhsa_user_sgpr_kernarg_segment_ptr 1
		.amdhsa_user_sgpr_dispatch_id 0
		.amdhsa_user_sgpr_kernarg_preload_length 0
		.amdhsa_user_sgpr_kernarg_preload_offset 0
		.amdhsa_user_sgpr_private_segment_size 0
		.amdhsa_wavefront_size32 1
		.amdhsa_uses_dynamic_stack 0
		.amdhsa_enable_private_segment 1
		.amdhsa_system_sgpr_workgroup_id_x 1
		.amdhsa_system_sgpr_workgroup_id_y 0
		.amdhsa_system_sgpr_workgroup_id_z 0
		.amdhsa_system_sgpr_workgroup_info 0
		.amdhsa_system_vgpr_workitem_id 0
		.amdhsa_next_free_vgpr 51
		.amdhsa_next_free_sgpr 34
		.amdhsa_named_barrier_count 0
		.amdhsa_reserve_vcc 1
		.amdhsa_float_round_mode_32 0
		.amdhsa_float_round_mode_16_64 0
		.amdhsa_float_denorm_mode_32 3
		.amdhsa_float_denorm_mode_16_64 3
		.amdhsa_fp16_overflow 0
		.amdhsa_memory_ordered 1
		.amdhsa_forward_progress 1
		.amdhsa_inst_pref_size 1
		.amdhsa_round_robin_scheduling 0
		.amdhsa_exception_fp_ieee_invalid_op 0
		.amdhsa_exception_fp_denorm_src 0
		.amdhsa_exception_fp_ieee_div_zero 0
		.amdhsa_exception_fp_ieee_overflow 0
		.amdhsa_exception_fp_ieee_underflow 0
		.amdhsa_exception_fp_ieee_inexact 0
		.amdhsa_exception_int_div_zero 0
	.end_amdhsa_kernel
	.section	.text._Z39paged_attention_ll4mi_QKV_mfma16_kernelIDF16_hLN4vllm18Fp8KVCacheDataTypeE1EDF16_Li32ELi64ELi256ELb1ELi15EEvPKT_PKT0_S7_ifPKiS9_S9_iPKfiiiPfSC_PS2_PT2_iSB_SB_,"axG",@progbits,_Z39paged_attention_ll4mi_QKV_mfma16_kernelIDF16_hLN4vllm18Fp8KVCacheDataTypeE1EDF16_Li32ELi64ELi256ELb1ELi15EEvPKT_PKT0_S7_ifPKiS9_S9_iPKfiiiPfSC_PS2_PT2_iSB_SB_,comdat
.Lfunc_end904:
	.size	_Z39paged_attention_ll4mi_QKV_mfma16_kernelIDF16_hLN4vllm18Fp8KVCacheDataTypeE1EDF16_Li32ELi64ELi256ELb1ELi15EEvPKT_PKT0_S7_ifPKiS9_S9_iPKfiiiPfSC_PS2_PT2_iSB_SB_, .Lfunc_end904-_Z39paged_attention_ll4mi_QKV_mfma16_kernelIDF16_hLN4vllm18Fp8KVCacheDataTypeE1EDF16_Li32ELi64ELi256ELb1ELi15EEvPKT_PKT0_S7_ifPKiS9_S9_iPKfiiiPfSC_PS2_PT2_iSB_SB_
                                        ; -- End function
	.set _Z39paged_attention_ll4mi_QKV_mfma16_kernelIDF16_hLN4vllm18Fp8KVCacheDataTypeE1EDF16_Li32ELi64ELi256ELb1ELi15EEvPKT_PKT0_S7_ifPKiS9_S9_iPKfiiiPfSC_PS2_PT2_iSB_SB_.num_vgpr, max(3, .L__assert_fail.num_vgpr)
	.set _Z39paged_attention_ll4mi_QKV_mfma16_kernelIDF16_hLN4vllm18Fp8KVCacheDataTypeE1EDF16_Li32ELi64ELi256ELb1ELi15EEvPKT_PKT0_S7_ifPKiS9_S9_iPKfiiiPfSC_PS2_PT2_iSB_SB_.num_agpr, max(0, .L__assert_fail.num_agpr)
	.set _Z39paged_attention_ll4mi_QKV_mfma16_kernelIDF16_hLN4vllm18Fp8KVCacheDataTypeE1EDF16_Li32ELi64ELi256ELb1ELi15EEvPKT_PKT0_S7_ifPKiS9_S9_iPKfiiiPfSC_PS2_PT2_iSB_SB_.numbered_sgpr, max(33, .L__assert_fail.numbered_sgpr)
	.set _Z39paged_attention_ll4mi_QKV_mfma16_kernelIDF16_hLN4vllm18Fp8KVCacheDataTypeE1EDF16_Li32ELi64ELi256ELb1ELi15EEvPKT_PKT0_S7_ifPKiS9_S9_iPKfiiiPfSC_PS2_PT2_iSB_SB_.num_named_barrier, max(0, .L__assert_fail.num_named_barrier)
	.set _Z39paged_attention_ll4mi_QKV_mfma16_kernelIDF16_hLN4vllm18Fp8KVCacheDataTypeE1EDF16_Li32ELi64ELi256ELb1ELi15EEvPKT_PKT0_S7_ifPKiS9_S9_iPKfiiiPfSC_PS2_PT2_iSB_SB_.private_seg_size, 0+max(.L__assert_fail.private_seg_size)
	.set _Z39paged_attention_ll4mi_QKV_mfma16_kernelIDF16_hLN4vllm18Fp8KVCacheDataTypeE1EDF16_Li32ELi64ELi256ELb1ELi15EEvPKT_PKT0_S7_ifPKiS9_S9_iPKfiiiPfSC_PS2_PT2_iSB_SB_.uses_vcc, or(1, .L__assert_fail.uses_vcc)
	.set _Z39paged_attention_ll4mi_QKV_mfma16_kernelIDF16_hLN4vllm18Fp8KVCacheDataTypeE1EDF16_Li32ELi64ELi256ELb1ELi15EEvPKT_PKT0_S7_ifPKiS9_S9_iPKfiiiPfSC_PS2_PT2_iSB_SB_.uses_flat_scratch, or(0, .L__assert_fail.uses_flat_scratch)
	.set _Z39paged_attention_ll4mi_QKV_mfma16_kernelIDF16_hLN4vllm18Fp8KVCacheDataTypeE1EDF16_Li32ELi64ELi256ELb1ELi15EEvPKT_PKT0_S7_ifPKiS9_S9_iPKfiiiPfSC_PS2_PT2_iSB_SB_.has_dyn_sized_stack, or(0, .L__assert_fail.has_dyn_sized_stack)
	.set _Z39paged_attention_ll4mi_QKV_mfma16_kernelIDF16_hLN4vllm18Fp8KVCacheDataTypeE1EDF16_Li32ELi64ELi256ELb1ELi15EEvPKT_PKT0_S7_ifPKiS9_S9_iPKfiiiPfSC_PS2_PT2_iSB_SB_.has_recursion, or(0, .L__assert_fail.has_recursion)
	.set _Z39paged_attention_ll4mi_QKV_mfma16_kernelIDF16_hLN4vllm18Fp8KVCacheDataTypeE1EDF16_Li32ELi64ELi256ELb1ELi15EEvPKT_PKT0_S7_ifPKiS9_S9_iPKfiiiPfSC_PS2_PT2_iSB_SB_.has_indirect_call, or(0, .L__assert_fail.has_indirect_call)
	.section	.AMDGPU.csdata,"",@progbits
; Kernel info:
; codeLenInByte = 68
; TotalNumSgprs: 36
; NumVgprs: 51
; ScratchSize: 64
; MemoryBound: 0
; FloatMode: 240
; IeeeMode: 1
; LDSByteSize: 0 bytes/workgroup (compile time only)
; SGPRBlocks: 0
; VGPRBlocks: 3
; NumSGPRsForWavesPerEU: 36
; NumVGPRsForWavesPerEU: 51
; NamedBarCnt: 0
; Occupancy: 16
; WaveLimiterHint : 1
; COMPUTE_PGM_RSRC2:SCRATCH_EN: 1
; COMPUTE_PGM_RSRC2:USER_SGPR: 2
; COMPUTE_PGM_RSRC2:TRAP_HANDLER: 0
; COMPUTE_PGM_RSRC2:TGID_X_EN: 1
; COMPUTE_PGM_RSRC2:TGID_Y_EN: 0
; COMPUTE_PGM_RSRC2:TGID_Z_EN: 0
; COMPUTE_PGM_RSRC2:TIDIG_COMP_CNT: 0
	.section	.text._Z39paged_attention_ll4mi_QKV_mfma16_kernelIDF16_hLN4vllm18Fp8KVCacheDataTypeE1EDF16_Li32ELi64ELi256ELb1ELi16EEvPKT_PKT0_S7_ifPKiS9_S9_iPKfiiiPfSC_PS2_PT2_iSB_SB_,"axG",@progbits,_Z39paged_attention_ll4mi_QKV_mfma16_kernelIDF16_hLN4vllm18Fp8KVCacheDataTypeE1EDF16_Li32ELi64ELi256ELb1ELi16EEvPKT_PKT0_S7_ifPKiS9_S9_iPKfiiiPfSC_PS2_PT2_iSB_SB_,comdat
	.protected	_Z39paged_attention_ll4mi_QKV_mfma16_kernelIDF16_hLN4vllm18Fp8KVCacheDataTypeE1EDF16_Li32ELi64ELi256ELb1ELi16EEvPKT_PKT0_S7_ifPKiS9_S9_iPKfiiiPfSC_PS2_PT2_iSB_SB_ ; -- Begin function _Z39paged_attention_ll4mi_QKV_mfma16_kernelIDF16_hLN4vllm18Fp8KVCacheDataTypeE1EDF16_Li32ELi64ELi256ELb1ELi16EEvPKT_PKT0_S7_ifPKiS9_S9_iPKfiiiPfSC_PS2_PT2_iSB_SB_
	.globl	_Z39paged_attention_ll4mi_QKV_mfma16_kernelIDF16_hLN4vllm18Fp8KVCacheDataTypeE1EDF16_Li32ELi64ELi256ELb1ELi16EEvPKT_PKT0_S7_ifPKiS9_S9_iPKfiiiPfSC_PS2_PT2_iSB_SB_
	.p2align	8
	.type	_Z39paged_attention_ll4mi_QKV_mfma16_kernelIDF16_hLN4vllm18Fp8KVCacheDataTypeE1EDF16_Li32ELi64ELi256ELb1ELi16EEvPKT_PKT0_S7_ifPKiS9_S9_iPKfiiiPfSC_PS2_PT2_iSB_SB_,@function
_Z39paged_attention_ll4mi_QKV_mfma16_kernelIDF16_hLN4vllm18Fp8KVCacheDataTypeE1EDF16_Li32ELi64ELi256ELb1ELi16EEvPKT_PKT0_S7_ifPKiS9_S9_iPKfiiiPfSC_PS2_PT2_iSB_SB_: ; @_Z39paged_attention_ll4mi_QKV_mfma16_kernelIDF16_hLN4vllm18Fp8KVCacheDataTypeE1EDF16_Li32ELi64ELi256ELb1ELi16EEvPKT_PKT0_S7_ifPKiS9_S9_iPKfiiiPfSC_PS2_PT2_iSB_SB_
; %bb.0:
	s_get_pc_i64 s[2:3]
	s_add_nc_u64 s[2:3], s[2:3], __PRETTY_FUNCTION__._Z39paged_attention_ll4mi_QKV_mfma16_kernelIDF16_hLN4vllm18Fp8KVCacheDataTypeE1EDF16_Li32ELi64ELi256ELb1ELi16EEvPKT_PKT0_S7_ifPKiS9_S9_iPKfiiiPfSC_PS2_PT2_iSB_SB_@rel64+4
	s_delay_alu instid0(SALU_CYCLE_1)
	v_dual_mov_b32 v0, 0xbb3 :: v_dual_mov_b32 v1, s2
	v_mov_b32_e32 v2, s3
	s_add_nc_u64 s[8:9], s[0:1], 0x90
	s_get_pc_i64 s[0:1]
	s_add_nc_u64 s[0:1], s[0:1], __assert_fail@rel64+4
	s_mov_b32 s32, 0
	s_swap_pc_i64 s[30:31], s[0:1]
	.section	.rodata,"a",@progbits
	.p2align	6, 0x0
	.amdhsa_kernel _Z39paged_attention_ll4mi_QKV_mfma16_kernelIDF16_hLN4vllm18Fp8KVCacheDataTypeE1EDF16_Li32ELi64ELi256ELb1ELi16EEvPKT_PKT0_S7_ifPKiS9_S9_iPKfiiiPfSC_PS2_PT2_iSB_SB_
		.amdhsa_group_segment_fixed_size 0
		.amdhsa_private_segment_fixed_size 64
		.amdhsa_kernarg_size 400
		.amdhsa_user_sgpr_count 2
		.amdhsa_user_sgpr_dispatch_ptr 0
		.amdhsa_user_sgpr_queue_ptr 0
		.amdhsa_user_sgpr_kernarg_segment_ptr 1
		.amdhsa_user_sgpr_dispatch_id 0
		.amdhsa_user_sgpr_kernarg_preload_length 0
		.amdhsa_user_sgpr_kernarg_preload_offset 0
		.amdhsa_user_sgpr_private_segment_size 0
		.amdhsa_wavefront_size32 1
		.amdhsa_uses_dynamic_stack 0
		.amdhsa_enable_private_segment 1
		.amdhsa_system_sgpr_workgroup_id_x 1
		.amdhsa_system_sgpr_workgroup_id_y 0
		.amdhsa_system_sgpr_workgroup_id_z 0
		.amdhsa_system_sgpr_workgroup_info 0
		.amdhsa_system_vgpr_workitem_id 0
		.amdhsa_next_free_vgpr 51
		.amdhsa_next_free_sgpr 34
		.amdhsa_named_barrier_count 0
		.amdhsa_reserve_vcc 1
		.amdhsa_float_round_mode_32 0
		.amdhsa_float_round_mode_16_64 0
		.amdhsa_float_denorm_mode_32 3
		.amdhsa_float_denorm_mode_16_64 3
		.amdhsa_fp16_overflow 0
		.amdhsa_memory_ordered 1
		.amdhsa_forward_progress 1
		.amdhsa_inst_pref_size 1
		.amdhsa_round_robin_scheduling 0
		.amdhsa_exception_fp_ieee_invalid_op 0
		.amdhsa_exception_fp_denorm_src 0
		.amdhsa_exception_fp_ieee_div_zero 0
		.amdhsa_exception_fp_ieee_overflow 0
		.amdhsa_exception_fp_ieee_underflow 0
		.amdhsa_exception_fp_ieee_inexact 0
		.amdhsa_exception_int_div_zero 0
	.end_amdhsa_kernel
	.section	.text._Z39paged_attention_ll4mi_QKV_mfma16_kernelIDF16_hLN4vllm18Fp8KVCacheDataTypeE1EDF16_Li32ELi64ELi256ELb1ELi16EEvPKT_PKT0_S7_ifPKiS9_S9_iPKfiiiPfSC_PS2_PT2_iSB_SB_,"axG",@progbits,_Z39paged_attention_ll4mi_QKV_mfma16_kernelIDF16_hLN4vllm18Fp8KVCacheDataTypeE1EDF16_Li32ELi64ELi256ELb1ELi16EEvPKT_PKT0_S7_ifPKiS9_S9_iPKfiiiPfSC_PS2_PT2_iSB_SB_,comdat
.Lfunc_end905:
	.size	_Z39paged_attention_ll4mi_QKV_mfma16_kernelIDF16_hLN4vllm18Fp8KVCacheDataTypeE1EDF16_Li32ELi64ELi256ELb1ELi16EEvPKT_PKT0_S7_ifPKiS9_S9_iPKfiiiPfSC_PS2_PT2_iSB_SB_, .Lfunc_end905-_Z39paged_attention_ll4mi_QKV_mfma16_kernelIDF16_hLN4vllm18Fp8KVCacheDataTypeE1EDF16_Li32ELi64ELi256ELb1ELi16EEvPKT_PKT0_S7_ifPKiS9_S9_iPKfiiiPfSC_PS2_PT2_iSB_SB_
                                        ; -- End function
	.set _Z39paged_attention_ll4mi_QKV_mfma16_kernelIDF16_hLN4vllm18Fp8KVCacheDataTypeE1EDF16_Li32ELi64ELi256ELb1ELi16EEvPKT_PKT0_S7_ifPKiS9_S9_iPKfiiiPfSC_PS2_PT2_iSB_SB_.num_vgpr, max(3, .L__assert_fail.num_vgpr)
	.set _Z39paged_attention_ll4mi_QKV_mfma16_kernelIDF16_hLN4vllm18Fp8KVCacheDataTypeE1EDF16_Li32ELi64ELi256ELb1ELi16EEvPKT_PKT0_S7_ifPKiS9_S9_iPKfiiiPfSC_PS2_PT2_iSB_SB_.num_agpr, max(0, .L__assert_fail.num_agpr)
	.set _Z39paged_attention_ll4mi_QKV_mfma16_kernelIDF16_hLN4vllm18Fp8KVCacheDataTypeE1EDF16_Li32ELi64ELi256ELb1ELi16EEvPKT_PKT0_S7_ifPKiS9_S9_iPKfiiiPfSC_PS2_PT2_iSB_SB_.numbered_sgpr, max(33, .L__assert_fail.numbered_sgpr)
	.set _Z39paged_attention_ll4mi_QKV_mfma16_kernelIDF16_hLN4vllm18Fp8KVCacheDataTypeE1EDF16_Li32ELi64ELi256ELb1ELi16EEvPKT_PKT0_S7_ifPKiS9_S9_iPKfiiiPfSC_PS2_PT2_iSB_SB_.num_named_barrier, max(0, .L__assert_fail.num_named_barrier)
	.set _Z39paged_attention_ll4mi_QKV_mfma16_kernelIDF16_hLN4vllm18Fp8KVCacheDataTypeE1EDF16_Li32ELi64ELi256ELb1ELi16EEvPKT_PKT0_S7_ifPKiS9_S9_iPKfiiiPfSC_PS2_PT2_iSB_SB_.private_seg_size, 0+max(.L__assert_fail.private_seg_size)
	.set _Z39paged_attention_ll4mi_QKV_mfma16_kernelIDF16_hLN4vllm18Fp8KVCacheDataTypeE1EDF16_Li32ELi64ELi256ELb1ELi16EEvPKT_PKT0_S7_ifPKiS9_S9_iPKfiiiPfSC_PS2_PT2_iSB_SB_.uses_vcc, or(1, .L__assert_fail.uses_vcc)
	.set _Z39paged_attention_ll4mi_QKV_mfma16_kernelIDF16_hLN4vllm18Fp8KVCacheDataTypeE1EDF16_Li32ELi64ELi256ELb1ELi16EEvPKT_PKT0_S7_ifPKiS9_S9_iPKfiiiPfSC_PS2_PT2_iSB_SB_.uses_flat_scratch, or(0, .L__assert_fail.uses_flat_scratch)
	.set _Z39paged_attention_ll4mi_QKV_mfma16_kernelIDF16_hLN4vllm18Fp8KVCacheDataTypeE1EDF16_Li32ELi64ELi256ELb1ELi16EEvPKT_PKT0_S7_ifPKiS9_S9_iPKfiiiPfSC_PS2_PT2_iSB_SB_.has_dyn_sized_stack, or(0, .L__assert_fail.has_dyn_sized_stack)
	.set _Z39paged_attention_ll4mi_QKV_mfma16_kernelIDF16_hLN4vllm18Fp8KVCacheDataTypeE1EDF16_Li32ELi64ELi256ELb1ELi16EEvPKT_PKT0_S7_ifPKiS9_S9_iPKfiiiPfSC_PS2_PT2_iSB_SB_.has_recursion, or(0, .L__assert_fail.has_recursion)
	.set _Z39paged_attention_ll4mi_QKV_mfma16_kernelIDF16_hLN4vllm18Fp8KVCacheDataTypeE1EDF16_Li32ELi64ELi256ELb1ELi16EEvPKT_PKT0_S7_ifPKiS9_S9_iPKfiiiPfSC_PS2_PT2_iSB_SB_.has_indirect_call, or(0, .L__assert_fail.has_indirect_call)
	.section	.AMDGPU.csdata,"",@progbits
; Kernel info:
; codeLenInByte = 68
; TotalNumSgprs: 36
; NumVgprs: 51
; ScratchSize: 64
; MemoryBound: 0
; FloatMode: 240
; IeeeMode: 1
; LDSByteSize: 0 bytes/workgroup (compile time only)
; SGPRBlocks: 0
; VGPRBlocks: 3
; NumSGPRsForWavesPerEU: 36
; NumVGPRsForWavesPerEU: 51
; NamedBarCnt: 0
; Occupancy: 16
; WaveLimiterHint : 1
; COMPUTE_PGM_RSRC2:SCRATCH_EN: 1
; COMPUTE_PGM_RSRC2:USER_SGPR: 2
; COMPUTE_PGM_RSRC2:TRAP_HANDLER: 0
; COMPUTE_PGM_RSRC2:TGID_X_EN: 1
; COMPUTE_PGM_RSRC2:TGID_Y_EN: 0
; COMPUTE_PGM_RSRC2:TGID_Z_EN: 0
; COMPUTE_PGM_RSRC2:TIDIG_COMP_CNT: 0
	.section	.text._Z39paged_attention_ll4mi_QKV_mfma16_kernelIDF16_hLN4vllm18Fp8KVCacheDataTypeE1EDF16_Li32ELi64ELi256ELb1ELi1EEvPKT_PKT0_S7_ifPKiS9_S9_iPKfiiiPfSC_PS2_PT2_iSB_SB_,"axG",@progbits,_Z39paged_attention_ll4mi_QKV_mfma16_kernelIDF16_hLN4vllm18Fp8KVCacheDataTypeE1EDF16_Li32ELi64ELi256ELb1ELi1EEvPKT_PKT0_S7_ifPKiS9_S9_iPKfiiiPfSC_PS2_PT2_iSB_SB_,comdat
	.protected	_Z39paged_attention_ll4mi_QKV_mfma16_kernelIDF16_hLN4vllm18Fp8KVCacheDataTypeE1EDF16_Li32ELi64ELi256ELb1ELi1EEvPKT_PKT0_S7_ifPKiS9_S9_iPKfiiiPfSC_PS2_PT2_iSB_SB_ ; -- Begin function _Z39paged_attention_ll4mi_QKV_mfma16_kernelIDF16_hLN4vllm18Fp8KVCacheDataTypeE1EDF16_Li32ELi64ELi256ELb1ELi1EEvPKT_PKT0_S7_ifPKiS9_S9_iPKfiiiPfSC_PS2_PT2_iSB_SB_
	.globl	_Z39paged_attention_ll4mi_QKV_mfma16_kernelIDF16_hLN4vllm18Fp8KVCacheDataTypeE1EDF16_Li32ELi64ELi256ELb1ELi1EEvPKT_PKT0_S7_ifPKiS9_S9_iPKfiiiPfSC_PS2_PT2_iSB_SB_
	.p2align	8
	.type	_Z39paged_attention_ll4mi_QKV_mfma16_kernelIDF16_hLN4vllm18Fp8KVCacheDataTypeE1EDF16_Li32ELi64ELi256ELb1ELi1EEvPKT_PKT0_S7_ifPKiS9_S9_iPKfiiiPfSC_PS2_PT2_iSB_SB_,@function
_Z39paged_attention_ll4mi_QKV_mfma16_kernelIDF16_hLN4vllm18Fp8KVCacheDataTypeE1EDF16_Li32ELi64ELi256ELb1ELi1EEvPKT_PKT0_S7_ifPKiS9_S9_iPKfiiiPfSC_PS2_PT2_iSB_SB_: ; @_Z39paged_attention_ll4mi_QKV_mfma16_kernelIDF16_hLN4vllm18Fp8KVCacheDataTypeE1EDF16_Li32ELi64ELi256ELb1ELi1EEvPKT_PKT0_S7_ifPKiS9_S9_iPKfiiiPfSC_PS2_PT2_iSB_SB_
; %bb.0:
	s_get_pc_i64 s[2:3]
	s_add_nc_u64 s[2:3], s[2:3], __PRETTY_FUNCTION__._Z39paged_attention_ll4mi_QKV_mfma16_kernelIDF16_hLN4vllm18Fp8KVCacheDataTypeE1EDF16_Li32ELi64ELi256ELb1ELi1EEvPKT_PKT0_S7_ifPKiS9_S9_iPKfiiiPfSC_PS2_PT2_iSB_SB_@rel64+4
	s_delay_alu instid0(SALU_CYCLE_1)
	v_dual_mov_b32 v0, 0xbb3 :: v_dual_mov_b32 v1, s2
	v_mov_b32_e32 v2, s3
	s_add_nc_u64 s[8:9], s[0:1], 0x90
	s_get_pc_i64 s[0:1]
	s_add_nc_u64 s[0:1], s[0:1], __assert_fail@rel64+4
	s_mov_b32 s32, 0
	s_swap_pc_i64 s[30:31], s[0:1]
	.section	.rodata,"a",@progbits
	.p2align	6, 0x0
	.amdhsa_kernel _Z39paged_attention_ll4mi_QKV_mfma16_kernelIDF16_hLN4vllm18Fp8KVCacheDataTypeE1EDF16_Li32ELi64ELi256ELb1ELi1EEvPKT_PKT0_S7_ifPKiS9_S9_iPKfiiiPfSC_PS2_PT2_iSB_SB_
		.amdhsa_group_segment_fixed_size 0
		.amdhsa_private_segment_fixed_size 64
		.amdhsa_kernarg_size 400
		.amdhsa_user_sgpr_count 2
		.amdhsa_user_sgpr_dispatch_ptr 0
		.amdhsa_user_sgpr_queue_ptr 0
		.amdhsa_user_sgpr_kernarg_segment_ptr 1
		.amdhsa_user_sgpr_dispatch_id 0
		.amdhsa_user_sgpr_kernarg_preload_length 0
		.amdhsa_user_sgpr_kernarg_preload_offset 0
		.amdhsa_user_sgpr_private_segment_size 0
		.amdhsa_wavefront_size32 1
		.amdhsa_uses_dynamic_stack 0
		.amdhsa_enable_private_segment 1
		.amdhsa_system_sgpr_workgroup_id_x 1
		.amdhsa_system_sgpr_workgroup_id_y 0
		.amdhsa_system_sgpr_workgroup_id_z 0
		.amdhsa_system_sgpr_workgroup_info 0
		.amdhsa_system_vgpr_workitem_id 0
		.amdhsa_next_free_vgpr 51
		.amdhsa_next_free_sgpr 34
		.amdhsa_named_barrier_count 0
		.amdhsa_reserve_vcc 1
		.amdhsa_float_round_mode_32 0
		.amdhsa_float_round_mode_16_64 0
		.amdhsa_float_denorm_mode_32 3
		.amdhsa_float_denorm_mode_16_64 3
		.amdhsa_fp16_overflow 0
		.amdhsa_memory_ordered 1
		.amdhsa_forward_progress 1
		.amdhsa_inst_pref_size 1
		.amdhsa_round_robin_scheduling 0
		.amdhsa_exception_fp_ieee_invalid_op 0
		.amdhsa_exception_fp_denorm_src 0
		.amdhsa_exception_fp_ieee_div_zero 0
		.amdhsa_exception_fp_ieee_overflow 0
		.amdhsa_exception_fp_ieee_underflow 0
		.amdhsa_exception_fp_ieee_inexact 0
		.amdhsa_exception_int_div_zero 0
	.end_amdhsa_kernel
	.section	.text._Z39paged_attention_ll4mi_QKV_mfma16_kernelIDF16_hLN4vllm18Fp8KVCacheDataTypeE1EDF16_Li32ELi64ELi256ELb1ELi1EEvPKT_PKT0_S7_ifPKiS9_S9_iPKfiiiPfSC_PS2_PT2_iSB_SB_,"axG",@progbits,_Z39paged_attention_ll4mi_QKV_mfma16_kernelIDF16_hLN4vllm18Fp8KVCacheDataTypeE1EDF16_Li32ELi64ELi256ELb1ELi1EEvPKT_PKT0_S7_ifPKiS9_S9_iPKfiiiPfSC_PS2_PT2_iSB_SB_,comdat
.Lfunc_end906:
	.size	_Z39paged_attention_ll4mi_QKV_mfma16_kernelIDF16_hLN4vllm18Fp8KVCacheDataTypeE1EDF16_Li32ELi64ELi256ELb1ELi1EEvPKT_PKT0_S7_ifPKiS9_S9_iPKfiiiPfSC_PS2_PT2_iSB_SB_, .Lfunc_end906-_Z39paged_attention_ll4mi_QKV_mfma16_kernelIDF16_hLN4vllm18Fp8KVCacheDataTypeE1EDF16_Li32ELi64ELi256ELb1ELi1EEvPKT_PKT0_S7_ifPKiS9_S9_iPKfiiiPfSC_PS2_PT2_iSB_SB_
                                        ; -- End function
	.set _Z39paged_attention_ll4mi_QKV_mfma16_kernelIDF16_hLN4vllm18Fp8KVCacheDataTypeE1EDF16_Li32ELi64ELi256ELb1ELi1EEvPKT_PKT0_S7_ifPKiS9_S9_iPKfiiiPfSC_PS2_PT2_iSB_SB_.num_vgpr, max(3, .L__assert_fail.num_vgpr)
	.set _Z39paged_attention_ll4mi_QKV_mfma16_kernelIDF16_hLN4vllm18Fp8KVCacheDataTypeE1EDF16_Li32ELi64ELi256ELb1ELi1EEvPKT_PKT0_S7_ifPKiS9_S9_iPKfiiiPfSC_PS2_PT2_iSB_SB_.num_agpr, max(0, .L__assert_fail.num_agpr)
	.set _Z39paged_attention_ll4mi_QKV_mfma16_kernelIDF16_hLN4vllm18Fp8KVCacheDataTypeE1EDF16_Li32ELi64ELi256ELb1ELi1EEvPKT_PKT0_S7_ifPKiS9_S9_iPKfiiiPfSC_PS2_PT2_iSB_SB_.numbered_sgpr, max(33, .L__assert_fail.numbered_sgpr)
	.set _Z39paged_attention_ll4mi_QKV_mfma16_kernelIDF16_hLN4vllm18Fp8KVCacheDataTypeE1EDF16_Li32ELi64ELi256ELb1ELi1EEvPKT_PKT0_S7_ifPKiS9_S9_iPKfiiiPfSC_PS2_PT2_iSB_SB_.num_named_barrier, max(0, .L__assert_fail.num_named_barrier)
	.set _Z39paged_attention_ll4mi_QKV_mfma16_kernelIDF16_hLN4vllm18Fp8KVCacheDataTypeE1EDF16_Li32ELi64ELi256ELb1ELi1EEvPKT_PKT0_S7_ifPKiS9_S9_iPKfiiiPfSC_PS2_PT2_iSB_SB_.private_seg_size, 0+max(.L__assert_fail.private_seg_size)
	.set _Z39paged_attention_ll4mi_QKV_mfma16_kernelIDF16_hLN4vllm18Fp8KVCacheDataTypeE1EDF16_Li32ELi64ELi256ELb1ELi1EEvPKT_PKT0_S7_ifPKiS9_S9_iPKfiiiPfSC_PS2_PT2_iSB_SB_.uses_vcc, or(1, .L__assert_fail.uses_vcc)
	.set _Z39paged_attention_ll4mi_QKV_mfma16_kernelIDF16_hLN4vllm18Fp8KVCacheDataTypeE1EDF16_Li32ELi64ELi256ELb1ELi1EEvPKT_PKT0_S7_ifPKiS9_S9_iPKfiiiPfSC_PS2_PT2_iSB_SB_.uses_flat_scratch, or(0, .L__assert_fail.uses_flat_scratch)
	.set _Z39paged_attention_ll4mi_QKV_mfma16_kernelIDF16_hLN4vllm18Fp8KVCacheDataTypeE1EDF16_Li32ELi64ELi256ELb1ELi1EEvPKT_PKT0_S7_ifPKiS9_S9_iPKfiiiPfSC_PS2_PT2_iSB_SB_.has_dyn_sized_stack, or(0, .L__assert_fail.has_dyn_sized_stack)
	.set _Z39paged_attention_ll4mi_QKV_mfma16_kernelIDF16_hLN4vllm18Fp8KVCacheDataTypeE1EDF16_Li32ELi64ELi256ELb1ELi1EEvPKT_PKT0_S7_ifPKiS9_S9_iPKfiiiPfSC_PS2_PT2_iSB_SB_.has_recursion, or(0, .L__assert_fail.has_recursion)
	.set _Z39paged_attention_ll4mi_QKV_mfma16_kernelIDF16_hLN4vllm18Fp8KVCacheDataTypeE1EDF16_Li32ELi64ELi256ELb1ELi1EEvPKT_PKT0_S7_ifPKiS9_S9_iPKfiiiPfSC_PS2_PT2_iSB_SB_.has_indirect_call, or(0, .L__assert_fail.has_indirect_call)
	.section	.AMDGPU.csdata,"",@progbits
; Kernel info:
; codeLenInByte = 68
; TotalNumSgprs: 36
; NumVgprs: 51
; ScratchSize: 64
; MemoryBound: 0
; FloatMode: 240
; IeeeMode: 1
; LDSByteSize: 0 bytes/workgroup (compile time only)
; SGPRBlocks: 0
; VGPRBlocks: 3
; NumSGPRsForWavesPerEU: 36
; NumVGPRsForWavesPerEU: 51
; NamedBarCnt: 0
; Occupancy: 16
; WaveLimiterHint : 1
; COMPUTE_PGM_RSRC2:SCRATCH_EN: 1
; COMPUTE_PGM_RSRC2:USER_SGPR: 2
; COMPUTE_PGM_RSRC2:TRAP_HANDLER: 0
; COMPUTE_PGM_RSRC2:TGID_X_EN: 1
; COMPUTE_PGM_RSRC2:TGID_Y_EN: 0
; COMPUTE_PGM_RSRC2:TGID_Z_EN: 0
; COMPUTE_PGM_RSRC2:TIDIG_COMP_CNT: 0
	.section	.text._Z39paged_attention_ll4mi_QKV_mfma16_kernelIDF16_hLN4vllm18Fp8KVCacheDataTypeE1EDF16_Li32ELi64ELi256ELb1ELi2EEvPKT_PKT0_S7_ifPKiS9_S9_iPKfiiiPfSC_PS2_PT2_iSB_SB_,"axG",@progbits,_Z39paged_attention_ll4mi_QKV_mfma16_kernelIDF16_hLN4vllm18Fp8KVCacheDataTypeE1EDF16_Li32ELi64ELi256ELb1ELi2EEvPKT_PKT0_S7_ifPKiS9_S9_iPKfiiiPfSC_PS2_PT2_iSB_SB_,comdat
	.protected	_Z39paged_attention_ll4mi_QKV_mfma16_kernelIDF16_hLN4vllm18Fp8KVCacheDataTypeE1EDF16_Li32ELi64ELi256ELb1ELi2EEvPKT_PKT0_S7_ifPKiS9_S9_iPKfiiiPfSC_PS2_PT2_iSB_SB_ ; -- Begin function _Z39paged_attention_ll4mi_QKV_mfma16_kernelIDF16_hLN4vllm18Fp8KVCacheDataTypeE1EDF16_Li32ELi64ELi256ELb1ELi2EEvPKT_PKT0_S7_ifPKiS9_S9_iPKfiiiPfSC_PS2_PT2_iSB_SB_
	.globl	_Z39paged_attention_ll4mi_QKV_mfma16_kernelIDF16_hLN4vllm18Fp8KVCacheDataTypeE1EDF16_Li32ELi64ELi256ELb1ELi2EEvPKT_PKT0_S7_ifPKiS9_S9_iPKfiiiPfSC_PS2_PT2_iSB_SB_
	.p2align	8
	.type	_Z39paged_attention_ll4mi_QKV_mfma16_kernelIDF16_hLN4vllm18Fp8KVCacheDataTypeE1EDF16_Li32ELi64ELi256ELb1ELi2EEvPKT_PKT0_S7_ifPKiS9_S9_iPKfiiiPfSC_PS2_PT2_iSB_SB_,@function
_Z39paged_attention_ll4mi_QKV_mfma16_kernelIDF16_hLN4vllm18Fp8KVCacheDataTypeE1EDF16_Li32ELi64ELi256ELb1ELi2EEvPKT_PKT0_S7_ifPKiS9_S9_iPKfiiiPfSC_PS2_PT2_iSB_SB_: ; @_Z39paged_attention_ll4mi_QKV_mfma16_kernelIDF16_hLN4vllm18Fp8KVCacheDataTypeE1EDF16_Li32ELi64ELi256ELb1ELi2EEvPKT_PKT0_S7_ifPKiS9_S9_iPKfiiiPfSC_PS2_PT2_iSB_SB_
; %bb.0:
	s_get_pc_i64 s[2:3]
	s_add_nc_u64 s[2:3], s[2:3], __PRETTY_FUNCTION__._Z39paged_attention_ll4mi_QKV_mfma16_kernelIDF16_hLN4vllm18Fp8KVCacheDataTypeE1EDF16_Li32ELi64ELi256ELb1ELi2EEvPKT_PKT0_S7_ifPKiS9_S9_iPKfiiiPfSC_PS2_PT2_iSB_SB_@rel64+4
	s_delay_alu instid0(SALU_CYCLE_1)
	v_dual_mov_b32 v0, 0xbb3 :: v_dual_mov_b32 v1, s2
	v_mov_b32_e32 v2, s3
	s_add_nc_u64 s[8:9], s[0:1], 0x90
	s_get_pc_i64 s[0:1]
	s_add_nc_u64 s[0:1], s[0:1], __assert_fail@rel64+4
	s_mov_b32 s32, 0
	s_swap_pc_i64 s[30:31], s[0:1]
	.section	.rodata,"a",@progbits
	.p2align	6, 0x0
	.amdhsa_kernel _Z39paged_attention_ll4mi_QKV_mfma16_kernelIDF16_hLN4vllm18Fp8KVCacheDataTypeE1EDF16_Li32ELi64ELi256ELb1ELi2EEvPKT_PKT0_S7_ifPKiS9_S9_iPKfiiiPfSC_PS2_PT2_iSB_SB_
		.amdhsa_group_segment_fixed_size 0
		.amdhsa_private_segment_fixed_size 64
		.amdhsa_kernarg_size 400
		.amdhsa_user_sgpr_count 2
		.amdhsa_user_sgpr_dispatch_ptr 0
		.amdhsa_user_sgpr_queue_ptr 0
		.amdhsa_user_sgpr_kernarg_segment_ptr 1
		.amdhsa_user_sgpr_dispatch_id 0
		.amdhsa_user_sgpr_kernarg_preload_length 0
		.amdhsa_user_sgpr_kernarg_preload_offset 0
		.amdhsa_user_sgpr_private_segment_size 0
		.amdhsa_wavefront_size32 1
		.amdhsa_uses_dynamic_stack 0
		.amdhsa_enable_private_segment 1
		.amdhsa_system_sgpr_workgroup_id_x 1
		.amdhsa_system_sgpr_workgroup_id_y 0
		.amdhsa_system_sgpr_workgroup_id_z 0
		.amdhsa_system_sgpr_workgroup_info 0
		.amdhsa_system_vgpr_workitem_id 0
		.amdhsa_next_free_vgpr 51
		.amdhsa_next_free_sgpr 34
		.amdhsa_named_barrier_count 0
		.amdhsa_reserve_vcc 1
		.amdhsa_float_round_mode_32 0
		.amdhsa_float_round_mode_16_64 0
		.amdhsa_float_denorm_mode_32 3
		.amdhsa_float_denorm_mode_16_64 3
		.amdhsa_fp16_overflow 0
		.amdhsa_memory_ordered 1
		.amdhsa_forward_progress 1
		.amdhsa_inst_pref_size 1
		.amdhsa_round_robin_scheduling 0
		.amdhsa_exception_fp_ieee_invalid_op 0
		.amdhsa_exception_fp_denorm_src 0
		.amdhsa_exception_fp_ieee_div_zero 0
		.amdhsa_exception_fp_ieee_overflow 0
		.amdhsa_exception_fp_ieee_underflow 0
		.amdhsa_exception_fp_ieee_inexact 0
		.amdhsa_exception_int_div_zero 0
	.end_amdhsa_kernel
	.section	.text._Z39paged_attention_ll4mi_QKV_mfma16_kernelIDF16_hLN4vllm18Fp8KVCacheDataTypeE1EDF16_Li32ELi64ELi256ELb1ELi2EEvPKT_PKT0_S7_ifPKiS9_S9_iPKfiiiPfSC_PS2_PT2_iSB_SB_,"axG",@progbits,_Z39paged_attention_ll4mi_QKV_mfma16_kernelIDF16_hLN4vllm18Fp8KVCacheDataTypeE1EDF16_Li32ELi64ELi256ELb1ELi2EEvPKT_PKT0_S7_ifPKiS9_S9_iPKfiiiPfSC_PS2_PT2_iSB_SB_,comdat
.Lfunc_end907:
	.size	_Z39paged_attention_ll4mi_QKV_mfma16_kernelIDF16_hLN4vllm18Fp8KVCacheDataTypeE1EDF16_Li32ELi64ELi256ELb1ELi2EEvPKT_PKT0_S7_ifPKiS9_S9_iPKfiiiPfSC_PS2_PT2_iSB_SB_, .Lfunc_end907-_Z39paged_attention_ll4mi_QKV_mfma16_kernelIDF16_hLN4vllm18Fp8KVCacheDataTypeE1EDF16_Li32ELi64ELi256ELb1ELi2EEvPKT_PKT0_S7_ifPKiS9_S9_iPKfiiiPfSC_PS2_PT2_iSB_SB_
                                        ; -- End function
	.set _Z39paged_attention_ll4mi_QKV_mfma16_kernelIDF16_hLN4vllm18Fp8KVCacheDataTypeE1EDF16_Li32ELi64ELi256ELb1ELi2EEvPKT_PKT0_S7_ifPKiS9_S9_iPKfiiiPfSC_PS2_PT2_iSB_SB_.num_vgpr, max(3, .L__assert_fail.num_vgpr)
	.set _Z39paged_attention_ll4mi_QKV_mfma16_kernelIDF16_hLN4vllm18Fp8KVCacheDataTypeE1EDF16_Li32ELi64ELi256ELb1ELi2EEvPKT_PKT0_S7_ifPKiS9_S9_iPKfiiiPfSC_PS2_PT2_iSB_SB_.num_agpr, max(0, .L__assert_fail.num_agpr)
	.set _Z39paged_attention_ll4mi_QKV_mfma16_kernelIDF16_hLN4vllm18Fp8KVCacheDataTypeE1EDF16_Li32ELi64ELi256ELb1ELi2EEvPKT_PKT0_S7_ifPKiS9_S9_iPKfiiiPfSC_PS2_PT2_iSB_SB_.numbered_sgpr, max(33, .L__assert_fail.numbered_sgpr)
	.set _Z39paged_attention_ll4mi_QKV_mfma16_kernelIDF16_hLN4vllm18Fp8KVCacheDataTypeE1EDF16_Li32ELi64ELi256ELb1ELi2EEvPKT_PKT0_S7_ifPKiS9_S9_iPKfiiiPfSC_PS2_PT2_iSB_SB_.num_named_barrier, max(0, .L__assert_fail.num_named_barrier)
	.set _Z39paged_attention_ll4mi_QKV_mfma16_kernelIDF16_hLN4vllm18Fp8KVCacheDataTypeE1EDF16_Li32ELi64ELi256ELb1ELi2EEvPKT_PKT0_S7_ifPKiS9_S9_iPKfiiiPfSC_PS2_PT2_iSB_SB_.private_seg_size, 0+max(.L__assert_fail.private_seg_size)
	.set _Z39paged_attention_ll4mi_QKV_mfma16_kernelIDF16_hLN4vllm18Fp8KVCacheDataTypeE1EDF16_Li32ELi64ELi256ELb1ELi2EEvPKT_PKT0_S7_ifPKiS9_S9_iPKfiiiPfSC_PS2_PT2_iSB_SB_.uses_vcc, or(1, .L__assert_fail.uses_vcc)
	.set _Z39paged_attention_ll4mi_QKV_mfma16_kernelIDF16_hLN4vllm18Fp8KVCacheDataTypeE1EDF16_Li32ELi64ELi256ELb1ELi2EEvPKT_PKT0_S7_ifPKiS9_S9_iPKfiiiPfSC_PS2_PT2_iSB_SB_.uses_flat_scratch, or(0, .L__assert_fail.uses_flat_scratch)
	.set _Z39paged_attention_ll4mi_QKV_mfma16_kernelIDF16_hLN4vllm18Fp8KVCacheDataTypeE1EDF16_Li32ELi64ELi256ELb1ELi2EEvPKT_PKT0_S7_ifPKiS9_S9_iPKfiiiPfSC_PS2_PT2_iSB_SB_.has_dyn_sized_stack, or(0, .L__assert_fail.has_dyn_sized_stack)
	.set _Z39paged_attention_ll4mi_QKV_mfma16_kernelIDF16_hLN4vllm18Fp8KVCacheDataTypeE1EDF16_Li32ELi64ELi256ELb1ELi2EEvPKT_PKT0_S7_ifPKiS9_S9_iPKfiiiPfSC_PS2_PT2_iSB_SB_.has_recursion, or(0, .L__assert_fail.has_recursion)
	.set _Z39paged_attention_ll4mi_QKV_mfma16_kernelIDF16_hLN4vllm18Fp8KVCacheDataTypeE1EDF16_Li32ELi64ELi256ELb1ELi2EEvPKT_PKT0_S7_ifPKiS9_S9_iPKfiiiPfSC_PS2_PT2_iSB_SB_.has_indirect_call, or(0, .L__assert_fail.has_indirect_call)
	.section	.AMDGPU.csdata,"",@progbits
; Kernel info:
; codeLenInByte = 68
; TotalNumSgprs: 36
; NumVgprs: 51
; ScratchSize: 64
; MemoryBound: 0
; FloatMode: 240
; IeeeMode: 1
; LDSByteSize: 0 bytes/workgroup (compile time only)
; SGPRBlocks: 0
; VGPRBlocks: 3
; NumSGPRsForWavesPerEU: 36
; NumVGPRsForWavesPerEU: 51
; NamedBarCnt: 0
; Occupancy: 16
; WaveLimiterHint : 1
; COMPUTE_PGM_RSRC2:SCRATCH_EN: 1
; COMPUTE_PGM_RSRC2:USER_SGPR: 2
; COMPUTE_PGM_RSRC2:TRAP_HANDLER: 0
; COMPUTE_PGM_RSRC2:TGID_X_EN: 1
; COMPUTE_PGM_RSRC2:TGID_Y_EN: 0
; COMPUTE_PGM_RSRC2:TGID_Z_EN: 0
; COMPUTE_PGM_RSRC2:TIDIG_COMP_CNT: 0
	.section	.text._Z39paged_attention_ll4mi_QKV_mfma16_kernelIDF16_hLN4vllm18Fp8KVCacheDataTypeE1EDF16_Li32ELi64ELi256ELb1ELi3EEvPKT_PKT0_S7_ifPKiS9_S9_iPKfiiiPfSC_PS2_PT2_iSB_SB_,"axG",@progbits,_Z39paged_attention_ll4mi_QKV_mfma16_kernelIDF16_hLN4vllm18Fp8KVCacheDataTypeE1EDF16_Li32ELi64ELi256ELb1ELi3EEvPKT_PKT0_S7_ifPKiS9_S9_iPKfiiiPfSC_PS2_PT2_iSB_SB_,comdat
	.protected	_Z39paged_attention_ll4mi_QKV_mfma16_kernelIDF16_hLN4vllm18Fp8KVCacheDataTypeE1EDF16_Li32ELi64ELi256ELb1ELi3EEvPKT_PKT0_S7_ifPKiS9_S9_iPKfiiiPfSC_PS2_PT2_iSB_SB_ ; -- Begin function _Z39paged_attention_ll4mi_QKV_mfma16_kernelIDF16_hLN4vllm18Fp8KVCacheDataTypeE1EDF16_Li32ELi64ELi256ELb1ELi3EEvPKT_PKT0_S7_ifPKiS9_S9_iPKfiiiPfSC_PS2_PT2_iSB_SB_
	.globl	_Z39paged_attention_ll4mi_QKV_mfma16_kernelIDF16_hLN4vllm18Fp8KVCacheDataTypeE1EDF16_Li32ELi64ELi256ELb1ELi3EEvPKT_PKT0_S7_ifPKiS9_S9_iPKfiiiPfSC_PS2_PT2_iSB_SB_
	.p2align	8
	.type	_Z39paged_attention_ll4mi_QKV_mfma16_kernelIDF16_hLN4vllm18Fp8KVCacheDataTypeE1EDF16_Li32ELi64ELi256ELb1ELi3EEvPKT_PKT0_S7_ifPKiS9_S9_iPKfiiiPfSC_PS2_PT2_iSB_SB_,@function
_Z39paged_attention_ll4mi_QKV_mfma16_kernelIDF16_hLN4vllm18Fp8KVCacheDataTypeE1EDF16_Li32ELi64ELi256ELb1ELi3EEvPKT_PKT0_S7_ifPKiS9_S9_iPKfiiiPfSC_PS2_PT2_iSB_SB_: ; @_Z39paged_attention_ll4mi_QKV_mfma16_kernelIDF16_hLN4vllm18Fp8KVCacheDataTypeE1EDF16_Li32ELi64ELi256ELb1ELi3EEvPKT_PKT0_S7_ifPKiS9_S9_iPKfiiiPfSC_PS2_PT2_iSB_SB_
; %bb.0:
	s_get_pc_i64 s[2:3]
	s_add_nc_u64 s[2:3], s[2:3], __PRETTY_FUNCTION__._Z39paged_attention_ll4mi_QKV_mfma16_kernelIDF16_hLN4vllm18Fp8KVCacheDataTypeE1EDF16_Li32ELi64ELi256ELb1ELi3EEvPKT_PKT0_S7_ifPKiS9_S9_iPKfiiiPfSC_PS2_PT2_iSB_SB_@rel64+4
	s_delay_alu instid0(SALU_CYCLE_1)
	v_dual_mov_b32 v0, 0xbb3 :: v_dual_mov_b32 v1, s2
	v_mov_b32_e32 v2, s3
	s_add_nc_u64 s[8:9], s[0:1], 0x90
	s_get_pc_i64 s[0:1]
	s_add_nc_u64 s[0:1], s[0:1], __assert_fail@rel64+4
	s_mov_b32 s32, 0
	s_swap_pc_i64 s[30:31], s[0:1]
	.section	.rodata,"a",@progbits
	.p2align	6, 0x0
	.amdhsa_kernel _Z39paged_attention_ll4mi_QKV_mfma16_kernelIDF16_hLN4vllm18Fp8KVCacheDataTypeE1EDF16_Li32ELi64ELi256ELb1ELi3EEvPKT_PKT0_S7_ifPKiS9_S9_iPKfiiiPfSC_PS2_PT2_iSB_SB_
		.amdhsa_group_segment_fixed_size 0
		.amdhsa_private_segment_fixed_size 64
		.amdhsa_kernarg_size 400
		.amdhsa_user_sgpr_count 2
		.amdhsa_user_sgpr_dispatch_ptr 0
		.amdhsa_user_sgpr_queue_ptr 0
		.amdhsa_user_sgpr_kernarg_segment_ptr 1
		.amdhsa_user_sgpr_dispatch_id 0
		.amdhsa_user_sgpr_kernarg_preload_length 0
		.amdhsa_user_sgpr_kernarg_preload_offset 0
		.amdhsa_user_sgpr_private_segment_size 0
		.amdhsa_wavefront_size32 1
		.amdhsa_uses_dynamic_stack 0
		.amdhsa_enable_private_segment 1
		.amdhsa_system_sgpr_workgroup_id_x 1
		.amdhsa_system_sgpr_workgroup_id_y 0
		.amdhsa_system_sgpr_workgroup_id_z 0
		.amdhsa_system_sgpr_workgroup_info 0
		.amdhsa_system_vgpr_workitem_id 0
		.amdhsa_next_free_vgpr 51
		.amdhsa_next_free_sgpr 34
		.amdhsa_named_barrier_count 0
		.amdhsa_reserve_vcc 1
		.amdhsa_float_round_mode_32 0
		.amdhsa_float_round_mode_16_64 0
		.amdhsa_float_denorm_mode_32 3
		.amdhsa_float_denorm_mode_16_64 3
		.amdhsa_fp16_overflow 0
		.amdhsa_memory_ordered 1
		.amdhsa_forward_progress 1
		.amdhsa_inst_pref_size 1
		.amdhsa_round_robin_scheduling 0
		.amdhsa_exception_fp_ieee_invalid_op 0
		.amdhsa_exception_fp_denorm_src 0
		.amdhsa_exception_fp_ieee_div_zero 0
		.amdhsa_exception_fp_ieee_overflow 0
		.amdhsa_exception_fp_ieee_underflow 0
		.amdhsa_exception_fp_ieee_inexact 0
		.amdhsa_exception_int_div_zero 0
	.end_amdhsa_kernel
	.section	.text._Z39paged_attention_ll4mi_QKV_mfma16_kernelIDF16_hLN4vllm18Fp8KVCacheDataTypeE1EDF16_Li32ELi64ELi256ELb1ELi3EEvPKT_PKT0_S7_ifPKiS9_S9_iPKfiiiPfSC_PS2_PT2_iSB_SB_,"axG",@progbits,_Z39paged_attention_ll4mi_QKV_mfma16_kernelIDF16_hLN4vllm18Fp8KVCacheDataTypeE1EDF16_Li32ELi64ELi256ELb1ELi3EEvPKT_PKT0_S7_ifPKiS9_S9_iPKfiiiPfSC_PS2_PT2_iSB_SB_,comdat
.Lfunc_end908:
	.size	_Z39paged_attention_ll4mi_QKV_mfma16_kernelIDF16_hLN4vllm18Fp8KVCacheDataTypeE1EDF16_Li32ELi64ELi256ELb1ELi3EEvPKT_PKT0_S7_ifPKiS9_S9_iPKfiiiPfSC_PS2_PT2_iSB_SB_, .Lfunc_end908-_Z39paged_attention_ll4mi_QKV_mfma16_kernelIDF16_hLN4vllm18Fp8KVCacheDataTypeE1EDF16_Li32ELi64ELi256ELb1ELi3EEvPKT_PKT0_S7_ifPKiS9_S9_iPKfiiiPfSC_PS2_PT2_iSB_SB_
                                        ; -- End function
	.set _Z39paged_attention_ll4mi_QKV_mfma16_kernelIDF16_hLN4vllm18Fp8KVCacheDataTypeE1EDF16_Li32ELi64ELi256ELb1ELi3EEvPKT_PKT0_S7_ifPKiS9_S9_iPKfiiiPfSC_PS2_PT2_iSB_SB_.num_vgpr, max(3, .L__assert_fail.num_vgpr)
	.set _Z39paged_attention_ll4mi_QKV_mfma16_kernelIDF16_hLN4vllm18Fp8KVCacheDataTypeE1EDF16_Li32ELi64ELi256ELb1ELi3EEvPKT_PKT0_S7_ifPKiS9_S9_iPKfiiiPfSC_PS2_PT2_iSB_SB_.num_agpr, max(0, .L__assert_fail.num_agpr)
	.set _Z39paged_attention_ll4mi_QKV_mfma16_kernelIDF16_hLN4vllm18Fp8KVCacheDataTypeE1EDF16_Li32ELi64ELi256ELb1ELi3EEvPKT_PKT0_S7_ifPKiS9_S9_iPKfiiiPfSC_PS2_PT2_iSB_SB_.numbered_sgpr, max(33, .L__assert_fail.numbered_sgpr)
	.set _Z39paged_attention_ll4mi_QKV_mfma16_kernelIDF16_hLN4vllm18Fp8KVCacheDataTypeE1EDF16_Li32ELi64ELi256ELb1ELi3EEvPKT_PKT0_S7_ifPKiS9_S9_iPKfiiiPfSC_PS2_PT2_iSB_SB_.num_named_barrier, max(0, .L__assert_fail.num_named_barrier)
	.set _Z39paged_attention_ll4mi_QKV_mfma16_kernelIDF16_hLN4vllm18Fp8KVCacheDataTypeE1EDF16_Li32ELi64ELi256ELb1ELi3EEvPKT_PKT0_S7_ifPKiS9_S9_iPKfiiiPfSC_PS2_PT2_iSB_SB_.private_seg_size, 0+max(.L__assert_fail.private_seg_size)
	.set _Z39paged_attention_ll4mi_QKV_mfma16_kernelIDF16_hLN4vllm18Fp8KVCacheDataTypeE1EDF16_Li32ELi64ELi256ELb1ELi3EEvPKT_PKT0_S7_ifPKiS9_S9_iPKfiiiPfSC_PS2_PT2_iSB_SB_.uses_vcc, or(1, .L__assert_fail.uses_vcc)
	.set _Z39paged_attention_ll4mi_QKV_mfma16_kernelIDF16_hLN4vllm18Fp8KVCacheDataTypeE1EDF16_Li32ELi64ELi256ELb1ELi3EEvPKT_PKT0_S7_ifPKiS9_S9_iPKfiiiPfSC_PS2_PT2_iSB_SB_.uses_flat_scratch, or(0, .L__assert_fail.uses_flat_scratch)
	.set _Z39paged_attention_ll4mi_QKV_mfma16_kernelIDF16_hLN4vllm18Fp8KVCacheDataTypeE1EDF16_Li32ELi64ELi256ELb1ELi3EEvPKT_PKT0_S7_ifPKiS9_S9_iPKfiiiPfSC_PS2_PT2_iSB_SB_.has_dyn_sized_stack, or(0, .L__assert_fail.has_dyn_sized_stack)
	.set _Z39paged_attention_ll4mi_QKV_mfma16_kernelIDF16_hLN4vllm18Fp8KVCacheDataTypeE1EDF16_Li32ELi64ELi256ELb1ELi3EEvPKT_PKT0_S7_ifPKiS9_S9_iPKfiiiPfSC_PS2_PT2_iSB_SB_.has_recursion, or(0, .L__assert_fail.has_recursion)
	.set _Z39paged_attention_ll4mi_QKV_mfma16_kernelIDF16_hLN4vllm18Fp8KVCacheDataTypeE1EDF16_Li32ELi64ELi256ELb1ELi3EEvPKT_PKT0_S7_ifPKiS9_S9_iPKfiiiPfSC_PS2_PT2_iSB_SB_.has_indirect_call, or(0, .L__assert_fail.has_indirect_call)
	.section	.AMDGPU.csdata,"",@progbits
; Kernel info:
; codeLenInByte = 68
; TotalNumSgprs: 36
; NumVgprs: 51
; ScratchSize: 64
; MemoryBound: 0
; FloatMode: 240
; IeeeMode: 1
; LDSByteSize: 0 bytes/workgroup (compile time only)
; SGPRBlocks: 0
; VGPRBlocks: 3
; NumSGPRsForWavesPerEU: 36
; NumVGPRsForWavesPerEU: 51
; NamedBarCnt: 0
; Occupancy: 16
; WaveLimiterHint : 1
; COMPUTE_PGM_RSRC2:SCRATCH_EN: 1
; COMPUTE_PGM_RSRC2:USER_SGPR: 2
; COMPUTE_PGM_RSRC2:TRAP_HANDLER: 0
; COMPUTE_PGM_RSRC2:TGID_X_EN: 1
; COMPUTE_PGM_RSRC2:TGID_Y_EN: 0
; COMPUTE_PGM_RSRC2:TGID_Z_EN: 0
; COMPUTE_PGM_RSRC2:TIDIG_COMP_CNT: 0
	.section	.text._Z39paged_attention_ll4mi_QKV_mfma16_kernelIDF16_hLN4vllm18Fp8KVCacheDataTypeE1EDF16_Li32ELi64ELi256ELb1ELi4EEvPKT_PKT0_S7_ifPKiS9_S9_iPKfiiiPfSC_PS2_PT2_iSB_SB_,"axG",@progbits,_Z39paged_attention_ll4mi_QKV_mfma16_kernelIDF16_hLN4vllm18Fp8KVCacheDataTypeE1EDF16_Li32ELi64ELi256ELb1ELi4EEvPKT_PKT0_S7_ifPKiS9_S9_iPKfiiiPfSC_PS2_PT2_iSB_SB_,comdat
	.protected	_Z39paged_attention_ll4mi_QKV_mfma16_kernelIDF16_hLN4vllm18Fp8KVCacheDataTypeE1EDF16_Li32ELi64ELi256ELb1ELi4EEvPKT_PKT0_S7_ifPKiS9_S9_iPKfiiiPfSC_PS2_PT2_iSB_SB_ ; -- Begin function _Z39paged_attention_ll4mi_QKV_mfma16_kernelIDF16_hLN4vllm18Fp8KVCacheDataTypeE1EDF16_Li32ELi64ELi256ELb1ELi4EEvPKT_PKT0_S7_ifPKiS9_S9_iPKfiiiPfSC_PS2_PT2_iSB_SB_
	.globl	_Z39paged_attention_ll4mi_QKV_mfma16_kernelIDF16_hLN4vllm18Fp8KVCacheDataTypeE1EDF16_Li32ELi64ELi256ELb1ELi4EEvPKT_PKT0_S7_ifPKiS9_S9_iPKfiiiPfSC_PS2_PT2_iSB_SB_
	.p2align	8
	.type	_Z39paged_attention_ll4mi_QKV_mfma16_kernelIDF16_hLN4vllm18Fp8KVCacheDataTypeE1EDF16_Li32ELi64ELi256ELb1ELi4EEvPKT_PKT0_S7_ifPKiS9_S9_iPKfiiiPfSC_PS2_PT2_iSB_SB_,@function
_Z39paged_attention_ll4mi_QKV_mfma16_kernelIDF16_hLN4vllm18Fp8KVCacheDataTypeE1EDF16_Li32ELi64ELi256ELb1ELi4EEvPKT_PKT0_S7_ifPKiS9_S9_iPKfiiiPfSC_PS2_PT2_iSB_SB_: ; @_Z39paged_attention_ll4mi_QKV_mfma16_kernelIDF16_hLN4vllm18Fp8KVCacheDataTypeE1EDF16_Li32ELi64ELi256ELb1ELi4EEvPKT_PKT0_S7_ifPKiS9_S9_iPKfiiiPfSC_PS2_PT2_iSB_SB_
; %bb.0:
	s_get_pc_i64 s[2:3]
	s_add_nc_u64 s[2:3], s[2:3], __PRETTY_FUNCTION__._Z39paged_attention_ll4mi_QKV_mfma16_kernelIDF16_hLN4vllm18Fp8KVCacheDataTypeE1EDF16_Li32ELi64ELi256ELb1ELi4EEvPKT_PKT0_S7_ifPKiS9_S9_iPKfiiiPfSC_PS2_PT2_iSB_SB_@rel64+4
	s_delay_alu instid0(SALU_CYCLE_1)
	v_dual_mov_b32 v0, 0xbb3 :: v_dual_mov_b32 v1, s2
	v_mov_b32_e32 v2, s3
	s_add_nc_u64 s[8:9], s[0:1], 0x90
	s_get_pc_i64 s[0:1]
	s_add_nc_u64 s[0:1], s[0:1], __assert_fail@rel64+4
	s_mov_b32 s32, 0
	s_swap_pc_i64 s[30:31], s[0:1]
	.section	.rodata,"a",@progbits
	.p2align	6, 0x0
	.amdhsa_kernel _Z39paged_attention_ll4mi_QKV_mfma16_kernelIDF16_hLN4vllm18Fp8KVCacheDataTypeE1EDF16_Li32ELi64ELi256ELb1ELi4EEvPKT_PKT0_S7_ifPKiS9_S9_iPKfiiiPfSC_PS2_PT2_iSB_SB_
		.amdhsa_group_segment_fixed_size 0
		.amdhsa_private_segment_fixed_size 64
		.amdhsa_kernarg_size 400
		.amdhsa_user_sgpr_count 2
		.amdhsa_user_sgpr_dispatch_ptr 0
		.amdhsa_user_sgpr_queue_ptr 0
		.amdhsa_user_sgpr_kernarg_segment_ptr 1
		.amdhsa_user_sgpr_dispatch_id 0
		.amdhsa_user_sgpr_kernarg_preload_length 0
		.amdhsa_user_sgpr_kernarg_preload_offset 0
		.amdhsa_user_sgpr_private_segment_size 0
		.amdhsa_wavefront_size32 1
		.amdhsa_uses_dynamic_stack 0
		.amdhsa_enable_private_segment 1
		.amdhsa_system_sgpr_workgroup_id_x 1
		.amdhsa_system_sgpr_workgroup_id_y 0
		.amdhsa_system_sgpr_workgroup_id_z 0
		.amdhsa_system_sgpr_workgroup_info 0
		.amdhsa_system_vgpr_workitem_id 0
		.amdhsa_next_free_vgpr 51
		.amdhsa_next_free_sgpr 34
		.amdhsa_named_barrier_count 0
		.amdhsa_reserve_vcc 1
		.amdhsa_float_round_mode_32 0
		.amdhsa_float_round_mode_16_64 0
		.amdhsa_float_denorm_mode_32 3
		.amdhsa_float_denorm_mode_16_64 3
		.amdhsa_fp16_overflow 0
		.amdhsa_memory_ordered 1
		.amdhsa_forward_progress 1
		.amdhsa_inst_pref_size 1
		.amdhsa_round_robin_scheduling 0
		.amdhsa_exception_fp_ieee_invalid_op 0
		.amdhsa_exception_fp_denorm_src 0
		.amdhsa_exception_fp_ieee_div_zero 0
		.amdhsa_exception_fp_ieee_overflow 0
		.amdhsa_exception_fp_ieee_underflow 0
		.amdhsa_exception_fp_ieee_inexact 0
		.amdhsa_exception_int_div_zero 0
	.end_amdhsa_kernel
	.section	.text._Z39paged_attention_ll4mi_QKV_mfma16_kernelIDF16_hLN4vllm18Fp8KVCacheDataTypeE1EDF16_Li32ELi64ELi256ELb1ELi4EEvPKT_PKT0_S7_ifPKiS9_S9_iPKfiiiPfSC_PS2_PT2_iSB_SB_,"axG",@progbits,_Z39paged_attention_ll4mi_QKV_mfma16_kernelIDF16_hLN4vllm18Fp8KVCacheDataTypeE1EDF16_Li32ELi64ELi256ELb1ELi4EEvPKT_PKT0_S7_ifPKiS9_S9_iPKfiiiPfSC_PS2_PT2_iSB_SB_,comdat
.Lfunc_end909:
	.size	_Z39paged_attention_ll4mi_QKV_mfma16_kernelIDF16_hLN4vllm18Fp8KVCacheDataTypeE1EDF16_Li32ELi64ELi256ELb1ELi4EEvPKT_PKT0_S7_ifPKiS9_S9_iPKfiiiPfSC_PS2_PT2_iSB_SB_, .Lfunc_end909-_Z39paged_attention_ll4mi_QKV_mfma16_kernelIDF16_hLN4vllm18Fp8KVCacheDataTypeE1EDF16_Li32ELi64ELi256ELb1ELi4EEvPKT_PKT0_S7_ifPKiS9_S9_iPKfiiiPfSC_PS2_PT2_iSB_SB_
                                        ; -- End function
	.set _Z39paged_attention_ll4mi_QKV_mfma16_kernelIDF16_hLN4vllm18Fp8KVCacheDataTypeE1EDF16_Li32ELi64ELi256ELb1ELi4EEvPKT_PKT0_S7_ifPKiS9_S9_iPKfiiiPfSC_PS2_PT2_iSB_SB_.num_vgpr, max(3, .L__assert_fail.num_vgpr)
	.set _Z39paged_attention_ll4mi_QKV_mfma16_kernelIDF16_hLN4vllm18Fp8KVCacheDataTypeE1EDF16_Li32ELi64ELi256ELb1ELi4EEvPKT_PKT0_S7_ifPKiS9_S9_iPKfiiiPfSC_PS2_PT2_iSB_SB_.num_agpr, max(0, .L__assert_fail.num_agpr)
	.set _Z39paged_attention_ll4mi_QKV_mfma16_kernelIDF16_hLN4vllm18Fp8KVCacheDataTypeE1EDF16_Li32ELi64ELi256ELb1ELi4EEvPKT_PKT0_S7_ifPKiS9_S9_iPKfiiiPfSC_PS2_PT2_iSB_SB_.numbered_sgpr, max(33, .L__assert_fail.numbered_sgpr)
	.set _Z39paged_attention_ll4mi_QKV_mfma16_kernelIDF16_hLN4vllm18Fp8KVCacheDataTypeE1EDF16_Li32ELi64ELi256ELb1ELi4EEvPKT_PKT0_S7_ifPKiS9_S9_iPKfiiiPfSC_PS2_PT2_iSB_SB_.num_named_barrier, max(0, .L__assert_fail.num_named_barrier)
	.set _Z39paged_attention_ll4mi_QKV_mfma16_kernelIDF16_hLN4vllm18Fp8KVCacheDataTypeE1EDF16_Li32ELi64ELi256ELb1ELi4EEvPKT_PKT0_S7_ifPKiS9_S9_iPKfiiiPfSC_PS2_PT2_iSB_SB_.private_seg_size, 0+max(.L__assert_fail.private_seg_size)
	.set _Z39paged_attention_ll4mi_QKV_mfma16_kernelIDF16_hLN4vllm18Fp8KVCacheDataTypeE1EDF16_Li32ELi64ELi256ELb1ELi4EEvPKT_PKT0_S7_ifPKiS9_S9_iPKfiiiPfSC_PS2_PT2_iSB_SB_.uses_vcc, or(1, .L__assert_fail.uses_vcc)
	.set _Z39paged_attention_ll4mi_QKV_mfma16_kernelIDF16_hLN4vllm18Fp8KVCacheDataTypeE1EDF16_Li32ELi64ELi256ELb1ELi4EEvPKT_PKT0_S7_ifPKiS9_S9_iPKfiiiPfSC_PS2_PT2_iSB_SB_.uses_flat_scratch, or(0, .L__assert_fail.uses_flat_scratch)
	.set _Z39paged_attention_ll4mi_QKV_mfma16_kernelIDF16_hLN4vllm18Fp8KVCacheDataTypeE1EDF16_Li32ELi64ELi256ELb1ELi4EEvPKT_PKT0_S7_ifPKiS9_S9_iPKfiiiPfSC_PS2_PT2_iSB_SB_.has_dyn_sized_stack, or(0, .L__assert_fail.has_dyn_sized_stack)
	.set _Z39paged_attention_ll4mi_QKV_mfma16_kernelIDF16_hLN4vllm18Fp8KVCacheDataTypeE1EDF16_Li32ELi64ELi256ELb1ELi4EEvPKT_PKT0_S7_ifPKiS9_S9_iPKfiiiPfSC_PS2_PT2_iSB_SB_.has_recursion, or(0, .L__assert_fail.has_recursion)
	.set _Z39paged_attention_ll4mi_QKV_mfma16_kernelIDF16_hLN4vllm18Fp8KVCacheDataTypeE1EDF16_Li32ELi64ELi256ELb1ELi4EEvPKT_PKT0_S7_ifPKiS9_S9_iPKfiiiPfSC_PS2_PT2_iSB_SB_.has_indirect_call, or(0, .L__assert_fail.has_indirect_call)
	.section	.AMDGPU.csdata,"",@progbits
; Kernel info:
; codeLenInByte = 68
; TotalNumSgprs: 36
; NumVgprs: 51
; ScratchSize: 64
; MemoryBound: 0
; FloatMode: 240
; IeeeMode: 1
; LDSByteSize: 0 bytes/workgroup (compile time only)
; SGPRBlocks: 0
; VGPRBlocks: 3
; NumSGPRsForWavesPerEU: 36
; NumVGPRsForWavesPerEU: 51
; NamedBarCnt: 0
; Occupancy: 16
; WaveLimiterHint : 1
; COMPUTE_PGM_RSRC2:SCRATCH_EN: 1
; COMPUTE_PGM_RSRC2:USER_SGPR: 2
; COMPUTE_PGM_RSRC2:TRAP_HANDLER: 0
; COMPUTE_PGM_RSRC2:TGID_X_EN: 1
; COMPUTE_PGM_RSRC2:TGID_Y_EN: 0
; COMPUTE_PGM_RSRC2:TGID_Z_EN: 0
; COMPUTE_PGM_RSRC2:TIDIG_COMP_CNT: 0
	.section	.text._Z38paged_attention_ll4mi_QKV_mfma4_kernelIDF16_hLN4vllm18Fp8KVCacheDataTypeE1EDF16_Li32ELi64ELi256ELb0ELi1EEvPKT_PKT0_S7_ifPKiS9_S9_iPKfiiiPfSC_PS2_PT2_iSB_SB_,"axG",@progbits,_Z38paged_attention_ll4mi_QKV_mfma4_kernelIDF16_hLN4vllm18Fp8KVCacheDataTypeE1EDF16_Li32ELi64ELi256ELb0ELi1EEvPKT_PKT0_S7_ifPKiS9_S9_iPKfiiiPfSC_PS2_PT2_iSB_SB_,comdat
	.protected	_Z38paged_attention_ll4mi_QKV_mfma4_kernelIDF16_hLN4vllm18Fp8KVCacheDataTypeE1EDF16_Li32ELi64ELi256ELb0ELi1EEvPKT_PKT0_S7_ifPKiS9_S9_iPKfiiiPfSC_PS2_PT2_iSB_SB_ ; -- Begin function _Z38paged_attention_ll4mi_QKV_mfma4_kernelIDF16_hLN4vllm18Fp8KVCacheDataTypeE1EDF16_Li32ELi64ELi256ELb0ELi1EEvPKT_PKT0_S7_ifPKiS9_S9_iPKfiiiPfSC_PS2_PT2_iSB_SB_
	.globl	_Z38paged_attention_ll4mi_QKV_mfma4_kernelIDF16_hLN4vllm18Fp8KVCacheDataTypeE1EDF16_Li32ELi64ELi256ELb0ELi1EEvPKT_PKT0_S7_ifPKiS9_S9_iPKfiiiPfSC_PS2_PT2_iSB_SB_
	.p2align	8
	.type	_Z38paged_attention_ll4mi_QKV_mfma4_kernelIDF16_hLN4vllm18Fp8KVCacheDataTypeE1EDF16_Li32ELi64ELi256ELb0ELi1EEvPKT_PKT0_S7_ifPKiS9_S9_iPKfiiiPfSC_PS2_PT2_iSB_SB_,@function
_Z38paged_attention_ll4mi_QKV_mfma4_kernelIDF16_hLN4vllm18Fp8KVCacheDataTypeE1EDF16_Li32ELi64ELi256ELb0ELi1EEvPKT_PKT0_S7_ifPKiS9_S9_iPKfiiiPfSC_PS2_PT2_iSB_SB_: ; @_Z38paged_attention_ll4mi_QKV_mfma4_kernelIDF16_hLN4vllm18Fp8KVCacheDataTypeE1EDF16_Li32ELi64ELi256ELb0ELi1EEvPKT_PKT0_S7_ifPKiS9_S9_iPKfiiiPfSC_PS2_PT2_iSB_SB_
; %bb.0:
	s_get_pc_i64 s[2:3]
	s_add_nc_u64 s[2:3], s[2:3], __PRETTY_FUNCTION__._Z38paged_attention_ll4mi_QKV_mfma4_kernelIDF16_hLN4vllm18Fp8KVCacheDataTypeE1EDF16_Li32ELi64ELi256ELb0ELi1EEvPKT_PKT0_S7_ifPKiS9_S9_iPKfiiiPfSC_PS2_PT2_iSB_SB_@rel64+4
	s_delay_alu instid0(SALU_CYCLE_1)
	v_dual_mov_b32 v0, 0xbce :: v_dual_mov_b32 v1, s2
	v_mov_b32_e32 v2, s3
	s_add_nc_u64 s[8:9], s[0:1], 0x90
	s_get_pc_i64 s[0:1]
	s_add_nc_u64 s[0:1], s[0:1], __assert_fail@rel64+4
	s_mov_b32 s32, 0
	s_swap_pc_i64 s[30:31], s[0:1]
	.section	.rodata,"a",@progbits
	.p2align	6, 0x0
	.amdhsa_kernel _Z38paged_attention_ll4mi_QKV_mfma4_kernelIDF16_hLN4vllm18Fp8KVCacheDataTypeE1EDF16_Li32ELi64ELi256ELb0ELi1EEvPKT_PKT0_S7_ifPKiS9_S9_iPKfiiiPfSC_PS2_PT2_iSB_SB_
		.amdhsa_group_segment_fixed_size 0
		.amdhsa_private_segment_fixed_size 64
		.amdhsa_kernarg_size 400
		.amdhsa_user_sgpr_count 2
		.amdhsa_user_sgpr_dispatch_ptr 0
		.amdhsa_user_sgpr_queue_ptr 0
		.amdhsa_user_sgpr_kernarg_segment_ptr 1
		.amdhsa_user_sgpr_dispatch_id 0
		.amdhsa_user_sgpr_kernarg_preload_length 0
		.amdhsa_user_sgpr_kernarg_preload_offset 0
		.amdhsa_user_sgpr_private_segment_size 0
		.amdhsa_wavefront_size32 1
		.amdhsa_uses_dynamic_stack 0
		.amdhsa_enable_private_segment 1
		.amdhsa_system_sgpr_workgroup_id_x 1
		.amdhsa_system_sgpr_workgroup_id_y 0
		.amdhsa_system_sgpr_workgroup_id_z 0
		.amdhsa_system_sgpr_workgroup_info 0
		.amdhsa_system_vgpr_workitem_id 0
		.amdhsa_next_free_vgpr 51
		.amdhsa_next_free_sgpr 34
		.amdhsa_named_barrier_count 0
		.amdhsa_reserve_vcc 1
		.amdhsa_float_round_mode_32 0
		.amdhsa_float_round_mode_16_64 0
		.amdhsa_float_denorm_mode_32 3
		.amdhsa_float_denorm_mode_16_64 3
		.amdhsa_fp16_overflow 0
		.amdhsa_memory_ordered 1
		.amdhsa_forward_progress 1
		.amdhsa_inst_pref_size 1
		.amdhsa_round_robin_scheduling 0
		.amdhsa_exception_fp_ieee_invalid_op 0
		.amdhsa_exception_fp_denorm_src 0
		.amdhsa_exception_fp_ieee_div_zero 0
		.amdhsa_exception_fp_ieee_overflow 0
		.amdhsa_exception_fp_ieee_underflow 0
		.amdhsa_exception_fp_ieee_inexact 0
		.amdhsa_exception_int_div_zero 0
	.end_amdhsa_kernel
	.section	.text._Z38paged_attention_ll4mi_QKV_mfma4_kernelIDF16_hLN4vllm18Fp8KVCacheDataTypeE1EDF16_Li32ELi64ELi256ELb0ELi1EEvPKT_PKT0_S7_ifPKiS9_S9_iPKfiiiPfSC_PS2_PT2_iSB_SB_,"axG",@progbits,_Z38paged_attention_ll4mi_QKV_mfma4_kernelIDF16_hLN4vllm18Fp8KVCacheDataTypeE1EDF16_Li32ELi64ELi256ELb0ELi1EEvPKT_PKT0_S7_ifPKiS9_S9_iPKfiiiPfSC_PS2_PT2_iSB_SB_,comdat
.Lfunc_end910:
	.size	_Z38paged_attention_ll4mi_QKV_mfma4_kernelIDF16_hLN4vllm18Fp8KVCacheDataTypeE1EDF16_Li32ELi64ELi256ELb0ELi1EEvPKT_PKT0_S7_ifPKiS9_S9_iPKfiiiPfSC_PS2_PT2_iSB_SB_, .Lfunc_end910-_Z38paged_attention_ll4mi_QKV_mfma4_kernelIDF16_hLN4vllm18Fp8KVCacheDataTypeE1EDF16_Li32ELi64ELi256ELb0ELi1EEvPKT_PKT0_S7_ifPKiS9_S9_iPKfiiiPfSC_PS2_PT2_iSB_SB_
                                        ; -- End function
	.set _Z38paged_attention_ll4mi_QKV_mfma4_kernelIDF16_hLN4vllm18Fp8KVCacheDataTypeE1EDF16_Li32ELi64ELi256ELb0ELi1EEvPKT_PKT0_S7_ifPKiS9_S9_iPKfiiiPfSC_PS2_PT2_iSB_SB_.num_vgpr, max(3, .L__assert_fail.num_vgpr)
	.set _Z38paged_attention_ll4mi_QKV_mfma4_kernelIDF16_hLN4vllm18Fp8KVCacheDataTypeE1EDF16_Li32ELi64ELi256ELb0ELi1EEvPKT_PKT0_S7_ifPKiS9_S9_iPKfiiiPfSC_PS2_PT2_iSB_SB_.num_agpr, max(0, .L__assert_fail.num_agpr)
	.set _Z38paged_attention_ll4mi_QKV_mfma4_kernelIDF16_hLN4vllm18Fp8KVCacheDataTypeE1EDF16_Li32ELi64ELi256ELb0ELi1EEvPKT_PKT0_S7_ifPKiS9_S9_iPKfiiiPfSC_PS2_PT2_iSB_SB_.numbered_sgpr, max(33, .L__assert_fail.numbered_sgpr)
	.set _Z38paged_attention_ll4mi_QKV_mfma4_kernelIDF16_hLN4vllm18Fp8KVCacheDataTypeE1EDF16_Li32ELi64ELi256ELb0ELi1EEvPKT_PKT0_S7_ifPKiS9_S9_iPKfiiiPfSC_PS2_PT2_iSB_SB_.num_named_barrier, max(0, .L__assert_fail.num_named_barrier)
	.set _Z38paged_attention_ll4mi_QKV_mfma4_kernelIDF16_hLN4vllm18Fp8KVCacheDataTypeE1EDF16_Li32ELi64ELi256ELb0ELi1EEvPKT_PKT0_S7_ifPKiS9_S9_iPKfiiiPfSC_PS2_PT2_iSB_SB_.private_seg_size, 0+max(.L__assert_fail.private_seg_size)
	.set _Z38paged_attention_ll4mi_QKV_mfma4_kernelIDF16_hLN4vllm18Fp8KVCacheDataTypeE1EDF16_Li32ELi64ELi256ELb0ELi1EEvPKT_PKT0_S7_ifPKiS9_S9_iPKfiiiPfSC_PS2_PT2_iSB_SB_.uses_vcc, or(1, .L__assert_fail.uses_vcc)
	.set _Z38paged_attention_ll4mi_QKV_mfma4_kernelIDF16_hLN4vllm18Fp8KVCacheDataTypeE1EDF16_Li32ELi64ELi256ELb0ELi1EEvPKT_PKT0_S7_ifPKiS9_S9_iPKfiiiPfSC_PS2_PT2_iSB_SB_.uses_flat_scratch, or(0, .L__assert_fail.uses_flat_scratch)
	.set _Z38paged_attention_ll4mi_QKV_mfma4_kernelIDF16_hLN4vllm18Fp8KVCacheDataTypeE1EDF16_Li32ELi64ELi256ELb0ELi1EEvPKT_PKT0_S7_ifPKiS9_S9_iPKfiiiPfSC_PS2_PT2_iSB_SB_.has_dyn_sized_stack, or(0, .L__assert_fail.has_dyn_sized_stack)
	.set _Z38paged_attention_ll4mi_QKV_mfma4_kernelIDF16_hLN4vllm18Fp8KVCacheDataTypeE1EDF16_Li32ELi64ELi256ELb0ELi1EEvPKT_PKT0_S7_ifPKiS9_S9_iPKfiiiPfSC_PS2_PT2_iSB_SB_.has_recursion, or(0, .L__assert_fail.has_recursion)
	.set _Z38paged_attention_ll4mi_QKV_mfma4_kernelIDF16_hLN4vllm18Fp8KVCacheDataTypeE1EDF16_Li32ELi64ELi256ELb0ELi1EEvPKT_PKT0_S7_ifPKiS9_S9_iPKfiiiPfSC_PS2_PT2_iSB_SB_.has_indirect_call, or(0, .L__assert_fail.has_indirect_call)
	.section	.AMDGPU.csdata,"",@progbits
; Kernel info:
; codeLenInByte = 68
; TotalNumSgprs: 36
; NumVgprs: 51
; ScratchSize: 64
; MemoryBound: 0
; FloatMode: 240
; IeeeMode: 1
; LDSByteSize: 0 bytes/workgroup (compile time only)
; SGPRBlocks: 0
; VGPRBlocks: 3
; NumSGPRsForWavesPerEU: 36
; NumVGPRsForWavesPerEU: 51
; NamedBarCnt: 0
; Occupancy: 16
; WaveLimiterHint : 1
; COMPUTE_PGM_RSRC2:SCRATCH_EN: 1
; COMPUTE_PGM_RSRC2:USER_SGPR: 2
; COMPUTE_PGM_RSRC2:TRAP_HANDLER: 0
; COMPUTE_PGM_RSRC2:TGID_X_EN: 1
; COMPUTE_PGM_RSRC2:TGID_Y_EN: 0
; COMPUTE_PGM_RSRC2:TGID_Z_EN: 0
; COMPUTE_PGM_RSRC2:TIDIG_COMP_CNT: 0
	.section	.text._Z38paged_attention_ll4mi_QKV_mfma4_kernelIDF16_hLN4vllm18Fp8KVCacheDataTypeE1EDF16_Li32ELi64ELi256ELb0ELi2EEvPKT_PKT0_S7_ifPKiS9_S9_iPKfiiiPfSC_PS2_PT2_iSB_SB_,"axG",@progbits,_Z38paged_attention_ll4mi_QKV_mfma4_kernelIDF16_hLN4vllm18Fp8KVCacheDataTypeE1EDF16_Li32ELi64ELi256ELb0ELi2EEvPKT_PKT0_S7_ifPKiS9_S9_iPKfiiiPfSC_PS2_PT2_iSB_SB_,comdat
	.protected	_Z38paged_attention_ll4mi_QKV_mfma4_kernelIDF16_hLN4vllm18Fp8KVCacheDataTypeE1EDF16_Li32ELi64ELi256ELb0ELi2EEvPKT_PKT0_S7_ifPKiS9_S9_iPKfiiiPfSC_PS2_PT2_iSB_SB_ ; -- Begin function _Z38paged_attention_ll4mi_QKV_mfma4_kernelIDF16_hLN4vllm18Fp8KVCacheDataTypeE1EDF16_Li32ELi64ELi256ELb0ELi2EEvPKT_PKT0_S7_ifPKiS9_S9_iPKfiiiPfSC_PS2_PT2_iSB_SB_
	.globl	_Z38paged_attention_ll4mi_QKV_mfma4_kernelIDF16_hLN4vllm18Fp8KVCacheDataTypeE1EDF16_Li32ELi64ELi256ELb0ELi2EEvPKT_PKT0_S7_ifPKiS9_S9_iPKfiiiPfSC_PS2_PT2_iSB_SB_
	.p2align	8
	.type	_Z38paged_attention_ll4mi_QKV_mfma4_kernelIDF16_hLN4vllm18Fp8KVCacheDataTypeE1EDF16_Li32ELi64ELi256ELb0ELi2EEvPKT_PKT0_S7_ifPKiS9_S9_iPKfiiiPfSC_PS2_PT2_iSB_SB_,@function
_Z38paged_attention_ll4mi_QKV_mfma4_kernelIDF16_hLN4vllm18Fp8KVCacheDataTypeE1EDF16_Li32ELi64ELi256ELb0ELi2EEvPKT_PKT0_S7_ifPKiS9_S9_iPKfiiiPfSC_PS2_PT2_iSB_SB_: ; @_Z38paged_attention_ll4mi_QKV_mfma4_kernelIDF16_hLN4vllm18Fp8KVCacheDataTypeE1EDF16_Li32ELi64ELi256ELb0ELi2EEvPKT_PKT0_S7_ifPKiS9_S9_iPKfiiiPfSC_PS2_PT2_iSB_SB_
; %bb.0:
	s_get_pc_i64 s[2:3]
	s_add_nc_u64 s[2:3], s[2:3], __PRETTY_FUNCTION__._Z38paged_attention_ll4mi_QKV_mfma4_kernelIDF16_hLN4vllm18Fp8KVCacheDataTypeE1EDF16_Li32ELi64ELi256ELb0ELi2EEvPKT_PKT0_S7_ifPKiS9_S9_iPKfiiiPfSC_PS2_PT2_iSB_SB_@rel64+4
	s_delay_alu instid0(SALU_CYCLE_1)
	v_dual_mov_b32 v0, 0xbce :: v_dual_mov_b32 v1, s2
	v_mov_b32_e32 v2, s3
	s_add_nc_u64 s[8:9], s[0:1], 0x90
	s_get_pc_i64 s[0:1]
	s_add_nc_u64 s[0:1], s[0:1], __assert_fail@rel64+4
	s_mov_b32 s32, 0
	s_swap_pc_i64 s[30:31], s[0:1]
	.section	.rodata,"a",@progbits
	.p2align	6, 0x0
	.amdhsa_kernel _Z38paged_attention_ll4mi_QKV_mfma4_kernelIDF16_hLN4vllm18Fp8KVCacheDataTypeE1EDF16_Li32ELi64ELi256ELb0ELi2EEvPKT_PKT0_S7_ifPKiS9_S9_iPKfiiiPfSC_PS2_PT2_iSB_SB_
		.amdhsa_group_segment_fixed_size 0
		.amdhsa_private_segment_fixed_size 64
		.amdhsa_kernarg_size 400
		.amdhsa_user_sgpr_count 2
		.amdhsa_user_sgpr_dispatch_ptr 0
		.amdhsa_user_sgpr_queue_ptr 0
		.amdhsa_user_sgpr_kernarg_segment_ptr 1
		.amdhsa_user_sgpr_dispatch_id 0
		.amdhsa_user_sgpr_kernarg_preload_length 0
		.amdhsa_user_sgpr_kernarg_preload_offset 0
		.amdhsa_user_sgpr_private_segment_size 0
		.amdhsa_wavefront_size32 1
		.amdhsa_uses_dynamic_stack 0
		.amdhsa_enable_private_segment 1
		.amdhsa_system_sgpr_workgroup_id_x 1
		.amdhsa_system_sgpr_workgroup_id_y 0
		.amdhsa_system_sgpr_workgroup_id_z 0
		.amdhsa_system_sgpr_workgroup_info 0
		.amdhsa_system_vgpr_workitem_id 0
		.amdhsa_next_free_vgpr 51
		.amdhsa_next_free_sgpr 34
		.amdhsa_named_barrier_count 0
		.amdhsa_reserve_vcc 1
		.amdhsa_float_round_mode_32 0
		.amdhsa_float_round_mode_16_64 0
		.amdhsa_float_denorm_mode_32 3
		.amdhsa_float_denorm_mode_16_64 3
		.amdhsa_fp16_overflow 0
		.amdhsa_memory_ordered 1
		.amdhsa_forward_progress 1
		.amdhsa_inst_pref_size 1
		.amdhsa_round_robin_scheduling 0
		.amdhsa_exception_fp_ieee_invalid_op 0
		.amdhsa_exception_fp_denorm_src 0
		.amdhsa_exception_fp_ieee_div_zero 0
		.amdhsa_exception_fp_ieee_overflow 0
		.amdhsa_exception_fp_ieee_underflow 0
		.amdhsa_exception_fp_ieee_inexact 0
		.amdhsa_exception_int_div_zero 0
	.end_amdhsa_kernel
	.section	.text._Z38paged_attention_ll4mi_QKV_mfma4_kernelIDF16_hLN4vllm18Fp8KVCacheDataTypeE1EDF16_Li32ELi64ELi256ELb0ELi2EEvPKT_PKT0_S7_ifPKiS9_S9_iPKfiiiPfSC_PS2_PT2_iSB_SB_,"axG",@progbits,_Z38paged_attention_ll4mi_QKV_mfma4_kernelIDF16_hLN4vllm18Fp8KVCacheDataTypeE1EDF16_Li32ELi64ELi256ELb0ELi2EEvPKT_PKT0_S7_ifPKiS9_S9_iPKfiiiPfSC_PS2_PT2_iSB_SB_,comdat
.Lfunc_end911:
	.size	_Z38paged_attention_ll4mi_QKV_mfma4_kernelIDF16_hLN4vllm18Fp8KVCacheDataTypeE1EDF16_Li32ELi64ELi256ELb0ELi2EEvPKT_PKT0_S7_ifPKiS9_S9_iPKfiiiPfSC_PS2_PT2_iSB_SB_, .Lfunc_end911-_Z38paged_attention_ll4mi_QKV_mfma4_kernelIDF16_hLN4vllm18Fp8KVCacheDataTypeE1EDF16_Li32ELi64ELi256ELb0ELi2EEvPKT_PKT0_S7_ifPKiS9_S9_iPKfiiiPfSC_PS2_PT2_iSB_SB_
                                        ; -- End function
	.set _Z38paged_attention_ll4mi_QKV_mfma4_kernelIDF16_hLN4vllm18Fp8KVCacheDataTypeE1EDF16_Li32ELi64ELi256ELb0ELi2EEvPKT_PKT0_S7_ifPKiS9_S9_iPKfiiiPfSC_PS2_PT2_iSB_SB_.num_vgpr, max(3, .L__assert_fail.num_vgpr)
	.set _Z38paged_attention_ll4mi_QKV_mfma4_kernelIDF16_hLN4vllm18Fp8KVCacheDataTypeE1EDF16_Li32ELi64ELi256ELb0ELi2EEvPKT_PKT0_S7_ifPKiS9_S9_iPKfiiiPfSC_PS2_PT2_iSB_SB_.num_agpr, max(0, .L__assert_fail.num_agpr)
	.set _Z38paged_attention_ll4mi_QKV_mfma4_kernelIDF16_hLN4vllm18Fp8KVCacheDataTypeE1EDF16_Li32ELi64ELi256ELb0ELi2EEvPKT_PKT0_S7_ifPKiS9_S9_iPKfiiiPfSC_PS2_PT2_iSB_SB_.numbered_sgpr, max(33, .L__assert_fail.numbered_sgpr)
	.set _Z38paged_attention_ll4mi_QKV_mfma4_kernelIDF16_hLN4vllm18Fp8KVCacheDataTypeE1EDF16_Li32ELi64ELi256ELb0ELi2EEvPKT_PKT0_S7_ifPKiS9_S9_iPKfiiiPfSC_PS2_PT2_iSB_SB_.num_named_barrier, max(0, .L__assert_fail.num_named_barrier)
	.set _Z38paged_attention_ll4mi_QKV_mfma4_kernelIDF16_hLN4vllm18Fp8KVCacheDataTypeE1EDF16_Li32ELi64ELi256ELb0ELi2EEvPKT_PKT0_S7_ifPKiS9_S9_iPKfiiiPfSC_PS2_PT2_iSB_SB_.private_seg_size, 0+max(.L__assert_fail.private_seg_size)
	.set _Z38paged_attention_ll4mi_QKV_mfma4_kernelIDF16_hLN4vllm18Fp8KVCacheDataTypeE1EDF16_Li32ELi64ELi256ELb0ELi2EEvPKT_PKT0_S7_ifPKiS9_S9_iPKfiiiPfSC_PS2_PT2_iSB_SB_.uses_vcc, or(1, .L__assert_fail.uses_vcc)
	.set _Z38paged_attention_ll4mi_QKV_mfma4_kernelIDF16_hLN4vllm18Fp8KVCacheDataTypeE1EDF16_Li32ELi64ELi256ELb0ELi2EEvPKT_PKT0_S7_ifPKiS9_S9_iPKfiiiPfSC_PS2_PT2_iSB_SB_.uses_flat_scratch, or(0, .L__assert_fail.uses_flat_scratch)
	.set _Z38paged_attention_ll4mi_QKV_mfma4_kernelIDF16_hLN4vllm18Fp8KVCacheDataTypeE1EDF16_Li32ELi64ELi256ELb0ELi2EEvPKT_PKT0_S7_ifPKiS9_S9_iPKfiiiPfSC_PS2_PT2_iSB_SB_.has_dyn_sized_stack, or(0, .L__assert_fail.has_dyn_sized_stack)
	.set _Z38paged_attention_ll4mi_QKV_mfma4_kernelIDF16_hLN4vllm18Fp8KVCacheDataTypeE1EDF16_Li32ELi64ELi256ELb0ELi2EEvPKT_PKT0_S7_ifPKiS9_S9_iPKfiiiPfSC_PS2_PT2_iSB_SB_.has_recursion, or(0, .L__assert_fail.has_recursion)
	.set _Z38paged_attention_ll4mi_QKV_mfma4_kernelIDF16_hLN4vllm18Fp8KVCacheDataTypeE1EDF16_Li32ELi64ELi256ELb0ELi2EEvPKT_PKT0_S7_ifPKiS9_S9_iPKfiiiPfSC_PS2_PT2_iSB_SB_.has_indirect_call, or(0, .L__assert_fail.has_indirect_call)
	.section	.AMDGPU.csdata,"",@progbits
; Kernel info:
; codeLenInByte = 68
; TotalNumSgprs: 36
; NumVgprs: 51
; ScratchSize: 64
; MemoryBound: 0
; FloatMode: 240
; IeeeMode: 1
; LDSByteSize: 0 bytes/workgroup (compile time only)
; SGPRBlocks: 0
; VGPRBlocks: 3
; NumSGPRsForWavesPerEU: 36
; NumVGPRsForWavesPerEU: 51
; NamedBarCnt: 0
; Occupancy: 16
; WaveLimiterHint : 1
; COMPUTE_PGM_RSRC2:SCRATCH_EN: 1
; COMPUTE_PGM_RSRC2:USER_SGPR: 2
; COMPUTE_PGM_RSRC2:TRAP_HANDLER: 0
; COMPUTE_PGM_RSRC2:TGID_X_EN: 1
; COMPUTE_PGM_RSRC2:TGID_Y_EN: 0
; COMPUTE_PGM_RSRC2:TGID_Z_EN: 0
; COMPUTE_PGM_RSRC2:TIDIG_COMP_CNT: 0
	.section	.text._Z38paged_attention_ll4mi_QKV_mfma4_kernelIDF16_hLN4vllm18Fp8KVCacheDataTypeE1EDF16_Li32ELi64ELi256ELb0ELi3EEvPKT_PKT0_S7_ifPKiS9_S9_iPKfiiiPfSC_PS2_PT2_iSB_SB_,"axG",@progbits,_Z38paged_attention_ll4mi_QKV_mfma4_kernelIDF16_hLN4vllm18Fp8KVCacheDataTypeE1EDF16_Li32ELi64ELi256ELb0ELi3EEvPKT_PKT0_S7_ifPKiS9_S9_iPKfiiiPfSC_PS2_PT2_iSB_SB_,comdat
	.protected	_Z38paged_attention_ll4mi_QKV_mfma4_kernelIDF16_hLN4vllm18Fp8KVCacheDataTypeE1EDF16_Li32ELi64ELi256ELb0ELi3EEvPKT_PKT0_S7_ifPKiS9_S9_iPKfiiiPfSC_PS2_PT2_iSB_SB_ ; -- Begin function _Z38paged_attention_ll4mi_QKV_mfma4_kernelIDF16_hLN4vllm18Fp8KVCacheDataTypeE1EDF16_Li32ELi64ELi256ELb0ELi3EEvPKT_PKT0_S7_ifPKiS9_S9_iPKfiiiPfSC_PS2_PT2_iSB_SB_
	.globl	_Z38paged_attention_ll4mi_QKV_mfma4_kernelIDF16_hLN4vllm18Fp8KVCacheDataTypeE1EDF16_Li32ELi64ELi256ELb0ELi3EEvPKT_PKT0_S7_ifPKiS9_S9_iPKfiiiPfSC_PS2_PT2_iSB_SB_
	.p2align	8
	.type	_Z38paged_attention_ll4mi_QKV_mfma4_kernelIDF16_hLN4vllm18Fp8KVCacheDataTypeE1EDF16_Li32ELi64ELi256ELb0ELi3EEvPKT_PKT0_S7_ifPKiS9_S9_iPKfiiiPfSC_PS2_PT2_iSB_SB_,@function
_Z38paged_attention_ll4mi_QKV_mfma4_kernelIDF16_hLN4vllm18Fp8KVCacheDataTypeE1EDF16_Li32ELi64ELi256ELb0ELi3EEvPKT_PKT0_S7_ifPKiS9_S9_iPKfiiiPfSC_PS2_PT2_iSB_SB_: ; @_Z38paged_attention_ll4mi_QKV_mfma4_kernelIDF16_hLN4vllm18Fp8KVCacheDataTypeE1EDF16_Li32ELi64ELi256ELb0ELi3EEvPKT_PKT0_S7_ifPKiS9_S9_iPKfiiiPfSC_PS2_PT2_iSB_SB_
; %bb.0:
	s_get_pc_i64 s[2:3]
	s_add_nc_u64 s[2:3], s[2:3], __PRETTY_FUNCTION__._Z38paged_attention_ll4mi_QKV_mfma4_kernelIDF16_hLN4vllm18Fp8KVCacheDataTypeE1EDF16_Li32ELi64ELi256ELb0ELi3EEvPKT_PKT0_S7_ifPKiS9_S9_iPKfiiiPfSC_PS2_PT2_iSB_SB_@rel64+4
	s_delay_alu instid0(SALU_CYCLE_1)
	v_dual_mov_b32 v0, 0xbce :: v_dual_mov_b32 v1, s2
	v_mov_b32_e32 v2, s3
	s_add_nc_u64 s[8:9], s[0:1], 0x90
	s_get_pc_i64 s[0:1]
	s_add_nc_u64 s[0:1], s[0:1], __assert_fail@rel64+4
	s_mov_b32 s32, 0
	s_swap_pc_i64 s[30:31], s[0:1]
	.section	.rodata,"a",@progbits
	.p2align	6, 0x0
	.amdhsa_kernel _Z38paged_attention_ll4mi_QKV_mfma4_kernelIDF16_hLN4vllm18Fp8KVCacheDataTypeE1EDF16_Li32ELi64ELi256ELb0ELi3EEvPKT_PKT0_S7_ifPKiS9_S9_iPKfiiiPfSC_PS2_PT2_iSB_SB_
		.amdhsa_group_segment_fixed_size 0
		.amdhsa_private_segment_fixed_size 64
		.amdhsa_kernarg_size 400
		.amdhsa_user_sgpr_count 2
		.amdhsa_user_sgpr_dispatch_ptr 0
		.amdhsa_user_sgpr_queue_ptr 0
		.amdhsa_user_sgpr_kernarg_segment_ptr 1
		.amdhsa_user_sgpr_dispatch_id 0
		.amdhsa_user_sgpr_kernarg_preload_length 0
		.amdhsa_user_sgpr_kernarg_preload_offset 0
		.amdhsa_user_sgpr_private_segment_size 0
		.amdhsa_wavefront_size32 1
		.amdhsa_uses_dynamic_stack 0
		.amdhsa_enable_private_segment 1
		.amdhsa_system_sgpr_workgroup_id_x 1
		.amdhsa_system_sgpr_workgroup_id_y 0
		.amdhsa_system_sgpr_workgroup_id_z 0
		.amdhsa_system_sgpr_workgroup_info 0
		.amdhsa_system_vgpr_workitem_id 0
		.amdhsa_next_free_vgpr 51
		.amdhsa_next_free_sgpr 34
		.amdhsa_named_barrier_count 0
		.amdhsa_reserve_vcc 1
		.amdhsa_float_round_mode_32 0
		.amdhsa_float_round_mode_16_64 0
		.amdhsa_float_denorm_mode_32 3
		.amdhsa_float_denorm_mode_16_64 3
		.amdhsa_fp16_overflow 0
		.amdhsa_memory_ordered 1
		.amdhsa_forward_progress 1
		.amdhsa_inst_pref_size 1
		.amdhsa_round_robin_scheduling 0
		.amdhsa_exception_fp_ieee_invalid_op 0
		.amdhsa_exception_fp_denorm_src 0
		.amdhsa_exception_fp_ieee_div_zero 0
		.amdhsa_exception_fp_ieee_overflow 0
		.amdhsa_exception_fp_ieee_underflow 0
		.amdhsa_exception_fp_ieee_inexact 0
		.amdhsa_exception_int_div_zero 0
	.end_amdhsa_kernel
	.section	.text._Z38paged_attention_ll4mi_QKV_mfma4_kernelIDF16_hLN4vllm18Fp8KVCacheDataTypeE1EDF16_Li32ELi64ELi256ELb0ELi3EEvPKT_PKT0_S7_ifPKiS9_S9_iPKfiiiPfSC_PS2_PT2_iSB_SB_,"axG",@progbits,_Z38paged_attention_ll4mi_QKV_mfma4_kernelIDF16_hLN4vllm18Fp8KVCacheDataTypeE1EDF16_Li32ELi64ELi256ELb0ELi3EEvPKT_PKT0_S7_ifPKiS9_S9_iPKfiiiPfSC_PS2_PT2_iSB_SB_,comdat
.Lfunc_end912:
	.size	_Z38paged_attention_ll4mi_QKV_mfma4_kernelIDF16_hLN4vllm18Fp8KVCacheDataTypeE1EDF16_Li32ELi64ELi256ELb0ELi3EEvPKT_PKT0_S7_ifPKiS9_S9_iPKfiiiPfSC_PS2_PT2_iSB_SB_, .Lfunc_end912-_Z38paged_attention_ll4mi_QKV_mfma4_kernelIDF16_hLN4vllm18Fp8KVCacheDataTypeE1EDF16_Li32ELi64ELi256ELb0ELi3EEvPKT_PKT0_S7_ifPKiS9_S9_iPKfiiiPfSC_PS2_PT2_iSB_SB_
                                        ; -- End function
	.set _Z38paged_attention_ll4mi_QKV_mfma4_kernelIDF16_hLN4vllm18Fp8KVCacheDataTypeE1EDF16_Li32ELi64ELi256ELb0ELi3EEvPKT_PKT0_S7_ifPKiS9_S9_iPKfiiiPfSC_PS2_PT2_iSB_SB_.num_vgpr, max(3, .L__assert_fail.num_vgpr)
	.set _Z38paged_attention_ll4mi_QKV_mfma4_kernelIDF16_hLN4vllm18Fp8KVCacheDataTypeE1EDF16_Li32ELi64ELi256ELb0ELi3EEvPKT_PKT0_S7_ifPKiS9_S9_iPKfiiiPfSC_PS2_PT2_iSB_SB_.num_agpr, max(0, .L__assert_fail.num_agpr)
	.set _Z38paged_attention_ll4mi_QKV_mfma4_kernelIDF16_hLN4vllm18Fp8KVCacheDataTypeE1EDF16_Li32ELi64ELi256ELb0ELi3EEvPKT_PKT0_S7_ifPKiS9_S9_iPKfiiiPfSC_PS2_PT2_iSB_SB_.numbered_sgpr, max(33, .L__assert_fail.numbered_sgpr)
	.set _Z38paged_attention_ll4mi_QKV_mfma4_kernelIDF16_hLN4vllm18Fp8KVCacheDataTypeE1EDF16_Li32ELi64ELi256ELb0ELi3EEvPKT_PKT0_S7_ifPKiS9_S9_iPKfiiiPfSC_PS2_PT2_iSB_SB_.num_named_barrier, max(0, .L__assert_fail.num_named_barrier)
	.set _Z38paged_attention_ll4mi_QKV_mfma4_kernelIDF16_hLN4vllm18Fp8KVCacheDataTypeE1EDF16_Li32ELi64ELi256ELb0ELi3EEvPKT_PKT0_S7_ifPKiS9_S9_iPKfiiiPfSC_PS2_PT2_iSB_SB_.private_seg_size, 0+max(.L__assert_fail.private_seg_size)
	.set _Z38paged_attention_ll4mi_QKV_mfma4_kernelIDF16_hLN4vllm18Fp8KVCacheDataTypeE1EDF16_Li32ELi64ELi256ELb0ELi3EEvPKT_PKT0_S7_ifPKiS9_S9_iPKfiiiPfSC_PS2_PT2_iSB_SB_.uses_vcc, or(1, .L__assert_fail.uses_vcc)
	.set _Z38paged_attention_ll4mi_QKV_mfma4_kernelIDF16_hLN4vllm18Fp8KVCacheDataTypeE1EDF16_Li32ELi64ELi256ELb0ELi3EEvPKT_PKT0_S7_ifPKiS9_S9_iPKfiiiPfSC_PS2_PT2_iSB_SB_.uses_flat_scratch, or(0, .L__assert_fail.uses_flat_scratch)
	.set _Z38paged_attention_ll4mi_QKV_mfma4_kernelIDF16_hLN4vllm18Fp8KVCacheDataTypeE1EDF16_Li32ELi64ELi256ELb0ELi3EEvPKT_PKT0_S7_ifPKiS9_S9_iPKfiiiPfSC_PS2_PT2_iSB_SB_.has_dyn_sized_stack, or(0, .L__assert_fail.has_dyn_sized_stack)
	.set _Z38paged_attention_ll4mi_QKV_mfma4_kernelIDF16_hLN4vllm18Fp8KVCacheDataTypeE1EDF16_Li32ELi64ELi256ELb0ELi3EEvPKT_PKT0_S7_ifPKiS9_S9_iPKfiiiPfSC_PS2_PT2_iSB_SB_.has_recursion, or(0, .L__assert_fail.has_recursion)
	.set _Z38paged_attention_ll4mi_QKV_mfma4_kernelIDF16_hLN4vllm18Fp8KVCacheDataTypeE1EDF16_Li32ELi64ELi256ELb0ELi3EEvPKT_PKT0_S7_ifPKiS9_S9_iPKfiiiPfSC_PS2_PT2_iSB_SB_.has_indirect_call, or(0, .L__assert_fail.has_indirect_call)
	.section	.AMDGPU.csdata,"",@progbits
; Kernel info:
; codeLenInByte = 68
; TotalNumSgprs: 36
; NumVgprs: 51
; ScratchSize: 64
; MemoryBound: 0
; FloatMode: 240
; IeeeMode: 1
; LDSByteSize: 0 bytes/workgroup (compile time only)
; SGPRBlocks: 0
; VGPRBlocks: 3
; NumSGPRsForWavesPerEU: 36
; NumVGPRsForWavesPerEU: 51
; NamedBarCnt: 0
; Occupancy: 16
; WaveLimiterHint : 1
; COMPUTE_PGM_RSRC2:SCRATCH_EN: 1
; COMPUTE_PGM_RSRC2:USER_SGPR: 2
; COMPUTE_PGM_RSRC2:TRAP_HANDLER: 0
; COMPUTE_PGM_RSRC2:TGID_X_EN: 1
; COMPUTE_PGM_RSRC2:TGID_Y_EN: 0
; COMPUTE_PGM_RSRC2:TGID_Z_EN: 0
; COMPUTE_PGM_RSRC2:TIDIG_COMP_CNT: 0
	.section	.text._Z38paged_attention_ll4mi_QKV_mfma4_kernelIDF16_hLN4vllm18Fp8KVCacheDataTypeE1EDF16_Li32ELi64ELi256ELb0ELi4EEvPKT_PKT0_S7_ifPKiS9_S9_iPKfiiiPfSC_PS2_PT2_iSB_SB_,"axG",@progbits,_Z38paged_attention_ll4mi_QKV_mfma4_kernelIDF16_hLN4vllm18Fp8KVCacheDataTypeE1EDF16_Li32ELi64ELi256ELb0ELi4EEvPKT_PKT0_S7_ifPKiS9_S9_iPKfiiiPfSC_PS2_PT2_iSB_SB_,comdat
	.protected	_Z38paged_attention_ll4mi_QKV_mfma4_kernelIDF16_hLN4vllm18Fp8KVCacheDataTypeE1EDF16_Li32ELi64ELi256ELb0ELi4EEvPKT_PKT0_S7_ifPKiS9_S9_iPKfiiiPfSC_PS2_PT2_iSB_SB_ ; -- Begin function _Z38paged_attention_ll4mi_QKV_mfma4_kernelIDF16_hLN4vllm18Fp8KVCacheDataTypeE1EDF16_Li32ELi64ELi256ELb0ELi4EEvPKT_PKT0_S7_ifPKiS9_S9_iPKfiiiPfSC_PS2_PT2_iSB_SB_
	.globl	_Z38paged_attention_ll4mi_QKV_mfma4_kernelIDF16_hLN4vllm18Fp8KVCacheDataTypeE1EDF16_Li32ELi64ELi256ELb0ELi4EEvPKT_PKT0_S7_ifPKiS9_S9_iPKfiiiPfSC_PS2_PT2_iSB_SB_
	.p2align	8
	.type	_Z38paged_attention_ll4mi_QKV_mfma4_kernelIDF16_hLN4vllm18Fp8KVCacheDataTypeE1EDF16_Li32ELi64ELi256ELb0ELi4EEvPKT_PKT0_S7_ifPKiS9_S9_iPKfiiiPfSC_PS2_PT2_iSB_SB_,@function
_Z38paged_attention_ll4mi_QKV_mfma4_kernelIDF16_hLN4vllm18Fp8KVCacheDataTypeE1EDF16_Li32ELi64ELi256ELb0ELi4EEvPKT_PKT0_S7_ifPKiS9_S9_iPKfiiiPfSC_PS2_PT2_iSB_SB_: ; @_Z38paged_attention_ll4mi_QKV_mfma4_kernelIDF16_hLN4vllm18Fp8KVCacheDataTypeE1EDF16_Li32ELi64ELi256ELb0ELi4EEvPKT_PKT0_S7_ifPKiS9_S9_iPKfiiiPfSC_PS2_PT2_iSB_SB_
; %bb.0:
	s_get_pc_i64 s[2:3]
	s_add_nc_u64 s[2:3], s[2:3], __PRETTY_FUNCTION__._Z38paged_attention_ll4mi_QKV_mfma4_kernelIDF16_hLN4vllm18Fp8KVCacheDataTypeE1EDF16_Li32ELi64ELi256ELb0ELi4EEvPKT_PKT0_S7_ifPKiS9_S9_iPKfiiiPfSC_PS2_PT2_iSB_SB_@rel64+4
	s_delay_alu instid0(SALU_CYCLE_1)
	v_dual_mov_b32 v0, 0xbce :: v_dual_mov_b32 v1, s2
	v_mov_b32_e32 v2, s3
	s_add_nc_u64 s[8:9], s[0:1], 0x90
	s_get_pc_i64 s[0:1]
	s_add_nc_u64 s[0:1], s[0:1], __assert_fail@rel64+4
	s_mov_b32 s32, 0
	s_swap_pc_i64 s[30:31], s[0:1]
	.section	.rodata,"a",@progbits
	.p2align	6, 0x0
	.amdhsa_kernel _Z38paged_attention_ll4mi_QKV_mfma4_kernelIDF16_hLN4vllm18Fp8KVCacheDataTypeE1EDF16_Li32ELi64ELi256ELb0ELi4EEvPKT_PKT0_S7_ifPKiS9_S9_iPKfiiiPfSC_PS2_PT2_iSB_SB_
		.amdhsa_group_segment_fixed_size 0
		.amdhsa_private_segment_fixed_size 64
		.amdhsa_kernarg_size 400
		.amdhsa_user_sgpr_count 2
		.amdhsa_user_sgpr_dispatch_ptr 0
		.amdhsa_user_sgpr_queue_ptr 0
		.amdhsa_user_sgpr_kernarg_segment_ptr 1
		.amdhsa_user_sgpr_dispatch_id 0
		.amdhsa_user_sgpr_kernarg_preload_length 0
		.amdhsa_user_sgpr_kernarg_preload_offset 0
		.amdhsa_user_sgpr_private_segment_size 0
		.amdhsa_wavefront_size32 1
		.amdhsa_uses_dynamic_stack 0
		.amdhsa_enable_private_segment 1
		.amdhsa_system_sgpr_workgroup_id_x 1
		.amdhsa_system_sgpr_workgroup_id_y 0
		.amdhsa_system_sgpr_workgroup_id_z 0
		.amdhsa_system_sgpr_workgroup_info 0
		.amdhsa_system_vgpr_workitem_id 0
		.amdhsa_next_free_vgpr 51
		.amdhsa_next_free_sgpr 34
		.amdhsa_named_barrier_count 0
		.amdhsa_reserve_vcc 1
		.amdhsa_float_round_mode_32 0
		.amdhsa_float_round_mode_16_64 0
		.amdhsa_float_denorm_mode_32 3
		.amdhsa_float_denorm_mode_16_64 3
		.amdhsa_fp16_overflow 0
		.amdhsa_memory_ordered 1
		.amdhsa_forward_progress 1
		.amdhsa_inst_pref_size 1
		.amdhsa_round_robin_scheduling 0
		.amdhsa_exception_fp_ieee_invalid_op 0
		.amdhsa_exception_fp_denorm_src 0
		.amdhsa_exception_fp_ieee_div_zero 0
		.amdhsa_exception_fp_ieee_overflow 0
		.amdhsa_exception_fp_ieee_underflow 0
		.amdhsa_exception_fp_ieee_inexact 0
		.amdhsa_exception_int_div_zero 0
	.end_amdhsa_kernel
	.section	.text._Z38paged_attention_ll4mi_QKV_mfma4_kernelIDF16_hLN4vllm18Fp8KVCacheDataTypeE1EDF16_Li32ELi64ELi256ELb0ELi4EEvPKT_PKT0_S7_ifPKiS9_S9_iPKfiiiPfSC_PS2_PT2_iSB_SB_,"axG",@progbits,_Z38paged_attention_ll4mi_QKV_mfma4_kernelIDF16_hLN4vllm18Fp8KVCacheDataTypeE1EDF16_Li32ELi64ELi256ELb0ELi4EEvPKT_PKT0_S7_ifPKiS9_S9_iPKfiiiPfSC_PS2_PT2_iSB_SB_,comdat
.Lfunc_end913:
	.size	_Z38paged_attention_ll4mi_QKV_mfma4_kernelIDF16_hLN4vllm18Fp8KVCacheDataTypeE1EDF16_Li32ELi64ELi256ELb0ELi4EEvPKT_PKT0_S7_ifPKiS9_S9_iPKfiiiPfSC_PS2_PT2_iSB_SB_, .Lfunc_end913-_Z38paged_attention_ll4mi_QKV_mfma4_kernelIDF16_hLN4vllm18Fp8KVCacheDataTypeE1EDF16_Li32ELi64ELi256ELb0ELi4EEvPKT_PKT0_S7_ifPKiS9_S9_iPKfiiiPfSC_PS2_PT2_iSB_SB_
                                        ; -- End function
	.set _Z38paged_attention_ll4mi_QKV_mfma4_kernelIDF16_hLN4vllm18Fp8KVCacheDataTypeE1EDF16_Li32ELi64ELi256ELb0ELi4EEvPKT_PKT0_S7_ifPKiS9_S9_iPKfiiiPfSC_PS2_PT2_iSB_SB_.num_vgpr, max(3, .L__assert_fail.num_vgpr)
	.set _Z38paged_attention_ll4mi_QKV_mfma4_kernelIDF16_hLN4vllm18Fp8KVCacheDataTypeE1EDF16_Li32ELi64ELi256ELb0ELi4EEvPKT_PKT0_S7_ifPKiS9_S9_iPKfiiiPfSC_PS2_PT2_iSB_SB_.num_agpr, max(0, .L__assert_fail.num_agpr)
	.set _Z38paged_attention_ll4mi_QKV_mfma4_kernelIDF16_hLN4vllm18Fp8KVCacheDataTypeE1EDF16_Li32ELi64ELi256ELb0ELi4EEvPKT_PKT0_S7_ifPKiS9_S9_iPKfiiiPfSC_PS2_PT2_iSB_SB_.numbered_sgpr, max(33, .L__assert_fail.numbered_sgpr)
	.set _Z38paged_attention_ll4mi_QKV_mfma4_kernelIDF16_hLN4vllm18Fp8KVCacheDataTypeE1EDF16_Li32ELi64ELi256ELb0ELi4EEvPKT_PKT0_S7_ifPKiS9_S9_iPKfiiiPfSC_PS2_PT2_iSB_SB_.num_named_barrier, max(0, .L__assert_fail.num_named_barrier)
	.set _Z38paged_attention_ll4mi_QKV_mfma4_kernelIDF16_hLN4vllm18Fp8KVCacheDataTypeE1EDF16_Li32ELi64ELi256ELb0ELi4EEvPKT_PKT0_S7_ifPKiS9_S9_iPKfiiiPfSC_PS2_PT2_iSB_SB_.private_seg_size, 0+max(.L__assert_fail.private_seg_size)
	.set _Z38paged_attention_ll4mi_QKV_mfma4_kernelIDF16_hLN4vllm18Fp8KVCacheDataTypeE1EDF16_Li32ELi64ELi256ELb0ELi4EEvPKT_PKT0_S7_ifPKiS9_S9_iPKfiiiPfSC_PS2_PT2_iSB_SB_.uses_vcc, or(1, .L__assert_fail.uses_vcc)
	.set _Z38paged_attention_ll4mi_QKV_mfma4_kernelIDF16_hLN4vllm18Fp8KVCacheDataTypeE1EDF16_Li32ELi64ELi256ELb0ELi4EEvPKT_PKT0_S7_ifPKiS9_S9_iPKfiiiPfSC_PS2_PT2_iSB_SB_.uses_flat_scratch, or(0, .L__assert_fail.uses_flat_scratch)
	.set _Z38paged_attention_ll4mi_QKV_mfma4_kernelIDF16_hLN4vllm18Fp8KVCacheDataTypeE1EDF16_Li32ELi64ELi256ELb0ELi4EEvPKT_PKT0_S7_ifPKiS9_S9_iPKfiiiPfSC_PS2_PT2_iSB_SB_.has_dyn_sized_stack, or(0, .L__assert_fail.has_dyn_sized_stack)
	.set _Z38paged_attention_ll4mi_QKV_mfma4_kernelIDF16_hLN4vllm18Fp8KVCacheDataTypeE1EDF16_Li32ELi64ELi256ELb0ELi4EEvPKT_PKT0_S7_ifPKiS9_S9_iPKfiiiPfSC_PS2_PT2_iSB_SB_.has_recursion, or(0, .L__assert_fail.has_recursion)
	.set _Z38paged_attention_ll4mi_QKV_mfma4_kernelIDF16_hLN4vllm18Fp8KVCacheDataTypeE1EDF16_Li32ELi64ELi256ELb0ELi4EEvPKT_PKT0_S7_ifPKiS9_S9_iPKfiiiPfSC_PS2_PT2_iSB_SB_.has_indirect_call, or(0, .L__assert_fail.has_indirect_call)
	.section	.AMDGPU.csdata,"",@progbits
; Kernel info:
; codeLenInByte = 68
; TotalNumSgprs: 36
; NumVgprs: 51
; ScratchSize: 64
; MemoryBound: 0
; FloatMode: 240
; IeeeMode: 1
; LDSByteSize: 0 bytes/workgroup (compile time only)
; SGPRBlocks: 0
; VGPRBlocks: 3
; NumSGPRsForWavesPerEU: 36
; NumVGPRsForWavesPerEU: 51
; NamedBarCnt: 0
; Occupancy: 16
; WaveLimiterHint : 1
; COMPUTE_PGM_RSRC2:SCRATCH_EN: 1
; COMPUTE_PGM_RSRC2:USER_SGPR: 2
; COMPUTE_PGM_RSRC2:TRAP_HANDLER: 0
; COMPUTE_PGM_RSRC2:TGID_X_EN: 1
; COMPUTE_PGM_RSRC2:TGID_Y_EN: 0
; COMPUTE_PGM_RSRC2:TGID_Z_EN: 0
; COMPUTE_PGM_RSRC2:TIDIG_COMP_CNT: 0
	.section	.text._Z39paged_attention_ll4mi_QKV_mfma16_kernelIDF16_hLN4vllm18Fp8KVCacheDataTypeE1EDF16_Li32ELi64ELi256ELb0ELi5EEvPKT_PKT0_S7_ifPKiS9_S9_iPKfiiiPfSC_PS2_PT2_iSB_SB_,"axG",@progbits,_Z39paged_attention_ll4mi_QKV_mfma16_kernelIDF16_hLN4vllm18Fp8KVCacheDataTypeE1EDF16_Li32ELi64ELi256ELb0ELi5EEvPKT_PKT0_S7_ifPKiS9_S9_iPKfiiiPfSC_PS2_PT2_iSB_SB_,comdat
	.protected	_Z39paged_attention_ll4mi_QKV_mfma16_kernelIDF16_hLN4vllm18Fp8KVCacheDataTypeE1EDF16_Li32ELi64ELi256ELb0ELi5EEvPKT_PKT0_S7_ifPKiS9_S9_iPKfiiiPfSC_PS2_PT2_iSB_SB_ ; -- Begin function _Z39paged_attention_ll4mi_QKV_mfma16_kernelIDF16_hLN4vllm18Fp8KVCacheDataTypeE1EDF16_Li32ELi64ELi256ELb0ELi5EEvPKT_PKT0_S7_ifPKiS9_S9_iPKfiiiPfSC_PS2_PT2_iSB_SB_
	.globl	_Z39paged_attention_ll4mi_QKV_mfma16_kernelIDF16_hLN4vllm18Fp8KVCacheDataTypeE1EDF16_Li32ELi64ELi256ELb0ELi5EEvPKT_PKT0_S7_ifPKiS9_S9_iPKfiiiPfSC_PS2_PT2_iSB_SB_
	.p2align	8
	.type	_Z39paged_attention_ll4mi_QKV_mfma16_kernelIDF16_hLN4vllm18Fp8KVCacheDataTypeE1EDF16_Li32ELi64ELi256ELb0ELi5EEvPKT_PKT0_S7_ifPKiS9_S9_iPKfiiiPfSC_PS2_PT2_iSB_SB_,@function
_Z39paged_attention_ll4mi_QKV_mfma16_kernelIDF16_hLN4vllm18Fp8KVCacheDataTypeE1EDF16_Li32ELi64ELi256ELb0ELi5EEvPKT_PKT0_S7_ifPKiS9_S9_iPKfiiiPfSC_PS2_PT2_iSB_SB_: ; @_Z39paged_attention_ll4mi_QKV_mfma16_kernelIDF16_hLN4vllm18Fp8KVCacheDataTypeE1EDF16_Li32ELi64ELi256ELb0ELi5EEvPKT_PKT0_S7_ifPKiS9_S9_iPKfiiiPfSC_PS2_PT2_iSB_SB_
; %bb.0:
	s_get_pc_i64 s[2:3]
	s_add_nc_u64 s[2:3], s[2:3], __PRETTY_FUNCTION__._Z39paged_attention_ll4mi_QKV_mfma16_kernelIDF16_hLN4vllm18Fp8KVCacheDataTypeE1EDF16_Li32ELi64ELi256ELb0ELi5EEvPKT_PKT0_S7_ifPKiS9_S9_iPKfiiiPfSC_PS2_PT2_iSB_SB_@rel64+4
	s_delay_alu instid0(SALU_CYCLE_1)
	v_dual_mov_b32 v0, 0xbb3 :: v_dual_mov_b32 v1, s2
	v_mov_b32_e32 v2, s3
	s_add_nc_u64 s[8:9], s[0:1], 0x90
	s_get_pc_i64 s[0:1]
	s_add_nc_u64 s[0:1], s[0:1], __assert_fail@rel64+4
	s_mov_b32 s32, 0
	s_swap_pc_i64 s[30:31], s[0:1]
	.section	.rodata,"a",@progbits
	.p2align	6, 0x0
	.amdhsa_kernel _Z39paged_attention_ll4mi_QKV_mfma16_kernelIDF16_hLN4vllm18Fp8KVCacheDataTypeE1EDF16_Li32ELi64ELi256ELb0ELi5EEvPKT_PKT0_S7_ifPKiS9_S9_iPKfiiiPfSC_PS2_PT2_iSB_SB_
		.amdhsa_group_segment_fixed_size 0
		.amdhsa_private_segment_fixed_size 64
		.amdhsa_kernarg_size 400
		.amdhsa_user_sgpr_count 2
		.amdhsa_user_sgpr_dispatch_ptr 0
		.amdhsa_user_sgpr_queue_ptr 0
		.amdhsa_user_sgpr_kernarg_segment_ptr 1
		.amdhsa_user_sgpr_dispatch_id 0
		.amdhsa_user_sgpr_kernarg_preload_length 0
		.amdhsa_user_sgpr_kernarg_preload_offset 0
		.amdhsa_user_sgpr_private_segment_size 0
		.amdhsa_wavefront_size32 1
		.amdhsa_uses_dynamic_stack 0
		.amdhsa_enable_private_segment 1
		.amdhsa_system_sgpr_workgroup_id_x 1
		.amdhsa_system_sgpr_workgroup_id_y 0
		.amdhsa_system_sgpr_workgroup_id_z 0
		.amdhsa_system_sgpr_workgroup_info 0
		.amdhsa_system_vgpr_workitem_id 0
		.amdhsa_next_free_vgpr 51
		.amdhsa_next_free_sgpr 34
		.amdhsa_named_barrier_count 0
		.amdhsa_reserve_vcc 1
		.amdhsa_float_round_mode_32 0
		.amdhsa_float_round_mode_16_64 0
		.amdhsa_float_denorm_mode_32 3
		.amdhsa_float_denorm_mode_16_64 3
		.amdhsa_fp16_overflow 0
		.amdhsa_memory_ordered 1
		.amdhsa_forward_progress 1
		.amdhsa_inst_pref_size 1
		.amdhsa_round_robin_scheduling 0
		.amdhsa_exception_fp_ieee_invalid_op 0
		.amdhsa_exception_fp_denorm_src 0
		.amdhsa_exception_fp_ieee_div_zero 0
		.amdhsa_exception_fp_ieee_overflow 0
		.amdhsa_exception_fp_ieee_underflow 0
		.amdhsa_exception_fp_ieee_inexact 0
		.amdhsa_exception_int_div_zero 0
	.end_amdhsa_kernel
	.section	.text._Z39paged_attention_ll4mi_QKV_mfma16_kernelIDF16_hLN4vllm18Fp8KVCacheDataTypeE1EDF16_Li32ELi64ELi256ELb0ELi5EEvPKT_PKT0_S7_ifPKiS9_S9_iPKfiiiPfSC_PS2_PT2_iSB_SB_,"axG",@progbits,_Z39paged_attention_ll4mi_QKV_mfma16_kernelIDF16_hLN4vllm18Fp8KVCacheDataTypeE1EDF16_Li32ELi64ELi256ELb0ELi5EEvPKT_PKT0_S7_ifPKiS9_S9_iPKfiiiPfSC_PS2_PT2_iSB_SB_,comdat
.Lfunc_end914:
	.size	_Z39paged_attention_ll4mi_QKV_mfma16_kernelIDF16_hLN4vllm18Fp8KVCacheDataTypeE1EDF16_Li32ELi64ELi256ELb0ELi5EEvPKT_PKT0_S7_ifPKiS9_S9_iPKfiiiPfSC_PS2_PT2_iSB_SB_, .Lfunc_end914-_Z39paged_attention_ll4mi_QKV_mfma16_kernelIDF16_hLN4vllm18Fp8KVCacheDataTypeE1EDF16_Li32ELi64ELi256ELb0ELi5EEvPKT_PKT0_S7_ifPKiS9_S9_iPKfiiiPfSC_PS2_PT2_iSB_SB_
                                        ; -- End function
	.set _Z39paged_attention_ll4mi_QKV_mfma16_kernelIDF16_hLN4vllm18Fp8KVCacheDataTypeE1EDF16_Li32ELi64ELi256ELb0ELi5EEvPKT_PKT0_S7_ifPKiS9_S9_iPKfiiiPfSC_PS2_PT2_iSB_SB_.num_vgpr, max(3, .L__assert_fail.num_vgpr)
	.set _Z39paged_attention_ll4mi_QKV_mfma16_kernelIDF16_hLN4vllm18Fp8KVCacheDataTypeE1EDF16_Li32ELi64ELi256ELb0ELi5EEvPKT_PKT0_S7_ifPKiS9_S9_iPKfiiiPfSC_PS2_PT2_iSB_SB_.num_agpr, max(0, .L__assert_fail.num_agpr)
	.set _Z39paged_attention_ll4mi_QKV_mfma16_kernelIDF16_hLN4vllm18Fp8KVCacheDataTypeE1EDF16_Li32ELi64ELi256ELb0ELi5EEvPKT_PKT0_S7_ifPKiS9_S9_iPKfiiiPfSC_PS2_PT2_iSB_SB_.numbered_sgpr, max(33, .L__assert_fail.numbered_sgpr)
	.set _Z39paged_attention_ll4mi_QKV_mfma16_kernelIDF16_hLN4vllm18Fp8KVCacheDataTypeE1EDF16_Li32ELi64ELi256ELb0ELi5EEvPKT_PKT0_S7_ifPKiS9_S9_iPKfiiiPfSC_PS2_PT2_iSB_SB_.num_named_barrier, max(0, .L__assert_fail.num_named_barrier)
	.set _Z39paged_attention_ll4mi_QKV_mfma16_kernelIDF16_hLN4vllm18Fp8KVCacheDataTypeE1EDF16_Li32ELi64ELi256ELb0ELi5EEvPKT_PKT0_S7_ifPKiS9_S9_iPKfiiiPfSC_PS2_PT2_iSB_SB_.private_seg_size, 0+max(.L__assert_fail.private_seg_size)
	.set _Z39paged_attention_ll4mi_QKV_mfma16_kernelIDF16_hLN4vllm18Fp8KVCacheDataTypeE1EDF16_Li32ELi64ELi256ELb0ELi5EEvPKT_PKT0_S7_ifPKiS9_S9_iPKfiiiPfSC_PS2_PT2_iSB_SB_.uses_vcc, or(1, .L__assert_fail.uses_vcc)
	.set _Z39paged_attention_ll4mi_QKV_mfma16_kernelIDF16_hLN4vllm18Fp8KVCacheDataTypeE1EDF16_Li32ELi64ELi256ELb0ELi5EEvPKT_PKT0_S7_ifPKiS9_S9_iPKfiiiPfSC_PS2_PT2_iSB_SB_.uses_flat_scratch, or(0, .L__assert_fail.uses_flat_scratch)
	.set _Z39paged_attention_ll4mi_QKV_mfma16_kernelIDF16_hLN4vllm18Fp8KVCacheDataTypeE1EDF16_Li32ELi64ELi256ELb0ELi5EEvPKT_PKT0_S7_ifPKiS9_S9_iPKfiiiPfSC_PS2_PT2_iSB_SB_.has_dyn_sized_stack, or(0, .L__assert_fail.has_dyn_sized_stack)
	.set _Z39paged_attention_ll4mi_QKV_mfma16_kernelIDF16_hLN4vllm18Fp8KVCacheDataTypeE1EDF16_Li32ELi64ELi256ELb0ELi5EEvPKT_PKT0_S7_ifPKiS9_S9_iPKfiiiPfSC_PS2_PT2_iSB_SB_.has_recursion, or(0, .L__assert_fail.has_recursion)
	.set _Z39paged_attention_ll4mi_QKV_mfma16_kernelIDF16_hLN4vllm18Fp8KVCacheDataTypeE1EDF16_Li32ELi64ELi256ELb0ELi5EEvPKT_PKT0_S7_ifPKiS9_S9_iPKfiiiPfSC_PS2_PT2_iSB_SB_.has_indirect_call, or(0, .L__assert_fail.has_indirect_call)
	.section	.AMDGPU.csdata,"",@progbits
; Kernel info:
; codeLenInByte = 68
; TotalNumSgprs: 36
; NumVgprs: 51
; ScratchSize: 64
; MemoryBound: 0
; FloatMode: 240
; IeeeMode: 1
; LDSByteSize: 0 bytes/workgroup (compile time only)
; SGPRBlocks: 0
; VGPRBlocks: 3
; NumSGPRsForWavesPerEU: 36
; NumVGPRsForWavesPerEU: 51
; NamedBarCnt: 0
; Occupancy: 16
; WaveLimiterHint : 1
; COMPUTE_PGM_RSRC2:SCRATCH_EN: 1
; COMPUTE_PGM_RSRC2:USER_SGPR: 2
; COMPUTE_PGM_RSRC2:TRAP_HANDLER: 0
; COMPUTE_PGM_RSRC2:TGID_X_EN: 1
; COMPUTE_PGM_RSRC2:TGID_Y_EN: 0
; COMPUTE_PGM_RSRC2:TGID_Z_EN: 0
; COMPUTE_PGM_RSRC2:TIDIG_COMP_CNT: 0
	.section	.text._Z39paged_attention_ll4mi_QKV_mfma16_kernelIDF16_hLN4vllm18Fp8KVCacheDataTypeE1EDF16_Li32ELi64ELi256ELb0ELi6EEvPKT_PKT0_S7_ifPKiS9_S9_iPKfiiiPfSC_PS2_PT2_iSB_SB_,"axG",@progbits,_Z39paged_attention_ll4mi_QKV_mfma16_kernelIDF16_hLN4vllm18Fp8KVCacheDataTypeE1EDF16_Li32ELi64ELi256ELb0ELi6EEvPKT_PKT0_S7_ifPKiS9_S9_iPKfiiiPfSC_PS2_PT2_iSB_SB_,comdat
	.protected	_Z39paged_attention_ll4mi_QKV_mfma16_kernelIDF16_hLN4vllm18Fp8KVCacheDataTypeE1EDF16_Li32ELi64ELi256ELb0ELi6EEvPKT_PKT0_S7_ifPKiS9_S9_iPKfiiiPfSC_PS2_PT2_iSB_SB_ ; -- Begin function _Z39paged_attention_ll4mi_QKV_mfma16_kernelIDF16_hLN4vllm18Fp8KVCacheDataTypeE1EDF16_Li32ELi64ELi256ELb0ELi6EEvPKT_PKT0_S7_ifPKiS9_S9_iPKfiiiPfSC_PS2_PT2_iSB_SB_
	.globl	_Z39paged_attention_ll4mi_QKV_mfma16_kernelIDF16_hLN4vllm18Fp8KVCacheDataTypeE1EDF16_Li32ELi64ELi256ELb0ELi6EEvPKT_PKT0_S7_ifPKiS9_S9_iPKfiiiPfSC_PS2_PT2_iSB_SB_
	.p2align	8
	.type	_Z39paged_attention_ll4mi_QKV_mfma16_kernelIDF16_hLN4vllm18Fp8KVCacheDataTypeE1EDF16_Li32ELi64ELi256ELb0ELi6EEvPKT_PKT0_S7_ifPKiS9_S9_iPKfiiiPfSC_PS2_PT2_iSB_SB_,@function
_Z39paged_attention_ll4mi_QKV_mfma16_kernelIDF16_hLN4vllm18Fp8KVCacheDataTypeE1EDF16_Li32ELi64ELi256ELb0ELi6EEvPKT_PKT0_S7_ifPKiS9_S9_iPKfiiiPfSC_PS2_PT2_iSB_SB_: ; @_Z39paged_attention_ll4mi_QKV_mfma16_kernelIDF16_hLN4vllm18Fp8KVCacheDataTypeE1EDF16_Li32ELi64ELi256ELb0ELi6EEvPKT_PKT0_S7_ifPKiS9_S9_iPKfiiiPfSC_PS2_PT2_iSB_SB_
; %bb.0:
	s_get_pc_i64 s[2:3]
	s_add_nc_u64 s[2:3], s[2:3], __PRETTY_FUNCTION__._Z39paged_attention_ll4mi_QKV_mfma16_kernelIDF16_hLN4vllm18Fp8KVCacheDataTypeE1EDF16_Li32ELi64ELi256ELb0ELi6EEvPKT_PKT0_S7_ifPKiS9_S9_iPKfiiiPfSC_PS2_PT2_iSB_SB_@rel64+4
	s_delay_alu instid0(SALU_CYCLE_1)
	v_dual_mov_b32 v0, 0xbb3 :: v_dual_mov_b32 v1, s2
	v_mov_b32_e32 v2, s3
	s_add_nc_u64 s[8:9], s[0:1], 0x90
	s_get_pc_i64 s[0:1]
	s_add_nc_u64 s[0:1], s[0:1], __assert_fail@rel64+4
	s_mov_b32 s32, 0
	s_swap_pc_i64 s[30:31], s[0:1]
	.section	.rodata,"a",@progbits
	.p2align	6, 0x0
	.amdhsa_kernel _Z39paged_attention_ll4mi_QKV_mfma16_kernelIDF16_hLN4vllm18Fp8KVCacheDataTypeE1EDF16_Li32ELi64ELi256ELb0ELi6EEvPKT_PKT0_S7_ifPKiS9_S9_iPKfiiiPfSC_PS2_PT2_iSB_SB_
		.amdhsa_group_segment_fixed_size 0
		.amdhsa_private_segment_fixed_size 64
		.amdhsa_kernarg_size 400
		.amdhsa_user_sgpr_count 2
		.amdhsa_user_sgpr_dispatch_ptr 0
		.amdhsa_user_sgpr_queue_ptr 0
		.amdhsa_user_sgpr_kernarg_segment_ptr 1
		.amdhsa_user_sgpr_dispatch_id 0
		.amdhsa_user_sgpr_kernarg_preload_length 0
		.amdhsa_user_sgpr_kernarg_preload_offset 0
		.amdhsa_user_sgpr_private_segment_size 0
		.amdhsa_wavefront_size32 1
		.amdhsa_uses_dynamic_stack 0
		.amdhsa_enable_private_segment 1
		.amdhsa_system_sgpr_workgroup_id_x 1
		.amdhsa_system_sgpr_workgroup_id_y 0
		.amdhsa_system_sgpr_workgroup_id_z 0
		.amdhsa_system_sgpr_workgroup_info 0
		.amdhsa_system_vgpr_workitem_id 0
		.amdhsa_next_free_vgpr 51
		.amdhsa_next_free_sgpr 34
		.amdhsa_named_barrier_count 0
		.amdhsa_reserve_vcc 1
		.amdhsa_float_round_mode_32 0
		.amdhsa_float_round_mode_16_64 0
		.amdhsa_float_denorm_mode_32 3
		.amdhsa_float_denorm_mode_16_64 3
		.amdhsa_fp16_overflow 0
		.amdhsa_memory_ordered 1
		.amdhsa_forward_progress 1
		.amdhsa_inst_pref_size 1
		.amdhsa_round_robin_scheduling 0
		.amdhsa_exception_fp_ieee_invalid_op 0
		.amdhsa_exception_fp_denorm_src 0
		.amdhsa_exception_fp_ieee_div_zero 0
		.amdhsa_exception_fp_ieee_overflow 0
		.amdhsa_exception_fp_ieee_underflow 0
		.amdhsa_exception_fp_ieee_inexact 0
		.amdhsa_exception_int_div_zero 0
	.end_amdhsa_kernel
	.section	.text._Z39paged_attention_ll4mi_QKV_mfma16_kernelIDF16_hLN4vllm18Fp8KVCacheDataTypeE1EDF16_Li32ELi64ELi256ELb0ELi6EEvPKT_PKT0_S7_ifPKiS9_S9_iPKfiiiPfSC_PS2_PT2_iSB_SB_,"axG",@progbits,_Z39paged_attention_ll4mi_QKV_mfma16_kernelIDF16_hLN4vllm18Fp8KVCacheDataTypeE1EDF16_Li32ELi64ELi256ELb0ELi6EEvPKT_PKT0_S7_ifPKiS9_S9_iPKfiiiPfSC_PS2_PT2_iSB_SB_,comdat
.Lfunc_end915:
	.size	_Z39paged_attention_ll4mi_QKV_mfma16_kernelIDF16_hLN4vllm18Fp8KVCacheDataTypeE1EDF16_Li32ELi64ELi256ELb0ELi6EEvPKT_PKT0_S7_ifPKiS9_S9_iPKfiiiPfSC_PS2_PT2_iSB_SB_, .Lfunc_end915-_Z39paged_attention_ll4mi_QKV_mfma16_kernelIDF16_hLN4vllm18Fp8KVCacheDataTypeE1EDF16_Li32ELi64ELi256ELb0ELi6EEvPKT_PKT0_S7_ifPKiS9_S9_iPKfiiiPfSC_PS2_PT2_iSB_SB_
                                        ; -- End function
	.set _Z39paged_attention_ll4mi_QKV_mfma16_kernelIDF16_hLN4vllm18Fp8KVCacheDataTypeE1EDF16_Li32ELi64ELi256ELb0ELi6EEvPKT_PKT0_S7_ifPKiS9_S9_iPKfiiiPfSC_PS2_PT2_iSB_SB_.num_vgpr, max(3, .L__assert_fail.num_vgpr)
	.set _Z39paged_attention_ll4mi_QKV_mfma16_kernelIDF16_hLN4vllm18Fp8KVCacheDataTypeE1EDF16_Li32ELi64ELi256ELb0ELi6EEvPKT_PKT0_S7_ifPKiS9_S9_iPKfiiiPfSC_PS2_PT2_iSB_SB_.num_agpr, max(0, .L__assert_fail.num_agpr)
	.set _Z39paged_attention_ll4mi_QKV_mfma16_kernelIDF16_hLN4vllm18Fp8KVCacheDataTypeE1EDF16_Li32ELi64ELi256ELb0ELi6EEvPKT_PKT0_S7_ifPKiS9_S9_iPKfiiiPfSC_PS2_PT2_iSB_SB_.numbered_sgpr, max(33, .L__assert_fail.numbered_sgpr)
	.set _Z39paged_attention_ll4mi_QKV_mfma16_kernelIDF16_hLN4vllm18Fp8KVCacheDataTypeE1EDF16_Li32ELi64ELi256ELb0ELi6EEvPKT_PKT0_S7_ifPKiS9_S9_iPKfiiiPfSC_PS2_PT2_iSB_SB_.num_named_barrier, max(0, .L__assert_fail.num_named_barrier)
	.set _Z39paged_attention_ll4mi_QKV_mfma16_kernelIDF16_hLN4vllm18Fp8KVCacheDataTypeE1EDF16_Li32ELi64ELi256ELb0ELi6EEvPKT_PKT0_S7_ifPKiS9_S9_iPKfiiiPfSC_PS2_PT2_iSB_SB_.private_seg_size, 0+max(.L__assert_fail.private_seg_size)
	.set _Z39paged_attention_ll4mi_QKV_mfma16_kernelIDF16_hLN4vllm18Fp8KVCacheDataTypeE1EDF16_Li32ELi64ELi256ELb0ELi6EEvPKT_PKT0_S7_ifPKiS9_S9_iPKfiiiPfSC_PS2_PT2_iSB_SB_.uses_vcc, or(1, .L__assert_fail.uses_vcc)
	.set _Z39paged_attention_ll4mi_QKV_mfma16_kernelIDF16_hLN4vllm18Fp8KVCacheDataTypeE1EDF16_Li32ELi64ELi256ELb0ELi6EEvPKT_PKT0_S7_ifPKiS9_S9_iPKfiiiPfSC_PS2_PT2_iSB_SB_.uses_flat_scratch, or(0, .L__assert_fail.uses_flat_scratch)
	.set _Z39paged_attention_ll4mi_QKV_mfma16_kernelIDF16_hLN4vllm18Fp8KVCacheDataTypeE1EDF16_Li32ELi64ELi256ELb0ELi6EEvPKT_PKT0_S7_ifPKiS9_S9_iPKfiiiPfSC_PS2_PT2_iSB_SB_.has_dyn_sized_stack, or(0, .L__assert_fail.has_dyn_sized_stack)
	.set _Z39paged_attention_ll4mi_QKV_mfma16_kernelIDF16_hLN4vllm18Fp8KVCacheDataTypeE1EDF16_Li32ELi64ELi256ELb0ELi6EEvPKT_PKT0_S7_ifPKiS9_S9_iPKfiiiPfSC_PS2_PT2_iSB_SB_.has_recursion, or(0, .L__assert_fail.has_recursion)
	.set _Z39paged_attention_ll4mi_QKV_mfma16_kernelIDF16_hLN4vllm18Fp8KVCacheDataTypeE1EDF16_Li32ELi64ELi256ELb0ELi6EEvPKT_PKT0_S7_ifPKiS9_S9_iPKfiiiPfSC_PS2_PT2_iSB_SB_.has_indirect_call, or(0, .L__assert_fail.has_indirect_call)
	.section	.AMDGPU.csdata,"",@progbits
; Kernel info:
; codeLenInByte = 68
; TotalNumSgprs: 36
; NumVgprs: 51
; ScratchSize: 64
; MemoryBound: 0
; FloatMode: 240
; IeeeMode: 1
; LDSByteSize: 0 bytes/workgroup (compile time only)
; SGPRBlocks: 0
; VGPRBlocks: 3
; NumSGPRsForWavesPerEU: 36
; NumVGPRsForWavesPerEU: 51
; NamedBarCnt: 0
; Occupancy: 16
; WaveLimiterHint : 1
; COMPUTE_PGM_RSRC2:SCRATCH_EN: 1
; COMPUTE_PGM_RSRC2:USER_SGPR: 2
; COMPUTE_PGM_RSRC2:TRAP_HANDLER: 0
; COMPUTE_PGM_RSRC2:TGID_X_EN: 1
; COMPUTE_PGM_RSRC2:TGID_Y_EN: 0
; COMPUTE_PGM_RSRC2:TGID_Z_EN: 0
; COMPUTE_PGM_RSRC2:TIDIG_COMP_CNT: 0
	.section	.text._Z39paged_attention_ll4mi_QKV_mfma16_kernelIDF16_hLN4vllm18Fp8KVCacheDataTypeE1EDF16_Li32ELi64ELi256ELb0ELi7EEvPKT_PKT0_S7_ifPKiS9_S9_iPKfiiiPfSC_PS2_PT2_iSB_SB_,"axG",@progbits,_Z39paged_attention_ll4mi_QKV_mfma16_kernelIDF16_hLN4vllm18Fp8KVCacheDataTypeE1EDF16_Li32ELi64ELi256ELb0ELi7EEvPKT_PKT0_S7_ifPKiS9_S9_iPKfiiiPfSC_PS2_PT2_iSB_SB_,comdat
	.protected	_Z39paged_attention_ll4mi_QKV_mfma16_kernelIDF16_hLN4vllm18Fp8KVCacheDataTypeE1EDF16_Li32ELi64ELi256ELb0ELi7EEvPKT_PKT0_S7_ifPKiS9_S9_iPKfiiiPfSC_PS2_PT2_iSB_SB_ ; -- Begin function _Z39paged_attention_ll4mi_QKV_mfma16_kernelIDF16_hLN4vllm18Fp8KVCacheDataTypeE1EDF16_Li32ELi64ELi256ELb0ELi7EEvPKT_PKT0_S7_ifPKiS9_S9_iPKfiiiPfSC_PS2_PT2_iSB_SB_
	.globl	_Z39paged_attention_ll4mi_QKV_mfma16_kernelIDF16_hLN4vllm18Fp8KVCacheDataTypeE1EDF16_Li32ELi64ELi256ELb0ELi7EEvPKT_PKT0_S7_ifPKiS9_S9_iPKfiiiPfSC_PS2_PT2_iSB_SB_
	.p2align	8
	.type	_Z39paged_attention_ll4mi_QKV_mfma16_kernelIDF16_hLN4vllm18Fp8KVCacheDataTypeE1EDF16_Li32ELi64ELi256ELb0ELi7EEvPKT_PKT0_S7_ifPKiS9_S9_iPKfiiiPfSC_PS2_PT2_iSB_SB_,@function
_Z39paged_attention_ll4mi_QKV_mfma16_kernelIDF16_hLN4vllm18Fp8KVCacheDataTypeE1EDF16_Li32ELi64ELi256ELb0ELi7EEvPKT_PKT0_S7_ifPKiS9_S9_iPKfiiiPfSC_PS2_PT2_iSB_SB_: ; @_Z39paged_attention_ll4mi_QKV_mfma16_kernelIDF16_hLN4vllm18Fp8KVCacheDataTypeE1EDF16_Li32ELi64ELi256ELb0ELi7EEvPKT_PKT0_S7_ifPKiS9_S9_iPKfiiiPfSC_PS2_PT2_iSB_SB_
; %bb.0:
	s_get_pc_i64 s[2:3]
	s_add_nc_u64 s[2:3], s[2:3], __PRETTY_FUNCTION__._Z39paged_attention_ll4mi_QKV_mfma16_kernelIDF16_hLN4vllm18Fp8KVCacheDataTypeE1EDF16_Li32ELi64ELi256ELb0ELi7EEvPKT_PKT0_S7_ifPKiS9_S9_iPKfiiiPfSC_PS2_PT2_iSB_SB_@rel64+4
	s_delay_alu instid0(SALU_CYCLE_1)
	v_dual_mov_b32 v0, 0xbb3 :: v_dual_mov_b32 v1, s2
	v_mov_b32_e32 v2, s3
	s_add_nc_u64 s[8:9], s[0:1], 0x90
	s_get_pc_i64 s[0:1]
	s_add_nc_u64 s[0:1], s[0:1], __assert_fail@rel64+4
	s_mov_b32 s32, 0
	s_swap_pc_i64 s[30:31], s[0:1]
	.section	.rodata,"a",@progbits
	.p2align	6, 0x0
	.amdhsa_kernel _Z39paged_attention_ll4mi_QKV_mfma16_kernelIDF16_hLN4vllm18Fp8KVCacheDataTypeE1EDF16_Li32ELi64ELi256ELb0ELi7EEvPKT_PKT0_S7_ifPKiS9_S9_iPKfiiiPfSC_PS2_PT2_iSB_SB_
		.amdhsa_group_segment_fixed_size 0
		.amdhsa_private_segment_fixed_size 64
		.amdhsa_kernarg_size 400
		.amdhsa_user_sgpr_count 2
		.amdhsa_user_sgpr_dispatch_ptr 0
		.amdhsa_user_sgpr_queue_ptr 0
		.amdhsa_user_sgpr_kernarg_segment_ptr 1
		.amdhsa_user_sgpr_dispatch_id 0
		.amdhsa_user_sgpr_kernarg_preload_length 0
		.amdhsa_user_sgpr_kernarg_preload_offset 0
		.amdhsa_user_sgpr_private_segment_size 0
		.amdhsa_wavefront_size32 1
		.amdhsa_uses_dynamic_stack 0
		.amdhsa_enable_private_segment 1
		.amdhsa_system_sgpr_workgroup_id_x 1
		.amdhsa_system_sgpr_workgroup_id_y 0
		.amdhsa_system_sgpr_workgroup_id_z 0
		.amdhsa_system_sgpr_workgroup_info 0
		.amdhsa_system_vgpr_workitem_id 0
		.amdhsa_next_free_vgpr 51
		.amdhsa_next_free_sgpr 34
		.amdhsa_named_barrier_count 0
		.amdhsa_reserve_vcc 1
		.amdhsa_float_round_mode_32 0
		.amdhsa_float_round_mode_16_64 0
		.amdhsa_float_denorm_mode_32 3
		.amdhsa_float_denorm_mode_16_64 3
		.amdhsa_fp16_overflow 0
		.amdhsa_memory_ordered 1
		.amdhsa_forward_progress 1
		.amdhsa_inst_pref_size 1
		.amdhsa_round_robin_scheduling 0
		.amdhsa_exception_fp_ieee_invalid_op 0
		.amdhsa_exception_fp_denorm_src 0
		.amdhsa_exception_fp_ieee_div_zero 0
		.amdhsa_exception_fp_ieee_overflow 0
		.amdhsa_exception_fp_ieee_underflow 0
		.amdhsa_exception_fp_ieee_inexact 0
		.amdhsa_exception_int_div_zero 0
	.end_amdhsa_kernel
	.section	.text._Z39paged_attention_ll4mi_QKV_mfma16_kernelIDF16_hLN4vllm18Fp8KVCacheDataTypeE1EDF16_Li32ELi64ELi256ELb0ELi7EEvPKT_PKT0_S7_ifPKiS9_S9_iPKfiiiPfSC_PS2_PT2_iSB_SB_,"axG",@progbits,_Z39paged_attention_ll4mi_QKV_mfma16_kernelIDF16_hLN4vllm18Fp8KVCacheDataTypeE1EDF16_Li32ELi64ELi256ELb0ELi7EEvPKT_PKT0_S7_ifPKiS9_S9_iPKfiiiPfSC_PS2_PT2_iSB_SB_,comdat
.Lfunc_end916:
	.size	_Z39paged_attention_ll4mi_QKV_mfma16_kernelIDF16_hLN4vllm18Fp8KVCacheDataTypeE1EDF16_Li32ELi64ELi256ELb0ELi7EEvPKT_PKT0_S7_ifPKiS9_S9_iPKfiiiPfSC_PS2_PT2_iSB_SB_, .Lfunc_end916-_Z39paged_attention_ll4mi_QKV_mfma16_kernelIDF16_hLN4vllm18Fp8KVCacheDataTypeE1EDF16_Li32ELi64ELi256ELb0ELi7EEvPKT_PKT0_S7_ifPKiS9_S9_iPKfiiiPfSC_PS2_PT2_iSB_SB_
                                        ; -- End function
	.set _Z39paged_attention_ll4mi_QKV_mfma16_kernelIDF16_hLN4vllm18Fp8KVCacheDataTypeE1EDF16_Li32ELi64ELi256ELb0ELi7EEvPKT_PKT0_S7_ifPKiS9_S9_iPKfiiiPfSC_PS2_PT2_iSB_SB_.num_vgpr, max(3, .L__assert_fail.num_vgpr)
	.set _Z39paged_attention_ll4mi_QKV_mfma16_kernelIDF16_hLN4vllm18Fp8KVCacheDataTypeE1EDF16_Li32ELi64ELi256ELb0ELi7EEvPKT_PKT0_S7_ifPKiS9_S9_iPKfiiiPfSC_PS2_PT2_iSB_SB_.num_agpr, max(0, .L__assert_fail.num_agpr)
	.set _Z39paged_attention_ll4mi_QKV_mfma16_kernelIDF16_hLN4vllm18Fp8KVCacheDataTypeE1EDF16_Li32ELi64ELi256ELb0ELi7EEvPKT_PKT0_S7_ifPKiS9_S9_iPKfiiiPfSC_PS2_PT2_iSB_SB_.numbered_sgpr, max(33, .L__assert_fail.numbered_sgpr)
	.set _Z39paged_attention_ll4mi_QKV_mfma16_kernelIDF16_hLN4vllm18Fp8KVCacheDataTypeE1EDF16_Li32ELi64ELi256ELb0ELi7EEvPKT_PKT0_S7_ifPKiS9_S9_iPKfiiiPfSC_PS2_PT2_iSB_SB_.num_named_barrier, max(0, .L__assert_fail.num_named_barrier)
	.set _Z39paged_attention_ll4mi_QKV_mfma16_kernelIDF16_hLN4vllm18Fp8KVCacheDataTypeE1EDF16_Li32ELi64ELi256ELb0ELi7EEvPKT_PKT0_S7_ifPKiS9_S9_iPKfiiiPfSC_PS2_PT2_iSB_SB_.private_seg_size, 0+max(.L__assert_fail.private_seg_size)
	.set _Z39paged_attention_ll4mi_QKV_mfma16_kernelIDF16_hLN4vllm18Fp8KVCacheDataTypeE1EDF16_Li32ELi64ELi256ELb0ELi7EEvPKT_PKT0_S7_ifPKiS9_S9_iPKfiiiPfSC_PS2_PT2_iSB_SB_.uses_vcc, or(1, .L__assert_fail.uses_vcc)
	.set _Z39paged_attention_ll4mi_QKV_mfma16_kernelIDF16_hLN4vllm18Fp8KVCacheDataTypeE1EDF16_Li32ELi64ELi256ELb0ELi7EEvPKT_PKT0_S7_ifPKiS9_S9_iPKfiiiPfSC_PS2_PT2_iSB_SB_.uses_flat_scratch, or(0, .L__assert_fail.uses_flat_scratch)
	.set _Z39paged_attention_ll4mi_QKV_mfma16_kernelIDF16_hLN4vllm18Fp8KVCacheDataTypeE1EDF16_Li32ELi64ELi256ELb0ELi7EEvPKT_PKT0_S7_ifPKiS9_S9_iPKfiiiPfSC_PS2_PT2_iSB_SB_.has_dyn_sized_stack, or(0, .L__assert_fail.has_dyn_sized_stack)
	.set _Z39paged_attention_ll4mi_QKV_mfma16_kernelIDF16_hLN4vllm18Fp8KVCacheDataTypeE1EDF16_Li32ELi64ELi256ELb0ELi7EEvPKT_PKT0_S7_ifPKiS9_S9_iPKfiiiPfSC_PS2_PT2_iSB_SB_.has_recursion, or(0, .L__assert_fail.has_recursion)
	.set _Z39paged_attention_ll4mi_QKV_mfma16_kernelIDF16_hLN4vllm18Fp8KVCacheDataTypeE1EDF16_Li32ELi64ELi256ELb0ELi7EEvPKT_PKT0_S7_ifPKiS9_S9_iPKfiiiPfSC_PS2_PT2_iSB_SB_.has_indirect_call, or(0, .L__assert_fail.has_indirect_call)
	.section	.AMDGPU.csdata,"",@progbits
; Kernel info:
; codeLenInByte = 68
; TotalNumSgprs: 36
; NumVgprs: 51
; ScratchSize: 64
; MemoryBound: 0
; FloatMode: 240
; IeeeMode: 1
; LDSByteSize: 0 bytes/workgroup (compile time only)
; SGPRBlocks: 0
; VGPRBlocks: 3
; NumSGPRsForWavesPerEU: 36
; NumVGPRsForWavesPerEU: 51
; NamedBarCnt: 0
; Occupancy: 16
; WaveLimiterHint : 1
; COMPUTE_PGM_RSRC2:SCRATCH_EN: 1
; COMPUTE_PGM_RSRC2:USER_SGPR: 2
; COMPUTE_PGM_RSRC2:TRAP_HANDLER: 0
; COMPUTE_PGM_RSRC2:TGID_X_EN: 1
; COMPUTE_PGM_RSRC2:TGID_Y_EN: 0
; COMPUTE_PGM_RSRC2:TGID_Z_EN: 0
; COMPUTE_PGM_RSRC2:TIDIG_COMP_CNT: 0
	.section	.text._Z39paged_attention_ll4mi_QKV_mfma16_kernelIDF16_hLN4vllm18Fp8KVCacheDataTypeE1EDF16_Li32ELi64ELi256ELb0ELi8EEvPKT_PKT0_S7_ifPKiS9_S9_iPKfiiiPfSC_PS2_PT2_iSB_SB_,"axG",@progbits,_Z39paged_attention_ll4mi_QKV_mfma16_kernelIDF16_hLN4vllm18Fp8KVCacheDataTypeE1EDF16_Li32ELi64ELi256ELb0ELi8EEvPKT_PKT0_S7_ifPKiS9_S9_iPKfiiiPfSC_PS2_PT2_iSB_SB_,comdat
	.protected	_Z39paged_attention_ll4mi_QKV_mfma16_kernelIDF16_hLN4vllm18Fp8KVCacheDataTypeE1EDF16_Li32ELi64ELi256ELb0ELi8EEvPKT_PKT0_S7_ifPKiS9_S9_iPKfiiiPfSC_PS2_PT2_iSB_SB_ ; -- Begin function _Z39paged_attention_ll4mi_QKV_mfma16_kernelIDF16_hLN4vllm18Fp8KVCacheDataTypeE1EDF16_Li32ELi64ELi256ELb0ELi8EEvPKT_PKT0_S7_ifPKiS9_S9_iPKfiiiPfSC_PS2_PT2_iSB_SB_
	.globl	_Z39paged_attention_ll4mi_QKV_mfma16_kernelIDF16_hLN4vllm18Fp8KVCacheDataTypeE1EDF16_Li32ELi64ELi256ELb0ELi8EEvPKT_PKT0_S7_ifPKiS9_S9_iPKfiiiPfSC_PS2_PT2_iSB_SB_
	.p2align	8
	.type	_Z39paged_attention_ll4mi_QKV_mfma16_kernelIDF16_hLN4vllm18Fp8KVCacheDataTypeE1EDF16_Li32ELi64ELi256ELb0ELi8EEvPKT_PKT0_S7_ifPKiS9_S9_iPKfiiiPfSC_PS2_PT2_iSB_SB_,@function
_Z39paged_attention_ll4mi_QKV_mfma16_kernelIDF16_hLN4vllm18Fp8KVCacheDataTypeE1EDF16_Li32ELi64ELi256ELb0ELi8EEvPKT_PKT0_S7_ifPKiS9_S9_iPKfiiiPfSC_PS2_PT2_iSB_SB_: ; @_Z39paged_attention_ll4mi_QKV_mfma16_kernelIDF16_hLN4vllm18Fp8KVCacheDataTypeE1EDF16_Li32ELi64ELi256ELb0ELi8EEvPKT_PKT0_S7_ifPKiS9_S9_iPKfiiiPfSC_PS2_PT2_iSB_SB_
; %bb.0:
	s_get_pc_i64 s[2:3]
	s_add_nc_u64 s[2:3], s[2:3], __PRETTY_FUNCTION__._Z39paged_attention_ll4mi_QKV_mfma16_kernelIDF16_hLN4vllm18Fp8KVCacheDataTypeE1EDF16_Li32ELi64ELi256ELb0ELi8EEvPKT_PKT0_S7_ifPKiS9_S9_iPKfiiiPfSC_PS2_PT2_iSB_SB_@rel64+4
	s_delay_alu instid0(SALU_CYCLE_1)
	v_dual_mov_b32 v0, 0xbb3 :: v_dual_mov_b32 v1, s2
	v_mov_b32_e32 v2, s3
	s_add_nc_u64 s[8:9], s[0:1], 0x90
	s_get_pc_i64 s[0:1]
	s_add_nc_u64 s[0:1], s[0:1], __assert_fail@rel64+4
	s_mov_b32 s32, 0
	s_swap_pc_i64 s[30:31], s[0:1]
	.section	.rodata,"a",@progbits
	.p2align	6, 0x0
	.amdhsa_kernel _Z39paged_attention_ll4mi_QKV_mfma16_kernelIDF16_hLN4vllm18Fp8KVCacheDataTypeE1EDF16_Li32ELi64ELi256ELb0ELi8EEvPKT_PKT0_S7_ifPKiS9_S9_iPKfiiiPfSC_PS2_PT2_iSB_SB_
		.amdhsa_group_segment_fixed_size 0
		.amdhsa_private_segment_fixed_size 64
		.amdhsa_kernarg_size 400
		.amdhsa_user_sgpr_count 2
		.amdhsa_user_sgpr_dispatch_ptr 0
		.amdhsa_user_sgpr_queue_ptr 0
		.amdhsa_user_sgpr_kernarg_segment_ptr 1
		.amdhsa_user_sgpr_dispatch_id 0
		.amdhsa_user_sgpr_kernarg_preload_length 0
		.amdhsa_user_sgpr_kernarg_preload_offset 0
		.amdhsa_user_sgpr_private_segment_size 0
		.amdhsa_wavefront_size32 1
		.amdhsa_uses_dynamic_stack 0
		.amdhsa_enable_private_segment 1
		.amdhsa_system_sgpr_workgroup_id_x 1
		.amdhsa_system_sgpr_workgroup_id_y 0
		.amdhsa_system_sgpr_workgroup_id_z 0
		.amdhsa_system_sgpr_workgroup_info 0
		.amdhsa_system_vgpr_workitem_id 0
		.amdhsa_next_free_vgpr 51
		.amdhsa_next_free_sgpr 34
		.amdhsa_named_barrier_count 0
		.amdhsa_reserve_vcc 1
		.amdhsa_float_round_mode_32 0
		.amdhsa_float_round_mode_16_64 0
		.amdhsa_float_denorm_mode_32 3
		.amdhsa_float_denorm_mode_16_64 3
		.amdhsa_fp16_overflow 0
		.amdhsa_memory_ordered 1
		.amdhsa_forward_progress 1
		.amdhsa_inst_pref_size 1
		.amdhsa_round_robin_scheduling 0
		.amdhsa_exception_fp_ieee_invalid_op 0
		.amdhsa_exception_fp_denorm_src 0
		.amdhsa_exception_fp_ieee_div_zero 0
		.amdhsa_exception_fp_ieee_overflow 0
		.amdhsa_exception_fp_ieee_underflow 0
		.amdhsa_exception_fp_ieee_inexact 0
		.amdhsa_exception_int_div_zero 0
	.end_amdhsa_kernel
	.section	.text._Z39paged_attention_ll4mi_QKV_mfma16_kernelIDF16_hLN4vllm18Fp8KVCacheDataTypeE1EDF16_Li32ELi64ELi256ELb0ELi8EEvPKT_PKT0_S7_ifPKiS9_S9_iPKfiiiPfSC_PS2_PT2_iSB_SB_,"axG",@progbits,_Z39paged_attention_ll4mi_QKV_mfma16_kernelIDF16_hLN4vllm18Fp8KVCacheDataTypeE1EDF16_Li32ELi64ELi256ELb0ELi8EEvPKT_PKT0_S7_ifPKiS9_S9_iPKfiiiPfSC_PS2_PT2_iSB_SB_,comdat
.Lfunc_end917:
	.size	_Z39paged_attention_ll4mi_QKV_mfma16_kernelIDF16_hLN4vllm18Fp8KVCacheDataTypeE1EDF16_Li32ELi64ELi256ELb0ELi8EEvPKT_PKT0_S7_ifPKiS9_S9_iPKfiiiPfSC_PS2_PT2_iSB_SB_, .Lfunc_end917-_Z39paged_attention_ll4mi_QKV_mfma16_kernelIDF16_hLN4vllm18Fp8KVCacheDataTypeE1EDF16_Li32ELi64ELi256ELb0ELi8EEvPKT_PKT0_S7_ifPKiS9_S9_iPKfiiiPfSC_PS2_PT2_iSB_SB_
                                        ; -- End function
	.set _Z39paged_attention_ll4mi_QKV_mfma16_kernelIDF16_hLN4vllm18Fp8KVCacheDataTypeE1EDF16_Li32ELi64ELi256ELb0ELi8EEvPKT_PKT0_S7_ifPKiS9_S9_iPKfiiiPfSC_PS2_PT2_iSB_SB_.num_vgpr, max(3, .L__assert_fail.num_vgpr)
	.set _Z39paged_attention_ll4mi_QKV_mfma16_kernelIDF16_hLN4vllm18Fp8KVCacheDataTypeE1EDF16_Li32ELi64ELi256ELb0ELi8EEvPKT_PKT0_S7_ifPKiS9_S9_iPKfiiiPfSC_PS2_PT2_iSB_SB_.num_agpr, max(0, .L__assert_fail.num_agpr)
	.set _Z39paged_attention_ll4mi_QKV_mfma16_kernelIDF16_hLN4vllm18Fp8KVCacheDataTypeE1EDF16_Li32ELi64ELi256ELb0ELi8EEvPKT_PKT0_S7_ifPKiS9_S9_iPKfiiiPfSC_PS2_PT2_iSB_SB_.numbered_sgpr, max(33, .L__assert_fail.numbered_sgpr)
	.set _Z39paged_attention_ll4mi_QKV_mfma16_kernelIDF16_hLN4vllm18Fp8KVCacheDataTypeE1EDF16_Li32ELi64ELi256ELb0ELi8EEvPKT_PKT0_S7_ifPKiS9_S9_iPKfiiiPfSC_PS2_PT2_iSB_SB_.num_named_barrier, max(0, .L__assert_fail.num_named_barrier)
	.set _Z39paged_attention_ll4mi_QKV_mfma16_kernelIDF16_hLN4vllm18Fp8KVCacheDataTypeE1EDF16_Li32ELi64ELi256ELb0ELi8EEvPKT_PKT0_S7_ifPKiS9_S9_iPKfiiiPfSC_PS2_PT2_iSB_SB_.private_seg_size, 0+max(.L__assert_fail.private_seg_size)
	.set _Z39paged_attention_ll4mi_QKV_mfma16_kernelIDF16_hLN4vllm18Fp8KVCacheDataTypeE1EDF16_Li32ELi64ELi256ELb0ELi8EEvPKT_PKT0_S7_ifPKiS9_S9_iPKfiiiPfSC_PS2_PT2_iSB_SB_.uses_vcc, or(1, .L__assert_fail.uses_vcc)
	.set _Z39paged_attention_ll4mi_QKV_mfma16_kernelIDF16_hLN4vllm18Fp8KVCacheDataTypeE1EDF16_Li32ELi64ELi256ELb0ELi8EEvPKT_PKT0_S7_ifPKiS9_S9_iPKfiiiPfSC_PS2_PT2_iSB_SB_.uses_flat_scratch, or(0, .L__assert_fail.uses_flat_scratch)
	.set _Z39paged_attention_ll4mi_QKV_mfma16_kernelIDF16_hLN4vllm18Fp8KVCacheDataTypeE1EDF16_Li32ELi64ELi256ELb0ELi8EEvPKT_PKT0_S7_ifPKiS9_S9_iPKfiiiPfSC_PS2_PT2_iSB_SB_.has_dyn_sized_stack, or(0, .L__assert_fail.has_dyn_sized_stack)
	.set _Z39paged_attention_ll4mi_QKV_mfma16_kernelIDF16_hLN4vllm18Fp8KVCacheDataTypeE1EDF16_Li32ELi64ELi256ELb0ELi8EEvPKT_PKT0_S7_ifPKiS9_S9_iPKfiiiPfSC_PS2_PT2_iSB_SB_.has_recursion, or(0, .L__assert_fail.has_recursion)
	.set _Z39paged_attention_ll4mi_QKV_mfma16_kernelIDF16_hLN4vllm18Fp8KVCacheDataTypeE1EDF16_Li32ELi64ELi256ELb0ELi8EEvPKT_PKT0_S7_ifPKiS9_S9_iPKfiiiPfSC_PS2_PT2_iSB_SB_.has_indirect_call, or(0, .L__assert_fail.has_indirect_call)
	.section	.AMDGPU.csdata,"",@progbits
; Kernel info:
; codeLenInByte = 68
; TotalNumSgprs: 36
; NumVgprs: 51
; ScratchSize: 64
; MemoryBound: 0
; FloatMode: 240
; IeeeMode: 1
; LDSByteSize: 0 bytes/workgroup (compile time only)
; SGPRBlocks: 0
; VGPRBlocks: 3
; NumSGPRsForWavesPerEU: 36
; NumVGPRsForWavesPerEU: 51
; NamedBarCnt: 0
; Occupancy: 16
; WaveLimiterHint : 1
; COMPUTE_PGM_RSRC2:SCRATCH_EN: 1
; COMPUTE_PGM_RSRC2:USER_SGPR: 2
; COMPUTE_PGM_RSRC2:TRAP_HANDLER: 0
; COMPUTE_PGM_RSRC2:TGID_X_EN: 1
; COMPUTE_PGM_RSRC2:TGID_Y_EN: 0
; COMPUTE_PGM_RSRC2:TGID_Z_EN: 0
; COMPUTE_PGM_RSRC2:TIDIG_COMP_CNT: 0
	.section	.text._Z39paged_attention_ll4mi_QKV_mfma16_kernelIDF16_hLN4vllm18Fp8KVCacheDataTypeE1EDF16_Li32ELi64ELi256ELb0ELi9EEvPKT_PKT0_S7_ifPKiS9_S9_iPKfiiiPfSC_PS2_PT2_iSB_SB_,"axG",@progbits,_Z39paged_attention_ll4mi_QKV_mfma16_kernelIDF16_hLN4vllm18Fp8KVCacheDataTypeE1EDF16_Li32ELi64ELi256ELb0ELi9EEvPKT_PKT0_S7_ifPKiS9_S9_iPKfiiiPfSC_PS2_PT2_iSB_SB_,comdat
	.protected	_Z39paged_attention_ll4mi_QKV_mfma16_kernelIDF16_hLN4vllm18Fp8KVCacheDataTypeE1EDF16_Li32ELi64ELi256ELb0ELi9EEvPKT_PKT0_S7_ifPKiS9_S9_iPKfiiiPfSC_PS2_PT2_iSB_SB_ ; -- Begin function _Z39paged_attention_ll4mi_QKV_mfma16_kernelIDF16_hLN4vllm18Fp8KVCacheDataTypeE1EDF16_Li32ELi64ELi256ELb0ELi9EEvPKT_PKT0_S7_ifPKiS9_S9_iPKfiiiPfSC_PS2_PT2_iSB_SB_
	.globl	_Z39paged_attention_ll4mi_QKV_mfma16_kernelIDF16_hLN4vllm18Fp8KVCacheDataTypeE1EDF16_Li32ELi64ELi256ELb0ELi9EEvPKT_PKT0_S7_ifPKiS9_S9_iPKfiiiPfSC_PS2_PT2_iSB_SB_
	.p2align	8
	.type	_Z39paged_attention_ll4mi_QKV_mfma16_kernelIDF16_hLN4vllm18Fp8KVCacheDataTypeE1EDF16_Li32ELi64ELi256ELb0ELi9EEvPKT_PKT0_S7_ifPKiS9_S9_iPKfiiiPfSC_PS2_PT2_iSB_SB_,@function
_Z39paged_attention_ll4mi_QKV_mfma16_kernelIDF16_hLN4vllm18Fp8KVCacheDataTypeE1EDF16_Li32ELi64ELi256ELb0ELi9EEvPKT_PKT0_S7_ifPKiS9_S9_iPKfiiiPfSC_PS2_PT2_iSB_SB_: ; @_Z39paged_attention_ll4mi_QKV_mfma16_kernelIDF16_hLN4vllm18Fp8KVCacheDataTypeE1EDF16_Li32ELi64ELi256ELb0ELi9EEvPKT_PKT0_S7_ifPKiS9_S9_iPKfiiiPfSC_PS2_PT2_iSB_SB_
; %bb.0:
	s_get_pc_i64 s[2:3]
	s_add_nc_u64 s[2:3], s[2:3], __PRETTY_FUNCTION__._Z39paged_attention_ll4mi_QKV_mfma16_kernelIDF16_hLN4vllm18Fp8KVCacheDataTypeE1EDF16_Li32ELi64ELi256ELb0ELi9EEvPKT_PKT0_S7_ifPKiS9_S9_iPKfiiiPfSC_PS2_PT2_iSB_SB_@rel64+4
	s_delay_alu instid0(SALU_CYCLE_1)
	v_dual_mov_b32 v0, 0xbb3 :: v_dual_mov_b32 v1, s2
	v_mov_b32_e32 v2, s3
	s_add_nc_u64 s[8:9], s[0:1], 0x90
	s_get_pc_i64 s[0:1]
	s_add_nc_u64 s[0:1], s[0:1], __assert_fail@rel64+4
	s_mov_b32 s32, 0
	s_swap_pc_i64 s[30:31], s[0:1]
	.section	.rodata,"a",@progbits
	.p2align	6, 0x0
	.amdhsa_kernel _Z39paged_attention_ll4mi_QKV_mfma16_kernelIDF16_hLN4vllm18Fp8KVCacheDataTypeE1EDF16_Li32ELi64ELi256ELb0ELi9EEvPKT_PKT0_S7_ifPKiS9_S9_iPKfiiiPfSC_PS2_PT2_iSB_SB_
		.amdhsa_group_segment_fixed_size 0
		.amdhsa_private_segment_fixed_size 64
		.amdhsa_kernarg_size 400
		.amdhsa_user_sgpr_count 2
		.amdhsa_user_sgpr_dispatch_ptr 0
		.amdhsa_user_sgpr_queue_ptr 0
		.amdhsa_user_sgpr_kernarg_segment_ptr 1
		.amdhsa_user_sgpr_dispatch_id 0
		.amdhsa_user_sgpr_kernarg_preload_length 0
		.amdhsa_user_sgpr_kernarg_preload_offset 0
		.amdhsa_user_sgpr_private_segment_size 0
		.amdhsa_wavefront_size32 1
		.amdhsa_uses_dynamic_stack 0
		.amdhsa_enable_private_segment 1
		.amdhsa_system_sgpr_workgroup_id_x 1
		.amdhsa_system_sgpr_workgroup_id_y 0
		.amdhsa_system_sgpr_workgroup_id_z 0
		.amdhsa_system_sgpr_workgroup_info 0
		.amdhsa_system_vgpr_workitem_id 0
		.amdhsa_next_free_vgpr 51
		.amdhsa_next_free_sgpr 34
		.amdhsa_named_barrier_count 0
		.amdhsa_reserve_vcc 1
		.amdhsa_float_round_mode_32 0
		.amdhsa_float_round_mode_16_64 0
		.amdhsa_float_denorm_mode_32 3
		.amdhsa_float_denorm_mode_16_64 3
		.amdhsa_fp16_overflow 0
		.amdhsa_memory_ordered 1
		.amdhsa_forward_progress 1
		.amdhsa_inst_pref_size 1
		.amdhsa_round_robin_scheduling 0
		.amdhsa_exception_fp_ieee_invalid_op 0
		.amdhsa_exception_fp_denorm_src 0
		.amdhsa_exception_fp_ieee_div_zero 0
		.amdhsa_exception_fp_ieee_overflow 0
		.amdhsa_exception_fp_ieee_underflow 0
		.amdhsa_exception_fp_ieee_inexact 0
		.amdhsa_exception_int_div_zero 0
	.end_amdhsa_kernel
	.section	.text._Z39paged_attention_ll4mi_QKV_mfma16_kernelIDF16_hLN4vllm18Fp8KVCacheDataTypeE1EDF16_Li32ELi64ELi256ELb0ELi9EEvPKT_PKT0_S7_ifPKiS9_S9_iPKfiiiPfSC_PS2_PT2_iSB_SB_,"axG",@progbits,_Z39paged_attention_ll4mi_QKV_mfma16_kernelIDF16_hLN4vllm18Fp8KVCacheDataTypeE1EDF16_Li32ELi64ELi256ELb0ELi9EEvPKT_PKT0_S7_ifPKiS9_S9_iPKfiiiPfSC_PS2_PT2_iSB_SB_,comdat
.Lfunc_end918:
	.size	_Z39paged_attention_ll4mi_QKV_mfma16_kernelIDF16_hLN4vllm18Fp8KVCacheDataTypeE1EDF16_Li32ELi64ELi256ELb0ELi9EEvPKT_PKT0_S7_ifPKiS9_S9_iPKfiiiPfSC_PS2_PT2_iSB_SB_, .Lfunc_end918-_Z39paged_attention_ll4mi_QKV_mfma16_kernelIDF16_hLN4vllm18Fp8KVCacheDataTypeE1EDF16_Li32ELi64ELi256ELb0ELi9EEvPKT_PKT0_S7_ifPKiS9_S9_iPKfiiiPfSC_PS2_PT2_iSB_SB_
                                        ; -- End function
	.set _Z39paged_attention_ll4mi_QKV_mfma16_kernelIDF16_hLN4vllm18Fp8KVCacheDataTypeE1EDF16_Li32ELi64ELi256ELb0ELi9EEvPKT_PKT0_S7_ifPKiS9_S9_iPKfiiiPfSC_PS2_PT2_iSB_SB_.num_vgpr, max(3, .L__assert_fail.num_vgpr)
	.set _Z39paged_attention_ll4mi_QKV_mfma16_kernelIDF16_hLN4vllm18Fp8KVCacheDataTypeE1EDF16_Li32ELi64ELi256ELb0ELi9EEvPKT_PKT0_S7_ifPKiS9_S9_iPKfiiiPfSC_PS2_PT2_iSB_SB_.num_agpr, max(0, .L__assert_fail.num_agpr)
	.set _Z39paged_attention_ll4mi_QKV_mfma16_kernelIDF16_hLN4vllm18Fp8KVCacheDataTypeE1EDF16_Li32ELi64ELi256ELb0ELi9EEvPKT_PKT0_S7_ifPKiS9_S9_iPKfiiiPfSC_PS2_PT2_iSB_SB_.numbered_sgpr, max(33, .L__assert_fail.numbered_sgpr)
	.set _Z39paged_attention_ll4mi_QKV_mfma16_kernelIDF16_hLN4vllm18Fp8KVCacheDataTypeE1EDF16_Li32ELi64ELi256ELb0ELi9EEvPKT_PKT0_S7_ifPKiS9_S9_iPKfiiiPfSC_PS2_PT2_iSB_SB_.num_named_barrier, max(0, .L__assert_fail.num_named_barrier)
	.set _Z39paged_attention_ll4mi_QKV_mfma16_kernelIDF16_hLN4vllm18Fp8KVCacheDataTypeE1EDF16_Li32ELi64ELi256ELb0ELi9EEvPKT_PKT0_S7_ifPKiS9_S9_iPKfiiiPfSC_PS2_PT2_iSB_SB_.private_seg_size, 0+max(.L__assert_fail.private_seg_size)
	.set _Z39paged_attention_ll4mi_QKV_mfma16_kernelIDF16_hLN4vllm18Fp8KVCacheDataTypeE1EDF16_Li32ELi64ELi256ELb0ELi9EEvPKT_PKT0_S7_ifPKiS9_S9_iPKfiiiPfSC_PS2_PT2_iSB_SB_.uses_vcc, or(1, .L__assert_fail.uses_vcc)
	.set _Z39paged_attention_ll4mi_QKV_mfma16_kernelIDF16_hLN4vllm18Fp8KVCacheDataTypeE1EDF16_Li32ELi64ELi256ELb0ELi9EEvPKT_PKT0_S7_ifPKiS9_S9_iPKfiiiPfSC_PS2_PT2_iSB_SB_.uses_flat_scratch, or(0, .L__assert_fail.uses_flat_scratch)
	.set _Z39paged_attention_ll4mi_QKV_mfma16_kernelIDF16_hLN4vllm18Fp8KVCacheDataTypeE1EDF16_Li32ELi64ELi256ELb0ELi9EEvPKT_PKT0_S7_ifPKiS9_S9_iPKfiiiPfSC_PS2_PT2_iSB_SB_.has_dyn_sized_stack, or(0, .L__assert_fail.has_dyn_sized_stack)
	.set _Z39paged_attention_ll4mi_QKV_mfma16_kernelIDF16_hLN4vllm18Fp8KVCacheDataTypeE1EDF16_Li32ELi64ELi256ELb0ELi9EEvPKT_PKT0_S7_ifPKiS9_S9_iPKfiiiPfSC_PS2_PT2_iSB_SB_.has_recursion, or(0, .L__assert_fail.has_recursion)
	.set _Z39paged_attention_ll4mi_QKV_mfma16_kernelIDF16_hLN4vllm18Fp8KVCacheDataTypeE1EDF16_Li32ELi64ELi256ELb0ELi9EEvPKT_PKT0_S7_ifPKiS9_S9_iPKfiiiPfSC_PS2_PT2_iSB_SB_.has_indirect_call, or(0, .L__assert_fail.has_indirect_call)
	.section	.AMDGPU.csdata,"",@progbits
; Kernel info:
; codeLenInByte = 68
; TotalNumSgprs: 36
; NumVgprs: 51
; ScratchSize: 64
; MemoryBound: 0
; FloatMode: 240
; IeeeMode: 1
; LDSByteSize: 0 bytes/workgroup (compile time only)
; SGPRBlocks: 0
; VGPRBlocks: 3
; NumSGPRsForWavesPerEU: 36
; NumVGPRsForWavesPerEU: 51
; NamedBarCnt: 0
; Occupancy: 16
; WaveLimiterHint : 1
; COMPUTE_PGM_RSRC2:SCRATCH_EN: 1
; COMPUTE_PGM_RSRC2:USER_SGPR: 2
; COMPUTE_PGM_RSRC2:TRAP_HANDLER: 0
; COMPUTE_PGM_RSRC2:TGID_X_EN: 1
; COMPUTE_PGM_RSRC2:TGID_Y_EN: 0
; COMPUTE_PGM_RSRC2:TGID_Z_EN: 0
; COMPUTE_PGM_RSRC2:TIDIG_COMP_CNT: 0
	.section	.text._Z39paged_attention_ll4mi_QKV_mfma16_kernelIDF16_hLN4vllm18Fp8KVCacheDataTypeE1EDF16_Li32ELi64ELi256ELb0ELi10EEvPKT_PKT0_S7_ifPKiS9_S9_iPKfiiiPfSC_PS2_PT2_iSB_SB_,"axG",@progbits,_Z39paged_attention_ll4mi_QKV_mfma16_kernelIDF16_hLN4vllm18Fp8KVCacheDataTypeE1EDF16_Li32ELi64ELi256ELb0ELi10EEvPKT_PKT0_S7_ifPKiS9_S9_iPKfiiiPfSC_PS2_PT2_iSB_SB_,comdat
	.protected	_Z39paged_attention_ll4mi_QKV_mfma16_kernelIDF16_hLN4vllm18Fp8KVCacheDataTypeE1EDF16_Li32ELi64ELi256ELb0ELi10EEvPKT_PKT0_S7_ifPKiS9_S9_iPKfiiiPfSC_PS2_PT2_iSB_SB_ ; -- Begin function _Z39paged_attention_ll4mi_QKV_mfma16_kernelIDF16_hLN4vllm18Fp8KVCacheDataTypeE1EDF16_Li32ELi64ELi256ELb0ELi10EEvPKT_PKT0_S7_ifPKiS9_S9_iPKfiiiPfSC_PS2_PT2_iSB_SB_
	.globl	_Z39paged_attention_ll4mi_QKV_mfma16_kernelIDF16_hLN4vllm18Fp8KVCacheDataTypeE1EDF16_Li32ELi64ELi256ELb0ELi10EEvPKT_PKT0_S7_ifPKiS9_S9_iPKfiiiPfSC_PS2_PT2_iSB_SB_
	.p2align	8
	.type	_Z39paged_attention_ll4mi_QKV_mfma16_kernelIDF16_hLN4vllm18Fp8KVCacheDataTypeE1EDF16_Li32ELi64ELi256ELb0ELi10EEvPKT_PKT0_S7_ifPKiS9_S9_iPKfiiiPfSC_PS2_PT2_iSB_SB_,@function
_Z39paged_attention_ll4mi_QKV_mfma16_kernelIDF16_hLN4vllm18Fp8KVCacheDataTypeE1EDF16_Li32ELi64ELi256ELb0ELi10EEvPKT_PKT0_S7_ifPKiS9_S9_iPKfiiiPfSC_PS2_PT2_iSB_SB_: ; @_Z39paged_attention_ll4mi_QKV_mfma16_kernelIDF16_hLN4vllm18Fp8KVCacheDataTypeE1EDF16_Li32ELi64ELi256ELb0ELi10EEvPKT_PKT0_S7_ifPKiS9_S9_iPKfiiiPfSC_PS2_PT2_iSB_SB_
; %bb.0:
	s_get_pc_i64 s[2:3]
	s_add_nc_u64 s[2:3], s[2:3], __PRETTY_FUNCTION__._Z39paged_attention_ll4mi_QKV_mfma16_kernelIDF16_hLN4vllm18Fp8KVCacheDataTypeE1EDF16_Li32ELi64ELi256ELb0ELi10EEvPKT_PKT0_S7_ifPKiS9_S9_iPKfiiiPfSC_PS2_PT2_iSB_SB_@rel64+4
	s_delay_alu instid0(SALU_CYCLE_1)
	v_dual_mov_b32 v0, 0xbb3 :: v_dual_mov_b32 v1, s2
	v_mov_b32_e32 v2, s3
	s_add_nc_u64 s[8:9], s[0:1], 0x90
	s_get_pc_i64 s[0:1]
	s_add_nc_u64 s[0:1], s[0:1], __assert_fail@rel64+4
	s_mov_b32 s32, 0
	s_swap_pc_i64 s[30:31], s[0:1]
	.section	.rodata,"a",@progbits
	.p2align	6, 0x0
	.amdhsa_kernel _Z39paged_attention_ll4mi_QKV_mfma16_kernelIDF16_hLN4vllm18Fp8KVCacheDataTypeE1EDF16_Li32ELi64ELi256ELb0ELi10EEvPKT_PKT0_S7_ifPKiS9_S9_iPKfiiiPfSC_PS2_PT2_iSB_SB_
		.amdhsa_group_segment_fixed_size 0
		.amdhsa_private_segment_fixed_size 64
		.amdhsa_kernarg_size 400
		.amdhsa_user_sgpr_count 2
		.amdhsa_user_sgpr_dispatch_ptr 0
		.amdhsa_user_sgpr_queue_ptr 0
		.amdhsa_user_sgpr_kernarg_segment_ptr 1
		.amdhsa_user_sgpr_dispatch_id 0
		.amdhsa_user_sgpr_kernarg_preload_length 0
		.amdhsa_user_sgpr_kernarg_preload_offset 0
		.amdhsa_user_sgpr_private_segment_size 0
		.amdhsa_wavefront_size32 1
		.amdhsa_uses_dynamic_stack 0
		.amdhsa_enable_private_segment 1
		.amdhsa_system_sgpr_workgroup_id_x 1
		.amdhsa_system_sgpr_workgroup_id_y 0
		.amdhsa_system_sgpr_workgroup_id_z 0
		.amdhsa_system_sgpr_workgroup_info 0
		.amdhsa_system_vgpr_workitem_id 0
		.amdhsa_next_free_vgpr 51
		.amdhsa_next_free_sgpr 34
		.amdhsa_named_barrier_count 0
		.amdhsa_reserve_vcc 1
		.amdhsa_float_round_mode_32 0
		.amdhsa_float_round_mode_16_64 0
		.amdhsa_float_denorm_mode_32 3
		.amdhsa_float_denorm_mode_16_64 3
		.amdhsa_fp16_overflow 0
		.amdhsa_memory_ordered 1
		.amdhsa_forward_progress 1
		.amdhsa_inst_pref_size 1
		.amdhsa_round_robin_scheduling 0
		.amdhsa_exception_fp_ieee_invalid_op 0
		.amdhsa_exception_fp_denorm_src 0
		.amdhsa_exception_fp_ieee_div_zero 0
		.amdhsa_exception_fp_ieee_overflow 0
		.amdhsa_exception_fp_ieee_underflow 0
		.amdhsa_exception_fp_ieee_inexact 0
		.amdhsa_exception_int_div_zero 0
	.end_amdhsa_kernel
	.section	.text._Z39paged_attention_ll4mi_QKV_mfma16_kernelIDF16_hLN4vllm18Fp8KVCacheDataTypeE1EDF16_Li32ELi64ELi256ELb0ELi10EEvPKT_PKT0_S7_ifPKiS9_S9_iPKfiiiPfSC_PS2_PT2_iSB_SB_,"axG",@progbits,_Z39paged_attention_ll4mi_QKV_mfma16_kernelIDF16_hLN4vllm18Fp8KVCacheDataTypeE1EDF16_Li32ELi64ELi256ELb0ELi10EEvPKT_PKT0_S7_ifPKiS9_S9_iPKfiiiPfSC_PS2_PT2_iSB_SB_,comdat
.Lfunc_end919:
	.size	_Z39paged_attention_ll4mi_QKV_mfma16_kernelIDF16_hLN4vllm18Fp8KVCacheDataTypeE1EDF16_Li32ELi64ELi256ELb0ELi10EEvPKT_PKT0_S7_ifPKiS9_S9_iPKfiiiPfSC_PS2_PT2_iSB_SB_, .Lfunc_end919-_Z39paged_attention_ll4mi_QKV_mfma16_kernelIDF16_hLN4vllm18Fp8KVCacheDataTypeE1EDF16_Li32ELi64ELi256ELb0ELi10EEvPKT_PKT0_S7_ifPKiS9_S9_iPKfiiiPfSC_PS2_PT2_iSB_SB_
                                        ; -- End function
	.set _Z39paged_attention_ll4mi_QKV_mfma16_kernelIDF16_hLN4vllm18Fp8KVCacheDataTypeE1EDF16_Li32ELi64ELi256ELb0ELi10EEvPKT_PKT0_S7_ifPKiS9_S9_iPKfiiiPfSC_PS2_PT2_iSB_SB_.num_vgpr, max(3, .L__assert_fail.num_vgpr)
	.set _Z39paged_attention_ll4mi_QKV_mfma16_kernelIDF16_hLN4vllm18Fp8KVCacheDataTypeE1EDF16_Li32ELi64ELi256ELb0ELi10EEvPKT_PKT0_S7_ifPKiS9_S9_iPKfiiiPfSC_PS2_PT2_iSB_SB_.num_agpr, max(0, .L__assert_fail.num_agpr)
	.set _Z39paged_attention_ll4mi_QKV_mfma16_kernelIDF16_hLN4vllm18Fp8KVCacheDataTypeE1EDF16_Li32ELi64ELi256ELb0ELi10EEvPKT_PKT0_S7_ifPKiS9_S9_iPKfiiiPfSC_PS2_PT2_iSB_SB_.numbered_sgpr, max(33, .L__assert_fail.numbered_sgpr)
	.set _Z39paged_attention_ll4mi_QKV_mfma16_kernelIDF16_hLN4vllm18Fp8KVCacheDataTypeE1EDF16_Li32ELi64ELi256ELb0ELi10EEvPKT_PKT0_S7_ifPKiS9_S9_iPKfiiiPfSC_PS2_PT2_iSB_SB_.num_named_barrier, max(0, .L__assert_fail.num_named_barrier)
	.set _Z39paged_attention_ll4mi_QKV_mfma16_kernelIDF16_hLN4vllm18Fp8KVCacheDataTypeE1EDF16_Li32ELi64ELi256ELb0ELi10EEvPKT_PKT0_S7_ifPKiS9_S9_iPKfiiiPfSC_PS2_PT2_iSB_SB_.private_seg_size, 0+max(.L__assert_fail.private_seg_size)
	.set _Z39paged_attention_ll4mi_QKV_mfma16_kernelIDF16_hLN4vllm18Fp8KVCacheDataTypeE1EDF16_Li32ELi64ELi256ELb0ELi10EEvPKT_PKT0_S7_ifPKiS9_S9_iPKfiiiPfSC_PS2_PT2_iSB_SB_.uses_vcc, or(1, .L__assert_fail.uses_vcc)
	.set _Z39paged_attention_ll4mi_QKV_mfma16_kernelIDF16_hLN4vllm18Fp8KVCacheDataTypeE1EDF16_Li32ELi64ELi256ELb0ELi10EEvPKT_PKT0_S7_ifPKiS9_S9_iPKfiiiPfSC_PS2_PT2_iSB_SB_.uses_flat_scratch, or(0, .L__assert_fail.uses_flat_scratch)
	.set _Z39paged_attention_ll4mi_QKV_mfma16_kernelIDF16_hLN4vllm18Fp8KVCacheDataTypeE1EDF16_Li32ELi64ELi256ELb0ELi10EEvPKT_PKT0_S7_ifPKiS9_S9_iPKfiiiPfSC_PS2_PT2_iSB_SB_.has_dyn_sized_stack, or(0, .L__assert_fail.has_dyn_sized_stack)
	.set _Z39paged_attention_ll4mi_QKV_mfma16_kernelIDF16_hLN4vllm18Fp8KVCacheDataTypeE1EDF16_Li32ELi64ELi256ELb0ELi10EEvPKT_PKT0_S7_ifPKiS9_S9_iPKfiiiPfSC_PS2_PT2_iSB_SB_.has_recursion, or(0, .L__assert_fail.has_recursion)
	.set _Z39paged_attention_ll4mi_QKV_mfma16_kernelIDF16_hLN4vllm18Fp8KVCacheDataTypeE1EDF16_Li32ELi64ELi256ELb0ELi10EEvPKT_PKT0_S7_ifPKiS9_S9_iPKfiiiPfSC_PS2_PT2_iSB_SB_.has_indirect_call, or(0, .L__assert_fail.has_indirect_call)
	.section	.AMDGPU.csdata,"",@progbits
; Kernel info:
; codeLenInByte = 68
; TotalNumSgprs: 36
; NumVgprs: 51
; ScratchSize: 64
; MemoryBound: 0
; FloatMode: 240
; IeeeMode: 1
; LDSByteSize: 0 bytes/workgroup (compile time only)
; SGPRBlocks: 0
; VGPRBlocks: 3
; NumSGPRsForWavesPerEU: 36
; NumVGPRsForWavesPerEU: 51
; NamedBarCnt: 0
; Occupancy: 16
; WaveLimiterHint : 1
; COMPUTE_PGM_RSRC2:SCRATCH_EN: 1
; COMPUTE_PGM_RSRC2:USER_SGPR: 2
; COMPUTE_PGM_RSRC2:TRAP_HANDLER: 0
; COMPUTE_PGM_RSRC2:TGID_X_EN: 1
; COMPUTE_PGM_RSRC2:TGID_Y_EN: 0
; COMPUTE_PGM_RSRC2:TGID_Z_EN: 0
; COMPUTE_PGM_RSRC2:TIDIG_COMP_CNT: 0
	.section	.text._Z39paged_attention_ll4mi_QKV_mfma16_kernelIDF16_hLN4vllm18Fp8KVCacheDataTypeE1EDF16_Li32ELi64ELi256ELb0ELi11EEvPKT_PKT0_S7_ifPKiS9_S9_iPKfiiiPfSC_PS2_PT2_iSB_SB_,"axG",@progbits,_Z39paged_attention_ll4mi_QKV_mfma16_kernelIDF16_hLN4vllm18Fp8KVCacheDataTypeE1EDF16_Li32ELi64ELi256ELb0ELi11EEvPKT_PKT0_S7_ifPKiS9_S9_iPKfiiiPfSC_PS2_PT2_iSB_SB_,comdat
	.protected	_Z39paged_attention_ll4mi_QKV_mfma16_kernelIDF16_hLN4vllm18Fp8KVCacheDataTypeE1EDF16_Li32ELi64ELi256ELb0ELi11EEvPKT_PKT0_S7_ifPKiS9_S9_iPKfiiiPfSC_PS2_PT2_iSB_SB_ ; -- Begin function _Z39paged_attention_ll4mi_QKV_mfma16_kernelIDF16_hLN4vllm18Fp8KVCacheDataTypeE1EDF16_Li32ELi64ELi256ELb0ELi11EEvPKT_PKT0_S7_ifPKiS9_S9_iPKfiiiPfSC_PS2_PT2_iSB_SB_
	.globl	_Z39paged_attention_ll4mi_QKV_mfma16_kernelIDF16_hLN4vllm18Fp8KVCacheDataTypeE1EDF16_Li32ELi64ELi256ELb0ELi11EEvPKT_PKT0_S7_ifPKiS9_S9_iPKfiiiPfSC_PS2_PT2_iSB_SB_
	.p2align	8
	.type	_Z39paged_attention_ll4mi_QKV_mfma16_kernelIDF16_hLN4vllm18Fp8KVCacheDataTypeE1EDF16_Li32ELi64ELi256ELb0ELi11EEvPKT_PKT0_S7_ifPKiS9_S9_iPKfiiiPfSC_PS2_PT2_iSB_SB_,@function
_Z39paged_attention_ll4mi_QKV_mfma16_kernelIDF16_hLN4vllm18Fp8KVCacheDataTypeE1EDF16_Li32ELi64ELi256ELb0ELi11EEvPKT_PKT0_S7_ifPKiS9_S9_iPKfiiiPfSC_PS2_PT2_iSB_SB_: ; @_Z39paged_attention_ll4mi_QKV_mfma16_kernelIDF16_hLN4vllm18Fp8KVCacheDataTypeE1EDF16_Li32ELi64ELi256ELb0ELi11EEvPKT_PKT0_S7_ifPKiS9_S9_iPKfiiiPfSC_PS2_PT2_iSB_SB_
; %bb.0:
	s_get_pc_i64 s[2:3]
	s_add_nc_u64 s[2:3], s[2:3], __PRETTY_FUNCTION__._Z39paged_attention_ll4mi_QKV_mfma16_kernelIDF16_hLN4vllm18Fp8KVCacheDataTypeE1EDF16_Li32ELi64ELi256ELb0ELi11EEvPKT_PKT0_S7_ifPKiS9_S9_iPKfiiiPfSC_PS2_PT2_iSB_SB_@rel64+4
	s_delay_alu instid0(SALU_CYCLE_1)
	v_dual_mov_b32 v0, 0xbb3 :: v_dual_mov_b32 v1, s2
	v_mov_b32_e32 v2, s3
	s_add_nc_u64 s[8:9], s[0:1], 0x90
	s_get_pc_i64 s[0:1]
	s_add_nc_u64 s[0:1], s[0:1], __assert_fail@rel64+4
	s_mov_b32 s32, 0
	s_swap_pc_i64 s[30:31], s[0:1]
	.section	.rodata,"a",@progbits
	.p2align	6, 0x0
	.amdhsa_kernel _Z39paged_attention_ll4mi_QKV_mfma16_kernelIDF16_hLN4vllm18Fp8KVCacheDataTypeE1EDF16_Li32ELi64ELi256ELb0ELi11EEvPKT_PKT0_S7_ifPKiS9_S9_iPKfiiiPfSC_PS2_PT2_iSB_SB_
		.amdhsa_group_segment_fixed_size 0
		.amdhsa_private_segment_fixed_size 64
		.amdhsa_kernarg_size 400
		.amdhsa_user_sgpr_count 2
		.amdhsa_user_sgpr_dispatch_ptr 0
		.amdhsa_user_sgpr_queue_ptr 0
		.amdhsa_user_sgpr_kernarg_segment_ptr 1
		.amdhsa_user_sgpr_dispatch_id 0
		.amdhsa_user_sgpr_kernarg_preload_length 0
		.amdhsa_user_sgpr_kernarg_preload_offset 0
		.amdhsa_user_sgpr_private_segment_size 0
		.amdhsa_wavefront_size32 1
		.amdhsa_uses_dynamic_stack 0
		.amdhsa_enable_private_segment 1
		.amdhsa_system_sgpr_workgroup_id_x 1
		.amdhsa_system_sgpr_workgroup_id_y 0
		.amdhsa_system_sgpr_workgroup_id_z 0
		.amdhsa_system_sgpr_workgroup_info 0
		.amdhsa_system_vgpr_workitem_id 0
		.amdhsa_next_free_vgpr 51
		.amdhsa_next_free_sgpr 34
		.amdhsa_named_barrier_count 0
		.amdhsa_reserve_vcc 1
		.amdhsa_float_round_mode_32 0
		.amdhsa_float_round_mode_16_64 0
		.amdhsa_float_denorm_mode_32 3
		.amdhsa_float_denorm_mode_16_64 3
		.amdhsa_fp16_overflow 0
		.amdhsa_memory_ordered 1
		.amdhsa_forward_progress 1
		.amdhsa_inst_pref_size 1
		.amdhsa_round_robin_scheduling 0
		.amdhsa_exception_fp_ieee_invalid_op 0
		.amdhsa_exception_fp_denorm_src 0
		.amdhsa_exception_fp_ieee_div_zero 0
		.amdhsa_exception_fp_ieee_overflow 0
		.amdhsa_exception_fp_ieee_underflow 0
		.amdhsa_exception_fp_ieee_inexact 0
		.amdhsa_exception_int_div_zero 0
	.end_amdhsa_kernel
	.section	.text._Z39paged_attention_ll4mi_QKV_mfma16_kernelIDF16_hLN4vllm18Fp8KVCacheDataTypeE1EDF16_Li32ELi64ELi256ELb0ELi11EEvPKT_PKT0_S7_ifPKiS9_S9_iPKfiiiPfSC_PS2_PT2_iSB_SB_,"axG",@progbits,_Z39paged_attention_ll4mi_QKV_mfma16_kernelIDF16_hLN4vllm18Fp8KVCacheDataTypeE1EDF16_Li32ELi64ELi256ELb0ELi11EEvPKT_PKT0_S7_ifPKiS9_S9_iPKfiiiPfSC_PS2_PT2_iSB_SB_,comdat
.Lfunc_end920:
	.size	_Z39paged_attention_ll4mi_QKV_mfma16_kernelIDF16_hLN4vllm18Fp8KVCacheDataTypeE1EDF16_Li32ELi64ELi256ELb0ELi11EEvPKT_PKT0_S7_ifPKiS9_S9_iPKfiiiPfSC_PS2_PT2_iSB_SB_, .Lfunc_end920-_Z39paged_attention_ll4mi_QKV_mfma16_kernelIDF16_hLN4vllm18Fp8KVCacheDataTypeE1EDF16_Li32ELi64ELi256ELb0ELi11EEvPKT_PKT0_S7_ifPKiS9_S9_iPKfiiiPfSC_PS2_PT2_iSB_SB_
                                        ; -- End function
	.set _Z39paged_attention_ll4mi_QKV_mfma16_kernelIDF16_hLN4vllm18Fp8KVCacheDataTypeE1EDF16_Li32ELi64ELi256ELb0ELi11EEvPKT_PKT0_S7_ifPKiS9_S9_iPKfiiiPfSC_PS2_PT2_iSB_SB_.num_vgpr, max(3, .L__assert_fail.num_vgpr)
	.set _Z39paged_attention_ll4mi_QKV_mfma16_kernelIDF16_hLN4vllm18Fp8KVCacheDataTypeE1EDF16_Li32ELi64ELi256ELb0ELi11EEvPKT_PKT0_S7_ifPKiS9_S9_iPKfiiiPfSC_PS2_PT2_iSB_SB_.num_agpr, max(0, .L__assert_fail.num_agpr)
	.set _Z39paged_attention_ll4mi_QKV_mfma16_kernelIDF16_hLN4vllm18Fp8KVCacheDataTypeE1EDF16_Li32ELi64ELi256ELb0ELi11EEvPKT_PKT0_S7_ifPKiS9_S9_iPKfiiiPfSC_PS2_PT2_iSB_SB_.numbered_sgpr, max(33, .L__assert_fail.numbered_sgpr)
	.set _Z39paged_attention_ll4mi_QKV_mfma16_kernelIDF16_hLN4vllm18Fp8KVCacheDataTypeE1EDF16_Li32ELi64ELi256ELb0ELi11EEvPKT_PKT0_S7_ifPKiS9_S9_iPKfiiiPfSC_PS2_PT2_iSB_SB_.num_named_barrier, max(0, .L__assert_fail.num_named_barrier)
	.set _Z39paged_attention_ll4mi_QKV_mfma16_kernelIDF16_hLN4vllm18Fp8KVCacheDataTypeE1EDF16_Li32ELi64ELi256ELb0ELi11EEvPKT_PKT0_S7_ifPKiS9_S9_iPKfiiiPfSC_PS2_PT2_iSB_SB_.private_seg_size, 0+max(.L__assert_fail.private_seg_size)
	.set _Z39paged_attention_ll4mi_QKV_mfma16_kernelIDF16_hLN4vllm18Fp8KVCacheDataTypeE1EDF16_Li32ELi64ELi256ELb0ELi11EEvPKT_PKT0_S7_ifPKiS9_S9_iPKfiiiPfSC_PS2_PT2_iSB_SB_.uses_vcc, or(1, .L__assert_fail.uses_vcc)
	.set _Z39paged_attention_ll4mi_QKV_mfma16_kernelIDF16_hLN4vllm18Fp8KVCacheDataTypeE1EDF16_Li32ELi64ELi256ELb0ELi11EEvPKT_PKT0_S7_ifPKiS9_S9_iPKfiiiPfSC_PS2_PT2_iSB_SB_.uses_flat_scratch, or(0, .L__assert_fail.uses_flat_scratch)
	.set _Z39paged_attention_ll4mi_QKV_mfma16_kernelIDF16_hLN4vllm18Fp8KVCacheDataTypeE1EDF16_Li32ELi64ELi256ELb0ELi11EEvPKT_PKT0_S7_ifPKiS9_S9_iPKfiiiPfSC_PS2_PT2_iSB_SB_.has_dyn_sized_stack, or(0, .L__assert_fail.has_dyn_sized_stack)
	.set _Z39paged_attention_ll4mi_QKV_mfma16_kernelIDF16_hLN4vllm18Fp8KVCacheDataTypeE1EDF16_Li32ELi64ELi256ELb0ELi11EEvPKT_PKT0_S7_ifPKiS9_S9_iPKfiiiPfSC_PS2_PT2_iSB_SB_.has_recursion, or(0, .L__assert_fail.has_recursion)
	.set _Z39paged_attention_ll4mi_QKV_mfma16_kernelIDF16_hLN4vllm18Fp8KVCacheDataTypeE1EDF16_Li32ELi64ELi256ELb0ELi11EEvPKT_PKT0_S7_ifPKiS9_S9_iPKfiiiPfSC_PS2_PT2_iSB_SB_.has_indirect_call, or(0, .L__assert_fail.has_indirect_call)
	.section	.AMDGPU.csdata,"",@progbits
; Kernel info:
; codeLenInByte = 68
; TotalNumSgprs: 36
; NumVgprs: 51
; ScratchSize: 64
; MemoryBound: 0
; FloatMode: 240
; IeeeMode: 1
; LDSByteSize: 0 bytes/workgroup (compile time only)
; SGPRBlocks: 0
; VGPRBlocks: 3
; NumSGPRsForWavesPerEU: 36
; NumVGPRsForWavesPerEU: 51
; NamedBarCnt: 0
; Occupancy: 16
; WaveLimiterHint : 1
; COMPUTE_PGM_RSRC2:SCRATCH_EN: 1
; COMPUTE_PGM_RSRC2:USER_SGPR: 2
; COMPUTE_PGM_RSRC2:TRAP_HANDLER: 0
; COMPUTE_PGM_RSRC2:TGID_X_EN: 1
; COMPUTE_PGM_RSRC2:TGID_Y_EN: 0
; COMPUTE_PGM_RSRC2:TGID_Z_EN: 0
; COMPUTE_PGM_RSRC2:TIDIG_COMP_CNT: 0
	.section	.text._Z39paged_attention_ll4mi_QKV_mfma16_kernelIDF16_hLN4vllm18Fp8KVCacheDataTypeE1EDF16_Li32ELi64ELi256ELb0ELi12EEvPKT_PKT0_S7_ifPKiS9_S9_iPKfiiiPfSC_PS2_PT2_iSB_SB_,"axG",@progbits,_Z39paged_attention_ll4mi_QKV_mfma16_kernelIDF16_hLN4vllm18Fp8KVCacheDataTypeE1EDF16_Li32ELi64ELi256ELb0ELi12EEvPKT_PKT0_S7_ifPKiS9_S9_iPKfiiiPfSC_PS2_PT2_iSB_SB_,comdat
	.protected	_Z39paged_attention_ll4mi_QKV_mfma16_kernelIDF16_hLN4vllm18Fp8KVCacheDataTypeE1EDF16_Li32ELi64ELi256ELb0ELi12EEvPKT_PKT0_S7_ifPKiS9_S9_iPKfiiiPfSC_PS2_PT2_iSB_SB_ ; -- Begin function _Z39paged_attention_ll4mi_QKV_mfma16_kernelIDF16_hLN4vllm18Fp8KVCacheDataTypeE1EDF16_Li32ELi64ELi256ELb0ELi12EEvPKT_PKT0_S7_ifPKiS9_S9_iPKfiiiPfSC_PS2_PT2_iSB_SB_
	.globl	_Z39paged_attention_ll4mi_QKV_mfma16_kernelIDF16_hLN4vllm18Fp8KVCacheDataTypeE1EDF16_Li32ELi64ELi256ELb0ELi12EEvPKT_PKT0_S7_ifPKiS9_S9_iPKfiiiPfSC_PS2_PT2_iSB_SB_
	.p2align	8
	.type	_Z39paged_attention_ll4mi_QKV_mfma16_kernelIDF16_hLN4vllm18Fp8KVCacheDataTypeE1EDF16_Li32ELi64ELi256ELb0ELi12EEvPKT_PKT0_S7_ifPKiS9_S9_iPKfiiiPfSC_PS2_PT2_iSB_SB_,@function
_Z39paged_attention_ll4mi_QKV_mfma16_kernelIDF16_hLN4vllm18Fp8KVCacheDataTypeE1EDF16_Li32ELi64ELi256ELb0ELi12EEvPKT_PKT0_S7_ifPKiS9_S9_iPKfiiiPfSC_PS2_PT2_iSB_SB_: ; @_Z39paged_attention_ll4mi_QKV_mfma16_kernelIDF16_hLN4vllm18Fp8KVCacheDataTypeE1EDF16_Li32ELi64ELi256ELb0ELi12EEvPKT_PKT0_S7_ifPKiS9_S9_iPKfiiiPfSC_PS2_PT2_iSB_SB_
; %bb.0:
	s_get_pc_i64 s[2:3]
	s_add_nc_u64 s[2:3], s[2:3], __PRETTY_FUNCTION__._Z39paged_attention_ll4mi_QKV_mfma16_kernelIDF16_hLN4vllm18Fp8KVCacheDataTypeE1EDF16_Li32ELi64ELi256ELb0ELi12EEvPKT_PKT0_S7_ifPKiS9_S9_iPKfiiiPfSC_PS2_PT2_iSB_SB_@rel64+4
	s_delay_alu instid0(SALU_CYCLE_1)
	v_dual_mov_b32 v0, 0xbb3 :: v_dual_mov_b32 v1, s2
	v_mov_b32_e32 v2, s3
	s_add_nc_u64 s[8:9], s[0:1], 0x90
	s_get_pc_i64 s[0:1]
	s_add_nc_u64 s[0:1], s[0:1], __assert_fail@rel64+4
	s_mov_b32 s32, 0
	s_swap_pc_i64 s[30:31], s[0:1]
	.section	.rodata,"a",@progbits
	.p2align	6, 0x0
	.amdhsa_kernel _Z39paged_attention_ll4mi_QKV_mfma16_kernelIDF16_hLN4vllm18Fp8KVCacheDataTypeE1EDF16_Li32ELi64ELi256ELb0ELi12EEvPKT_PKT0_S7_ifPKiS9_S9_iPKfiiiPfSC_PS2_PT2_iSB_SB_
		.amdhsa_group_segment_fixed_size 0
		.amdhsa_private_segment_fixed_size 64
		.amdhsa_kernarg_size 400
		.amdhsa_user_sgpr_count 2
		.amdhsa_user_sgpr_dispatch_ptr 0
		.amdhsa_user_sgpr_queue_ptr 0
		.amdhsa_user_sgpr_kernarg_segment_ptr 1
		.amdhsa_user_sgpr_dispatch_id 0
		.amdhsa_user_sgpr_kernarg_preload_length 0
		.amdhsa_user_sgpr_kernarg_preload_offset 0
		.amdhsa_user_sgpr_private_segment_size 0
		.amdhsa_wavefront_size32 1
		.amdhsa_uses_dynamic_stack 0
		.amdhsa_enable_private_segment 1
		.amdhsa_system_sgpr_workgroup_id_x 1
		.amdhsa_system_sgpr_workgroup_id_y 0
		.amdhsa_system_sgpr_workgroup_id_z 0
		.amdhsa_system_sgpr_workgroup_info 0
		.amdhsa_system_vgpr_workitem_id 0
		.amdhsa_next_free_vgpr 51
		.amdhsa_next_free_sgpr 34
		.amdhsa_named_barrier_count 0
		.amdhsa_reserve_vcc 1
		.amdhsa_float_round_mode_32 0
		.amdhsa_float_round_mode_16_64 0
		.amdhsa_float_denorm_mode_32 3
		.amdhsa_float_denorm_mode_16_64 3
		.amdhsa_fp16_overflow 0
		.amdhsa_memory_ordered 1
		.amdhsa_forward_progress 1
		.amdhsa_inst_pref_size 1
		.amdhsa_round_robin_scheduling 0
		.amdhsa_exception_fp_ieee_invalid_op 0
		.amdhsa_exception_fp_denorm_src 0
		.amdhsa_exception_fp_ieee_div_zero 0
		.amdhsa_exception_fp_ieee_overflow 0
		.amdhsa_exception_fp_ieee_underflow 0
		.amdhsa_exception_fp_ieee_inexact 0
		.amdhsa_exception_int_div_zero 0
	.end_amdhsa_kernel
	.section	.text._Z39paged_attention_ll4mi_QKV_mfma16_kernelIDF16_hLN4vllm18Fp8KVCacheDataTypeE1EDF16_Li32ELi64ELi256ELb0ELi12EEvPKT_PKT0_S7_ifPKiS9_S9_iPKfiiiPfSC_PS2_PT2_iSB_SB_,"axG",@progbits,_Z39paged_attention_ll4mi_QKV_mfma16_kernelIDF16_hLN4vllm18Fp8KVCacheDataTypeE1EDF16_Li32ELi64ELi256ELb0ELi12EEvPKT_PKT0_S7_ifPKiS9_S9_iPKfiiiPfSC_PS2_PT2_iSB_SB_,comdat
.Lfunc_end921:
	.size	_Z39paged_attention_ll4mi_QKV_mfma16_kernelIDF16_hLN4vllm18Fp8KVCacheDataTypeE1EDF16_Li32ELi64ELi256ELb0ELi12EEvPKT_PKT0_S7_ifPKiS9_S9_iPKfiiiPfSC_PS2_PT2_iSB_SB_, .Lfunc_end921-_Z39paged_attention_ll4mi_QKV_mfma16_kernelIDF16_hLN4vllm18Fp8KVCacheDataTypeE1EDF16_Li32ELi64ELi256ELb0ELi12EEvPKT_PKT0_S7_ifPKiS9_S9_iPKfiiiPfSC_PS2_PT2_iSB_SB_
                                        ; -- End function
	.set _Z39paged_attention_ll4mi_QKV_mfma16_kernelIDF16_hLN4vllm18Fp8KVCacheDataTypeE1EDF16_Li32ELi64ELi256ELb0ELi12EEvPKT_PKT0_S7_ifPKiS9_S9_iPKfiiiPfSC_PS2_PT2_iSB_SB_.num_vgpr, max(3, .L__assert_fail.num_vgpr)
	.set _Z39paged_attention_ll4mi_QKV_mfma16_kernelIDF16_hLN4vllm18Fp8KVCacheDataTypeE1EDF16_Li32ELi64ELi256ELb0ELi12EEvPKT_PKT0_S7_ifPKiS9_S9_iPKfiiiPfSC_PS2_PT2_iSB_SB_.num_agpr, max(0, .L__assert_fail.num_agpr)
	.set _Z39paged_attention_ll4mi_QKV_mfma16_kernelIDF16_hLN4vllm18Fp8KVCacheDataTypeE1EDF16_Li32ELi64ELi256ELb0ELi12EEvPKT_PKT0_S7_ifPKiS9_S9_iPKfiiiPfSC_PS2_PT2_iSB_SB_.numbered_sgpr, max(33, .L__assert_fail.numbered_sgpr)
	.set _Z39paged_attention_ll4mi_QKV_mfma16_kernelIDF16_hLN4vllm18Fp8KVCacheDataTypeE1EDF16_Li32ELi64ELi256ELb0ELi12EEvPKT_PKT0_S7_ifPKiS9_S9_iPKfiiiPfSC_PS2_PT2_iSB_SB_.num_named_barrier, max(0, .L__assert_fail.num_named_barrier)
	.set _Z39paged_attention_ll4mi_QKV_mfma16_kernelIDF16_hLN4vllm18Fp8KVCacheDataTypeE1EDF16_Li32ELi64ELi256ELb0ELi12EEvPKT_PKT0_S7_ifPKiS9_S9_iPKfiiiPfSC_PS2_PT2_iSB_SB_.private_seg_size, 0+max(.L__assert_fail.private_seg_size)
	.set _Z39paged_attention_ll4mi_QKV_mfma16_kernelIDF16_hLN4vllm18Fp8KVCacheDataTypeE1EDF16_Li32ELi64ELi256ELb0ELi12EEvPKT_PKT0_S7_ifPKiS9_S9_iPKfiiiPfSC_PS2_PT2_iSB_SB_.uses_vcc, or(1, .L__assert_fail.uses_vcc)
	.set _Z39paged_attention_ll4mi_QKV_mfma16_kernelIDF16_hLN4vllm18Fp8KVCacheDataTypeE1EDF16_Li32ELi64ELi256ELb0ELi12EEvPKT_PKT0_S7_ifPKiS9_S9_iPKfiiiPfSC_PS2_PT2_iSB_SB_.uses_flat_scratch, or(0, .L__assert_fail.uses_flat_scratch)
	.set _Z39paged_attention_ll4mi_QKV_mfma16_kernelIDF16_hLN4vllm18Fp8KVCacheDataTypeE1EDF16_Li32ELi64ELi256ELb0ELi12EEvPKT_PKT0_S7_ifPKiS9_S9_iPKfiiiPfSC_PS2_PT2_iSB_SB_.has_dyn_sized_stack, or(0, .L__assert_fail.has_dyn_sized_stack)
	.set _Z39paged_attention_ll4mi_QKV_mfma16_kernelIDF16_hLN4vllm18Fp8KVCacheDataTypeE1EDF16_Li32ELi64ELi256ELb0ELi12EEvPKT_PKT0_S7_ifPKiS9_S9_iPKfiiiPfSC_PS2_PT2_iSB_SB_.has_recursion, or(0, .L__assert_fail.has_recursion)
	.set _Z39paged_attention_ll4mi_QKV_mfma16_kernelIDF16_hLN4vllm18Fp8KVCacheDataTypeE1EDF16_Li32ELi64ELi256ELb0ELi12EEvPKT_PKT0_S7_ifPKiS9_S9_iPKfiiiPfSC_PS2_PT2_iSB_SB_.has_indirect_call, or(0, .L__assert_fail.has_indirect_call)
	.section	.AMDGPU.csdata,"",@progbits
; Kernel info:
; codeLenInByte = 68
; TotalNumSgprs: 36
; NumVgprs: 51
; ScratchSize: 64
; MemoryBound: 0
; FloatMode: 240
; IeeeMode: 1
; LDSByteSize: 0 bytes/workgroup (compile time only)
; SGPRBlocks: 0
; VGPRBlocks: 3
; NumSGPRsForWavesPerEU: 36
; NumVGPRsForWavesPerEU: 51
; NamedBarCnt: 0
; Occupancy: 16
; WaveLimiterHint : 1
; COMPUTE_PGM_RSRC2:SCRATCH_EN: 1
; COMPUTE_PGM_RSRC2:USER_SGPR: 2
; COMPUTE_PGM_RSRC2:TRAP_HANDLER: 0
; COMPUTE_PGM_RSRC2:TGID_X_EN: 1
; COMPUTE_PGM_RSRC2:TGID_Y_EN: 0
; COMPUTE_PGM_RSRC2:TGID_Z_EN: 0
; COMPUTE_PGM_RSRC2:TIDIG_COMP_CNT: 0
	.section	.text._Z39paged_attention_ll4mi_QKV_mfma16_kernelIDF16_hLN4vllm18Fp8KVCacheDataTypeE1EDF16_Li32ELi64ELi256ELb0ELi13EEvPKT_PKT0_S7_ifPKiS9_S9_iPKfiiiPfSC_PS2_PT2_iSB_SB_,"axG",@progbits,_Z39paged_attention_ll4mi_QKV_mfma16_kernelIDF16_hLN4vllm18Fp8KVCacheDataTypeE1EDF16_Li32ELi64ELi256ELb0ELi13EEvPKT_PKT0_S7_ifPKiS9_S9_iPKfiiiPfSC_PS2_PT2_iSB_SB_,comdat
	.protected	_Z39paged_attention_ll4mi_QKV_mfma16_kernelIDF16_hLN4vllm18Fp8KVCacheDataTypeE1EDF16_Li32ELi64ELi256ELb0ELi13EEvPKT_PKT0_S7_ifPKiS9_S9_iPKfiiiPfSC_PS2_PT2_iSB_SB_ ; -- Begin function _Z39paged_attention_ll4mi_QKV_mfma16_kernelIDF16_hLN4vllm18Fp8KVCacheDataTypeE1EDF16_Li32ELi64ELi256ELb0ELi13EEvPKT_PKT0_S7_ifPKiS9_S9_iPKfiiiPfSC_PS2_PT2_iSB_SB_
	.globl	_Z39paged_attention_ll4mi_QKV_mfma16_kernelIDF16_hLN4vllm18Fp8KVCacheDataTypeE1EDF16_Li32ELi64ELi256ELb0ELi13EEvPKT_PKT0_S7_ifPKiS9_S9_iPKfiiiPfSC_PS2_PT2_iSB_SB_
	.p2align	8
	.type	_Z39paged_attention_ll4mi_QKV_mfma16_kernelIDF16_hLN4vllm18Fp8KVCacheDataTypeE1EDF16_Li32ELi64ELi256ELb0ELi13EEvPKT_PKT0_S7_ifPKiS9_S9_iPKfiiiPfSC_PS2_PT2_iSB_SB_,@function
_Z39paged_attention_ll4mi_QKV_mfma16_kernelIDF16_hLN4vllm18Fp8KVCacheDataTypeE1EDF16_Li32ELi64ELi256ELb0ELi13EEvPKT_PKT0_S7_ifPKiS9_S9_iPKfiiiPfSC_PS2_PT2_iSB_SB_: ; @_Z39paged_attention_ll4mi_QKV_mfma16_kernelIDF16_hLN4vllm18Fp8KVCacheDataTypeE1EDF16_Li32ELi64ELi256ELb0ELi13EEvPKT_PKT0_S7_ifPKiS9_S9_iPKfiiiPfSC_PS2_PT2_iSB_SB_
; %bb.0:
	s_get_pc_i64 s[2:3]
	s_add_nc_u64 s[2:3], s[2:3], __PRETTY_FUNCTION__._Z39paged_attention_ll4mi_QKV_mfma16_kernelIDF16_hLN4vllm18Fp8KVCacheDataTypeE1EDF16_Li32ELi64ELi256ELb0ELi13EEvPKT_PKT0_S7_ifPKiS9_S9_iPKfiiiPfSC_PS2_PT2_iSB_SB_@rel64+4
	s_delay_alu instid0(SALU_CYCLE_1)
	v_dual_mov_b32 v0, 0xbb3 :: v_dual_mov_b32 v1, s2
	v_mov_b32_e32 v2, s3
	s_add_nc_u64 s[8:9], s[0:1], 0x90
	s_get_pc_i64 s[0:1]
	s_add_nc_u64 s[0:1], s[0:1], __assert_fail@rel64+4
	s_mov_b32 s32, 0
	s_swap_pc_i64 s[30:31], s[0:1]
	.section	.rodata,"a",@progbits
	.p2align	6, 0x0
	.amdhsa_kernel _Z39paged_attention_ll4mi_QKV_mfma16_kernelIDF16_hLN4vllm18Fp8KVCacheDataTypeE1EDF16_Li32ELi64ELi256ELb0ELi13EEvPKT_PKT0_S7_ifPKiS9_S9_iPKfiiiPfSC_PS2_PT2_iSB_SB_
		.amdhsa_group_segment_fixed_size 0
		.amdhsa_private_segment_fixed_size 64
		.amdhsa_kernarg_size 400
		.amdhsa_user_sgpr_count 2
		.amdhsa_user_sgpr_dispatch_ptr 0
		.amdhsa_user_sgpr_queue_ptr 0
		.amdhsa_user_sgpr_kernarg_segment_ptr 1
		.amdhsa_user_sgpr_dispatch_id 0
		.amdhsa_user_sgpr_kernarg_preload_length 0
		.amdhsa_user_sgpr_kernarg_preload_offset 0
		.amdhsa_user_sgpr_private_segment_size 0
		.amdhsa_wavefront_size32 1
		.amdhsa_uses_dynamic_stack 0
		.amdhsa_enable_private_segment 1
		.amdhsa_system_sgpr_workgroup_id_x 1
		.amdhsa_system_sgpr_workgroup_id_y 0
		.amdhsa_system_sgpr_workgroup_id_z 0
		.amdhsa_system_sgpr_workgroup_info 0
		.amdhsa_system_vgpr_workitem_id 0
		.amdhsa_next_free_vgpr 51
		.amdhsa_next_free_sgpr 34
		.amdhsa_named_barrier_count 0
		.amdhsa_reserve_vcc 1
		.amdhsa_float_round_mode_32 0
		.amdhsa_float_round_mode_16_64 0
		.amdhsa_float_denorm_mode_32 3
		.amdhsa_float_denorm_mode_16_64 3
		.amdhsa_fp16_overflow 0
		.amdhsa_memory_ordered 1
		.amdhsa_forward_progress 1
		.amdhsa_inst_pref_size 1
		.amdhsa_round_robin_scheduling 0
		.amdhsa_exception_fp_ieee_invalid_op 0
		.amdhsa_exception_fp_denorm_src 0
		.amdhsa_exception_fp_ieee_div_zero 0
		.amdhsa_exception_fp_ieee_overflow 0
		.amdhsa_exception_fp_ieee_underflow 0
		.amdhsa_exception_fp_ieee_inexact 0
		.amdhsa_exception_int_div_zero 0
	.end_amdhsa_kernel
	.section	.text._Z39paged_attention_ll4mi_QKV_mfma16_kernelIDF16_hLN4vllm18Fp8KVCacheDataTypeE1EDF16_Li32ELi64ELi256ELb0ELi13EEvPKT_PKT0_S7_ifPKiS9_S9_iPKfiiiPfSC_PS2_PT2_iSB_SB_,"axG",@progbits,_Z39paged_attention_ll4mi_QKV_mfma16_kernelIDF16_hLN4vllm18Fp8KVCacheDataTypeE1EDF16_Li32ELi64ELi256ELb0ELi13EEvPKT_PKT0_S7_ifPKiS9_S9_iPKfiiiPfSC_PS2_PT2_iSB_SB_,comdat
.Lfunc_end922:
	.size	_Z39paged_attention_ll4mi_QKV_mfma16_kernelIDF16_hLN4vllm18Fp8KVCacheDataTypeE1EDF16_Li32ELi64ELi256ELb0ELi13EEvPKT_PKT0_S7_ifPKiS9_S9_iPKfiiiPfSC_PS2_PT2_iSB_SB_, .Lfunc_end922-_Z39paged_attention_ll4mi_QKV_mfma16_kernelIDF16_hLN4vllm18Fp8KVCacheDataTypeE1EDF16_Li32ELi64ELi256ELb0ELi13EEvPKT_PKT0_S7_ifPKiS9_S9_iPKfiiiPfSC_PS2_PT2_iSB_SB_
                                        ; -- End function
	.set _Z39paged_attention_ll4mi_QKV_mfma16_kernelIDF16_hLN4vllm18Fp8KVCacheDataTypeE1EDF16_Li32ELi64ELi256ELb0ELi13EEvPKT_PKT0_S7_ifPKiS9_S9_iPKfiiiPfSC_PS2_PT2_iSB_SB_.num_vgpr, max(3, .L__assert_fail.num_vgpr)
	.set _Z39paged_attention_ll4mi_QKV_mfma16_kernelIDF16_hLN4vllm18Fp8KVCacheDataTypeE1EDF16_Li32ELi64ELi256ELb0ELi13EEvPKT_PKT0_S7_ifPKiS9_S9_iPKfiiiPfSC_PS2_PT2_iSB_SB_.num_agpr, max(0, .L__assert_fail.num_agpr)
	.set _Z39paged_attention_ll4mi_QKV_mfma16_kernelIDF16_hLN4vllm18Fp8KVCacheDataTypeE1EDF16_Li32ELi64ELi256ELb0ELi13EEvPKT_PKT0_S7_ifPKiS9_S9_iPKfiiiPfSC_PS2_PT2_iSB_SB_.numbered_sgpr, max(33, .L__assert_fail.numbered_sgpr)
	.set _Z39paged_attention_ll4mi_QKV_mfma16_kernelIDF16_hLN4vllm18Fp8KVCacheDataTypeE1EDF16_Li32ELi64ELi256ELb0ELi13EEvPKT_PKT0_S7_ifPKiS9_S9_iPKfiiiPfSC_PS2_PT2_iSB_SB_.num_named_barrier, max(0, .L__assert_fail.num_named_barrier)
	.set _Z39paged_attention_ll4mi_QKV_mfma16_kernelIDF16_hLN4vllm18Fp8KVCacheDataTypeE1EDF16_Li32ELi64ELi256ELb0ELi13EEvPKT_PKT0_S7_ifPKiS9_S9_iPKfiiiPfSC_PS2_PT2_iSB_SB_.private_seg_size, 0+max(.L__assert_fail.private_seg_size)
	.set _Z39paged_attention_ll4mi_QKV_mfma16_kernelIDF16_hLN4vllm18Fp8KVCacheDataTypeE1EDF16_Li32ELi64ELi256ELb0ELi13EEvPKT_PKT0_S7_ifPKiS9_S9_iPKfiiiPfSC_PS2_PT2_iSB_SB_.uses_vcc, or(1, .L__assert_fail.uses_vcc)
	.set _Z39paged_attention_ll4mi_QKV_mfma16_kernelIDF16_hLN4vllm18Fp8KVCacheDataTypeE1EDF16_Li32ELi64ELi256ELb0ELi13EEvPKT_PKT0_S7_ifPKiS9_S9_iPKfiiiPfSC_PS2_PT2_iSB_SB_.uses_flat_scratch, or(0, .L__assert_fail.uses_flat_scratch)
	.set _Z39paged_attention_ll4mi_QKV_mfma16_kernelIDF16_hLN4vllm18Fp8KVCacheDataTypeE1EDF16_Li32ELi64ELi256ELb0ELi13EEvPKT_PKT0_S7_ifPKiS9_S9_iPKfiiiPfSC_PS2_PT2_iSB_SB_.has_dyn_sized_stack, or(0, .L__assert_fail.has_dyn_sized_stack)
	.set _Z39paged_attention_ll4mi_QKV_mfma16_kernelIDF16_hLN4vllm18Fp8KVCacheDataTypeE1EDF16_Li32ELi64ELi256ELb0ELi13EEvPKT_PKT0_S7_ifPKiS9_S9_iPKfiiiPfSC_PS2_PT2_iSB_SB_.has_recursion, or(0, .L__assert_fail.has_recursion)
	.set _Z39paged_attention_ll4mi_QKV_mfma16_kernelIDF16_hLN4vllm18Fp8KVCacheDataTypeE1EDF16_Li32ELi64ELi256ELb0ELi13EEvPKT_PKT0_S7_ifPKiS9_S9_iPKfiiiPfSC_PS2_PT2_iSB_SB_.has_indirect_call, or(0, .L__assert_fail.has_indirect_call)
	.section	.AMDGPU.csdata,"",@progbits
; Kernel info:
; codeLenInByte = 68
; TotalNumSgprs: 36
; NumVgprs: 51
; ScratchSize: 64
; MemoryBound: 0
; FloatMode: 240
; IeeeMode: 1
; LDSByteSize: 0 bytes/workgroup (compile time only)
; SGPRBlocks: 0
; VGPRBlocks: 3
; NumSGPRsForWavesPerEU: 36
; NumVGPRsForWavesPerEU: 51
; NamedBarCnt: 0
; Occupancy: 16
; WaveLimiterHint : 1
; COMPUTE_PGM_RSRC2:SCRATCH_EN: 1
; COMPUTE_PGM_RSRC2:USER_SGPR: 2
; COMPUTE_PGM_RSRC2:TRAP_HANDLER: 0
; COMPUTE_PGM_RSRC2:TGID_X_EN: 1
; COMPUTE_PGM_RSRC2:TGID_Y_EN: 0
; COMPUTE_PGM_RSRC2:TGID_Z_EN: 0
; COMPUTE_PGM_RSRC2:TIDIG_COMP_CNT: 0
	.section	.text._Z39paged_attention_ll4mi_QKV_mfma16_kernelIDF16_hLN4vllm18Fp8KVCacheDataTypeE1EDF16_Li32ELi64ELi256ELb0ELi14EEvPKT_PKT0_S7_ifPKiS9_S9_iPKfiiiPfSC_PS2_PT2_iSB_SB_,"axG",@progbits,_Z39paged_attention_ll4mi_QKV_mfma16_kernelIDF16_hLN4vllm18Fp8KVCacheDataTypeE1EDF16_Li32ELi64ELi256ELb0ELi14EEvPKT_PKT0_S7_ifPKiS9_S9_iPKfiiiPfSC_PS2_PT2_iSB_SB_,comdat
	.protected	_Z39paged_attention_ll4mi_QKV_mfma16_kernelIDF16_hLN4vllm18Fp8KVCacheDataTypeE1EDF16_Li32ELi64ELi256ELb0ELi14EEvPKT_PKT0_S7_ifPKiS9_S9_iPKfiiiPfSC_PS2_PT2_iSB_SB_ ; -- Begin function _Z39paged_attention_ll4mi_QKV_mfma16_kernelIDF16_hLN4vllm18Fp8KVCacheDataTypeE1EDF16_Li32ELi64ELi256ELb0ELi14EEvPKT_PKT0_S7_ifPKiS9_S9_iPKfiiiPfSC_PS2_PT2_iSB_SB_
	.globl	_Z39paged_attention_ll4mi_QKV_mfma16_kernelIDF16_hLN4vllm18Fp8KVCacheDataTypeE1EDF16_Li32ELi64ELi256ELb0ELi14EEvPKT_PKT0_S7_ifPKiS9_S9_iPKfiiiPfSC_PS2_PT2_iSB_SB_
	.p2align	8
	.type	_Z39paged_attention_ll4mi_QKV_mfma16_kernelIDF16_hLN4vllm18Fp8KVCacheDataTypeE1EDF16_Li32ELi64ELi256ELb0ELi14EEvPKT_PKT0_S7_ifPKiS9_S9_iPKfiiiPfSC_PS2_PT2_iSB_SB_,@function
_Z39paged_attention_ll4mi_QKV_mfma16_kernelIDF16_hLN4vllm18Fp8KVCacheDataTypeE1EDF16_Li32ELi64ELi256ELb0ELi14EEvPKT_PKT0_S7_ifPKiS9_S9_iPKfiiiPfSC_PS2_PT2_iSB_SB_: ; @_Z39paged_attention_ll4mi_QKV_mfma16_kernelIDF16_hLN4vllm18Fp8KVCacheDataTypeE1EDF16_Li32ELi64ELi256ELb0ELi14EEvPKT_PKT0_S7_ifPKiS9_S9_iPKfiiiPfSC_PS2_PT2_iSB_SB_
; %bb.0:
	s_get_pc_i64 s[2:3]
	s_add_nc_u64 s[2:3], s[2:3], __PRETTY_FUNCTION__._Z39paged_attention_ll4mi_QKV_mfma16_kernelIDF16_hLN4vllm18Fp8KVCacheDataTypeE1EDF16_Li32ELi64ELi256ELb0ELi14EEvPKT_PKT0_S7_ifPKiS9_S9_iPKfiiiPfSC_PS2_PT2_iSB_SB_@rel64+4
	s_delay_alu instid0(SALU_CYCLE_1)
	v_dual_mov_b32 v0, 0xbb3 :: v_dual_mov_b32 v1, s2
	v_mov_b32_e32 v2, s3
	s_add_nc_u64 s[8:9], s[0:1], 0x90
	s_get_pc_i64 s[0:1]
	s_add_nc_u64 s[0:1], s[0:1], __assert_fail@rel64+4
	s_mov_b32 s32, 0
	s_swap_pc_i64 s[30:31], s[0:1]
	.section	.rodata,"a",@progbits
	.p2align	6, 0x0
	.amdhsa_kernel _Z39paged_attention_ll4mi_QKV_mfma16_kernelIDF16_hLN4vllm18Fp8KVCacheDataTypeE1EDF16_Li32ELi64ELi256ELb0ELi14EEvPKT_PKT0_S7_ifPKiS9_S9_iPKfiiiPfSC_PS2_PT2_iSB_SB_
		.amdhsa_group_segment_fixed_size 0
		.amdhsa_private_segment_fixed_size 64
		.amdhsa_kernarg_size 400
		.amdhsa_user_sgpr_count 2
		.amdhsa_user_sgpr_dispatch_ptr 0
		.amdhsa_user_sgpr_queue_ptr 0
		.amdhsa_user_sgpr_kernarg_segment_ptr 1
		.amdhsa_user_sgpr_dispatch_id 0
		.amdhsa_user_sgpr_kernarg_preload_length 0
		.amdhsa_user_sgpr_kernarg_preload_offset 0
		.amdhsa_user_sgpr_private_segment_size 0
		.amdhsa_wavefront_size32 1
		.amdhsa_uses_dynamic_stack 0
		.amdhsa_enable_private_segment 1
		.amdhsa_system_sgpr_workgroup_id_x 1
		.amdhsa_system_sgpr_workgroup_id_y 0
		.amdhsa_system_sgpr_workgroup_id_z 0
		.amdhsa_system_sgpr_workgroup_info 0
		.amdhsa_system_vgpr_workitem_id 0
		.amdhsa_next_free_vgpr 51
		.amdhsa_next_free_sgpr 34
		.amdhsa_named_barrier_count 0
		.amdhsa_reserve_vcc 1
		.amdhsa_float_round_mode_32 0
		.amdhsa_float_round_mode_16_64 0
		.amdhsa_float_denorm_mode_32 3
		.amdhsa_float_denorm_mode_16_64 3
		.amdhsa_fp16_overflow 0
		.amdhsa_memory_ordered 1
		.amdhsa_forward_progress 1
		.amdhsa_inst_pref_size 1
		.amdhsa_round_robin_scheduling 0
		.amdhsa_exception_fp_ieee_invalid_op 0
		.amdhsa_exception_fp_denorm_src 0
		.amdhsa_exception_fp_ieee_div_zero 0
		.amdhsa_exception_fp_ieee_overflow 0
		.amdhsa_exception_fp_ieee_underflow 0
		.amdhsa_exception_fp_ieee_inexact 0
		.amdhsa_exception_int_div_zero 0
	.end_amdhsa_kernel
	.section	.text._Z39paged_attention_ll4mi_QKV_mfma16_kernelIDF16_hLN4vllm18Fp8KVCacheDataTypeE1EDF16_Li32ELi64ELi256ELb0ELi14EEvPKT_PKT0_S7_ifPKiS9_S9_iPKfiiiPfSC_PS2_PT2_iSB_SB_,"axG",@progbits,_Z39paged_attention_ll4mi_QKV_mfma16_kernelIDF16_hLN4vllm18Fp8KVCacheDataTypeE1EDF16_Li32ELi64ELi256ELb0ELi14EEvPKT_PKT0_S7_ifPKiS9_S9_iPKfiiiPfSC_PS2_PT2_iSB_SB_,comdat
.Lfunc_end923:
	.size	_Z39paged_attention_ll4mi_QKV_mfma16_kernelIDF16_hLN4vllm18Fp8KVCacheDataTypeE1EDF16_Li32ELi64ELi256ELb0ELi14EEvPKT_PKT0_S7_ifPKiS9_S9_iPKfiiiPfSC_PS2_PT2_iSB_SB_, .Lfunc_end923-_Z39paged_attention_ll4mi_QKV_mfma16_kernelIDF16_hLN4vllm18Fp8KVCacheDataTypeE1EDF16_Li32ELi64ELi256ELb0ELi14EEvPKT_PKT0_S7_ifPKiS9_S9_iPKfiiiPfSC_PS2_PT2_iSB_SB_
                                        ; -- End function
	.set _Z39paged_attention_ll4mi_QKV_mfma16_kernelIDF16_hLN4vllm18Fp8KVCacheDataTypeE1EDF16_Li32ELi64ELi256ELb0ELi14EEvPKT_PKT0_S7_ifPKiS9_S9_iPKfiiiPfSC_PS2_PT2_iSB_SB_.num_vgpr, max(3, .L__assert_fail.num_vgpr)
	.set _Z39paged_attention_ll4mi_QKV_mfma16_kernelIDF16_hLN4vllm18Fp8KVCacheDataTypeE1EDF16_Li32ELi64ELi256ELb0ELi14EEvPKT_PKT0_S7_ifPKiS9_S9_iPKfiiiPfSC_PS2_PT2_iSB_SB_.num_agpr, max(0, .L__assert_fail.num_agpr)
	.set _Z39paged_attention_ll4mi_QKV_mfma16_kernelIDF16_hLN4vllm18Fp8KVCacheDataTypeE1EDF16_Li32ELi64ELi256ELb0ELi14EEvPKT_PKT0_S7_ifPKiS9_S9_iPKfiiiPfSC_PS2_PT2_iSB_SB_.numbered_sgpr, max(33, .L__assert_fail.numbered_sgpr)
	.set _Z39paged_attention_ll4mi_QKV_mfma16_kernelIDF16_hLN4vllm18Fp8KVCacheDataTypeE1EDF16_Li32ELi64ELi256ELb0ELi14EEvPKT_PKT0_S7_ifPKiS9_S9_iPKfiiiPfSC_PS2_PT2_iSB_SB_.num_named_barrier, max(0, .L__assert_fail.num_named_barrier)
	.set _Z39paged_attention_ll4mi_QKV_mfma16_kernelIDF16_hLN4vllm18Fp8KVCacheDataTypeE1EDF16_Li32ELi64ELi256ELb0ELi14EEvPKT_PKT0_S7_ifPKiS9_S9_iPKfiiiPfSC_PS2_PT2_iSB_SB_.private_seg_size, 0+max(.L__assert_fail.private_seg_size)
	.set _Z39paged_attention_ll4mi_QKV_mfma16_kernelIDF16_hLN4vllm18Fp8KVCacheDataTypeE1EDF16_Li32ELi64ELi256ELb0ELi14EEvPKT_PKT0_S7_ifPKiS9_S9_iPKfiiiPfSC_PS2_PT2_iSB_SB_.uses_vcc, or(1, .L__assert_fail.uses_vcc)
	.set _Z39paged_attention_ll4mi_QKV_mfma16_kernelIDF16_hLN4vllm18Fp8KVCacheDataTypeE1EDF16_Li32ELi64ELi256ELb0ELi14EEvPKT_PKT0_S7_ifPKiS9_S9_iPKfiiiPfSC_PS2_PT2_iSB_SB_.uses_flat_scratch, or(0, .L__assert_fail.uses_flat_scratch)
	.set _Z39paged_attention_ll4mi_QKV_mfma16_kernelIDF16_hLN4vllm18Fp8KVCacheDataTypeE1EDF16_Li32ELi64ELi256ELb0ELi14EEvPKT_PKT0_S7_ifPKiS9_S9_iPKfiiiPfSC_PS2_PT2_iSB_SB_.has_dyn_sized_stack, or(0, .L__assert_fail.has_dyn_sized_stack)
	.set _Z39paged_attention_ll4mi_QKV_mfma16_kernelIDF16_hLN4vllm18Fp8KVCacheDataTypeE1EDF16_Li32ELi64ELi256ELb0ELi14EEvPKT_PKT0_S7_ifPKiS9_S9_iPKfiiiPfSC_PS2_PT2_iSB_SB_.has_recursion, or(0, .L__assert_fail.has_recursion)
	.set _Z39paged_attention_ll4mi_QKV_mfma16_kernelIDF16_hLN4vllm18Fp8KVCacheDataTypeE1EDF16_Li32ELi64ELi256ELb0ELi14EEvPKT_PKT0_S7_ifPKiS9_S9_iPKfiiiPfSC_PS2_PT2_iSB_SB_.has_indirect_call, or(0, .L__assert_fail.has_indirect_call)
	.section	.AMDGPU.csdata,"",@progbits
; Kernel info:
; codeLenInByte = 68
; TotalNumSgprs: 36
; NumVgprs: 51
; ScratchSize: 64
; MemoryBound: 0
; FloatMode: 240
; IeeeMode: 1
; LDSByteSize: 0 bytes/workgroup (compile time only)
; SGPRBlocks: 0
; VGPRBlocks: 3
; NumSGPRsForWavesPerEU: 36
; NumVGPRsForWavesPerEU: 51
; NamedBarCnt: 0
; Occupancy: 16
; WaveLimiterHint : 1
; COMPUTE_PGM_RSRC2:SCRATCH_EN: 1
; COMPUTE_PGM_RSRC2:USER_SGPR: 2
; COMPUTE_PGM_RSRC2:TRAP_HANDLER: 0
; COMPUTE_PGM_RSRC2:TGID_X_EN: 1
; COMPUTE_PGM_RSRC2:TGID_Y_EN: 0
; COMPUTE_PGM_RSRC2:TGID_Z_EN: 0
; COMPUTE_PGM_RSRC2:TIDIG_COMP_CNT: 0
	.section	.text._Z39paged_attention_ll4mi_QKV_mfma16_kernelIDF16_hLN4vllm18Fp8KVCacheDataTypeE1EDF16_Li32ELi64ELi256ELb0ELi15EEvPKT_PKT0_S7_ifPKiS9_S9_iPKfiiiPfSC_PS2_PT2_iSB_SB_,"axG",@progbits,_Z39paged_attention_ll4mi_QKV_mfma16_kernelIDF16_hLN4vllm18Fp8KVCacheDataTypeE1EDF16_Li32ELi64ELi256ELb0ELi15EEvPKT_PKT0_S7_ifPKiS9_S9_iPKfiiiPfSC_PS2_PT2_iSB_SB_,comdat
	.protected	_Z39paged_attention_ll4mi_QKV_mfma16_kernelIDF16_hLN4vllm18Fp8KVCacheDataTypeE1EDF16_Li32ELi64ELi256ELb0ELi15EEvPKT_PKT0_S7_ifPKiS9_S9_iPKfiiiPfSC_PS2_PT2_iSB_SB_ ; -- Begin function _Z39paged_attention_ll4mi_QKV_mfma16_kernelIDF16_hLN4vllm18Fp8KVCacheDataTypeE1EDF16_Li32ELi64ELi256ELb0ELi15EEvPKT_PKT0_S7_ifPKiS9_S9_iPKfiiiPfSC_PS2_PT2_iSB_SB_
	.globl	_Z39paged_attention_ll4mi_QKV_mfma16_kernelIDF16_hLN4vllm18Fp8KVCacheDataTypeE1EDF16_Li32ELi64ELi256ELb0ELi15EEvPKT_PKT0_S7_ifPKiS9_S9_iPKfiiiPfSC_PS2_PT2_iSB_SB_
	.p2align	8
	.type	_Z39paged_attention_ll4mi_QKV_mfma16_kernelIDF16_hLN4vllm18Fp8KVCacheDataTypeE1EDF16_Li32ELi64ELi256ELb0ELi15EEvPKT_PKT0_S7_ifPKiS9_S9_iPKfiiiPfSC_PS2_PT2_iSB_SB_,@function
_Z39paged_attention_ll4mi_QKV_mfma16_kernelIDF16_hLN4vllm18Fp8KVCacheDataTypeE1EDF16_Li32ELi64ELi256ELb0ELi15EEvPKT_PKT0_S7_ifPKiS9_S9_iPKfiiiPfSC_PS2_PT2_iSB_SB_: ; @_Z39paged_attention_ll4mi_QKV_mfma16_kernelIDF16_hLN4vllm18Fp8KVCacheDataTypeE1EDF16_Li32ELi64ELi256ELb0ELi15EEvPKT_PKT0_S7_ifPKiS9_S9_iPKfiiiPfSC_PS2_PT2_iSB_SB_
; %bb.0:
	s_get_pc_i64 s[2:3]
	s_add_nc_u64 s[2:3], s[2:3], __PRETTY_FUNCTION__._Z39paged_attention_ll4mi_QKV_mfma16_kernelIDF16_hLN4vllm18Fp8KVCacheDataTypeE1EDF16_Li32ELi64ELi256ELb0ELi15EEvPKT_PKT0_S7_ifPKiS9_S9_iPKfiiiPfSC_PS2_PT2_iSB_SB_@rel64+4
	s_delay_alu instid0(SALU_CYCLE_1)
	v_dual_mov_b32 v0, 0xbb3 :: v_dual_mov_b32 v1, s2
	v_mov_b32_e32 v2, s3
	s_add_nc_u64 s[8:9], s[0:1], 0x90
	s_get_pc_i64 s[0:1]
	s_add_nc_u64 s[0:1], s[0:1], __assert_fail@rel64+4
	s_mov_b32 s32, 0
	s_swap_pc_i64 s[30:31], s[0:1]
	.section	.rodata,"a",@progbits
	.p2align	6, 0x0
	.amdhsa_kernel _Z39paged_attention_ll4mi_QKV_mfma16_kernelIDF16_hLN4vllm18Fp8KVCacheDataTypeE1EDF16_Li32ELi64ELi256ELb0ELi15EEvPKT_PKT0_S7_ifPKiS9_S9_iPKfiiiPfSC_PS2_PT2_iSB_SB_
		.amdhsa_group_segment_fixed_size 0
		.amdhsa_private_segment_fixed_size 64
		.amdhsa_kernarg_size 400
		.amdhsa_user_sgpr_count 2
		.amdhsa_user_sgpr_dispatch_ptr 0
		.amdhsa_user_sgpr_queue_ptr 0
		.amdhsa_user_sgpr_kernarg_segment_ptr 1
		.amdhsa_user_sgpr_dispatch_id 0
		.amdhsa_user_sgpr_kernarg_preload_length 0
		.amdhsa_user_sgpr_kernarg_preload_offset 0
		.amdhsa_user_sgpr_private_segment_size 0
		.amdhsa_wavefront_size32 1
		.amdhsa_uses_dynamic_stack 0
		.amdhsa_enable_private_segment 1
		.amdhsa_system_sgpr_workgroup_id_x 1
		.amdhsa_system_sgpr_workgroup_id_y 0
		.amdhsa_system_sgpr_workgroup_id_z 0
		.amdhsa_system_sgpr_workgroup_info 0
		.amdhsa_system_vgpr_workitem_id 0
		.amdhsa_next_free_vgpr 51
		.amdhsa_next_free_sgpr 34
		.amdhsa_named_barrier_count 0
		.amdhsa_reserve_vcc 1
		.amdhsa_float_round_mode_32 0
		.amdhsa_float_round_mode_16_64 0
		.amdhsa_float_denorm_mode_32 3
		.amdhsa_float_denorm_mode_16_64 3
		.amdhsa_fp16_overflow 0
		.amdhsa_memory_ordered 1
		.amdhsa_forward_progress 1
		.amdhsa_inst_pref_size 1
		.amdhsa_round_robin_scheduling 0
		.amdhsa_exception_fp_ieee_invalid_op 0
		.amdhsa_exception_fp_denorm_src 0
		.amdhsa_exception_fp_ieee_div_zero 0
		.amdhsa_exception_fp_ieee_overflow 0
		.amdhsa_exception_fp_ieee_underflow 0
		.amdhsa_exception_fp_ieee_inexact 0
		.amdhsa_exception_int_div_zero 0
	.end_amdhsa_kernel
	.section	.text._Z39paged_attention_ll4mi_QKV_mfma16_kernelIDF16_hLN4vllm18Fp8KVCacheDataTypeE1EDF16_Li32ELi64ELi256ELb0ELi15EEvPKT_PKT0_S7_ifPKiS9_S9_iPKfiiiPfSC_PS2_PT2_iSB_SB_,"axG",@progbits,_Z39paged_attention_ll4mi_QKV_mfma16_kernelIDF16_hLN4vllm18Fp8KVCacheDataTypeE1EDF16_Li32ELi64ELi256ELb0ELi15EEvPKT_PKT0_S7_ifPKiS9_S9_iPKfiiiPfSC_PS2_PT2_iSB_SB_,comdat
.Lfunc_end924:
	.size	_Z39paged_attention_ll4mi_QKV_mfma16_kernelIDF16_hLN4vllm18Fp8KVCacheDataTypeE1EDF16_Li32ELi64ELi256ELb0ELi15EEvPKT_PKT0_S7_ifPKiS9_S9_iPKfiiiPfSC_PS2_PT2_iSB_SB_, .Lfunc_end924-_Z39paged_attention_ll4mi_QKV_mfma16_kernelIDF16_hLN4vllm18Fp8KVCacheDataTypeE1EDF16_Li32ELi64ELi256ELb0ELi15EEvPKT_PKT0_S7_ifPKiS9_S9_iPKfiiiPfSC_PS2_PT2_iSB_SB_
                                        ; -- End function
	.set _Z39paged_attention_ll4mi_QKV_mfma16_kernelIDF16_hLN4vllm18Fp8KVCacheDataTypeE1EDF16_Li32ELi64ELi256ELb0ELi15EEvPKT_PKT0_S7_ifPKiS9_S9_iPKfiiiPfSC_PS2_PT2_iSB_SB_.num_vgpr, max(3, .L__assert_fail.num_vgpr)
	.set _Z39paged_attention_ll4mi_QKV_mfma16_kernelIDF16_hLN4vllm18Fp8KVCacheDataTypeE1EDF16_Li32ELi64ELi256ELb0ELi15EEvPKT_PKT0_S7_ifPKiS9_S9_iPKfiiiPfSC_PS2_PT2_iSB_SB_.num_agpr, max(0, .L__assert_fail.num_agpr)
	.set _Z39paged_attention_ll4mi_QKV_mfma16_kernelIDF16_hLN4vllm18Fp8KVCacheDataTypeE1EDF16_Li32ELi64ELi256ELb0ELi15EEvPKT_PKT0_S7_ifPKiS9_S9_iPKfiiiPfSC_PS2_PT2_iSB_SB_.numbered_sgpr, max(33, .L__assert_fail.numbered_sgpr)
	.set _Z39paged_attention_ll4mi_QKV_mfma16_kernelIDF16_hLN4vllm18Fp8KVCacheDataTypeE1EDF16_Li32ELi64ELi256ELb0ELi15EEvPKT_PKT0_S7_ifPKiS9_S9_iPKfiiiPfSC_PS2_PT2_iSB_SB_.num_named_barrier, max(0, .L__assert_fail.num_named_barrier)
	.set _Z39paged_attention_ll4mi_QKV_mfma16_kernelIDF16_hLN4vllm18Fp8KVCacheDataTypeE1EDF16_Li32ELi64ELi256ELb0ELi15EEvPKT_PKT0_S7_ifPKiS9_S9_iPKfiiiPfSC_PS2_PT2_iSB_SB_.private_seg_size, 0+max(.L__assert_fail.private_seg_size)
	.set _Z39paged_attention_ll4mi_QKV_mfma16_kernelIDF16_hLN4vllm18Fp8KVCacheDataTypeE1EDF16_Li32ELi64ELi256ELb0ELi15EEvPKT_PKT0_S7_ifPKiS9_S9_iPKfiiiPfSC_PS2_PT2_iSB_SB_.uses_vcc, or(1, .L__assert_fail.uses_vcc)
	.set _Z39paged_attention_ll4mi_QKV_mfma16_kernelIDF16_hLN4vllm18Fp8KVCacheDataTypeE1EDF16_Li32ELi64ELi256ELb0ELi15EEvPKT_PKT0_S7_ifPKiS9_S9_iPKfiiiPfSC_PS2_PT2_iSB_SB_.uses_flat_scratch, or(0, .L__assert_fail.uses_flat_scratch)
	.set _Z39paged_attention_ll4mi_QKV_mfma16_kernelIDF16_hLN4vllm18Fp8KVCacheDataTypeE1EDF16_Li32ELi64ELi256ELb0ELi15EEvPKT_PKT0_S7_ifPKiS9_S9_iPKfiiiPfSC_PS2_PT2_iSB_SB_.has_dyn_sized_stack, or(0, .L__assert_fail.has_dyn_sized_stack)
	.set _Z39paged_attention_ll4mi_QKV_mfma16_kernelIDF16_hLN4vllm18Fp8KVCacheDataTypeE1EDF16_Li32ELi64ELi256ELb0ELi15EEvPKT_PKT0_S7_ifPKiS9_S9_iPKfiiiPfSC_PS2_PT2_iSB_SB_.has_recursion, or(0, .L__assert_fail.has_recursion)
	.set _Z39paged_attention_ll4mi_QKV_mfma16_kernelIDF16_hLN4vllm18Fp8KVCacheDataTypeE1EDF16_Li32ELi64ELi256ELb0ELi15EEvPKT_PKT0_S7_ifPKiS9_S9_iPKfiiiPfSC_PS2_PT2_iSB_SB_.has_indirect_call, or(0, .L__assert_fail.has_indirect_call)
	.section	.AMDGPU.csdata,"",@progbits
; Kernel info:
; codeLenInByte = 68
; TotalNumSgprs: 36
; NumVgprs: 51
; ScratchSize: 64
; MemoryBound: 0
; FloatMode: 240
; IeeeMode: 1
; LDSByteSize: 0 bytes/workgroup (compile time only)
; SGPRBlocks: 0
; VGPRBlocks: 3
; NumSGPRsForWavesPerEU: 36
; NumVGPRsForWavesPerEU: 51
; NamedBarCnt: 0
; Occupancy: 16
; WaveLimiterHint : 1
; COMPUTE_PGM_RSRC2:SCRATCH_EN: 1
; COMPUTE_PGM_RSRC2:USER_SGPR: 2
; COMPUTE_PGM_RSRC2:TRAP_HANDLER: 0
; COMPUTE_PGM_RSRC2:TGID_X_EN: 1
; COMPUTE_PGM_RSRC2:TGID_Y_EN: 0
; COMPUTE_PGM_RSRC2:TGID_Z_EN: 0
; COMPUTE_PGM_RSRC2:TIDIG_COMP_CNT: 0
	.section	.text._Z39paged_attention_ll4mi_QKV_mfma16_kernelIDF16_hLN4vllm18Fp8KVCacheDataTypeE1EDF16_Li32ELi64ELi256ELb0ELi16EEvPKT_PKT0_S7_ifPKiS9_S9_iPKfiiiPfSC_PS2_PT2_iSB_SB_,"axG",@progbits,_Z39paged_attention_ll4mi_QKV_mfma16_kernelIDF16_hLN4vllm18Fp8KVCacheDataTypeE1EDF16_Li32ELi64ELi256ELb0ELi16EEvPKT_PKT0_S7_ifPKiS9_S9_iPKfiiiPfSC_PS2_PT2_iSB_SB_,comdat
	.protected	_Z39paged_attention_ll4mi_QKV_mfma16_kernelIDF16_hLN4vllm18Fp8KVCacheDataTypeE1EDF16_Li32ELi64ELi256ELb0ELi16EEvPKT_PKT0_S7_ifPKiS9_S9_iPKfiiiPfSC_PS2_PT2_iSB_SB_ ; -- Begin function _Z39paged_attention_ll4mi_QKV_mfma16_kernelIDF16_hLN4vllm18Fp8KVCacheDataTypeE1EDF16_Li32ELi64ELi256ELb0ELi16EEvPKT_PKT0_S7_ifPKiS9_S9_iPKfiiiPfSC_PS2_PT2_iSB_SB_
	.globl	_Z39paged_attention_ll4mi_QKV_mfma16_kernelIDF16_hLN4vllm18Fp8KVCacheDataTypeE1EDF16_Li32ELi64ELi256ELb0ELi16EEvPKT_PKT0_S7_ifPKiS9_S9_iPKfiiiPfSC_PS2_PT2_iSB_SB_
	.p2align	8
	.type	_Z39paged_attention_ll4mi_QKV_mfma16_kernelIDF16_hLN4vllm18Fp8KVCacheDataTypeE1EDF16_Li32ELi64ELi256ELb0ELi16EEvPKT_PKT0_S7_ifPKiS9_S9_iPKfiiiPfSC_PS2_PT2_iSB_SB_,@function
_Z39paged_attention_ll4mi_QKV_mfma16_kernelIDF16_hLN4vllm18Fp8KVCacheDataTypeE1EDF16_Li32ELi64ELi256ELb0ELi16EEvPKT_PKT0_S7_ifPKiS9_S9_iPKfiiiPfSC_PS2_PT2_iSB_SB_: ; @_Z39paged_attention_ll4mi_QKV_mfma16_kernelIDF16_hLN4vllm18Fp8KVCacheDataTypeE1EDF16_Li32ELi64ELi256ELb0ELi16EEvPKT_PKT0_S7_ifPKiS9_S9_iPKfiiiPfSC_PS2_PT2_iSB_SB_
; %bb.0:
	s_get_pc_i64 s[2:3]
	s_add_nc_u64 s[2:3], s[2:3], __PRETTY_FUNCTION__._Z39paged_attention_ll4mi_QKV_mfma16_kernelIDF16_hLN4vllm18Fp8KVCacheDataTypeE1EDF16_Li32ELi64ELi256ELb0ELi16EEvPKT_PKT0_S7_ifPKiS9_S9_iPKfiiiPfSC_PS2_PT2_iSB_SB_@rel64+4
	s_delay_alu instid0(SALU_CYCLE_1)
	v_dual_mov_b32 v0, 0xbb3 :: v_dual_mov_b32 v1, s2
	v_mov_b32_e32 v2, s3
	s_add_nc_u64 s[8:9], s[0:1], 0x90
	s_get_pc_i64 s[0:1]
	s_add_nc_u64 s[0:1], s[0:1], __assert_fail@rel64+4
	s_mov_b32 s32, 0
	s_swap_pc_i64 s[30:31], s[0:1]
	.section	.rodata,"a",@progbits
	.p2align	6, 0x0
	.amdhsa_kernel _Z39paged_attention_ll4mi_QKV_mfma16_kernelIDF16_hLN4vllm18Fp8KVCacheDataTypeE1EDF16_Li32ELi64ELi256ELb0ELi16EEvPKT_PKT0_S7_ifPKiS9_S9_iPKfiiiPfSC_PS2_PT2_iSB_SB_
		.amdhsa_group_segment_fixed_size 0
		.amdhsa_private_segment_fixed_size 64
		.amdhsa_kernarg_size 400
		.amdhsa_user_sgpr_count 2
		.amdhsa_user_sgpr_dispatch_ptr 0
		.amdhsa_user_sgpr_queue_ptr 0
		.amdhsa_user_sgpr_kernarg_segment_ptr 1
		.amdhsa_user_sgpr_dispatch_id 0
		.amdhsa_user_sgpr_kernarg_preload_length 0
		.amdhsa_user_sgpr_kernarg_preload_offset 0
		.amdhsa_user_sgpr_private_segment_size 0
		.amdhsa_wavefront_size32 1
		.amdhsa_uses_dynamic_stack 0
		.amdhsa_enable_private_segment 1
		.amdhsa_system_sgpr_workgroup_id_x 1
		.amdhsa_system_sgpr_workgroup_id_y 0
		.amdhsa_system_sgpr_workgroup_id_z 0
		.amdhsa_system_sgpr_workgroup_info 0
		.amdhsa_system_vgpr_workitem_id 0
		.amdhsa_next_free_vgpr 51
		.amdhsa_next_free_sgpr 34
		.amdhsa_named_barrier_count 0
		.amdhsa_reserve_vcc 1
		.amdhsa_float_round_mode_32 0
		.amdhsa_float_round_mode_16_64 0
		.amdhsa_float_denorm_mode_32 3
		.amdhsa_float_denorm_mode_16_64 3
		.amdhsa_fp16_overflow 0
		.amdhsa_memory_ordered 1
		.amdhsa_forward_progress 1
		.amdhsa_inst_pref_size 1
		.amdhsa_round_robin_scheduling 0
		.amdhsa_exception_fp_ieee_invalid_op 0
		.amdhsa_exception_fp_denorm_src 0
		.amdhsa_exception_fp_ieee_div_zero 0
		.amdhsa_exception_fp_ieee_overflow 0
		.amdhsa_exception_fp_ieee_underflow 0
		.amdhsa_exception_fp_ieee_inexact 0
		.amdhsa_exception_int_div_zero 0
	.end_amdhsa_kernel
	.section	.text._Z39paged_attention_ll4mi_QKV_mfma16_kernelIDF16_hLN4vllm18Fp8KVCacheDataTypeE1EDF16_Li32ELi64ELi256ELb0ELi16EEvPKT_PKT0_S7_ifPKiS9_S9_iPKfiiiPfSC_PS2_PT2_iSB_SB_,"axG",@progbits,_Z39paged_attention_ll4mi_QKV_mfma16_kernelIDF16_hLN4vllm18Fp8KVCacheDataTypeE1EDF16_Li32ELi64ELi256ELb0ELi16EEvPKT_PKT0_S7_ifPKiS9_S9_iPKfiiiPfSC_PS2_PT2_iSB_SB_,comdat
.Lfunc_end925:
	.size	_Z39paged_attention_ll4mi_QKV_mfma16_kernelIDF16_hLN4vllm18Fp8KVCacheDataTypeE1EDF16_Li32ELi64ELi256ELb0ELi16EEvPKT_PKT0_S7_ifPKiS9_S9_iPKfiiiPfSC_PS2_PT2_iSB_SB_, .Lfunc_end925-_Z39paged_attention_ll4mi_QKV_mfma16_kernelIDF16_hLN4vllm18Fp8KVCacheDataTypeE1EDF16_Li32ELi64ELi256ELb0ELi16EEvPKT_PKT0_S7_ifPKiS9_S9_iPKfiiiPfSC_PS2_PT2_iSB_SB_
                                        ; -- End function
	.set _Z39paged_attention_ll4mi_QKV_mfma16_kernelIDF16_hLN4vllm18Fp8KVCacheDataTypeE1EDF16_Li32ELi64ELi256ELb0ELi16EEvPKT_PKT0_S7_ifPKiS9_S9_iPKfiiiPfSC_PS2_PT2_iSB_SB_.num_vgpr, max(3, .L__assert_fail.num_vgpr)
	.set _Z39paged_attention_ll4mi_QKV_mfma16_kernelIDF16_hLN4vllm18Fp8KVCacheDataTypeE1EDF16_Li32ELi64ELi256ELb0ELi16EEvPKT_PKT0_S7_ifPKiS9_S9_iPKfiiiPfSC_PS2_PT2_iSB_SB_.num_agpr, max(0, .L__assert_fail.num_agpr)
	.set _Z39paged_attention_ll4mi_QKV_mfma16_kernelIDF16_hLN4vllm18Fp8KVCacheDataTypeE1EDF16_Li32ELi64ELi256ELb0ELi16EEvPKT_PKT0_S7_ifPKiS9_S9_iPKfiiiPfSC_PS2_PT2_iSB_SB_.numbered_sgpr, max(33, .L__assert_fail.numbered_sgpr)
	.set _Z39paged_attention_ll4mi_QKV_mfma16_kernelIDF16_hLN4vllm18Fp8KVCacheDataTypeE1EDF16_Li32ELi64ELi256ELb0ELi16EEvPKT_PKT0_S7_ifPKiS9_S9_iPKfiiiPfSC_PS2_PT2_iSB_SB_.num_named_barrier, max(0, .L__assert_fail.num_named_barrier)
	.set _Z39paged_attention_ll4mi_QKV_mfma16_kernelIDF16_hLN4vllm18Fp8KVCacheDataTypeE1EDF16_Li32ELi64ELi256ELb0ELi16EEvPKT_PKT0_S7_ifPKiS9_S9_iPKfiiiPfSC_PS2_PT2_iSB_SB_.private_seg_size, 0+max(.L__assert_fail.private_seg_size)
	.set _Z39paged_attention_ll4mi_QKV_mfma16_kernelIDF16_hLN4vllm18Fp8KVCacheDataTypeE1EDF16_Li32ELi64ELi256ELb0ELi16EEvPKT_PKT0_S7_ifPKiS9_S9_iPKfiiiPfSC_PS2_PT2_iSB_SB_.uses_vcc, or(1, .L__assert_fail.uses_vcc)
	.set _Z39paged_attention_ll4mi_QKV_mfma16_kernelIDF16_hLN4vllm18Fp8KVCacheDataTypeE1EDF16_Li32ELi64ELi256ELb0ELi16EEvPKT_PKT0_S7_ifPKiS9_S9_iPKfiiiPfSC_PS2_PT2_iSB_SB_.uses_flat_scratch, or(0, .L__assert_fail.uses_flat_scratch)
	.set _Z39paged_attention_ll4mi_QKV_mfma16_kernelIDF16_hLN4vllm18Fp8KVCacheDataTypeE1EDF16_Li32ELi64ELi256ELb0ELi16EEvPKT_PKT0_S7_ifPKiS9_S9_iPKfiiiPfSC_PS2_PT2_iSB_SB_.has_dyn_sized_stack, or(0, .L__assert_fail.has_dyn_sized_stack)
	.set _Z39paged_attention_ll4mi_QKV_mfma16_kernelIDF16_hLN4vllm18Fp8KVCacheDataTypeE1EDF16_Li32ELi64ELi256ELb0ELi16EEvPKT_PKT0_S7_ifPKiS9_S9_iPKfiiiPfSC_PS2_PT2_iSB_SB_.has_recursion, or(0, .L__assert_fail.has_recursion)
	.set _Z39paged_attention_ll4mi_QKV_mfma16_kernelIDF16_hLN4vllm18Fp8KVCacheDataTypeE1EDF16_Li32ELi64ELi256ELb0ELi16EEvPKT_PKT0_S7_ifPKiS9_S9_iPKfiiiPfSC_PS2_PT2_iSB_SB_.has_indirect_call, or(0, .L__assert_fail.has_indirect_call)
	.section	.AMDGPU.csdata,"",@progbits
; Kernel info:
; codeLenInByte = 68
; TotalNumSgprs: 36
; NumVgprs: 51
; ScratchSize: 64
; MemoryBound: 0
; FloatMode: 240
; IeeeMode: 1
; LDSByteSize: 0 bytes/workgroup (compile time only)
; SGPRBlocks: 0
; VGPRBlocks: 3
; NumSGPRsForWavesPerEU: 36
; NumVGPRsForWavesPerEU: 51
; NamedBarCnt: 0
; Occupancy: 16
; WaveLimiterHint : 1
; COMPUTE_PGM_RSRC2:SCRATCH_EN: 1
; COMPUTE_PGM_RSRC2:USER_SGPR: 2
; COMPUTE_PGM_RSRC2:TRAP_HANDLER: 0
; COMPUTE_PGM_RSRC2:TGID_X_EN: 1
; COMPUTE_PGM_RSRC2:TGID_Y_EN: 0
; COMPUTE_PGM_RSRC2:TGID_Z_EN: 0
; COMPUTE_PGM_RSRC2:TIDIG_COMP_CNT: 0
	.section	.text._Z39paged_attention_ll4mi_QKV_mfma16_kernelIDF16_hLN4vllm18Fp8KVCacheDataTypeE1EDF16_Li32ELi64ELi256ELb0ELi1EEvPKT_PKT0_S7_ifPKiS9_S9_iPKfiiiPfSC_PS2_PT2_iSB_SB_,"axG",@progbits,_Z39paged_attention_ll4mi_QKV_mfma16_kernelIDF16_hLN4vllm18Fp8KVCacheDataTypeE1EDF16_Li32ELi64ELi256ELb0ELi1EEvPKT_PKT0_S7_ifPKiS9_S9_iPKfiiiPfSC_PS2_PT2_iSB_SB_,comdat
	.protected	_Z39paged_attention_ll4mi_QKV_mfma16_kernelIDF16_hLN4vllm18Fp8KVCacheDataTypeE1EDF16_Li32ELi64ELi256ELb0ELi1EEvPKT_PKT0_S7_ifPKiS9_S9_iPKfiiiPfSC_PS2_PT2_iSB_SB_ ; -- Begin function _Z39paged_attention_ll4mi_QKV_mfma16_kernelIDF16_hLN4vllm18Fp8KVCacheDataTypeE1EDF16_Li32ELi64ELi256ELb0ELi1EEvPKT_PKT0_S7_ifPKiS9_S9_iPKfiiiPfSC_PS2_PT2_iSB_SB_
	.globl	_Z39paged_attention_ll4mi_QKV_mfma16_kernelIDF16_hLN4vllm18Fp8KVCacheDataTypeE1EDF16_Li32ELi64ELi256ELb0ELi1EEvPKT_PKT0_S7_ifPKiS9_S9_iPKfiiiPfSC_PS2_PT2_iSB_SB_
	.p2align	8
	.type	_Z39paged_attention_ll4mi_QKV_mfma16_kernelIDF16_hLN4vllm18Fp8KVCacheDataTypeE1EDF16_Li32ELi64ELi256ELb0ELi1EEvPKT_PKT0_S7_ifPKiS9_S9_iPKfiiiPfSC_PS2_PT2_iSB_SB_,@function
_Z39paged_attention_ll4mi_QKV_mfma16_kernelIDF16_hLN4vllm18Fp8KVCacheDataTypeE1EDF16_Li32ELi64ELi256ELb0ELi1EEvPKT_PKT0_S7_ifPKiS9_S9_iPKfiiiPfSC_PS2_PT2_iSB_SB_: ; @_Z39paged_attention_ll4mi_QKV_mfma16_kernelIDF16_hLN4vllm18Fp8KVCacheDataTypeE1EDF16_Li32ELi64ELi256ELb0ELi1EEvPKT_PKT0_S7_ifPKiS9_S9_iPKfiiiPfSC_PS2_PT2_iSB_SB_
; %bb.0:
	s_get_pc_i64 s[2:3]
	s_add_nc_u64 s[2:3], s[2:3], __PRETTY_FUNCTION__._Z39paged_attention_ll4mi_QKV_mfma16_kernelIDF16_hLN4vllm18Fp8KVCacheDataTypeE1EDF16_Li32ELi64ELi256ELb0ELi1EEvPKT_PKT0_S7_ifPKiS9_S9_iPKfiiiPfSC_PS2_PT2_iSB_SB_@rel64+4
	s_delay_alu instid0(SALU_CYCLE_1)
	v_dual_mov_b32 v0, 0xbb3 :: v_dual_mov_b32 v1, s2
	v_mov_b32_e32 v2, s3
	s_add_nc_u64 s[8:9], s[0:1], 0x90
	s_get_pc_i64 s[0:1]
	s_add_nc_u64 s[0:1], s[0:1], __assert_fail@rel64+4
	s_mov_b32 s32, 0
	s_swap_pc_i64 s[30:31], s[0:1]
	.section	.rodata,"a",@progbits
	.p2align	6, 0x0
	.amdhsa_kernel _Z39paged_attention_ll4mi_QKV_mfma16_kernelIDF16_hLN4vllm18Fp8KVCacheDataTypeE1EDF16_Li32ELi64ELi256ELb0ELi1EEvPKT_PKT0_S7_ifPKiS9_S9_iPKfiiiPfSC_PS2_PT2_iSB_SB_
		.amdhsa_group_segment_fixed_size 0
		.amdhsa_private_segment_fixed_size 64
		.amdhsa_kernarg_size 400
		.amdhsa_user_sgpr_count 2
		.amdhsa_user_sgpr_dispatch_ptr 0
		.amdhsa_user_sgpr_queue_ptr 0
		.amdhsa_user_sgpr_kernarg_segment_ptr 1
		.amdhsa_user_sgpr_dispatch_id 0
		.amdhsa_user_sgpr_kernarg_preload_length 0
		.amdhsa_user_sgpr_kernarg_preload_offset 0
		.amdhsa_user_sgpr_private_segment_size 0
		.amdhsa_wavefront_size32 1
		.amdhsa_uses_dynamic_stack 0
		.amdhsa_enable_private_segment 1
		.amdhsa_system_sgpr_workgroup_id_x 1
		.amdhsa_system_sgpr_workgroup_id_y 0
		.amdhsa_system_sgpr_workgroup_id_z 0
		.amdhsa_system_sgpr_workgroup_info 0
		.amdhsa_system_vgpr_workitem_id 0
		.amdhsa_next_free_vgpr 51
		.amdhsa_next_free_sgpr 34
		.amdhsa_named_barrier_count 0
		.amdhsa_reserve_vcc 1
		.amdhsa_float_round_mode_32 0
		.amdhsa_float_round_mode_16_64 0
		.amdhsa_float_denorm_mode_32 3
		.amdhsa_float_denorm_mode_16_64 3
		.amdhsa_fp16_overflow 0
		.amdhsa_memory_ordered 1
		.amdhsa_forward_progress 1
		.amdhsa_inst_pref_size 1
		.amdhsa_round_robin_scheduling 0
		.amdhsa_exception_fp_ieee_invalid_op 0
		.amdhsa_exception_fp_denorm_src 0
		.amdhsa_exception_fp_ieee_div_zero 0
		.amdhsa_exception_fp_ieee_overflow 0
		.amdhsa_exception_fp_ieee_underflow 0
		.amdhsa_exception_fp_ieee_inexact 0
		.amdhsa_exception_int_div_zero 0
	.end_amdhsa_kernel
	.section	.text._Z39paged_attention_ll4mi_QKV_mfma16_kernelIDF16_hLN4vllm18Fp8KVCacheDataTypeE1EDF16_Li32ELi64ELi256ELb0ELi1EEvPKT_PKT0_S7_ifPKiS9_S9_iPKfiiiPfSC_PS2_PT2_iSB_SB_,"axG",@progbits,_Z39paged_attention_ll4mi_QKV_mfma16_kernelIDF16_hLN4vllm18Fp8KVCacheDataTypeE1EDF16_Li32ELi64ELi256ELb0ELi1EEvPKT_PKT0_S7_ifPKiS9_S9_iPKfiiiPfSC_PS2_PT2_iSB_SB_,comdat
.Lfunc_end926:
	.size	_Z39paged_attention_ll4mi_QKV_mfma16_kernelIDF16_hLN4vllm18Fp8KVCacheDataTypeE1EDF16_Li32ELi64ELi256ELb0ELi1EEvPKT_PKT0_S7_ifPKiS9_S9_iPKfiiiPfSC_PS2_PT2_iSB_SB_, .Lfunc_end926-_Z39paged_attention_ll4mi_QKV_mfma16_kernelIDF16_hLN4vllm18Fp8KVCacheDataTypeE1EDF16_Li32ELi64ELi256ELb0ELi1EEvPKT_PKT0_S7_ifPKiS9_S9_iPKfiiiPfSC_PS2_PT2_iSB_SB_
                                        ; -- End function
	.set _Z39paged_attention_ll4mi_QKV_mfma16_kernelIDF16_hLN4vllm18Fp8KVCacheDataTypeE1EDF16_Li32ELi64ELi256ELb0ELi1EEvPKT_PKT0_S7_ifPKiS9_S9_iPKfiiiPfSC_PS2_PT2_iSB_SB_.num_vgpr, max(3, .L__assert_fail.num_vgpr)
	.set _Z39paged_attention_ll4mi_QKV_mfma16_kernelIDF16_hLN4vllm18Fp8KVCacheDataTypeE1EDF16_Li32ELi64ELi256ELb0ELi1EEvPKT_PKT0_S7_ifPKiS9_S9_iPKfiiiPfSC_PS2_PT2_iSB_SB_.num_agpr, max(0, .L__assert_fail.num_agpr)
	.set _Z39paged_attention_ll4mi_QKV_mfma16_kernelIDF16_hLN4vllm18Fp8KVCacheDataTypeE1EDF16_Li32ELi64ELi256ELb0ELi1EEvPKT_PKT0_S7_ifPKiS9_S9_iPKfiiiPfSC_PS2_PT2_iSB_SB_.numbered_sgpr, max(33, .L__assert_fail.numbered_sgpr)
	.set _Z39paged_attention_ll4mi_QKV_mfma16_kernelIDF16_hLN4vllm18Fp8KVCacheDataTypeE1EDF16_Li32ELi64ELi256ELb0ELi1EEvPKT_PKT0_S7_ifPKiS9_S9_iPKfiiiPfSC_PS2_PT2_iSB_SB_.num_named_barrier, max(0, .L__assert_fail.num_named_barrier)
	.set _Z39paged_attention_ll4mi_QKV_mfma16_kernelIDF16_hLN4vllm18Fp8KVCacheDataTypeE1EDF16_Li32ELi64ELi256ELb0ELi1EEvPKT_PKT0_S7_ifPKiS9_S9_iPKfiiiPfSC_PS2_PT2_iSB_SB_.private_seg_size, 0+max(.L__assert_fail.private_seg_size)
	.set _Z39paged_attention_ll4mi_QKV_mfma16_kernelIDF16_hLN4vllm18Fp8KVCacheDataTypeE1EDF16_Li32ELi64ELi256ELb0ELi1EEvPKT_PKT0_S7_ifPKiS9_S9_iPKfiiiPfSC_PS2_PT2_iSB_SB_.uses_vcc, or(1, .L__assert_fail.uses_vcc)
	.set _Z39paged_attention_ll4mi_QKV_mfma16_kernelIDF16_hLN4vllm18Fp8KVCacheDataTypeE1EDF16_Li32ELi64ELi256ELb0ELi1EEvPKT_PKT0_S7_ifPKiS9_S9_iPKfiiiPfSC_PS2_PT2_iSB_SB_.uses_flat_scratch, or(0, .L__assert_fail.uses_flat_scratch)
	.set _Z39paged_attention_ll4mi_QKV_mfma16_kernelIDF16_hLN4vllm18Fp8KVCacheDataTypeE1EDF16_Li32ELi64ELi256ELb0ELi1EEvPKT_PKT0_S7_ifPKiS9_S9_iPKfiiiPfSC_PS2_PT2_iSB_SB_.has_dyn_sized_stack, or(0, .L__assert_fail.has_dyn_sized_stack)
	.set _Z39paged_attention_ll4mi_QKV_mfma16_kernelIDF16_hLN4vllm18Fp8KVCacheDataTypeE1EDF16_Li32ELi64ELi256ELb0ELi1EEvPKT_PKT0_S7_ifPKiS9_S9_iPKfiiiPfSC_PS2_PT2_iSB_SB_.has_recursion, or(0, .L__assert_fail.has_recursion)
	.set _Z39paged_attention_ll4mi_QKV_mfma16_kernelIDF16_hLN4vllm18Fp8KVCacheDataTypeE1EDF16_Li32ELi64ELi256ELb0ELi1EEvPKT_PKT0_S7_ifPKiS9_S9_iPKfiiiPfSC_PS2_PT2_iSB_SB_.has_indirect_call, or(0, .L__assert_fail.has_indirect_call)
	.section	.AMDGPU.csdata,"",@progbits
; Kernel info:
; codeLenInByte = 68
; TotalNumSgprs: 36
; NumVgprs: 51
; ScratchSize: 64
; MemoryBound: 0
; FloatMode: 240
; IeeeMode: 1
; LDSByteSize: 0 bytes/workgroup (compile time only)
; SGPRBlocks: 0
; VGPRBlocks: 3
; NumSGPRsForWavesPerEU: 36
; NumVGPRsForWavesPerEU: 51
; NamedBarCnt: 0
; Occupancy: 16
; WaveLimiterHint : 1
; COMPUTE_PGM_RSRC2:SCRATCH_EN: 1
; COMPUTE_PGM_RSRC2:USER_SGPR: 2
; COMPUTE_PGM_RSRC2:TRAP_HANDLER: 0
; COMPUTE_PGM_RSRC2:TGID_X_EN: 1
; COMPUTE_PGM_RSRC2:TGID_Y_EN: 0
; COMPUTE_PGM_RSRC2:TGID_Z_EN: 0
; COMPUTE_PGM_RSRC2:TIDIG_COMP_CNT: 0
	.section	.text._Z39paged_attention_ll4mi_QKV_mfma16_kernelIDF16_hLN4vllm18Fp8KVCacheDataTypeE1EDF16_Li32ELi64ELi256ELb0ELi2EEvPKT_PKT0_S7_ifPKiS9_S9_iPKfiiiPfSC_PS2_PT2_iSB_SB_,"axG",@progbits,_Z39paged_attention_ll4mi_QKV_mfma16_kernelIDF16_hLN4vllm18Fp8KVCacheDataTypeE1EDF16_Li32ELi64ELi256ELb0ELi2EEvPKT_PKT0_S7_ifPKiS9_S9_iPKfiiiPfSC_PS2_PT2_iSB_SB_,comdat
	.protected	_Z39paged_attention_ll4mi_QKV_mfma16_kernelIDF16_hLN4vllm18Fp8KVCacheDataTypeE1EDF16_Li32ELi64ELi256ELb0ELi2EEvPKT_PKT0_S7_ifPKiS9_S9_iPKfiiiPfSC_PS2_PT2_iSB_SB_ ; -- Begin function _Z39paged_attention_ll4mi_QKV_mfma16_kernelIDF16_hLN4vllm18Fp8KVCacheDataTypeE1EDF16_Li32ELi64ELi256ELb0ELi2EEvPKT_PKT0_S7_ifPKiS9_S9_iPKfiiiPfSC_PS2_PT2_iSB_SB_
	.globl	_Z39paged_attention_ll4mi_QKV_mfma16_kernelIDF16_hLN4vllm18Fp8KVCacheDataTypeE1EDF16_Li32ELi64ELi256ELb0ELi2EEvPKT_PKT0_S7_ifPKiS9_S9_iPKfiiiPfSC_PS2_PT2_iSB_SB_
	.p2align	8
	.type	_Z39paged_attention_ll4mi_QKV_mfma16_kernelIDF16_hLN4vllm18Fp8KVCacheDataTypeE1EDF16_Li32ELi64ELi256ELb0ELi2EEvPKT_PKT0_S7_ifPKiS9_S9_iPKfiiiPfSC_PS2_PT2_iSB_SB_,@function
_Z39paged_attention_ll4mi_QKV_mfma16_kernelIDF16_hLN4vllm18Fp8KVCacheDataTypeE1EDF16_Li32ELi64ELi256ELb0ELi2EEvPKT_PKT0_S7_ifPKiS9_S9_iPKfiiiPfSC_PS2_PT2_iSB_SB_: ; @_Z39paged_attention_ll4mi_QKV_mfma16_kernelIDF16_hLN4vllm18Fp8KVCacheDataTypeE1EDF16_Li32ELi64ELi256ELb0ELi2EEvPKT_PKT0_S7_ifPKiS9_S9_iPKfiiiPfSC_PS2_PT2_iSB_SB_
; %bb.0:
	s_get_pc_i64 s[2:3]
	s_add_nc_u64 s[2:3], s[2:3], __PRETTY_FUNCTION__._Z39paged_attention_ll4mi_QKV_mfma16_kernelIDF16_hLN4vllm18Fp8KVCacheDataTypeE1EDF16_Li32ELi64ELi256ELb0ELi2EEvPKT_PKT0_S7_ifPKiS9_S9_iPKfiiiPfSC_PS2_PT2_iSB_SB_@rel64+4
	s_delay_alu instid0(SALU_CYCLE_1)
	v_dual_mov_b32 v0, 0xbb3 :: v_dual_mov_b32 v1, s2
	v_mov_b32_e32 v2, s3
	s_add_nc_u64 s[8:9], s[0:1], 0x90
	s_get_pc_i64 s[0:1]
	s_add_nc_u64 s[0:1], s[0:1], __assert_fail@rel64+4
	s_mov_b32 s32, 0
	s_swap_pc_i64 s[30:31], s[0:1]
	.section	.rodata,"a",@progbits
	.p2align	6, 0x0
	.amdhsa_kernel _Z39paged_attention_ll4mi_QKV_mfma16_kernelIDF16_hLN4vllm18Fp8KVCacheDataTypeE1EDF16_Li32ELi64ELi256ELb0ELi2EEvPKT_PKT0_S7_ifPKiS9_S9_iPKfiiiPfSC_PS2_PT2_iSB_SB_
		.amdhsa_group_segment_fixed_size 0
		.amdhsa_private_segment_fixed_size 64
		.amdhsa_kernarg_size 400
		.amdhsa_user_sgpr_count 2
		.amdhsa_user_sgpr_dispatch_ptr 0
		.amdhsa_user_sgpr_queue_ptr 0
		.amdhsa_user_sgpr_kernarg_segment_ptr 1
		.amdhsa_user_sgpr_dispatch_id 0
		.amdhsa_user_sgpr_kernarg_preload_length 0
		.amdhsa_user_sgpr_kernarg_preload_offset 0
		.amdhsa_user_sgpr_private_segment_size 0
		.amdhsa_wavefront_size32 1
		.amdhsa_uses_dynamic_stack 0
		.amdhsa_enable_private_segment 1
		.amdhsa_system_sgpr_workgroup_id_x 1
		.amdhsa_system_sgpr_workgroup_id_y 0
		.amdhsa_system_sgpr_workgroup_id_z 0
		.amdhsa_system_sgpr_workgroup_info 0
		.amdhsa_system_vgpr_workitem_id 0
		.amdhsa_next_free_vgpr 51
		.amdhsa_next_free_sgpr 34
		.amdhsa_named_barrier_count 0
		.amdhsa_reserve_vcc 1
		.amdhsa_float_round_mode_32 0
		.amdhsa_float_round_mode_16_64 0
		.amdhsa_float_denorm_mode_32 3
		.amdhsa_float_denorm_mode_16_64 3
		.amdhsa_fp16_overflow 0
		.amdhsa_memory_ordered 1
		.amdhsa_forward_progress 1
		.amdhsa_inst_pref_size 1
		.amdhsa_round_robin_scheduling 0
		.amdhsa_exception_fp_ieee_invalid_op 0
		.amdhsa_exception_fp_denorm_src 0
		.amdhsa_exception_fp_ieee_div_zero 0
		.amdhsa_exception_fp_ieee_overflow 0
		.amdhsa_exception_fp_ieee_underflow 0
		.amdhsa_exception_fp_ieee_inexact 0
		.amdhsa_exception_int_div_zero 0
	.end_amdhsa_kernel
	.section	.text._Z39paged_attention_ll4mi_QKV_mfma16_kernelIDF16_hLN4vllm18Fp8KVCacheDataTypeE1EDF16_Li32ELi64ELi256ELb0ELi2EEvPKT_PKT0_S7_ifPKiS9_S9_iPKfiiiPfSC_PS2_PT2_iSB_SB_,"axG",@progbits,_Z39paged_attention_ll4mi_QKV_mfma16_kernelIDF16_hLN4vllm18Fp8KVCacheDataTypeE1EDF16_Li32ELi64ELi256ELb0ELi2EEvPKT_PKT0_S7_ifPKiS9_S9_iPKfiiiPfSC_PS2_PT2_iSB_SB_,comdat
.Lfunc_end927:
	.size	_Z39paged_attention_ll4mi_QKV_mfma16_kernelIDF16_hLN4vllm18Fp8KVCacheDataTypeE1EDF16_Li32ELi64ELi256ELb0ELi2EEvPKT_PKT0_S7_ifPKiS9_S9_iPKfiiiPfSC_PS2_PT2_iSB_SB_, .Lfunc_end927-_Z39paged_attention_ll4mi_QKV_mfma16_kernelIDF16_hLN4vllm18Fp8KVCacheDataTypeE1EDF16_Li32ELi64ELi256ELb0ELi2EEvPKT_PKT0_S7_ifPKiS9_S9_iPKfiiiPfSC_PS2_PT2_iSB_SB_
                                        ; -- End function
	.set _Z39paged_attention_ll4mi_QKV_mfma16_kernelIDF16_hLN4vllm18Fp8KVCacheDataTypeE1EDF16_Li32ELi64ELi256ELb0ELi2EEvPKT_PKT0_S7_ifPKiS9_S9_iPKfiiiPfSC_PS2_PT2_iSB_SB_.num_vgpr, max(3, .L__assert_fail.num_vgpr)
	.set _Z39paged_attention_ll4mi_QKV_mfma16_kernelIDF16_hLN4vllm18Fp8KVCacheDataTypeE1EDF16_Li32ELi64ELi256ELb0ELi2EEvPKT_PKT0_S7_ifPKiS9_S9_iPKfiiiPfSC_PS2_PT2_iSB_SB_.num_agpr, max(0, .L__assert_fail.num_agpr)
	.set _Z39paged_attention_ll4mi_QKV_mfma16_kernelIDF16_hLN4vllm18Fp8KVCacheDataTypeE1EDF16_Li32ELi64ELi256ELb0ELi2EEvPKT_PKT0_S7_ifPKiS9_S9_iPKfiiiPfSC_PS2_PT2_iSB_SB_.numbered_sgpr, max(33, .L__assert_fail.numbered_sgpr)
	.set _Z39paged_attention_ll4mi_QKV_mfma16_kernelIDF16_hLN4vllm18Fp8KVCacheDataTypeE1EDF16_Li32ELi64ELi256ELb0ELi2EEvPKT_PKT0_S7_ifPKiS9_S9_iPKfiiiPfSC_PS2_PT2_iSB_SB_.num_named_barrier, max(0, .L__assert_fail.num_named_barrier)
	.set _Z39paged_attention_ll4mi_QKV_mfma16_kernelIDF16_hLN4vllm18Fp8KVCacheDataTypeE1EDF16_Li32ELi64ELi256ELb0ELi2EEvPKT_PKT0_S7_ifPKiS9_S9_iPKfiiiPfSC_PS2_PT2_iSB_SB_.private_seg_size, 0+max(.L__assert_fail.private_seg_size)
	.set _Z39paged_attention_ll4mi_QKV_mfma16_kernelIDF16_hLN4vllm18Fp8KVCacheDataTypeE1EDF16_Li32ELi64ELi256ELb0ELi2EEvPKT_PKT0_S7_ifPKiS9_S9_iPKfiiiPfSC_PS2_PT2_iSB_SB_.uses_vcc, or(1, .L__assert_fail.uses_vcc)
	.set _Z39paged_attention_ll4mi_QKV_mfma16_kernelIDF16_hLN4vllm18Fp8KVCacheDataTypeE1EDF16_Li32ELi64ELi256ELb0ELi2EEvPKT_PKT0_S7_ifPKiS9_S9_iPKfiiiPfSC_PS2_PT2_iSB_SB_.uses_flat_scratch, or(0, .L__assert_fail.uses_flat_scratch)
	.set _Z39paged_attention_ll4mi_QKV_mfma16_kernelIDF16_hLN4vllm18Fp8KVCacheDataTypeE1EDF16_Li32ELi64ELi256ELb0ELi2EEvPKT_PKT0_S7_ifPKiS9_S9_iPKfiiiPfSC_PS2_PT2_iSB_SB_.has_dyn_sized_stack, or(0, .L__assert_fail.has_dyn_sized_stack)
	.set _Z39paged_attention_ll4mi_QKV_mfma16_kernelIDF16_hLN4vllm18Fp8KVCacheDataTypeE1EDF16_Li32ELi64ELi256ELb0ELi2EEvPKT_PKT0_S7_ifPKiS9_S9_iPKfiiiPfSC_PS2_PT2_iSB_SB_.has_recursion, or(0, .L__assert_fail.has_recursion)
	.set _Z39paged_attention_ll4mi_QKV_mfma16_kernelIDF16_hLN4vllm18Fp8KVCacheDataTypeE1EDF16_Li32ELi64ELi256ELb0ELi2EEvPKT_PKT0_S7_ifPKiS9_S9_iPKfiiiPfSC_PS2_PT2_iSB_SB_.has_indirect_call, or(0, .L__assert_fail.has_indirect_call)
	.section	.AMDGPU.csdata,"",@progbits
; Kernel info:
; codeLenInByte = 68
; TotalNumSgprs: 36
; NumVgprs: 51
; ScratchSize: 64
; MemoryBound: 0
; FloatMode: 240
; IeeeMode: 1
; LDSByteSize: 0 bytes/workgroup (compile time only)
; SGPRBlocks: 0
; VGPRBlocks: 3
; NumSGPRsForWavesPerEU: 36
; NumVGPRsForWavesPerEU: 51
; NamedBarCnt: 0
; Occupancy: 16
; WaveLimiterHint : 1
; COMPUTE_PGM_RSRC2:SCRATCH_EN: 1
; COMPUTE_PGM_RSRC2:USER_SGPR: 2
; COMPUTE_PGM_RSRC2:TRAP_HANDLER: 0
; COMPUTE_PGM_RSRC2:TGID_X_EN: 1
; COMPUTE_PGM_RSRC2:TGID_Y_EN: 0
; COMPUTE_PGM_RSRC2:TGID_Z_EN: 0
; COMPUTE_PGM_RSRC2:TIDIG_COMP_CNT: 0
	.section	.text._Z39paged_attention_ll4mi_QKV_mfma16_kernelIDF16_hLN4vllm18Fp8KVCacheDataTypeE1EDF16_Li32ELi64ELi256ELb0ELi3EEvPKT_PKT0_S7_ifPKiS9_S9_iPKfiiiPfSC_PS2_PT2_iSB_SB_,"axG",@progbits,_Z39paged_attention_ll4mi_QKV_mfma16_kernelIDF16_hLN4vllm18Fp8KVCacheDataTypeE1EDF16_Li32ELi64ELi256ELb0ELi3EEvPKT_PKT0_S7_ifPKiS9_S9_iPKfiiiPfSC_PS2_PT2_iSB_SB_,comdat
	.protected	_Z39paged_attention_ll4mi_QKV_mfma16_kernelIDF16_hLN4vllm18Fp8KVCacheDataTypeE1EDF16_Li32ELi64ELi256ELb0ELi3EEvPKT_PKT0_S7_ifPKiS9_S9_iPKfiiiPfSC_PS2_PT2_iSB_SB_ ; -- Begin function _Z39paged_attention_ll4mi_QKV_mfma16_kernelIDF16_hLN4vllm18Fp8KVCacheDataTypeE1EDF16_Li32ELi64ELi256ELb0ELi3EEvPKT_PKT0_S7_ifPKiS9_S9_iPKfiiiPfSC_PS2_PT2_iSB_SB_
	.globl	_Z39paged_attention_ll4mi_QKV_mfma16_kernelIDF16_hLN4vllm18Fp8KVCacheDataTypeE1EDF16_Li32ELi64ELi256ELb0ELi3EEvPKT_PKT0_S7_ifPKiS9_S9_iPKfiiiPfSC_PS2_PT2_iSB_SB_
	.p2align	8
	.type	_Z39paged_attention_ll4mi_QKV_mfma16_kernelIDF16_hLN4vllm18Fp8KVCacheDataTypeE1EDF16_Li32ELi64ELi256ELb0ELi3EEvPKT_PKT0_S7_ifPKiS9_S9_iPKfiiiPfSC_PS2_PT2_iSB_SB_,@function
_Z39paged_attention_ll4mi_QKV_mfma16_kernelIDF16_hLN4vllm18Fp8KVCacheDataTypeE1EDF16_Li32ELi64ELi256ELb0ELi3EEvPKT_PKT0_S7_ifPKiS9_S9_iPKfiiiPfSC_PS2_PT2_iSB_SB_: ; @_Z39paged_attention_ll4mi_QKV_mfma16_kernelIDF16_hLN4vllm18Fp8KVCacheDataTypeE1EDF16_Li32ELi64ELi256ELb0ELi3EEvPKT_PKT0_S7_ifPKiS9_S9_iPKfiiiPfSC_PS2_PT2_iSB_SB_
; %bb.0:
	s_get_pc_i64 s[2:3]
	s_add_nc_u64 s[2:3], s[2:3], __PRETTY_FUNCTION__._Z39paged_attention_ll4mi_QKV_mfma16_kernelIDF16_hLN4vllm18Fp8KVCacheDataTypeE1EDF16_Li32ELi64ELi256ELb0ELi3EEvPKT_PKT0_S7_ifPKiS9_S9_iPKfiiiPfSC_PS2_PT2_iSB_SB_@rel64+4
	s_delay_alu instid0(SALU_CYCLE_1)
	v_dual_mov_b32 v0, 0xbb3 :: v_dual_mov_b32 v1, s2
	v_mov_b32_e32 v2, s3
	s_add_nc_u64 s[8:9], s[0:1], 0x90
	s_get_pc_i64 s[0:1]
	s_add_nc_u64 s[0:1], s[0:1], __assert_fail@rel64+4
	s_mov_b32 s32, 0
	s_swap_pc_i64 s[30:31], s[0:1]
	.section	.rodata,"a",@progbits
	.p2align	6, 0x0
	.amdhsa_kernel _Z39paged_attention_ll4mi_QKV_mfma16_kernelIDF16_hLN4vllm18Fp8KVCacheDataTypeE1EDF16_Li32ELi64ELi256ELb0ELi3EEvPKT_PKT0_S7_ifPKiS9_S9_iPKfiiiPfSC_PS2_PT2_iSB_SB_
		.amdhsa_group_segment_fixed_size 0
		.amdhsa_private_segment_fixed_size 64
		.amdhsa_kernarg_size 400
		.amdhsa_user_sgpr_count 2
		.amdhsa_user_sgpr_dispatch_ptr 0
		.amdhsa_user_sgpr_queue_ptr 0
		.amdhsa_user_sgpr_kernarg_segment_ptr 1
		.amdhsa_user_sgpr_dispatch_id 0
		.amdhsa_user_sgpr_kernarg_preload_length 0
		.amdhsa_user_sgpr_kernarg_preload_offset 0
		.amdhsa_user_sgpr_private_segment_size 0
		.amdhsa_wavefront_size32 1
		.amdhsa_uses_dynamic_stack 0
		.amdhsa_enable_private_segment 1
		.amdhsa_system_sgpr_workgroup_id_x 1
		.amdhsa_system_sgpr_workgroup_id_y 0
		.amdhsa_system_sgpr_workgroup_id_z 0
		.amdhsa_system_sgpr_workgroup_info 0
		.amdhsa_system_vgpr_workitem_id 0
		.amdhsa_next_free_vgpr 51
		.amdhsa_next_free_sgpr 34
		.amdhsa_named_barrier_count 0
		.amdhsa_reserve_vcc 1
		.amdhsa_float_round_mode_32 0
		.amdhsa_float_round_mode_16_64 0
		.amdhsa_float_denorm_mode_32 3
		.amdhsa_float_denorm_mode_16_64 3
		.amdhsa_fp16_overflow 0
		.amdhsa_memory_ordered 1
		.amdhsa_forward_progress 1
		.amdhsa_inst_pref_size 1
		.amdhsa_round_robin_scheduling 0
		.amdhsa_exception_fp_ieee_invalid_op 0
		.amdhsa_exception_fp_denorm_src 0
		.amdhsa_exception_fp_ieee_div_zero 0
		.amdhsa_exception_fp_ieee_overflow 0
		.amdhsa_exception_fp_ieee_underflow 0
		.amdhsa_exception_fp_ieee_inexact 0
		.amdhsa_exception_int_div_zero 0
	.end_amdhsa_kernel
	.section	.text._Z39paged_attention_ll4mi_QKV_mfma16_kernelIDF16_hLN4vllm18Fp8KVCacheDataTypeE1EDF16_Li32ELi64ELi256ELb0ELi3EEvPKT_PKT0_S7_ifPKiS9_S9_iPKfiiiPfSC_PS2_PT2_iSB_SB_,"axG",@progbits,_Z39paged_attention_ll4mi_QKV_mfma16_kernelIDF16_hLN4vllm18Fp8KVCacheDataTypeE1EDF16_Li32ELi64ELi256ELb0ELi3EEvPKT_PKT0_S7_ifPKiS9_S9_iPKfiiiPfSC_PS2_PT2_iSB_SB_,comdat
.Lfunc_end928:
	.size	_Z39paged_attention_ll4mi_QKV_mfma16_kernelIDF16_hLN4vllm18Fp8KVCacheDataTypeE1EDF16_Li32ELi64ELi256ELb0ELi3EEvPKT_PKT0_S7_ifPKiS9_S9_iPKfiiiPfSC_PS2_PT2_iSB_SB_, .Lfunc_end928-_Z39paged_attention_ll4mi_QKV_mfma16_kernelIDF16_hLN4vllm18Fp8KVCacheDataTypeE1EDF16_Li32ELi64ELi256ELb0ELi3EEvPKT_PKT0_S7_ifPKiS9_S9_iPKfiiiPfSC_PS2_PT2_iSB_SB_
                                        ; -- End function
	.set _Z39paged_attention_ll4mi_QKV_mfma16_kernelIDF16_hLN4vllm18Fp8KVCacheDataTypeE1EDF16_Li32ELi64ELi256ELb0ELi3EEvPKT_PKT0_S7_ifPKiS9_S9_iPKfiiiPfSC_PS2_PT2_iSB_SB_.num_vgpr, max(3, .L__assert_fail.num_vgpr)
	.set _Z39paged_attention_ll4mi_QKV_mfma16_kernelIDF16_hLN4vllm18Fp8KVCacheDataTypeE1EDF16_Li32ELi64ELi256ELb0ELi3EEvPKT_PKT0_S7_ifPKiS9_S9_iPKfiiiPfSC_PS2_PT2_iSB_SB_.num_agpr, max(0, .L__assert_fail.num_agpr)
	.set _Z39paged_attention_ll4mi_QKV_mfma16_kernelIDF16_hLN4vllm18Fp8KVCacheDataTypeE1EDF16_Li32ELi64ELi256ELb0ELi3EEvPKT_PKT0_S7_ifPKiS9_S9_iPKfiiiPfSC_PS2_PT2_iSB_SB_.numbered_sgpr, max(33, .L__assert_fail.numbered_sgpr)
	.set _Z39paged_attention_ll4mi_QKV_mfma16_kernelIDF16_hLN4vllm18Fp8KVCacheDataTypeE1EDF16_Li32ELi64ELi256ELb0ELi3EEvPKT_PKT0_S7_ifPKiS9_S9_iPKfiiiPfSC_PS2_PT2_iSB_SB_.num_named_barrier, max(0, .L__assert_fail.num_named_barrier)
	.set _Z39paged_attention_ll4mi_QKV_mfma16_kernelIDF16_hLN4vllm18Fp8KVCacheDataTypeE1EDF16_Li32ELi64ELi256ELb0ELi3EEvPKT_PKT0_S7_ifPKiS9_S9_iPKfiiiPfSC_PS2_PT2_iSB_SB_.private_seg_size, 0+max(.L__assert_fail.private_seg_size)
	.set _Z39paged_attention_ll4mi_QKV_mfma16_kernelIDF16_hLN4vllm18Fp8KVCacheDataTypeE1EDF16_Li32ELi64ELi256ELb0ELi3EEvPKT_PKT0_S7_ifPKiS9_S9_iPKfiiiPfSC_PS2_PT2_iSB_SB_.uses_vcc, or(1, .L__assert_fail.uses_vcc)
	.set _Z39paged_attention_ll4mi_QKV_mfma16_kernelIDF16_hLN4vllm18Fp8KVCacheDataTypeE1EDF16_Li32ELi64ELi256ELb0ELi3EEvPKT_PKT0_S7_ifPKiS9_S9_iPKfiiiPfSC_PS2_PT2_iSB_SB_.uses_flat_scratch, or(0, .L__assert_fail.uses_flat_scratch)
	.set _Z39paged_attention_ll4mi_QKV_mfma16_kernelIDF16_hLN4vllm18Fp8KVCacheDataTypeE1EDF16_Li32ELi64ELi256ELb0ELi3EEvPKT_PKT0_S7_ifPKiS9_S9_iPKfiiiPfSC_PS2_PT2_iSB_SB_.has_dyn_sized_stack, or(0, .L__assert_fail.has_dyn_sized_stack)
	.set _Z39paged_attention_ll4mi_QKV_mfma16_kernelIDF16_hLN4vllm18Fp8KVCacheDataTypeE1EDF16_Li32ELi64ELi256ELb0ELi3EEvPKT_PKT0_S7_ifPKiS9_S9_iPKfiiiPfSC_PS2_PT2_iSB_SB_.has_recursion, or(0, .L__assert_fail.has_recursion)
	.set _Z39paged_attention_ll4mi_QKV_mfma16_kernelIDF16_hLN4vllm18Fp8KVCacheDataTypeE1EDF16_Li32ELi64ELi256ELb0ELi3EEvPKT_PKT0_S7_ifPKiS9_S9_iPKfiiiPfSC_PS2_PT2_iSB_SB_.has_indirect_call, or(0, .L__assert_fail.has_indirect_call)
	.section	.AMDGPU.csdata,"",@progbits
; Kernel info:
; codeLenInByte = 68
; TotalNumSgprs: 36
; NumVgprs: 51
; ScratchSize: 64
; MemoryBound: 0
; FloatMode: 240
; IeeeMode: 1
; LDSByteSize: 0 bytes/workgroup (compile time only)
; SGPRBlocks: 0
; VGPRBlocks: 3
; NumSGPRsForWavesPerEU: 36
; NumVGPRsForWavesPerEU: 51
; NamedBarCnt: 0
; Occupancy: 16
; WaveLimiterHint : 1
; COMPUTE_PGM_RSRC2:SCRATCH_EN: 1
; COMPUTE_PGM_RSRC2:USER_SGPR: 2
; COMPUTE_PGM_RSRC2:TRAP_HANDLER: 0
; COMPUTE_PGM_RSRC2:TGID_X_EN: 1
; COMPUTE_PGM_RSRC2:TGID_Y_EN: 0
; COMPUTE_PGM_RSRC2:TGID_Z_EN: 0
; COMPUTE_PGM_RSRC2:TIDIG_COMP_CNT: 0
	.section	.text._Z39paged_attention_ll4mi_QKV_mfma16_kernelIDF16_hLN4vllm18Fp8KVCacheDataTypeE1EDF16_Li32ELi64ELi256ELb0ELi4EEvPKT_PKT0_S7_ifPKiS9_S9_iPKfiiiPfSC_PS2_PT2_iSB_SB_,"axG",@progbits,_Z39paged_attention_ll4mi_QKV_mfma16_kernelIDF16_hLN4vllm18Fp8KVCacheDataTypeE1EDF16_Li32ELi64ELi256ELb0ELi4EEvPKT_PKT0_S7_ifPKiS9_S9_iPKfiiiPfSC_PS2_PT2_iSB_SB_,comdat
	.protected	_Z39paged_attention_ll4mi_QKV_mfma16_kernelIDF16_hLN4vllm18Fp8KVCacheDataTypeE1EDF16_Li32ELi64ELi256ELb0ELi4EEvPKT_PKT0_S7_ifPKiS9_S9_iPKfiiiPfSC_PS2_PT2_iSB_SB_ ; -- Begin function _Z39paged_attention_ll4mi_QKV_mfma16_kernelIDF16_hLN4vllm18Fp8KVCacheDataTypeE1EDF16_Li32ELi64ELi256ELb0ELi4EEvPKT_PKT0_S7_ifPKiS9_S9_iPKfiiiPfSC_PS2_PT2_iSB_SB_
	.globl	_Z39paged_attention_ll4mi_QKV_mfma16_kernelIDF16_hLN4vllm18Fp8KVCacheDataTypeE1EDF16_Li32ELi64ELi256ELb0ELi4EEvPKT_PKT0_S7_ifPKiS9_S9_iPKfiiiPfSC_PS2_PT2_iSB_SB_
	.p2align	8
	.type	_Z39paged_attention_ll4mi_QKV_mfma16_kernelIDF16_hLN4vllm18Fp8KVCacheDataTypeE1EDF16_Li32ELi64ELi256ELb0ELi4EEvPKT_PKT0_S7_ifPKiS9_S9_iPKfiiiPfSC_PS2_PT2_iSB_SB_,@function
_Z39paged_attention_ll4mi_QKV_mfma16_kernelIDF16_hLN4vllm18Fp8KVCacheDataTypeE1EDF16_Li32ELi64ELi256ELb0ELi4EEvPKT_PKT0_S7_ifPKiS9_S9_iPKfiiiPfSC_PS2_PT2_iSB_SB_: ; @_Z39paged_attention_ll4mi_QKV_mfma16_kernelIDF16_hLN4vllm18Fp8KVCacheDataTypeE1EDF16_Li32ELi64ELi256ELb0ELi4EEvPKT_PKT0_S7_ifPKiS9_S9_iPKfiiiPfSC_PS2_PT2_iSB_SB_
; %bb.0:
	s_get_pc_i64 s[2:3]
	s_add_nc_u64 s[2:3], s[2:3], __PRETTY_FUNCTION__._Z39paged_attention_ll4mi_QKV_mfma16_kernelIDF16_hLN4vllm18Fp8KVCacheDataTypeE1EDF16_Li32ELi64ELi256ELb0ELi4EEvPKT_PKT0_S7_ifPKiS9_S9_iPKfiiiPfSC_PS2_PT2_iSB_SB_@rel64+4
	s_delay_alu instid0(SALU_CYCLE_1)
	v_dual_mov_b32 v0, 0xbb3 :: v_dual_mov_b32 v1, s2
	v_mov_b32_e32 v2, s3
	s_add_nc_u64 s[8:9], s[0:1], 0x90
	s_get_pc_i64 s[0:1]
	s_add_nc_u64 s[0:1], s[0:1], __assert_fail@rel64+4
	s_mov_b32 s32, 0
	s_swap_pc_i64 s[30:31], s[0:1]
	.section	.rodata,"a",@progbits
	.p2align	6, 0x0
	.amdhsa_kernel _Z39paged_attention_ll4mi_QKV_mfma16_kernelIDF16_hLN4vllm18Fp8KVCacheDataTypeE1EDF16_Li32ELi64ELi256ELb0ELi4EEvPKT_PKT0_S7_ifPKiS9_S9_iPKfiiiPfSC_PS2_PT2_iSB_SB_
		.amdhsa_group_segment_fixed_size 0
		.amdhsa_private_segment_fixed_size 64
		.amdhsa_kernarg_size 400
		.amdhsa_user_sgpr_count 2
		.amdhsa_user_sgpr_dispatch_ptr 0
		.amdhsa_user_sgpr_queue_ptr 0
		.amdhsa_user_sgpr_kernarg_segment_ptr 1
		.amdhsa_user_sgpr_dispatch_id 0
		.amdhsa_user_sgpr_kernarg_preload_length 0
		.amdhsa_user_sgpr_kernarg_preload_offset 0
		.amdhsa_user_sgpr_private_segment_size 0
		.amdhsa_wavefront_size32 1
		.amdhsa_uses_dynamic_stack 0
		.amdhsa_enable_private_segment 1
		.amdhsa_system_sgpr_workgroup_id_x 1
		.amdhsa_system_sgpr_workgroup_id_y 0
		.amdhsa_system_sgpr_workgroup_id_z 0
		.amdhsa_system_sgpr_workgroup_info 0
		.amdhsa_system_vgpr_workitem_id 0
		.amdhsa_next_free_vgpr 51
		.amdhsa_next_free_sgpr 34
		.amdhsa_named_barrier_count 0
		.amdhsa_reserve_vcc 1
		.amdhsa_float_round_mode_32 0
		.amdhsa_float_round_mode_16_64 0
		.amdhsa_float_denorm_mode_32 3
		.amdhsa_float_denorm_mode_16_64 3
		.amdhsa_fp16_overflow 0
		.amdhsa_memory_ordered 1
		.amdhsa_forward_progress 1
		.amdhsa_inst_pref_size 1
		.amdhsa_round_robin_scheduling 0
		.amdhsa_exception_fp_ieee_invalid_op 0
		.amdhsa_exception_fp_denorm_src 0
		.amdhsa_exception_fp_ieee_div_zero 0
		.amdhsa_exception_fp_ieee_overflow 0
		.amdhsa_exception_fp_ieee_underflow 0
		.amdhsa_exception_fp_ieee_inexact 0
		.amdhsa_exception_int_div_zero 0
	.end_amdhsa_kernel
	.section	.text._Z39paged_attention_ll4mi_QKV_mfma16_kernelIDF16_hLN4vllm18Fp8KVCacheDataTypeE1EDF16_Li32ELi64ELi256ELb0ELi4EEvPKT_PKT0_S7_ifPKiS9_S9_iPKfiiiPfSC_PS2_PT2_iSB_SB_,"axG",@progbits,_Z39paged_attention_ll4mi_QKV_mfma16_kernelIDF16_hLN4vllm18Fp8KVCacheDataTypeE1EDF16_Li32ELi64ELi256ELb0ELi4EEvPKT_PKT0_S7_ifPKiS9_S9_iPKfiiiPfSC_PS2_PT2_iSB_SB_,comdat
.Lfunc_end929:
	.size	_Z39paged_attention_ll4mi_QKV_mfma16_kernelIDF16_hLN4vllm18Fp8KVCacheDataTypeE1EDF16_Li32ELi64ELi256ELb0ELi4EEvPKT_PKT0_S7_ifPKiS9_S9_iPKfiiiPfSC_PS2_PT2_iSB_SB_, .Lfunc_end929-_Z39paged_attention_ll4mi_QKV_mfma16_kernelIDF16_hLN4vllm18Fp8KVCacheDataTypeE1EDF16_Li32ELi64ELi256ELb0ELi4EEvPKT_PKT0_S7_ifPKiS9_S9_iPKfiiiPfSC_PS2_PT2_iSB_SB_
                                        ; -- End function
	.set _Z39paged_attention_ll4mi_QKV_mfma16_kernelIDF16_hLN4vllm18Fp8KVCacheDataTypeE1EDF16_Li32ELi64ELi256ELb0ELi4EEvPKT_PKT0_S7_ifPKiS9_S9_iPKfiiiPfSC_PS2_PT2_iSB_SB_.num_vgpr, max(3, .L__assert_fail.num_vgpr)
	.set _Z39paged_attention_ll4mi_QKV_mfma16_kernelIDF16_hLN4vllm18Fp8KVCacheDataTypeE1EDF16_Li32ELi64ELi256ELb0ELi4EEvPKT_PKT0_S7_ifPKiS9_S9_iPKfiiiPfSC_PS2_PT2_iSB_SB_.num_agpr, max(0, .L__assert_fail.num_agpr)
	.set _Z39paged_attention_ll4mi_QKV_mfma16_kernelIDF16_hLN4vllm18Fp8KVCacheDataTypeE1EDF16_Li32ELi64ELi256ELb0ELi4EEvPKT_PKT0_S7_ifPKiS9_S9_iPKfiiiPfSC_PS2_PT2_iSB_SB_.numbered_sgpr, max(33, .L__assert_fail.numbered_sgpr)
	.set _Z39paged_attention_ll4mi_QKV_mfma16_kernelIDF16_hLN4vllm18Fp8KVCacheDataTypeE1EDF16_Li32ELi64ELi256ELb0ELi4EEvPKT_PKT0_S7_ifPKiS9_S9_iPKfiiiPfSC_PS2_PT2_iSB_SB_.num_named_barrier, max(0, .L__assert_fail.num_named_barrier)
	.set _Z39paged_attention_ll4mi_QKV_mfma16_kernelIDF16_hLN4vllm18Fp8KVCacheDataTypeE1EDF16_Li32ELi64ELi256ELb0ELi4EEvPKT_PKT0_S7_ifPKiS9_S9_iPKfiiiPfSC_PS2_PT2_iSB_SB_.private_seg_size, 0+max(.L__assert_fail.private_seg_size)
	.set _Z39paged_attention_ll4mi_QKV_mfma16_kernelIDF16_hLN4vllm18Fp8KVCacheDataTypeE1EDF16_Li32ELi64ELi256ELb0ELi4EEvPKT_PKT0_S7_ifPKiS9_S9_iPKfiiiPfSC_PS2_PT2_iSB_SB_.uses_vcc, or(1, .L__assert_fail.uses_vcc)
	.set _Z39paged_attention_ll4mi_QKV_mfma16_kernelIDF16_hLN4vllm18Fp8KVCacheDataTypeE1EDF16_Li32ELi64ELi256ELb0ELi4EEvPKT_PKT0_S7_ifPKiS9_S9_iPKfiiiPfSC_PS2_PT2_iSB_SB_.uses_flat_scratch, or(0, .L__assert_fail.uses_flat_scratch)
	.set _Z39paged_attention_ll4mi_QKV_mfma16_kernelIDF16_hLN4vllm18Fp8KVCacheDataTypeE1EDF16_Li32ELi64ELi256ELb0ELi4EEvPKT_PKT0_S7_ifPKiS9_S9_iPKfiiiPfSC_PS2_PT2_iSB_SB_.has_dyn_sized_stack, or(0, .L__assert_fail.has_dyn_sized_stack)
	.set _Z39paged_attention_ll4mi_QKV_mfma16_kernelIDF16_hLN4vllm18Fp8KVCacheDataTypeE1EDF16_Li32ELi64ELi256ELb0ELi4EEvPKT_PKT0_S7_ifPKiS9_S9_iPKfiiiPfSC_PS2_PT2_iSB_SB_.has_recursion, or(0, .L__assert_fail.has_recursion)
	.set _Z39paged_attention_ll4mi_QKV_mfma16_kernelIDF16_hLN4vllm18Fp8KVCacheDataTypeE1EDF16_Li32ELi64ELi256ELb0ELi4EEvPKT_PKT0_S7_ifPKiS9_S9_iPKfiiiPfSC_PS2_PT2_iSB_SB_.has_indirect_call, or(0, .L__assert_fail.has_indirect_call)
	.section	.AMDGPU.csdata,"",@progbits
; Kernel info:
; codeLenInByte = 68
; TotalNumSgprs: 36
; NumVgprs: 51
; ScratchSize: 64
; MemoryBound: 0
; FloatMode: 240
; IeeeMode: 1
; LDSByteSize: 0 bytes/workgroup (compile time only)
; SGPRBlocks: 0
; VGPRBlocks: 3
; NumSGPRsForWavesPerEU: 36
; NumVGPRsForWavesPerEU: 51
; NamedBarCnt: 0
; Occupancy: 16
; WaveLimiterHint : 1
; COMPUTE_PGM_RSRC2:SCRATCH_EN: 1
; COMPUTE_PGM_RSRC2:USER_SGPR: 2
; COMPUTE_PGM_RSRC2:TRAP_HANDLER: 0
; COMPUTE_PGM_RSRC2:TGID_X_EN: 1
; COMPUTE_PGM_RSRC2:TGID_Y_EN: 0
; COMPUTE_PGM_RSRC2:TGID_Z_EN: 0
; COMPUTE_PGM_RSRC2:TIDIG_COMP_CNT: 0
	.section	.text._Z38paged_attention_ll4mi_QKV_mfma4_kernelIDF16_hLN4vllm18Fp8KVCacheDataTypeE1EhLi16ELi128ELi256ELb1ELi1EEvPKT_PKT0_S7_ifPKiS9_S9_iPKfiiiPfSC_PS2_PT2_iSB_SB_,"axG",@progbits,_Z38paged_attention_ll4mi_QKV_mfma4_kernelIDF16_hLN4vllm18Fp8KVCacheDataTypeE1EhLi16ELi128ELi256ELb1ELi1EEvPKT_PKT0_S7_ifPKiS9_S9_iPKfiiiPfSC_PS2_PT2_iSB_SB_,comdat
	.protected	_Z38paged_attention_ll4mi_QKV_mfma4_kernelIDF16_hLN4vllm18Fp8KVCacheDataTypeE1EhLi16ELi128ELi256ELb1ELi1EEvPKT_PKT0_S7_ifPKiS9_S9_iPKfiiiPfSC_PS2_PT2_iSB_SB_ ; -- Begin function _Z38paged_attention_ll4mi_QKV_mfma4_kernelIDF16_hLN4vllm18Fp8KVCacheDataTypeE1EhLi16ELi128ELi256ELb1ELi1EEvPKT_PKT0_S7_ifPKiS9_S9_iPKfiiiPfSC_PS2_PT2_iSB_SB_
	.globl	_Z38paged_attention_ll4mi_QKV_mfma4_kernelIDF16_hLN4vllm18Fp8KVCacheDataTypeE1EhLi16ELi128ELi256ELb1ELi1EEvPKT_PKT0_S7_ifPKiS9_S9_iPKfiiiPfSC_PS2_PT2_iSB_SB_
	.p2align	8
	.type	_Z38paged_attention_ll4mi_QKV_mfma4_kernelIDF16_hLN4vllm18Fp8KVCacheDataTypeE1EhLi16ELi128ELi256ELb1ELi1EEvPKT_PKT0_S7_ifPKiS9_S9_iPKfiiiPfSC_PS2_PT2_iSB_SB_,@function
_Z38paged_attention_ll4mi_QKV_mfma4_kernelIDF16_hLN4vllm18Fp8KVCacheDataTypeE1EhLi16ELi128ELi256ELb1ELi1EEvPKT_PKT0_S7_ifPKiS9_S9_iPKfiiiPfSC_PS2_PT2_iSB_SB_: ; @_Z38paged_attention_ll4mi_QKV_mfma4_kernelIDF16_hLN4vllm18Fp8KVCacheDataTypeE1EhLi16ELi128ELi256ELb1ELi1EEvPKT_PKT0_S7_ifPKiS9_S9_iPKfiiiPfSC_PS2_PT2_iSB_SB_
; %bb.0:
	s_get_pc_i64 s[2:3]
	s_add_nc_u64 s[2:3], s[2:3], __PRETTY_FUNCTION__._Z38paged_attention_ll4mi_QKV_mfma4_kernelIDF16_hLN4vllm18Fp8KVCacheDataTypeE1EhLi16ELi128ELi256ELb1ELi1EEvPKT_PKT0_S7_ifPKiS9_S9_iPKfiiiPfSC_PS2_PT2_iSB_SB_@rel64+4
	s_delay_alu instid0(SALU_CYCLE_1)
	v_dual_mov_b32 v0, 0xbce :: v_dual_mov_b32 v1, s2
	v_mov_b32_e32 v2, s3
	s_add_nc_u64 s[8:9], s[0:1], 0x90
	s_get_pc_i64 s[0:1]
	s_add_nc_u64 s[0:1], s[0:1], __assert_fail@rel64+4
	s_mov_b32 s32, 0
	s_swap_pc_i64 s[30:31], s[0:1]
	.section	.rodata,"a",@progbits
	.p2align	6, 0x0
	.amdhsa_kernel _Z38paged_attention_ll4mi_QKV_mfma4_kernelIDF16_hLN4vllm18Fp8KVCacheDataTypeE1EhLi16ELi128ELi256ELb1ELi1EEvPKT_PKT0_S7_ifPKiS9_S9_iPKfiiiPfSC_PS2_PT2_iSB_SB_
		.amdhsa_group_segment_fixed_size 0
		.amdhsa_private_segment_fixed_size 64
		.amdhsa_kernarg_size 400
		.amdhsa_user_sgpr_count 2
		.amdhsa_user_sgpr_dispatch_ptr 0
		.amdhsa_user_sgpr_queue_ptr 0
		.amdhsa_user_sgpr_kernarg_segment_ptr 1
		.amdhsa_user_sgpr_dispatch_id 0
		.amdhsa_user_sgpr_kernarg_preload_length 0
		.amdhsa_user_sgpr_kernarg_preload_offset 0
		.amdhsa_user_sgpr_private_segment_size 0
		.amdhsa_wavefront_size32 1
		.amdhsa_uses_dynamic_stack 0
		.amdhsa_enable_private_segment 1
		.amdhsa_system_sgpr_workgroup_id_x 1
		.amdhsa_system_sgpr_workgroup_id_y 0
		.amdhsa_system_sgpr_workgroup_id_z 0
		.amdhsa_system_sgpr_workgroup_info 0
		.amdhsa_system_vgpr_workitem_id 0
		.amdhsa_next_free_vgpr 51
		.amdhsa_next_free_sgpr 34
		.amdhsa_named_barrier_count 0
		.amdhsa_reserve_vcc 1
		.amdhsa_float_round_mode_32 0
		.amdhsa_float_round_mode_16_64 0
		.amdhsa_float_denorm_mode_32 3
		.amdhsa_float_denorm_mode_16_64 3
		.amdhsa_fp16_overflow 0
		.amdhsa_memory_ordered 1
		.amdhsa_forward_progress 1
		.amdhsa_inst_pref_size 1
		.amdhsa_round_robin_scheduling 0
		.amdhsa_exception_fp_ieee_invalid_op 0
		.amdhsa_exception_fp_denorm_src 0
		.amdhsa_exception_fp_ieee_div_zero 0
		.amdhsa_exception_fp_ieee_overflow 0
		.amdhsa_exception_fp_ieee_underflow 0
		.amdhsa_exception_fp_ieee_inexact 0
		.amdhsa_exception_int_div_zero 0
	.end_amdhsa_kernel
	.section	.text._Z38paged_attention_ll4mi_QKV_mfma4_kernelIDF16_hLN4vllm18Fp8KVCacheDataTypeE1EhLi16ELi128ELi256ELb1ELi1EEvPKT_PKT0_S7_ifPKiS9_S9_iPKfiiiPfSC_PS2_PT2_iSB_SB_,"axG",@progbits,_Z38paged_attention_ll4mi_QKV_mfma4_kernelIDF16_hLN4vllm18Fp8KVCacheDataTypeE1EhLi16ELi128ELi256ELb1ELi1EEvPKT_PKT0_S7_ifPKiS9_S9_iPKfiiiPfSC_PS2_PT2_iSB_SB_,comdat
.Lfunc_end930:
	.size	_Z38paged_attention_ll4mi_QKV_mfma4_kernelIDF16_hLN4vllm18Fp8KVCacheDataTypeE1EhLi16ELi128ELi256ELb1ELi1EEvPKT_PKT0_S7_ifPKiS9_S9_iPKfiiiPfSC_PS2_PT2_iSB_SB_, .Lfunc_end930-_Z38paged_attention_ll4mi_QKV_mfma4_kernelIDF16_hLN4vllm18Fp8KVCacheDataTypeE1EhLi16ELi128ELi256ELb1ELi1EEvPKT_PKT0_S7_ifPKiS9_S9_iPKfiiiPfSC_PS2_PT2_iSB_SB_
                                        ; -- End function
	.set _Z38paged_attention_ll4mi_QKV_mfma4_kernelIDF16_hLN4vllm18Fp8KVCacheDataTypeE1EhLi16ELi128ELi256ELb1ELi1EEvPKT_PKT0_S7_ifPKiS9_S9_iPKfiiiPfSC_PS2_PT2_iSB_SB_.num_vgpr, max(3, .L__assert_fail.num_vgpr)
	.set _Z38paged_attention_ll4mi_QKV_mfma4_kernelIDF16_hLN4vllm18Fp8KVCacheDataTypeE1EhLi16ELi128ELi256ELb1ELi1EEvPKT_PKT0_S7_ifPKiS9_S9_iPKfiiiPfSC_PS2_PT2_iSB_SB_.num_agpr, max(0, .L__assert_fail.num_agpr)
	.set _Z38paged_attention_ll4mi_QKV_mfma4_kernelIDF16_hLN4vllm18Fp8KVCacheDataTypeE1EhLi16ELi128ELi256ELb1ELi1EEvPKT_PKT0_S7_ifPKiS9_S9_iPKfiiiPfSC_PS2_PT2_iSB_SB_.numbered_sgpr, max(33, .L__assert_fail.numbered_sgpr)
	.set _Z38paged_attention_ll4mi_QKV_mfma4_kernelIDF16_hLN4vllm18Fp8KVCacheDataTypeE1EhLi16ELi128ELi256ELb1ELi1EEvPKT_PKT0_S7_ifPKiS9_S9_iPKfiiiPfSC_PS2_PT2_iSB_SB_.num_named_barrier, max(0, .L__assert_fail.num_named_barrier)
	.set _Z38paged_attention_ll4mi_QKV_mfma4_kernelIDF16_hLN4vllm18Fp8KVCacheDataTypeE1EhLi16ELi128ELi256ELb1ELi1EEvPKT_PKT0_S7_ifPKiS9_S9_iPKfiiiPfSC_PS2_PT2_iSB_SB_.private_seg_size, 0+max(.L__assert_fail.private_seg_size)
	.set _Z38paged_attention_ll4mi_QKV_mfma4_kernelIDF16_hLN4vllm18Fp8KVCacheDataTypeE1EhLi16ELi128ELi256ELb1ELi1EEvPKT_PKT0_S7_ifPKiS9_S9_iPKfiiiPfSC_PS2_PT2_iSB_SB_.uses_vcc, or(1, .L__assert_fail.uses_vcc)
	.set _Z38paged_attention_ll4mi_QKV_mfma4_kernelIDF16_hLN4vllm18Fp8KVCacheDataTypeE1EhLi16ELi128ELi256ELb1ELi1EEvPKT_PKT0_S7_ifPKiS9_S9_iPKfiiiPfSC_PS2_PT2_iSB_SB_.uses_flat_scratch, or(0, .L__assert_fail.uses_flat_scratch)
	.set _Z38paged_attention_ll4mi_QKV_mfma4_kernelIDF16_hLN4vllm18Fp8KVCacheDataTypeE1EhLi16ELi128ELi256ELb1ELi1EEvPKT_PKT0_S7_ifPKiS9_S9_iPKfiiiPfSC_PS2_PT2_iSB_SB_.has_dyn_sized_stack, or(0, .L__assert_fail.has_dyn_sized_stack)
	.set _Z38paged_attention_ll4mi_QKV_mfma4_kernelIDF16_hLN4vllm18Fp8KVCacheDataTypeE1EhLi16ELi128ELi256ELb1ELi1EEvPKT_PKT0_S7_ifPKiS9_S9_iPKfiiiPfSC_PS2_PT2_iSB_SB_.has_recursion, or(0, .L__assert_fail.has_recursion)
	.set _Z38paged_attention_ll4mi_QKV_mfma4_kernelIDF16_hLN4vllm18Fp8KVCacheDataTypeE1EhLi16ELi128ELi256ELb1ELi1EEvPKT_PKT0_S7_ifPKiS9_S9_iPKfiiiPfSC_PS2_PT2_iSB_SB_.has_indirect_call, or(0, .L__assert_fail.has_indirect_call)
	.section	.AMDGPU.csdata,"",@progbits
; Kernel info:
; codeLenInByte = 68
; TotalNumSgprs: 36
; NumVgprs: 51
; ScratchSize: 64
; MemoryBound: 0
; FloatMode: 240
; IeeeMode: 1
; LDSByteSize: 0 bytes/workgroup (compile time only)
; SGPRBlocks: 0
; VGPRBlocks: 3
; NumSGPRsForWavesPerEU: 36
; NumVGPRsForWavesPerEU: 51
; NamedBarCnt: 0
; Occupancy: 16
; WaveLimiterHint : 1
; COMPUTE_PGM_RSRC2:SCRATCH_EN: 1
; COMPUTE_PGM_RSRC2:USER_SGPR: 2
; COMPUTE_PGM_RSRC2:TRAP_HANDLER: 0
; COMPUTE_PGM_RSRC2:TGID_X_EN: 1
; COMPUTE_PGM_RSRC2:TGID_Y_EN: 0
; COMPUTE_PGM_RSRC2:TGID_Z_EN: 0
; COMPUTE_PGM_RSRC2:TIDIG_COMP_CNT: 0
	.section	.text._Z38paged_attention_ll4mi_QKV_mfma4_kernelIDF16_hLN4vllm18Fp8KVCacheDataTypeE1EhLi16ELi128ELi256ELb1ELi2EEvPKT_PKT0_S7_ifPKiS9_S9_iPKfiiiPfSC_PS2_PT2_iSB_SB_,"axG",@progbits,_Z38paged_attention_ll4mi_QKV_mfma4_kernelIDF16_hLN4vllm18Fp8KVCacheDataTypeE1EhLi16ELi128ELi256ELb1ELi2EEvPKT_PKT0_S7_ifPKiS9_S9_iPKfiiiPfSC_PS2_PT2_iSB_SB_,comdat
	.protected	_Z38paged_attention_ll4mi_QKV_mfma4_kernelIDF16_hLN4vllm18Fp8KVCacheDataTypeE1EhLi16ELi128ELi256ELb1ELi2EEvPKT_PKT0_S7_ifPKiS9_S9_iPKfiiiPfSC_PS2_PT2_iSB_SB_ ; -- Begin function _Z38paged_attention_ll4mi_QKV_mfma4_kernelIDF16_hLN4vllm18Fp8KVCacheDataTypeE1EhLi16ELi128ELi256ELb1ELi2EEvPKT_PKT0_S7_ifPKiS9_S9_iPKfiiiPfSC_PS2_PT2_iSB_SB_
	.globl	_Z38paged_attention_ll4mi_QKV_mfma4_kernelIDF16_hLN4vllm18Fp8KVCacheDataTypeE1EhLi16ELi128ELi256ELb1ELi2EEvPKT_PKT0_S7_ifPKiS9_S9_iPKfiiiPfSC_PS2_PT2_iSB_SB_
	.p2align	8
	.type	_Z38paged_attention_ll4mi_QKV_mfma4_kernelIDF16_hLN4vllm18Fp8KVCacheDataTypeE1EhLi16ELi128ELi256ELb1ELi2EEvPKT_PKT0_S7_ifPKiS9_S9_iPKfiiiPfSC_PS2_PT2_iSB_SB_,@function
_Z38paged_attention_ll4mi_QKV_mfma4_kernelIDF16_hLN4vllm18Fp8KVCacheDataTypeE1EhLi16ELi128ELi256ELb1ELi2EEvPKT_PKT0_S7_ifPKiS9_S9_iPKfiiiPfSC_PS2_PT2_iSB_SB_: ; @_Z38paged_attention_ll4mi_QKV_mfma4_kernelIDF16_hLN4vllm18Fp8KVCacheDataTypeE1EhLi16ELi128ELi256ELb1ELi2EEvPKT_PKT0_S7_ifPKiS9_S9_iPKfiiiPfSC_PS2_PT2_iSB_SB_
; %bb.0:
	s_get_pc_i64 s[2:3]
	s_add_nc_u64 s[2:3], s[2:3], __PRETTY_FUNCTION__._Z38paged_attention_ll4mi_QKV_mfma4_kernelIDF16_hLN4vllm18Fp8KVCacheDataTypeE1EhLi16ELi128ELi256ELb1ELi2EEvPKT_PKT0_S7_ifPKiS9_S9_iPKfiiiPfSC_PS2_PT2_iSB_SB_@rel64+4
	s_delay_alu instid0(SALU_CYCLE_1)
	v_dual_mov_b32 v0, 0xbce :: v_dual_mov_b32 v1, s2
	v_mov_b32_e32 v2, s3
	s_add_nc_u64 s[8:9], s[0:1], 0x90
	s_get_pc_i64 s[0:1]
	s_add_nc_u64 s[0:1], s[0:1], __assert_fail@rel64+4
	s_mov_b32 s32, 0
	s_swap_pc_i64 s[30:31], s[0:1]
	.section	.rodata,"a",@progbits
	.p2align	6, 0x0
	.amdhsa_kernel _Z38paged_attention_ll4mi_QKV_mfma4_kernelIDF16_hLN4vllm18Fp8KVCacheDataTypeE1EhLi16ELi128ELi256ELb1ELi2EEvPKT_PKT0_S7_ifPKiS9_S9_iPKfiiiPfSC_PS2_PT2_iSB_SB_
		.amdhsa_group_segment_fixed_size 0
		.amdhsa_private_segment_fixed_size 64
		.amdhsa_kernarg_size 400
		.amdhsa_user_sgpr_count 2
		.amdhsa_user_sgpr_dispatch_ptr 0
		.amdhsa_user_sgpr_queue_ptr 0
		.amdhsa_user_sgpr_kernarg_segment_ptr 1
		.amdhsa_user_sgpr_dispatch_id 0
		.amdhsa_user_sgpr_kernarg_preload_length 0
		.amdhsa_user_sgpr_kernarg_preload_offset 0
		.amdhsa_user_sgpr_private_segment_size 0
		.amdhsa_wavefront_size32 1
		.amdhsa_uses_dynamic_stack 0
		.amdhsa_enable_private_segment 1
		.amdhsa_system_sgpr_workgroup_id_x 1
		.amdhsa_system_sgpr_workgroup_id_y 0
		.amdhsa_system_sgpr_workgroup_id_z 0
		.amdhsa_system_sgpr_workgroup_info 0
		.amdhsa_system_vgpr_workitem_id 0
		.amdhsa_next_free_vgpr 51
		.amdhsa_next_free_sgpr 34
		.amdhsa_named_barrier_count 0
		.amdhsa_reserve_vcc 1
		.amdhsa_float_round_mode_32 0
		.amdhsa_float_round_mode_16_64 0
		.amdhsa_float_denorm_mode_32 3
		.amdhsa_float_denorm_mode_16_64 3
		.amdhsa_fp16_overflow 0
		.amdhsa_memory_ordered 1
		.amdhsa_forward_progress 1
		.amdhsa_inst_pref_size 1
		.amdhsa_round_robin_scheduling 0
		.amdhsa_exception_fp_ieee_invalid_op 0
		.amdhsa_exception_fp_denorm_src 0
		.amdhsa_exception_fp_ieee_div_zero 0
		.amdhsa_exception_fp_ieee_overflow 0
		.amdhsa_exception_fp_ieee_underflow 0
		.amdhsa_exception_fp_ieee_inexact 0
		.amdhsa_exception_int_div_zero 0
	.end_amdhsa_kernel
	.section	.text._Z38paged_attention_ll4mi_QKV_mfma4_kernelIDF16_hLN4vllm18Fp8KVCacheDataTypeE1EhLi16ELi128ELi256ELb1ELi2EEvPKT_PKT0_S7_ifPKiS9_S9_iPKfiiiPfSC_PS2_PT2_iSB_SB_,"axG",@progbits,_Z38paged_attention_ll4mi_QKV_mfma4_kernelIDF16_hLN4vllm18Fp8KVCacheDataTypeE1EhLi16ELi128ELi256ELb1ELi2EEvPKT_PKT0_S7_ifPKiS9_S9_iPKfiiiPfSC_PS2_PT2_iSB_SB_,comdat
.Lfunc_end931:
	.size	_Z38paged_attention_ll4mi_QKV_mfma4_kernelIDF16_hLN4vllm18Fp8KVCacheDataTypeE1EhLi16ELi128ELi256ELb1ELi2EEvPKT_PKT0_S7_ifPKiS9_S9_iPKfiiiPfSC_PS2_PT2_iSB_SB_, .Lfunc_end931-_Z38paged_attention_ll4mi_QKV_mfma4_kernelIDF16_hLN4vllm18Fp8KVCacheDataTypeE1EhLi16ELi128ELi256ELb1ELi2EEvPKT_PKT0_S7_ifPKiS9_S9_iPKfiiiPfSC_PS2_PT2_iSB_SB_
                                        ; -- End function
	.set _Z38paged_attention_ll4mi_QKV_mfma4_kernelIDF16_hLN4vllm18Fp8KVCacheDataTypeE1EhLi16ELi128ELi256ELb1ELi2EEvPKT_PKT0_S7_ifPKiS9_S9_iPKfiiiPfSC_PS2_PT2_iSB_SB_.num_vgpr, max(3, .L__assert_fail.num_vgpr)
	.set _Z38paged_attention_ll4mi_QKV_mfma4_kernelIDF16_hLN4vllm18Fp8KVCacheDataTypeE1EhLi16ELi128ELi256ELb1ELi2EEvPKT_PKT0_S7_ifPKiS9_S9_iPKfiiiPfSC_PS2_PT2_iSB_SB_.num_agpr, max(0, .L__assert_fail.num_agpr)
	.set _Z38paged_attention_ll4mi_QKV_mfma4_kernelIDF16_hLN4vllm18Fp8KVCacheDataTypeE1EhLi16ELi128ELi256ELb1ELi2EEvPKT_PKT0_S7_ifPKiS9_S9_iPKfiiiPfSC_PS2_PT2_iSB_SB_.numbered_sgpr, max(33, .L__assert_fail.numbered_sgpr)
	.set _Z38paged_attention_ll4mi_QKV_mfma4_kernelIDF16_hLN4vllm18Fp8KVCacheDataTypeE1EhLi16ELi128ELi256ELb1ELi2EEvPKT_PKT0_S7_ifPKiS9_S9_iPKfiiiPfSC_PS2_PT2_iSB_SB_.num_named_barrier, max(0, .L__assert_fail.num_named_barrier)
	.set _Z38paged_attention_ll4mi_QKV_mfma4_kernelIDF16_hLN4vllm18Fp8KVCacheDataTypeE1EhLi16ELi128ELi256ELb1ELi2EEvPKT_PKT0_S7_ifPKiS9_S9_iPKfiiiPfSC_PS2_PT2_iSB_SB_.private_seg_size, 0+max(.L__assert_fail.private_seg_size)
	.set _Z38paged_attention_ll4mi_QKV_mfma4_kernelIDF16_hLN4vllm18Fp8KVCacheDataTypeE1EhLi16ELi128ELi256ELb1ELi2EEvPKT_PKT0_S7_ifPKiS9_S9_iPKfiiiPfSC_PS2_PT2_iSB_SB_.uses_vcc, or(1, .L__assert_fail.uses_vcc)
	.set _Z38paged_attention_ll4mi_QKV_mfma4_kernelIDF16_hLN4vllm18Fp8KVCacheDataTypeE1EhLi16ELi128ELi256ELb1ELi2EEvPKT_PKT0_S7_ifPKiS9_S9_iPKfiiiPfSC_PS2_PT2_iSB_SB_.uses_flat_scratch, or(0, .L__assert_fail.uses_flat_scratch)
	.set _Z38paged_attention_ll4mi_QKV_mfma4_kernelIDF16_hLN4vllm18Fp8KVCacheDataTypeE1EhLi16ELi128ELi256ELb1ELi2EEvPKT_PKT0_S7_ifPKiS9_S9_iPKfiiiPfSC_PS2_PT2_iSB_SB_.has_dyn_sized_stack, or(0, .L__assert_fail.has_dyn_sized_stack)
	.set _Z38paged_attention_ll4mi_QKV_mfma4_kernelIDF16_hLN4vllm18Fp8KVCacheDataTypeE1EhLi16ELi128ELi256ELb1ELi2EEvPKT_PKT0_S7_ifPKiS9_S9_iPKfiiiPfSC_PS2_PT2_iSB_SB_.has_recursion, or(0, .L__assert_fail.has_recursion)
	.set _Z38paged_attention_ll4mi_QKV_mfma4_kernelIDF16_hLN4vllm18Fp8KVCacheDataTypeE1EhLi16ELi128ELi256ELb1ELi2EEvPKT_PKT0_S7_ifPKiS9_S9_iPKfiiiPfSC_PS2_PT2_iSB_SB_.has_indirect_call, or(0, .L__assert_fail.has_indirect_call)
	.section	.AMDGPU.csdata,"",@progbits
; Kernel info:
; codeLenInByte = 68
; TotalNumSgprs: 36
; NumVgprs: 51
; ScratchSize: 64
; MemoryBound: 0
; FloatMode: 240
; IeeeMode: 1
; LDSByteSize: 0 bytes/workgroup (compile time only)
; SGPRBlocks: 0
; VGPRBlocks: 3
; NumSGPRsForWavesPerEU: 36
; NumVGPRsForWavesPerEU: 51
; NamedBarCnt: 0
; Occupancy: 16
; WaveLimiterHint : 1
; COMPUTE_PGM_RSRC2:SCRATCH_EN: 1
; COMPUTE_PGM_RSRC2:USER_SGPR: 2
; COMPUTE_PGM_RSRC2:TRAP_HANDLER: 0
; COMPUTE_PGM_RSRC2:TGID_X_EN: 1
; COMPUTE_PGM_RSRC2:TGID_Y_EN: 0
; COMPUTE_PGM_RSRC2:TGID_Z_EN: 0
; COMPUTE_PGM_RSRC2:TIDIG_COMP_CNT: 0
	.section	.text._Z38paged_attention_ll4mi_QKV_mfma4_kernelIDF16_hLN4vllm18Fp8KVCacheDataTypeE1EhLi16ELi128ELi256ELb1ELi3EEvPKT_PKT0_S7_ifPKiS9_S9_iPKfiiiPfSC_PS2_PT2_iSB_SB_,"axG",@progbits,_Z38paged_attention_ll4mi_QKV_mfma4_kernelIDF16_hLN4vllm18Fp8KVCacheDataTypeE1EhLi16ELi128ELi256ELb1ELi3EEvPKT_PKT0_S7_ifPKiS9_S9_iPKfiiiPfSC_PS2_PT2_iSB_SB_,comdat
	.protected	_Z38paged_attention_ll4mi_QKV_mfma4_kernelIDF16_hLN4vllm18Fp8KVCacheDataTypeE1EhLi16ELi128ELi256ELb1ELi3EEvPKT_PKT0_S7_ifPKiS9_S9_iPKfiiiPfSC_PS2_PT2_iSB_SB_ ; -- Begin function _Z38paged_attention_ll4mi_QKV_mfma4_kernelIDF16_hLN4vllm18Fp8KVCacheDataTypeE1EhLi16ELi128ELi256ELb1ELi3EEvPKT_PKT0_S7_ifPKiS9_S9_iPKfiiiPfSC_PS2_PT2_iSB_SB_
	.globl	_Z38paged_attention_ll4mi_QKV_mfma4_kernelIDF16_hLN4vllm18Fp8KVCacheDataTypeE1EhLi16ELi128ELi256ELb1ELi3EEvPKT_PKT0_S7_ifPKiS9_S9_iPKfiiiPfSC_PS2_PT2_iSB_SB_
	.p2align	8
	.type	_Z38paged_attention_ll4mi_QKV_mfma4_kernelIDF16_hLN4vllm18Fp8KVCacheDataTypeE1EhLi16ELi128ELi256ELb1ELi3EEvPKT_PKT0_S7_ifPKiS9_S9_iPKfiiiPfSC_PS2_PT2_iSB_SB_,@function
_Z38paged_attention_ll4mi_QKV_mfma4_kernelIDF16_hLN4vllm18Fp8KVCacheDataTypeE1EhLi16ELi128ELi256ELb1ELi3EEvPKT_PKT0_S7_ifPKiS9_S9_iPKfiiiPfSC_PS2_PT2_iSB_SB_: ; @_Z38paged_attention_ll4mi_QKV_mfma4_kernelIDF16_hLN4vllm18Fp8KVCacheDataTypeE1EhLi16ELi128ELi256ELb1ELi3EEvPKT_PKT0_S7_ifPKiS9_S9_iPKfiiiPfSC_PS2_PT2_iSB_SB_
; %bb.0:
	s_get_pc_i64 s[2:3]
	s_add_nc_u64 s[2:3], s[2:3], __PRETTY_FUNCTION__._Z38paged_attention_ll4mi_QKV_mfma4_kernelIDF16_hLN4vllm18Fp8KVCacheDataTypeE1EhLi16ELi128ELi256ELb1ELi3EEvPKT_PKT0_S7_ifPKiS9_S9_iPKfiiiPfSC_PS2_PT2_iSB_SB_@rel64+4
	s_delay_alu instid0(SALU_CYCLE_1)
	v_dual_mov_b32 v0, 0xbce :: v_dual_mov_b32 v1, s2
	v_mov_b32_e32 v2, s3
	s_add_nc_u64 s[8:9], s[0:1], 0x90
	s_get_pc_i64 s[0:1]
	s_add_nc_u64 s[0:1], s[0:1], __assert_fail@rel64+4
	s_mov_b32 s32, 0
	s_swap_pc_i64 s[30:31], s[0:1]
	.section	.rodata,"a",@progbits
	.p2align	6, 0x0
	.amdhsa_kernel _Z38paged_attention_ll4mi_QKV_mfma4_kernelIDF16_hLN4vllm18Fp8KVCacheDataTypeE1EhLi16ELi128ELi256ELb1ELi3EEvPKT_PKT0_S7_ifPKiS9_S9_iPKfiiiPfSC_PS2_PT2_iSB_SB_
		.amdhsa_group_segment_fixed_size 0
		.amdhsa_private_segment_fixed_size 64
		.amdhsa_kernarg_size 400
		.amdhsa_user_sgpr_count 2
		.amdhsa_user_sgpr_dispatch_ptr 0
		.amdhsa_user_sgpr_queue_ptr 0
		.amdhsa_user_sgpr_kernarg_segment_ptr 1
		.amdhsa_user_sgpr_dispatch_id 0
		.amdhsa_user_sgpr_kernarg_preload_length 0
		.amdhsa_user_sgpr_kernarg_preload_offset 0
		.amdhsa_user_sgpr_private_segment_size 0
		.amdhsa_wavefront_size32 1
		.amdhsa_uses_dynamic_stack 0
		.amdhsa_enable_private_segment 1
		.amdhsa_system_sgpr_workgroup_id_x 1
		.amdhsa_system_sgpr_workgroup_id_y 0
		.amdhsa_system_sgpr_workgroup_id_z 0
		.amdhsa_system_sgpr_workgroup_info 0
		.amdhsa_system_vgpr_workitem_id 0
		.amdhsa_next_free_vgpr 51
		.amdhsa_next_free_sgpr 34
		.amdhsa_named_barrier_count 0
		.amdhsa_reserve_vcc 1
		.amdhsa_float_round_mode_32 0
		.amdhsa_float_round_mode_16_64 0
		.amdhsa_float_denorm_mode_32 3
		.amdhsa_float_denorm_mode_16_64 3
		.amdhsa_fp16_overflow 0
		.amdhsa_memory_ordered 1
		.amdhsa_forward_progress 1
		.amdhsa_inst_pref_size 1
		.amdhsa_round_robin_scheduling 0
		.amdhsa_exception_fp_ieee_invalid_op 0
		.amdhsa_exception_fp_denorm_src 0
		.amdhsa_exception_fp_ieee_div_zero 0
		.amdhsa_exception_fp_ieee_overflow 0
		.amdhsa_exception_fp_ieee_underflow 0
		.amdhsa_exception_fp_ieee_inexact 0
		.amdhsa_exception_int_div_zero 0
	.end_amdhsa_kernel
	.section	.text._Z38paged_attention_ll4mi_QKV_mfma4_kernelIDF16_hLN4vllm18Fp8KVCacheDataTypeE1EhLi16ELi128ELi256ELb1ELi3EEvPKT_PKT0_S7_ifPKiS9_S9_iPKfiiiPfSC_PS2_PT2_iSB_SB_,"axG",@progbits,_Z38paged_attention_ll4mi_QKV_mfma4_kernelIDF16_hLN4vllm18Fp8KVCacheDataTypeE1EhLi16ELi128ELi256ELb1ELi3EEvPKT_PKT0_S7_ifPKiS9_S9_iPKfiiiPfSC_PS2_PT2_iSB_SB_,comdat
.Lfunc_end932:
	.size	_Z38paged_attention_ll4mi_QKV_mfma4_kernelIDF16_hLN4vllm18Fp8KVCacheDataTypeE1EhLi16ELi128ELi256ELb1ELi3EEvPKT_PKT0_S7_ifPKiS9_S9_iPKfiiiPfSC_PS2_PT2_iSB_SB_, .Lfunc_end932-_Z38paged_attention_ll4mi_QKV_mfma4_kernelIDF16_hLN4vllm18Fp8KVCacheDataTypeE1EhLi16ELi128ELi256ELb1ELi3EEvPKT_PKT0_S7_ifPKiS9_S9_iPKfiiiPfSC_PS2_PT2_iSB_SB_
                                        ; -- End function
	.set _Z38paged_attention_ll4mi_QKV_mfma4_kernelIDF16_hLN4vllm18Fp8KVCacheDataTypeE1EhLi16ELi128ELi256ELb1ELi3EEvPKT_PKT0_S7_ifPKiS9_S9_iPKfiiiPfSC_PS2_PT2_iSB_SB_.num_vgpr, max(3, .L__assert_fail.num_vgpr)
	.set _Z38paged_attention_ll4mi_QKV_mfma4_kernelIDF16_hLN4vllm18Fp8KVCacheDataTypeE1EhLi16ELi128ELi256ELb1ELi3EEvPKT_PKT0_S7_ifPKiS9_S9_iPKfiiiPfSC_PS2_PT2_iSB_SB_.num_agpr, max(0, .L__assert_fail.num_agpr)
	.set _Z38paged_attention_ll4mi_QKV_mfma4_kernelIDF16_hLN4vllm18Fp8KVCacheDataTypeE1EhLi16ELi128ELi256ELb1ELi3EEvPKT_PKT0_S7_ifPKiS9_S9_iPKfiiiPfSC_PS2_PT2_iSB_SB_.numbered_sgpr, max(33, .L__assert_fail.numbered_sgpr)
	.set _Z38paged_attention_ll4mi_QKV_mfma4_kernelIDF16_hLN4vllm18Fp8KVCacheDataTypeE1EhLi16ELi128ELi256ELb1ELi3EEvPKT_PKT0_S7_ifPKiS9_S9_iPKfiiiPfSC_PS2_PT2_iSB_SB_.num_named_barrier, max(0, .L__assert_fail.num_named_barrier)
	.set _Z38paged_attention_ll4mi_QKV_mfma4_kernelIDF16_hLN4vllm18Fp8KVCacheDataTypeE1EhLi16ELi128ELi256ELb1ELi3EEvPKT_PKT0_S7_ifPKiS9_S9_iPKfiiiPfSC_PS2_PT2_iSB_SB_.private_seg_size, 0+max(.L__assert_fail.private_seg_size)
	.set _Z38paged_attention_ll4mi_QKV_mfma4_kernelIDF16_hLN4vllm18Fp8KVCacheDataTypeE1EhLi16ELi128ELi256ELb1ELi3EEvPKT_PKT0_S7_ifPKiS9_S9_iPKfiiiPfSC_PS2_PT2_iSB_SB_.uses_vcc, or(1, .L__assert_fail.uses_vcc)
	.set _Z38paged_attention_ll4mi_QKV_mfma4_kernelIDF16_hLN4vllm18Fp8KVCacheDataTypeE1EhLi16ELi128ELi256ELb1ELi3EEvPKT_PKT0_S7_ifPKiS9_S9_iPKfiiiPfSC_PS2_PT2_iSB_SB_.uses_flat_scratch, or(0, .L__assert_fail.uses_flat_scratch)
	.set _Z38paged_attention_ll4mi_QKV_mfma4_kernelIDF16_hLN4vllm18Fp8KVCacheDataTypeE1EhLi16ELi128ELi256ELb1ELi3EEvPKT_PKT0_S7_ifPKiS9_S9_iPKfiiiPfSC_PS2_PT2_iSB_SB_.has_dyn_sized_stack, or(0, .L__assert_fail.has_dyn_sized_stack)
	.set _Z38paged_attention_ll4mi_QKV_mfma4_kernelIDF16_hLN4vllm18Fp8KVCacheDataTypeE1EhLi16ELi128ELi256ELb1ELi3EEvPKT_PKT0_S7_ifPKiS9_S9_iPKfiiiPfSC_PS2_PT2_iSB_SB_.has_recursion, or(0, .L__assert_fail.has_recursion)
	.set _Z38paged_attention_ll4mi_QKV_mfma4_kernelIDF16_hLN4vllm18Fp8KVCacheDataTypeE1EhLi16ELi128ELi256ELb1ELi3EEvPKT_PKT0_S7_ifPKiS9_S9_iPKfiiiPfSC_PS2_PT2_iSB_SB_.has_indirect_call, or(0, .L__assert_fail.has_indirect_call)
	.section	.AMDGPU.csdata,"",@progbits
; Kernel info:
; codeLenInByte = 68
; TotalNumSgprs: 36
; NumVgprs: 51
; ScratchSize: 64
; MemoryBound: 0
; FloatMode: 240
; IeeeMode: 1
; LDSByteSize: 0 bytes/workgroup (compile time only)
; SGPRBlocks: 0
; VGPRBlocks: 3
; NumSGPRsForWavesPerEU: 36
; NumVGPRsForWavesPerEU: 51
; NamedBarCnt: 0
; Occupancy: 16
; WaveLimiterHint : 1
; COMPUTE_PGM_RSRC2:SCRATCH_EN: 1
; COMPUTE_PGM_RSRC2:USER_SGPR: 2
; COMPUTE_PGM_RSRC2:TRAP_HANDLER: 0
; COMPUTE_PGM_RSRC2:TGID_X_EN: 1
; COMPUTE_PGM_RSRC2:TGID_Y_EN: 0
; COMPUTE_PGM_RSRC2:TGID_Z_EN: 0
; COMPUTE_PGM_RSRC2:TIDIG_COMP_CNT: 0
	.section	.text._Z38paged_attention_ll4mi_QKV_mfma4_kernelIDF16_hLN4vllm18Fp8KVCacheDataTypeE1EhLi16ELi128ELi256ELb1ELi4EEvPKT_PKT0_S7_ifPKiS9_S9_iPKfiiiPfSC_PS2_PT2_iSB_SB_,"axG",@progbits,_Z38paged_attention_ll4mi_QKV_mfma4_kernelIDF16_hLN4vllm18Fp8KVCacheDataTypeE1EhLi16ELi128ELi256ELb1ELi4EEvPKT_PKT0_S7_ifPKiS9_S9_iPKfiiiPfSC_PS2_PT2_iSB_SB_,comdat
	.protected	_Z38paged_attention_ll4mi_QKV_mfma4_kernelIDF16_hLN4vllm18Fp8KVCacheDataTypeE1EhLi16ELi128ELi256ELb1ELi4EEvPKT_PKT0_S7_ifPKiS9_S9_iPKfiiiPfSC_PS2_PT2_iSB_SB_ ; -- Begin function _Z38paged_attention_ll4mi_QKV_mfma4_kernelIDF16_hLN4vllm18Fp8KVCacheDataTypeE1EhLi16ELi128ELi256ELb1ELi4EEvPKT_PKT0_S7_ifPKiS9_S9_iPKfiiiPfSC_PS2_PT2_iSB_SB_
	.globl	_Z38paged_attention_ll4mi_QKV_mfma4_kernelIDF16_hLN4vllm18Fp8KVCacheDataTypeE1EhLi16ELi128ELi256ELb1ELi4EEvPKT_PKT0_S7_ifPKiS9_S9_iPKfiiiPfSC_PS2_PT2_iSB_SB_
	.p2align	8
	.type	_Z38paged_attention_ll4mi_QKV_mfma4_kernelIDF16_hLN4vllm18Fp8KVCacheDataTypeE1EhLi16ELi128ELi256ELb1ELi4EEvPKT_PKT0_S7_ifPKiS9_S9_iPKfiiiPfSC_PS2_PT2_iSB_SB_,@function
_Z38paged_attention_ll4mi_QKV_mfma4_kernelIDF16_hLN4vllm18Fp8KVCacheDataTypeE1EhLi16ELi128ELi256ELb1ELi4EEvPKT_PKT0_S7_ifPKiS9_S9_iPKfiiiPfSC_PS2_PT2_iSB_SB_: ; @_Z38paged_attention_ll4mi_QKV_mfma4_kernelIDF16_hLN4vllm18Fp8KVCacheDataTypeE1EhLi16ELi128ELi256ELb1ELi4EEvPKT_PKT0_S7_ifPKiS9_S9_iPKfiiiPfSC_PS2_PT2_iSB_SB_
; %bb.0:
	s_get_pc_i64 s[2:3]
	s_add_nc_u64 s[2:3], s[2:3], __PRETTY_FUNCTION__._Z38paged_attention_ll4mi_QKV_mfma4_kernelIDF16_hLN4vllm18Fp8KVCacheDataTypeE1EhLi16ELi128ELi256ELb1ELi4EEvPKT_PKT0_S7_ifPKiS9_S9_iPKfiiiPfSC_PS2_PT2_iSB_SB_@rel64+4
	s_delay_alu instid0(SALU_CYCLE_1)
	v_dual_mov_b32 v0, 0xbce :: v_dual_mov_b32 v1, s2
	v_mov_b32_e32 v2, s3
	s_add_nc_u64 s[8:9], s[0:1], 0x90
	s_get_pc_i64 s[0:1]
	s_add_nc_u64 s[0:1], s[0:1], __assert_fail@rel64+4
	s_mov_b32 s32, 0
	s_swap_pc_i64 s[30:31], s[0:1]
	.section	.rodata,"a",@progbits
	.p2align	6, 0x0
	.amdhsa_kernel _Z38paged_attention_ll4mi_QKV_mfma4_kernelIDF16_hLN4vllm18Fp8KVCacheDataTypeE1EhLi16ELi128ELi256ELb1ELi4EEvPKT_PKT0_S7_ifPKiS9_S9_iPKfiiiPfSC_PS2_PT2_iSB_SB_
		.amdhsa_group_segment_fixed_size 0
		.amdhsa_private_segment_fixed_size 64
		.amdhsa_kernarg_size 400
		.amdhsa_user_sgpr_count 2
		.amdhsa_user_sgpr_dispatch_ptr 0
		.amdhsa_user_sgpr_queue_ptr 0
		.amdhsa_user_sgpr_kernarg_segment_ptr 1
		.amdhsa_user_sgpr_dispatch_id 0
		.amdhsa_user_sgpr_kernarg_preload_length 0
		.amdhsa_user_sgpr_kernarg_preload_offset 0
		.amdhsa_user_sgpr_private_segment_size 0
		.amdhsa_wavefront_size32 1
		.amdhsa_uses_dynamic_stack 0
		.amdhsa_enable_private_segment 1
		.amdhsa_system_sgpr_workgroup_id_x 1
		.amdhsa_system_sgpr_workgroup_id_y 0
		.amdhsa_system_sgpr_workgroup_id_z 0
		.amdhsa_system_sgpr_workgroup_info 0
		.amdhsa_system_vgpr_workitem_id 0
		.amdhsa_next_free_vgpr 51
		.amdhsa_next_free_sgpr 34
		.amdhsa_named_barrier_count 0
		.amdhsa_reserve_vcc 1
		.amdhsa_float_round_mode_32 0
		.amdhsa_float_round_mode_16_64 0
		.amdhsa_float_denorm_mode_32 3
		.amdhsa_float_denorm_mode_16_64 3
		.amdhsa_fp16_overflow 0
		.amdhsa_memory_ordered 1
		.amdhsa_forward_progress 1
		.amdhsa_inst_pref_size 1
		.amdhsa_round_robin_scheduling 0
		.amdhsa_exception_fp_ieee_invalid_op 0
		.amdhsa_exception_fp_denorm_src 0
		.amdhsa_exception_fp_ieee_div_zero 0
		.amdhsa_exception_fp_ieee_overflow 0
		.amdhsa_exception_fp_ieee_underflow 0
		.amdhsa_exception_fp_ieee_inexact 0
		.amdhsa_exception_int_div_zero 0
	.end_amdhsa_kernel
	.section	.text._Z38paged_attention_ll4mi_QKV_mfma4_kernelIDF16_hLN4vllm18Fp8KVCacheDataTypeE1EhLi16ELi128ELi256ELb1ELi4EEvPKT_PKT0_S7_ifPKiS9_S9_iPKfiiiPfSC_PS2_PT2_iSB_SB_,"axG",@progbits,_Z38paged_attention_ll4mi_QKV_mfma4_kernelIDF16_hLN4vllm18Fp8KVCacheDataTypeE1EhLi16ELi128ELi256ELb1ELi4EEvPKT_PKT0_S7_ifPKiS9_S9_iPKfiiiPfSC_PS2_PT2_iSB_SB_,comdat
.Lfunc_end933:
	.size	_Z38paged_attention_ll4mi_QKV_mfma4_kernelIDF16_hLN4vllm18Fp8KVCacheDataTypeE1EhLi16ELi128ELi256ELb1ELi4EEvPKT_PKT0_S7_ifPKiS9_S9_iPKfiiiPfSC_PS2_PT2_iSB_SB_, .Lfunc_end933-_Z38paged_attention_ll4mi_QKV_mfma4_kernelIDF16_hLN4vllm18Fp8KVCacheDataTypeE1EhLi16ELi128ELi256ELb1ELi4EEvPKT_PKT0_S7_ifPKiS9_S9_iPKfiiiPfSC_PS2_PT2_iSB_SB_
                                        ; -- End function
	.set _Z38paged_attention_ll4mi_QKV_mfma4_kernelIDF16_hLN4vllm18Fp8KVCacheDataTypeE1EhLi16ELi128ELi256ELb1ELi4EEvPKT_PKT0_S7_ifPKiS9_S9_iPKfiiiPfSC_PS2_PT2_iSB_SB_.num_vgpr, max(3, .L__assert_fail.num_vgpr)
	.set _Z38paged_attention_ll4mi_QKV_mfma4_kernelIDF16_hLN4vllm18Fp8KVCacheDataTypeE1EhLi16ELi128ELi256ELb1ELi4EEvPKT_PKT0_S7_ifPKiS9_S9_iPKfiiiPfSC_PS2_PT2_iSB_SB_.num_agpr, max(0, .L__assert_fail.num_agpr)
	.set _Z38paged_attention_ll4mi_QKV_mfma4_kernelIDF16_hLN4vllm18Fp8KVCacheDataTypeE1EhLi16ELi128ELi256ELb1ELi4EEvPKT_PKT0_S7_ifPKiS9_S9_iPKfiiiPfSC_PS2_PT2_iSB_SB_.numbered_sgpr, max(33, .L__assert_fail.numbered_sgpr)
	.set _Z38paged_attention_ll4mi_QKV_mfma4_kernelIDF16_hLN4vllm18Fp8KVCacheDataTypeE1EhLi16ELi128ELi256ELb1ELi4EEvPKT_PKT0_S7_ifPKiS9_S9_iPKfiiiPfSC_PS2_PT2_iSB_SB_.num_named_barrier, max(0, .L__assert_fail.num_named_barrier)
	.set _Z38paged_attention_ll4mi_QKV_mfma4_kernelIDF16_hLN4vllm18Fp8KVCacheDataTypeE1EhLi16ELi128ELi256ELb1ELi4EEvPKT_PKT0_S7_ifPKiS9_S9_iPKfiiiPfSC_PS2_PT2_iSB_SB_.private_seg_size, 0+max(.L__assert_fail.private_seg_size)
	.set _Z38paged_attention_ll4mi_QKV_mfma4_kernelIDF16_hLN4vllm18Fp8KVCacheDataTypeE1EhLi16ELi128ELi256ELb1ELi4EEvPKT_PKT0_S7_ifPKiS9_S9_iPKfiiiPfSC_PS2_PT2_iSB_SB_.uses_vcc, or(1, .L__assert_fail.uses_vcc)
	.set _Z38paged_attention_ll4mi_QKV_mfma4_kernelIDF16_hLN4vllm18Fp8KVCacheDataTypeE1EhLi16ELi128ELi256ELb1ELi4EEvPKT_PKT0_S7_ifPKiS9_S9_iPKfiiiPfSC_PS2_PT2_iSB_SB_.uses_flat_scratch, or(0, .L__assert_fail.uses_flat_scratch)
	.set _Z38paged_attention_ll4mi_QKV_mfma4_kernelIDF16_hLN4vllm18Fp8KVCacheDataTypeE1EhLi16ELi128ELi256ELb1ELi4EEvPKT_PKT0_S7_ifPKiS9_S9_iPKfiiiPfSC_PS2_PT2_iSB_SB_.has_dyn_sized_stack, or(0, .L__assert_fail.has_dyn_sized_stack)
	.set _Z38paged_attention_ll4mi_QKV_mfma4_kernelIDF16_hLN4vllm18Fp8KVCacheDataTypeE1EhLi16ELi128ELi256ELb1ELi4EEvPKT_PKT0_S7_ifPKiS9_S9_iPKfiiiPfSC_PS2_PT2_iSB_SB_.has_recursion, or(0, .L__assert_fail.has_recursion)
	.set _Z38paged_attention_ll4mi_QKV_mfma4_kernelIDF16_hLN4vllm18Fp8KVCacheDataTypeE1EhLi16ELi128ELi256ELb1ELi4EEvPKT_PKT0_S7_ifPKiS9_S9_iPKfiiiPfSC_PS2_PT2_iSB_SB_.has_indirect_call, or(0, .L__assert_fail.has_indirect_call)
	.section	.AMDGPU.csdata,"",@progbits
; Kernel info:
; codeLenInByte = 68
; TotalNumSgprs: 36
; NumVgprs: 51
; ScratchSize: 64
; MemoryBound: 0
; FloatMode: 240
; IeeeMode: 1
; LDSByteSize: 0 bytes/workgroup (compile time only)
; SGPRBlocks: 0
; VGPRBlocks: 3
; NumSGPRsForWavesPerEU: 36
; NumVGPRsForWavesPerEU: 51
; NamedBarCnt: 0
; Occupancy: 16
; WaveLimiterHint : 1
; COMPUTE_PGM_RSRC2:SCRATCH_EN: 1
; COMPUTE_PGM_RSRC2:USER_SGPR: 2
; COMPUTE_PGM_RSRC2:TRAP_HANDLER: 0
; COMPUTE_PGM_RSRC2:TGID_X_EN: 1
; COMPUTE_PGM_RSRC2:TGID_Y_EN: 0
; COMPUTE_PGM_RSRC2:TGID_Z_EN: 0
; COMPUTE_PGM_RSRC2:TIDIG_COMP_CNT: 0
	.section	.text._Z39paged_attention_ll4mi_QKV_mfma16_kernelIDF16_hLN4vllm18Fp8KVCacheDataTypeE1EhLi16ELi128ELi256ELb1ELi5EEvPKT_PKT0_S7_ifPKiS9_S9_iPKfiiiPfSC_PS2_PT2_iSB_SB_,"axG",@progbits,_Z39paged_attention_ll4mi_QKV_mfma16_kernelIDF16_hLN4vllm18Fp8KVCacheDataTypeE1EhLi16ELi128ELi256ELb1ELi5EEvPKT_PKT0_S7_ifPKiS9_S9_iPKfiiiPfSC_PS2_PT2_iSB_SB_,comdat
	.protected	_Z39paged_attention_ll4mi_QKV_mfma16_kernelIDF16_hLN4vllm18Fp8KVCacheDataTypeE1EhLi16ELi128ELi256ELb1ELi5EEvPKT_PKT0_S7_ifPKiS9_S9_iPKfiiiPfSC_PS2_PT2_iSB_SB_ ; -- Begin function _Z39paged_attention_ll4mi_QKV_mfma16_kernelIDF16_hLN4vllm18Fp8KVCacheDataTypeE1EhLi16ELi128ELi256ELb1ELi5EEvPKT_PKT0_S7_ifPKiS9_S9_iPKfiiiPfSC_PS2_PT2_iSB_SB_
	.globl	_Z39paged_attention_ll4mi_QKV_mfma16_kernelIDF16_hLN4vllm18Fp8KVCacheDataTypeE1EhLi16ELi128ELi256ELb1ELi5EEvPKT_PKT0_S7_ifPKiS9_S9_iPKfiiiPfSC_PS2_PT2_iSB_SB_
	.p2align	8
	.type	_Z39paged_attention_ll4mi_QKV_mfma16_kernelIDF16_hLN4vllm18Fp8KVCacheDataTypeE1EhLi16ELi128ELi256ELb1ELi5EEvPKT_PKT0_S7_ifPKiS9_S9_iPKfiiiPfSC_PS2_PT2_iSB_SB_,@function
_Z39paged_attention_ll4mi_QKV_mfma16_kernelIDF16_hLN4vllm18Fp8KVCacheDataTypeE1EhLi16ELi128ELi256ELb1ELi5EEvPKT_PKT0_S7_ifPKiS9_S9_iPKfiiiPfSC_PS2_PT2_iSB_SB_: ; @_Z39paged_attention_ll4mi_QKV_mfma16_kernelIDF16_hLN4vllm18Fp8KVCacheDataTypeE1EhLi16ELi128ELi256ELb1ELi5EEvPKT_PKT0_S7_ifPKiS9_S9_iPKfiiiPfSC_PS2_PT2_iSB_SB_
; %bb.0:
	s_get_pc_i64 s[2:3]
	s_add_nc_u64 s[2:3], s[2:3], __PRETTY_FUNCTION__._Z39paged_attention_ll4mi_QKV_mfma16_kernelIDF16_hLN4vllm18Fp8KVCacheDataTypeE1EhLi16ELi128ELi256ELb1ELi5EEvPKT_PKT0_S7_ifPKiS9_S9_iPKfiiiPfSC_PS2_PT2_iSB_SB_@rel64+4
	s_delay_alu instid0(SALU_CYCLE_1)
	v_dual_mov_b32 v0, 0xbb3 :: v_dual_mov_b32 v1, s2
	v_mov_b32_e32 v2, s3
	s_add_nc_u64 s[8:9], s[0:1], 0x90
	s_get_pc_i64 s[0:1]
	s_add_nc_u64 s[0:1], s[0:1], __assert_fail@rel64+4
	s_mov_b32 s32, 0
	s_swap_pc_i64 s[30:31], s[0:1]
	.section	.rodata,"a",@progbits
	.p2align	6, 0x0
	.amdhsa_kernel _Z39paged_attention_ll4mi_QKV_mfma16_kernelIDF16_hLN4vllm18Fp8KVCacheDataTypeE1EhLi16ELi128ELi256ELb1ELi5EEvPKT_PKT0_S7_ifPKiS9_S9_iPKfiiiPfSC_PS2_PT2_iSB_SB_
		.amdhsa_group_segment_fixed_size 0
		.amdhsa_private_segment_fixed_size 64
		.amdhsa_kernarg_size 400
		.amdhsa_user_sgpr_count 2
		.amdhsa_user_sgpr_dispatch_ptr 0
		.amdhsa_user_sgpr_queue_ptr 0
		.amdhsa_user_sgpr_kernarg_segment_ptr 1
		.amdhsa_user_sgpr_dispatch_id 0
		.amdhsa_user_sgpr_kernarg_preload_length 0
		.amdhsa_user_sgpr_kernarg_preload_offset 0
		.amdhsa_user_sgpr_private_segment_size 0
		.amdhsa_wavefront_size32 1
		.amdhsa_uses_dynamic_stack 0
		.amdhsa_enable_private_segment 1
		.amdhsa_system_sgpr_workgroup_id_x 1
		.amdhsa_system_sgpr_workgroup_id_y 0
		.amdhsa_system_sgpr_workgroup_id_z 0
		.amdhsa_system_sgpr_workgroup_info 0
		.amdhsa_system_vgpr_workitem_id 0
		.amdhsa_next_free_vgpr 51
		.amdhsa_next_free_sgpr 34
		.amdhsa_named_barrier_count 0
		.amdhsa_reserve_vcc 1
		.amdhsa_float_round_mode_32 0
		.amdhsa_float_round_mode_16_64 0
		.amdhsa_float_denorm_mode_32 3
		.amdhsa_float_denorm_mode_16_64 3
		.amdhsa_fp16_overflow 0
		.amdhsa_memory_ordered 1
		.amdhsa_forward_progress 1
		.amdhsa_inst_pref_size 1
		.amdhsa_round_robin_scheduling 0
		.amdhsa_exception_fp_ieee_invalid_op 0
		.amdhsa_exception_fp_denorm_src 0
		.amdhsa_exception_fp_ieee_div_zero 0
		.amdhsa_exception_fp_ieee_overflow 0
		.amdhsa_exception_fp_ieee_underflow 0
		.amdhsa_exception_fp_ieee_inexact 0
		.amdhsa_exception_int_div_zero 0
	.end_amdhsa_kernel
	.section	.text._Z39paged_attention_ll4mi_QKV_mfma16_kernelIDF16_hLN4vllm18Fp8KVCacheDataTypeE1EhLi16ELi128ELi256ELb1ELi5EEvPKT_PKT0_S7_ifPKiS9_S9_iPKfiiiPfSC_PS2_PT2_iSB_SB_,"axG",@progbits,_Z39paged_attention_ll4mi_QKV_mfma16_kernelIDF16_hLN4vllm18Fp8KVCacheDataTypeE1EhLi16ELi128ELi256ELb1ELi5EEvPKT_PKT0_S7_ifPKiS9_S9_iPKfiiiPfSC_PS2_PT2_iSB_SB_,comdat
.Lfunc_end934:
	.size	_Z39paged_attention_ll4mi_QKV_mfma16_kernelIDF16_hLN4vllm18Fp8KVCacheDataTypeE1EhLi16ELi128ELi256ELb1ELi5EEvPKT_PKT0_S7_ifPKiS9_S9_iPKfiiiPfSC_PS2_PT2_iSB_SB_, .Lfunc_end934-_Z39paged_attention_ll4mi_QKV_mfma16_kernelIDF16_hLN4vllm18Fp8KVCacheDataTypeE1EhLi16ELi128ELi256ELb1ELi5EEvPKT_PKT0_S7_ifPKiS9_S9_iPKfiiiPfSC_PS2_PT2_iSB_SB_
                                        ; -- End function
	.set _Z39paged_attention_ll4mi_QKV_mfma16_kernelIDF16_hLN4vllm18Fp8KVCacheDataTypeE1EhLi16ELi128ELi256ELb1ELi5EEvPKT_PKT0_S7_ifPKiS9_S9_iPKfiiiPfSC_PS2_PT2_iSB_SB_.num_vgpr, max(3, .L__assert_fail.num_vgpr)
	.set _Z39paged_attention_ll4mi_QKV_mfma16_kernelIDF16_hLN4vllm18Fp8KVCacheDataTypeE1EhLi16ELi128ELi256ELb1ELi5EEvPKT_PKT0_S7_ifPKiS9_S9_iPKfiiiPfSC_PS2_PT2_iSB_SB_.num_agpr, max(0, .L__assert_fail.num_agpr)
	.set _Z39paged_attention_ll4mi_QKV_mfma16_kernelIDF16_hLN4vllm18Fp8KVCacheDataTypeE1EhLi16ELi128ELi256ELb1ELi5EEvPKT_PKT0_S7_ifPKiS9_S9_iPKfiiiPfSC_PS2_PT2_iSB_SB_.numbered_sgpr, max(33, .L__assert_fail.numbered_sgpr)
	.set _Z39paged_attention_ll4mi_QKV_mfma16_kernelIDF16_hLN4vllm18Fp8KVCacheDataTypeE1EhLi16ELi128ELi256ELb1ELi5EEvPKT_PKT0_S7_ifPKiS9_S9_iPKfiiiPfSC_PS2_PT2_iSB_SB_.num_named_barrier, max(0, .L__assert_fail.num_named_barrier)
	.set _Z39paged_attention_ll4mi_QKV_mfma16_kernelIDF16_hLN4vllm18Fp8KVCacheDataTypeE1EhLi16ELi128ELi256ELb1ELi5EEvPKT_PKT0_S7_ifPKiS9_S9_iPKfiiiPfSC_PS2_PT2_iSB_SB_.private_seg_size, 0+max(.L__assert_fail.private_seg_size)
	.set _Z39paged_attention_ll4mi_QKV_mfma16_kernelIDF16_hLN4vllm18Fp8KVCacheDataTypeE1EhLi16ELi128ELi256ELb1ELi5EEvPKT_PKT0_S7_ifPKiS9_S9_iPKfiiiPfSC_PS2_PT2_iSB_SB_.uses_vcc, or(1, .L__assert_fail.uses_vcc)
	.set _Z39paged_attention_ll4mi_QKV_mfma16_kernelIDF16_hLN4vllm18Fp8KVCacheDataTypeE1EhLi16ELi128ELi256ELb1ELi5EEvPKT_PKT0_S7_ifPKiS9_S9_iPKfiiiPfSC_PS2_PT2_iSB_SB_.uses_flat_scratch, or(0, .L__assert_fail.uses_flat_scratch)
	.set _Z39paged_attention_ll4mi_QKV_mfma16_kernelIDF16_hLN4vllm18Fp8KVCacheDataTypeE1EhLi16ELi128ELi256ELb1ELi5EEvPKT_PKT0_S7_ifPKiS9_S9_iPKfiiiPfSC_PS2_PT2_iSB_SB_.has_dyn_sized_stack, or(0, .L__assert_fail.has_dyn_sized_stack)
	.set _Z39paged_attention_ll4mi_QKV_mfma16_kernelIDF16_hLN4vllm18Fp8KVCacheDataTypeE1EhLi16ELi128ELi256ELb1ELi5EEvPKT_PKT0_S7_ifPKiS9_S9_iPKfiiiPfSC_PS2_PT2_iSB_SB_.has_recursion, or(0, .L__assert_fail.has_recursion)
	.set _Z39paged_attention_ll4mi_QKV_mfma16_kernelIDF16_hLN4vllm18Fp8KVCacheDataTypeE1EhLi16ELi128ELi256ELb1ELi5EEvPKT_PKT0_S7_ifPKiS9_S9_iPKfiiiPfSC_PS2_PT2_iSB_SB_.has_indirect_call, or(0, .L__assert_fail.has_indirect_call)
	.section	.AMDGPU.csdata,"",@progbits
; Kernel info:
; codeLenInByte = 68
; TotalNumSgprs: 36
; NumVgprs: 51
; ScratchSize: 64
; MemoryBound: 0
; FloatMode: 240
; IeeeMode: 1
; LDSByteSize: 0 bytes/workgroup (compile time only)
; SGPRBlocks: 0
; VGPRBlocks: 3
; NumSGPRsForWavesPerEU: 36
; NumVGPRsForWavesPerEU: 51
; NamedBarCnt: 0
; Occupancy: 16
; WaveLimiterHint : 1
; COMPUTE_PGM_RSRC2:SCRATCH_EN: 1
; COMPUTE_PGM_RSRC2:USER_SGPR: 2
; COMPUTE_PGM_RSRC2:TRAP_HANDLER: 0
; COMPUTE_PGM_RSRC2:TGID_X_EN: 1
; COMPUTE_PGM_RSRC2:TGID_Y_EN: 0
; COMPUTE_PGM_RSRC2:TGID_Z_EN: 0
; COMPUTE_PGM_RSRC2:TIDIG_COMP_CNT: 0
	.section	.text._Z39paged_attention_ll4mi_QKV_mfma16_kernelIDF16_hLN4vllm18Fp8KVCacheDataTypeE1EhLi16ELi128ELi256ELb1ELi6EEvPKT_PKT0_S7_ifPKiS9_S9_iPKfiiiPfSC_PS2_PT2_iSB_SB_,"axG",@progbits,_Z39paged_attention_ll4mi_QKV_mfma16_kernelIDF16_hLN4vllm18Fp8KVCacheDataTypeE1EhLi16ELi128ELi256ELb1ELi6EEvPKT_PKT0_S7_ifPKiS9_S9_iPKfiiiPfSC_PS2_PT2_iSB_SB_,comdat
	.protected	_Z39paged_attention_ll4mi_QKV_mfma16_kernelIDF16_hLN4vllm18Fp8KVCacheDataTypeE1EhLi16ELi128ELi256ELb1ELi6EEvPKT_PKT0_S7_ifPKiS9_S9_iPKfiiiPfSC_PS2_PT2_iSB_SB_ ; -- Begin function _Z39paged_attention_ll4mi_QKV_mfma16_kernelIDF16_hLN4vllm18Fp8KVCacheDataTypeE1EhLi16ELi128ELi256ELb1ELi6EEvPKT_PKT0_S7_ifPKiS9_S9_iPKfiiiPfSC_PS2_PT2_iSB_SB_
	.globl	_Z39paged_attention_ll4mi_QKV_mfma16_kernelIDF16_hLN4vllm18Fp8KVCacheDataTypeE1EhLi16ELi128ELi256ELb1ELi6EEvPKT_PKT0_S7_ifPKiS9_S9_iPKfiiiPfSC_PS2_PT2_iSB_SB_
	.p2align	8
	.type	_Z39paged_attention_ll4mi_QKV_mfma16_kernelIDF16_hLN4vllm18Fp8KVCacheDataTypeE1EhLi16ELi128ELi256ELb1ELi6EEvPKT_PKT0_S7_ifPKiS9_S9_iPKfiiiPfSC_PS2_PT2_iSB_SB_,@function
_Z39paged_attention_ll4mi_QKV_mfma16_kernelIDF16_hLN4vllm18Fp8KVCacheDataTypeE1EhLi16ELi128ELi256ELb1ELi6EEvPKT_PKT0_S7_ifPKiS9_S9_iPKfiiiPfSC_PS2_PT2_iSB_SB_: ; @_Z39paged_attention_ll4mi_QKV_mfma16_kernelIDF16_hLN4vllm18Fp8KVCacheDataTypeE1EhLi16ELi128ELi256ELb1ELi6EEvPKT_PKT0_S7_ifPKiS9_S9_iPKfiiiPfSC_PS2_PT2_iSB_SB_
; %bb.0:
	s_get_pc_i64 s[2:3]
	s_add_nc_u64 s[2:3], s[2:3], __PRETTY_FUNCTION__._Z39paged_attention_ll4mi_QKV_mfma16_kernelIDF16_hLN4vllm18Fp8KVCacheDataTypeE1EhLi16ELi128ELi256ELb1ELi6EEvPKT_PKT0_S7_ifPKiS9_S9_iPKfiiiPfSC_PS2_PT2_iSB_SB_@rel64+4
	s_delay_alu instid0(SALU_CYCLE_1)
	v_dual_mov_b32 v0, 0xbb3 :: v_dual_mov_b32 v1, s2
	v_mov_b32_e32 v2, s3
	s_add_nc_u64 s[8:9], s[0:1], 0x90
	s_get_pc_i64 s[0:1]
	s_add_nc_u64 s[0:1], s[0:1], __assert_fail@rel64+4
	s_mov_b32 s32, 0
	s_swap_pc_i64 s[30:31], s[0:1]
	.section	.rodata,"a",@progbits
	.p2align	6, 0x0
	.amdhsa_kernel _Z39paged_attention_ll4mi_QKV_mfma16_kernelIDF16_hLN4vllm18Fp8KVCacheDataTypeE1EhLi16ELi128ELi256ELb1ELi6EEvPKT_PKT0_S7_ifPKiS9_S9_iPKfiiiPfSC_PS2_PT2_iSB_SB_
		.amdhsa_group_segment_fixed_size 0
		.amdhsa_private_segment_fixed_size 64
		.amdhsa_kernarg_size 400
		.amdhsa_user_sgpr_count 2
		.amdhsa_user_sgpr_dispatch_ptr 0
		.amdhsa_user_sgpr_queue_ptr 0
		.amdhsa_user_sgpr_kernarg_segment_ptr 1
		.amdhsa_user_sgpr_dispatch_id 0
		.amdhsa_user_sgpr_kernarg_preload_length 0
		.amdhsa_user_sgpr_kernarg_preload_offset 0
		.amdhsa_user_sgpr_private_segment_size 0
		.amdhsa_wavefront_size32 1
		.amdhsa_uses_dynamic_stack 0
		.amdhsa_enable_private_segment 1
		.amdhsa_system_sgpr_workgroup_id_x 1
		.amdhsa_system_sgpr_workgroup_id_y 0
		.amdhsa_system_sgpr_workgroup_id_z 0
		.amdhsa_system_sgpr_workgroup_info 0
		.amdhsa_system_vgpr_workitem_id 0
		.amdhsa_next_free_vgpr 51
		.amdhsa_next_free_sgpr 34
		.amdhsa_named_barrier_count 0
		.amdhsa_reserve_vcc 1
		.amdhsa_float_round_mode_32 0
		.amdhsa_float_round_mode_16_64 0
		.amdhsa_float_denorm_mode_32 3
		.amdhsa_float_denorm_mode_16_64 3
		.amdhsa_fp16_overflow 0
		.amdhsa_memory_ordered 1
		.amdhsa_forward_progress 1
		.amdhsa_inst_pref_size 1
		.amdhsa_round_robin_scheduling 0
		.amdhsa_exception_fp_ieee_invalid_op 0
		.amdhsa_exception_fp_denorm_src 0
		.amdhsa_exception_fp_ieee_div_zero 0
		.amdhsa_exception_fp_ieee_overflow 0
		.amdhsa_exception_fp_ieee_underflow 0
		.amdhsa_exception_fp_ieee_inexact 0
		.amdhsa_exception_int_div_zero 0
	.end_amdhsa_kernel
	.section	.text._Z39paged_attention_ll4mi_QKV_mfma16_kernelIDF16_hLN4vllm18Fp8KVCacheDataTypeE1EhLi16ELi128ELi256ELb1ELi6EEvPKT_PKT0_S7_ifPKiS9_S9_iPKfiiiPfSC_PS2_PT2_iSB_SB_,"axG",@progbits,_Z39paged_attention_ll4mi_QKV_mfma16_kernelIDF16_hLN4vllm18Fp8KVCacheDataTypeE1EhLi16ELi128ELi256ELb1ELi6EEvPKT_PKT0_S7_ifPKiS9_S9_iPKfiiiPfSC_PS2_PT2_iSB_SB_,comdat
.Lfunc_end935:
	.size	_Z39paged_attention_ll4mi_QKV_mfma16_kernelIDF16_hLN4vllm18Fp8KVCacheDataTypeE1EhLi16ELi128ELi256ELb1ELi6EEvPKT_PKT0_S7_ifPKiS9_S9_iPKfiiiPfSC_PS2_PT2_iSB_SB_, .Lfunc_end935-_Z39paged_attention_ll4mi_QKV_mfma16_kernelIDF16_hLN4vllm18Fp8KVCacheDataTypeE1EhLi16ELi128ELi256ELb1ELi6EEvPKT_PKT0_S7_ifPKiS9_S9_iPKfiiiPfSC_PS2_PT2_iSB_SB_
                                        ; -- End function
	.set _Z39paged_attention_ll4mi_QKV_mfma16_kernelIDF16_hLN4vllm18Fp8KVCacheDataTypeE1EhLi16ELi128ELi256ELb1ELi6EEvPKT_PKT0_S7_ifPKiS9_S9_iPKfiiiPfSC_PS2_PT2_iSB_SB_.num_vgpr, max(3, .L__assert_fail.num_vgpr)
	.set _Z39paged_attention_ll4mi_QKV_mfma16_kernelIDF16_hLN4vllm18Fp8KVCacheDataTypeE1EhLi16ELi128ELi256ELb1ELi6EEvPKT_PKT0_S7_ifPKiS9_S9_iPKfiiiPfSC_PS2_PT2_iSB_SB_.num_agpr, max(0, .L__assert_fail.num_agpr)
	.set _Z39paged_attention_ll4mi_QKV_mfma16_kernelIDF16_hLN4vllm18Fp8KVCacheDataTypeE1EhLi16ELi128ELi256ELb1ELi6EEvPKT_PKT0_S7_ifPKiS9_S9_iPKfiiiPfSC_PS2_PT2_iSB_SB_.numbered_sgpr, max(33, .L__assert_fail.numbered_sgpr)
	.set _Z39paged_attention_ll4mi_QKV_mfma16_kernelIDF16_hLN4vllm18Fp8KVCacheDataTypeE1EhLi16ELi128ELi256ELb1ELi6EEvPKT_PKT0_S7_ifPKiS9_S9_iPKfiiiPfSC_PS2_PT2_iSB_SB_.num_named_barrier, max(0, .L__assert_fail.num_named_barrier)
	.set _Z39paged_attention_ll4mi_QKV_mfma16_kernelIDF16_hLN4vllm18Fp8KVCacheDataTypeE1EhLi16ELi128ELi256ELb1ELi6EEvPKT_PKT0_S7_ifPKiS9_S9_iPKfiiiPfSC_PS2_PT2_iSB_SB_.private_seg_size, 0+max(.L__assert_fail.private_seg_size)
	.set _Z39paged_attention_ll4mi_QKV_mfma16_kernelIDF16_hLN4vllm18Fp8KVCacheDataTypeE1EhLi16ELi128ELi256ELb1ELi6EEvPKT_PKT0_S7_ifPKiS9_S9_iPKfiiiPfSC_PS2_PT2_iSB_SB_.uses_vcc, or(1, .L__assert_fail.uses_vcc)
	.set _Z39paged_attention_ll4mi_QKV_mfma16_kernelIDF16_hLN4vllm18Fp8KVCacheDataTypeE1EhLi16ELi128ELi256ELb1ELi6EEvPKT_PKT0_S7_ifPKiS9_S9_iPKfiiiPfSC_PS2_PT2_iSB_SB_.uses_flat_scratch, or(0, .L__assert_fail.uses_flat_scratch)
	.set _Z39paged_attention_ll4mi_QKV_mfma16_kernelIDF16_hLN4vllm18Fp8KVCacheDataTypeE1EhLi16ELi128ELi256ELb1ELi6EEvPKT_PKT0_S7_ifPKiS9_S9_iPKfiiiPfSC_PS2_PT2_iSB_SB_.has_dyn_sized_stack, or(0, .L__assert_fail.has_dyn_sized_stack)
	.set _Z39paged_attention_ll4mi_QKV_mfma16_kernelIDF16_hLN4vllm18Fp8KVCacheDataTypeE1EhLi16ELi128ELi256ELb1ELi6EEvPKT_PKT0_S7_ifPKiS9_S9_iPKfiiiPfSC_PS2_PT2_iSB_SB_.has_recursion, or(0, .L__assert_fail.has_recursion)
	.set _Z39paged_attention_ll4mi_QKV_mfma16_kernelIDF16_hLN4vllm18Fp8KVCacheDataTypeE1EhLi16ELi128ELi256ELb1ELi6EEvPKT_PKT0_S7_ifPKiS9_S9_iPKfiiiPfSC_PS2_PT2_iSB_SB_.has_indirect_call, or(0, .L__assert_fail.has_indirect_call)
	.section	.AMDGPU.csdata,"",@progbits
; Kernel info:
; codeLenInByte = 68
; TotalNumSgprs: 36
; NumVgprs: 51
; ScratchSize: 64
; MemoryBound: 0
; FloatMode: 240
; IeeeMode: 1
; LDSByteSize: 0 bytes/workgroup (compile time only)
; SGPRBlocks: 0
; VGPRBlocks: 3
; NumSGPRsForWavesPerEU: 36
; NumVGPRsForWavesPerEU: 51
; NamedBarCnt: 0
; Occupancy: 16
; WaveLimiterHint : 1
; COMPUTE_PGM_RSRC2:SCRATCH_EN: 1
; COMPUTE_PGM_RSRC2:USER_SGPR: 2
; COMPUTE_PGM_RSRC2:TRAP_HANDLER: 0
; COMPUTE_PGM_RSRC2:TGID_X_EN: 1
; COMPUTE_PGM_RSRC2:TGID_Y_EN: 0
; COMPUTE_PGM_RSRC2:TGID_Z_EN: 0
; COMPUTE_PGM_RSRC2:TIDIG_COMP_CNT: 0
	.section	.text._Z39paged_attention_ll4mi_QKV_mfma16_kernelIDF16_hLN4vllm18Fp8KVCacheDataTypeE1EhLi16ELi128ELi256ELb1ELi7EEvPKT_PKT0_S7_ifPKiS9_S9_iPKfiiiPfSC_PS2_PT2_iSB_SB_,"axG",@progbits,_Z39paged_attention_ll4mi_QKV_mfma16_kernelIDF16_hLN4vllm18Fp8KVCacheDataTypeE1EhLi16ELi128ELi256ELb1ELi7EEvPKT_PKT0_S7_ifPKiS9_S9_iPKfiiiPfSC_PS2_PT2_iSB_SB_,comdat
	.protected	_Z39paged_attention_ll4mi_QKV_mfma16_kernelIDF16_hLN4vllm18Fp8KVCacheDataTypeE1EhLi16ELi128ELi256ELb1ELi7EEvPKT_PKT0_S7_ifPKiS9_S9_iPKfiiiPfSC_PS2_PT2_iSB_SB_ ; -- Begin function _Z39paged_attention_ll4mi_QKV_mfma16_kernelIDF16_hLN4vllm18Fp8KVCacheDataTypeE1EhLi16ELi128ELi256ELb1ELi7EEvPKT_PKT0_S7_ifPKiS9_S9_iPKfiiiPfSC_PS2_PT2_iSB_SB_
	.globl	_Z39paged_attention_ll4mi_QKV_mfma16_kernelIDF16_hLN4vllm18Fp8KVCacheDataTypeE1EhLi16ELi128ELi256ELb1ELi7EEvPKT_PKT0_S7_ifPKiS9_S9_iPKfiiiPfSC_PS2_PT2_iSB_SB_
	.p2align	8
	.type	_Z39paged_attention_ll4mi_QKV_mfma16_kernelIDF16_hLN4vllm18Fp8KVCacheDataTypeE1EhLi16ELi128ELi256ELb1ELi7EEvPKT_PKT0_S7_ifPKiS9_S9_iPKfiiiPfSC_PS2_PT2_iSB_SB_,@function
_Z39paged_attention_ll4mi_QKV_mfma16_kernelIDF16_hLN4vllm18Fp8KVCacheDataTypeE1EhLi16ELi128ELi256ELb1ELi7EEvPKT_PKT0_S7_ifPKiS9_S9_iPKfiiiPfSC_PS2_PT2_iSB_SB_: ; @_Z39paged_attention_ll4mi_QKV_mfma16_kernelIDF16_hLN4vllm18Fp8KVCacheDataTypeE1EhLi16ELi128ELi256ELb1ELi7EEvPKT_PKT0_S7_ifPKiS9_S9_iPKfiiiPfSC_PS2_PT2_iSB_SB_
; %bb.0:
	s_get_pc_i64 s[2:3]
	s_add_nc_u64 s[2:3], s[2:3], __PRETTY_FUNCTION__._Z39paged_attention_ll4mi_QKV_mfma16_kernelIDF16_hLN4vllm18Fp8KVCacheDataTypeE1EhLi16ELi128ELi256ELb1ELi7EEvPKT_PKT0_S7_ifPKiS9_S9_iPKfiiiPfSC_PS2_PT2_iSB_SB_@rel64+4
	s_delay_alu instid0(SALU_CYCLE_1)
	v_dual_mov_b32 v0, 0xbb3 :: v_dual_mov_b32 v1, s2
	v_mov_b32_e32 v2, s3
	s_add_nc_u64 s[8:9], s[0:1], 0x90
	s_get_pc_i64 s[0:1]
	s_add_nc_u64 s[0:1], s[0:1], __assert_fail@rel64+4
	s_mov_b32 s32, 0
	s_swap_pc_i64 s[30:31], s[0:1]
	.section	.rodata,"a",@progbits
	.p2align	6, 0x0
	.amdhsa_kernel _Z39paged_attention_ll4mi_QKV_mfma16_kernelIDF16_hLN4vllm18Fp8KVCacheDataTypeE1EhLi16ELi128ELi256ELb1ELi7EEvPKT_PKT0_S7_ifPKiS9_S9_iPKfiiiPfSC_PS2_PT2_iSB_SB_
		.amdhsa_group_segment_fixed_size 0
		.amdhsa_private_segment_fixed_size 64
		.amdhsa_kernarg_size 400
		.amdhsa_user_sgpr_count 2
		.amdhsa_user_sgpr_dispatch_ptr 0
		.amdhsa_user_sgpr_queue_ptr 0
		.amdhsa_user_sgpr_kernarg_segment_ptr 1
		.amdhsa_user_sgpr_dispatch_id 0
		.amdhsa_user_sgpr_kernarg_preload_length 0
		.amdhsa_user_sgpr_kernarg_preload_offset 0
		.amdhsa_user_sgpr_private_segment_size 0
		.amdhsa_wavefront_size32 1
		.amdhsa_uses_dynamic_stack 0
		.amdhsa_enable_private_segment 1
		.amdhsa_system_sgpr_workgroup_id_x 1
		.amdhsa_system_sgpr_workgroup_id_y 0
		.amdhsa_system_sgpr_workgroup_id_z 0
		.amdhsa_system_sgpr_workgroup_info 0
		.amdhsa_system_vgpr_workitem_id 0
		.amdhsa_next_free_vgpr 51
		.amdhsa_next_free_sgpr 34
		.amdhsa_named_barrier_count 0
		.amdhsa_reserve_vcc 1
		.amdhsa_float_round_mode_32 0
		.amdhsa_float_round_mode_16_64 0
		.amdhsa_float_denorm_mode_32 3
		.amdhsa_float_denorm_mode_16_64 3
		.amdhsa_fp16_overflow 0
		.amdhsa_memory_ordered 1
		.amdhsa_forward_progress 1
		.amdhsa_inst_pref_size 1
		.amdhsa_round_robin_scheduling 0
		.amdhsa_exception_fp_ieee_invalid_op 0
		.amdhsa_exception_fp_denorm_src 0
		.amdhsa_exception_fp_ieee_div_zero 0
		.amdhsa_exception_fp_ieee_overflow 0
		.amdhsa_exception_fp_ieee_underflow 0
		.amdhsa_exception_fp_ieee_inexact 0
		.amdhsa_exception_int_div_zero 0
	.end_amdhsa_kernel
	.section	.text._Z39paged_attention_ll4mi_QKV_mfma16_kernelIDF16_hLN4vllm18Fp8KVCacheDataTypeE1EhLi16ELi128ELi256ELb1ELi7EEvPKT_PKT0_S7_ifPKiS9_S9_iPKfiiiPfSC_PS2_PT2_iSB_SB_,"axG",@progbits,_Z39paged_attention_ll4mi_QKV_mfma16_kernelIDF16_hLN4vllm18Fp8KVCacheDataTypeE1EhLi16ELi128ELi256ELb1ELi7EEvPKT_PKT0_S7_ifPKiS9_S9_iPKfiiiPfSC_PS2_PT2_iSB_SB_,comdat
.Lfunc_end936:
	.size	_Z39paged_attention_ll4mi_QKV_mfma16_kernelIDF16_hLN4vllm18Fp8KVCacheDataTypeE1EhLi16ELi128ELi256ELb1ELi7EEvPKT_PKT0_S7_ifPKiS9_S9_iPKfiiiPfSC_PS2_PT2_iSB_SB_, .Lfunc_end936-_Z39paged_attention_ll4mi_QKV_mfma16_kernelIDF16_hLN4vllm18Fp8KVCacheDataTypeE1EhLi16ELi128ELi256ELb1ELi7EEvPKT_PKT0_S7_ifPKiS9_S9_iPKfiiiPfSC_PS2_PT2_iSB_SB_
                                        ; -- End function
	.set _Z39paged_attention_ll4mi_QKV_mfma16_kernelIDF16_hLN4vllm18Fp8KVCacheDataTypeE1EhLi16ELi128ELi256ELb1ELi7EEvPKT_PKT0_S7_ifPKiS9_S9_iPKfiiiPfSC_PS2_PT2_iSB_SB_.num_vgpr, max(3, .L__assert_fail.num_vgpr)
	.set _Z39paged_attention_ll4mi_QKV_mfma16_kernelIDF16_hLN4vllm18Fp8KVCacheDataTypeE1EhLi16ELi128ELi256ELb1ELi7EEvPKT_PKT0_S7_ifPKiS9_S9_iPKfiiiPfSC_PS2_PT2_iSB_SB_.num_agpr, max(0, .L__assert_fail.num_agpr)
	.set _Z39paged_attention_ll4mi_QKV_mfma16_kernelIDF16_hLN4vllm18Fp8KVCacheDataTypeE1EhLi16ELi128ELi256ELb1ELi7EEvPKT_PKT0_S7_ifPKiS9_S9_iPKfiiiPfSC_PS2_PT2_iSB_SB_.numbered_sgpr, max(33, .L__assert_fail.numbered_sgpr)
	.set _Z39paged_attention_ll4mi_QKV_mfma16_kernelIDF16_hLN4vllm18Fp8KVCacheDataTypeE1EhLi16ELi128ELi256ELb1ELi7EEvPKT_PKT0_S7_ifPKiS9_S9_iPKfiiiPfSC_PS2_PT2_iSB_SB_.num_named_barrier, max(0, .L__assert_fail.num_named_barrier)
	.set _Z39paged_attention_ll4mi_QKV_mfma16_kernelIDF16_hLN4vllm18Fp8KVCacheDataTypeE1EhLi16ELi128ELi256ELb1ELi7EEvPKT_PKT0_S7_ifPKiS9_S9_iPKfiiiPfSC_PS2_PT2_iSB_SB_.private_seg_size, 0+max(.L__assert_fail.private_seg_size)
	.set _Z39paged_attention_ll4mi_QKV_mfma16_kernelIDF16_hLN4vllm18Fp8KVCacheDataTypeE1EhLi16ELi128ELi256ELb1ELi7EEvPKT_PKT0_S7_ifPKiS9_S9_iPKfiiiPfSC_PS2_PT2_iSB_SB_.uses_vcc, or(1, .L__assert_fail.uses_vcc)
	.set _Z39paged_attention_ll4mi_QKV_mfma16_kernelIDF16_hLN4vllm18Fp8KVCacheDataTypeE1EhLi16ELi128ELi256ELb1ELi7EEvPKT_PKT0_S7_ifPKiS9_S9_iPKfiiiPfSC_PS2_PT2_iSB_SB_.uses_flat_scratch, or(0, .L__assert_fail.uses_flat_scratch)
	.set _Z39paged_attention_ll4mi_QKV_mfma16_kernelIDF16_hLN4vllm18Fp8KVCacheDataTypeE1EhLi16ELi128ELi256ELb1ELi7EEvPKT_PKT0_S7_ifPKiS9_S9_iPKfiiiPfSC_PS2_PT2_iSB_SB_.has_dyn_sized_stack, or(0, .L__assert_fail.has_dyn_sized_stack)
	.set _Z39paged_attention_ll4mi_QKV_mfma16_kernelIDF16_hLN4vllm18Fp8KVCacheDataTypeE1EhLi16ELi128ELi256ELb1ELi7EEvPKT_PKT0_S7_ifPKiS9_S9_iPKfiiiPfSC_PS2_PT2_iSB_SB_.has_recursion, or(0, .L__assert_fail.has_recursion)
	.set _Z39paged_attention_ll4mi_QKV_mfma16_kernelIDF16_hLN4vllm18Fp8KVCacheDataTypeE1EhLi16ELi128ELi256ELb1ELi7EEvPKT_PKT0_S7_ifPKiS9_S9_iPKfiiiPfSC_PS2_PT2_iSB_SB_.has_indirect_call, or(0, .L__assert_fail.has_indirect_call)
	.section	.AMDGPU.csdata,"",@progbits
; Kernel info:
; codeLenInByte = 68
; TotalNumSgprs: 36
; NumVgprs: 51
; ScratchSize: 64
; MemoryBound: 0
; FloatMode: 240
; IeeeMode: 1
; LDSByteSize: 0 bytes/workgroup (compile time only)
; SGPRBlocks: 0
; VGPRBlocks: 3
; NumSGPRsForWavesPerEU: 36
; NumVGPRsForWavesPerEU: 51
; NamedBarCnt: 0
; Occupancy: 16
; WaveLimiterHint : 1
; COMPUTE_PGM_RSRC2:SCRATCH_EN: 1
; COMPUTE_PGM_RSRC2:USER_SGPR: 2
; COMPUTE_PGM_RSRC2:TRAP_HANDLER: 0
; COMPUTE_PGM_RSRC2:TGID_X_EN: 1
; COMPUTE_PGM_RSRC2:TGID_Y_EN: 0
; COMPUTE_PGM_RSRC2:TGID_Z_EN: 0
; COMPUTE_PGM_RSRC2:TIDIG_COMP_CNT: 0
	.section	.text._Z39paged_attention_ll4mi_QKV_mfma16_kernelIDF16_hLN4vllm18Fp8KVCacheDataTypeE1EhLi16ELi128ELi256ELb1ELi8EEvPKT_PKT0_S7_ifPKiS9_S9_iPKfiiiPfSC_PS2_PT2_iSB_SB_,"axG",@progbits,_Z39paged_attention_ll4mi_QKV_mfma16_kernelIDF16_hLN4vllm18Fp8KVCacheDataTypeE1EhLi16ELi128ELi256ELb1ELi8EEvPKT_PKT0_S7_ifPKiS9_S9_iPKfiiiPfSC_PS2_PT2_iSB_SB_,comdat
	.protected	_Z39paged_attention_ll4mi_QKV_mfma16_kernelIDF16_hLN4vllm18Fp8KVCacheDataTypeE1EhLi16ELi128ELi256ELb1ELi8EEvPKT_PKT0_S7_ifPKiS9_S9_iPKfiiiPfSC_PS2_PT2_iSB_SB_ ; -- Begin function _Z39paged_attention_ll4mi_QKV_mfma16_kernelIDF16_hLN4vllm18Fp8KVCacheDataTypeE1EhLi16ELi128ELi256ELb1ELi8EEvPKT_PKT0_S7_ifPKiS9_S9_iPKfiiiPfSC_PS2_PT2_iSB_SB_
	.globl	_Z39paged_attention_ll4mi_QKV_mfma16_kernelIDF16_hLN4vllm18Fp8KVCacheDataTypeE1EhLi16ELi128ELi256ELb1ELi8EEvPKT_PKT0_S7_ifPKiS9_S9_iPKfiiiPfSC_PS2_PT2_iSB_SB_
	.p2align	8
	.type	_Z39paged_attention_ll4mi_QKV_mfma16_kernelIDF16_hLN4vllm18Fp8KVCacheDataTypeE1EhLi16ELi128ELi256ELb1ELi8EEvPKT_PKT0_S7_ifPKiS9_S9_iPKfiiiPfSC_PS2_PT2_iSB_SB_,@function
_Z39paged_attention_ll4mi_QKV_mfma16_kernelIDF16_hLN4vllm18Fp8KVCacheDataTypeE1EhLi16ELi128ELi256ELb1ELi8EEvPKT_PKT0_S7_ifPKiS9_S9_iPKfiiiPfSC_PS2_PT2_iSB_SB_: ; @_Z39paged_attention_ll4mi_QKV_mfma16_kernelIDF16_hLN4vllm18Fp8KVCacheDataTypeE1EhLi16ELi128ELi256ELb1ELi8EEvPKT_PKT0_S7_ifPKiS9_S9_iPKfiiiPfSC_PS2_PT2_iSB_SB_
; %bb.0:
	s_get_pc_i64 s[2:3]
	s_add_nc_u64 s[2:3], s[2:3], __PRETTY_FUNCTION__._Z39paged_attention_ll4mi_QKV_mfma16_kernelIDF16_hLN4vllm18Fp8KVCacheDataTypeE1EhLi16ELi128ELi256ELb1ELi8EEvPKT_PKT0_S7_ifPKiS9_S9_iPKfiiiPfSC_PS2_PT2_iSB_SB_@rel64+4
	s_delay_alu instid0(SALU_CYCLE_1)
	v_dual_mov_b32 v0, 0xbb3 :: v_dual_mov_b32 v1, s2
	v_mov_b32_e32 v2, s3
	s_add_nc_u64 s[8:9], s[0:1], 0x90
	s_get_pc_i64 s[0:1]
	s_add_nc_u64 s[0:1], s[0:1], __assert_fail@rel64+4
	s_mov_b32 s32, 0
	s_swap_pc_i64 s[30:31], s[0:1]
	.section	.rodata,"a",@progbits
	.p2align	6, 0x0
	.amdhsa_kernel _Z39paged_attention_ll4mi_QKV_mfma16_kernelIDF16_hLN4vllm18Fp8KVCacheDataTypeE1EhLi16ELi128ELi256ELb1ELi8EEvPKT_PKT0_S7_ifPKiS9_S9_iPKfiiiPfSC_PS2_PT2_iSB_SB_
		.amdhsa_group_segment_fixed_size 0
		.amdhsa_private_segment_fixed_size 64
		.amdhsa_kernarg_size 400
		.amdhsa_user_sgpr_count 2
		.amdhsa_user_sgpr_dispatch_ptr 0
		.amdhsa_user_sgpr_queue_ptr 0
		.amdhsa_user_sgpr_kernarg_segment_ptr 1
		.amdhsa_user_sgpr_dispatch_id 0
		.amdhsa_user_sgpr_kernarg_preload_length 0
		.amdhsa_user_sgpr_kernarg_preload_offset 0
		.amdhsa_user_sgpr_private_segment_size 0
		.amdhsa_wavefront_size32 1
		.amdhsa_uses_dynamic_stack 0
		.amdhsa_enable_private_segment 1
		.amdhsa_system_sgpr_workgroup_id_x 1
		.amdhsa_system_sgpr_workgroup_id_y 0
		.amdhsa_system_sgpr_workgroup_id_z 0
		.amdhsa_system_sgpr_workgroup_info 0
		.amdhsa_system_vgpr_workitem_id 0
		.amdhsa_next_free_vgpr 51
		.amdhsa_next_free_sgpr 34
		.amdhsa_named_barrier_count 0
		.amdhsa_reserve_vcc 1
		.amdhsa_float_round_mode_32 0
		.amdhsa_float_round_mode_16_64 0
		.amdhsa_float_denorm_mode_32 3
		.amdhsa_float_denorm_mode_16_64 3
		.amdhsa_fp16_overflow 0
		.amdhsa_memory_ordered 1
		.amdhsa_forward_progress 1
		.amdhsa_inst_pref_size 1
		.amdhsa_round_robin_scheduling 0
		.amdhsa_exception_fp_ieee_invalid_op 0
		.amdhsa_exception_fp_denorm_src 0
		.amdhsa_exception_fp_ieee_div_zero 0
		.amdhsa_exception_fp_ieee_overflow 0
		.amdhsa_exception_fp_ieee_underflow 0
		.amdhsa_exception_fp_ieee_inexact 0
		.amdhsa_exception_int_div_zero 0
	.end_amdhsa_kernel
	.section	.text._Z39paged_attention_ll4mi_QKV_mfma16_kernelIDF16_hLN4vllm18Fp8KVCacheDataTypeE1EhLi16ELi128ELi256ELb1ELi8EEvPKT_PKT0_S7_ifPKiS9_S9_iPKfiiiPfSC_PS2_PT2_iSB_SB_,"axG",@progbits,_Z39paged_attention_ll4mi_QKV_mfma16_kernelIDF16_hLN4vllm18Fp8KVCacheDataTypeE1EhLi16ELi128ELi256ELb1ELi8EEvPKT_PKT0_S7_ifPKiS9_S9_iPKfiiiPfSC_PS2_PT2_iSB_SB_,comdat
.Lfunc_end937:
	.size	_Z39paged_attention_ll4mi_QKV_mfma16_kernelIDF16_hLN4vllm18Fp8KVCacheDataTypeE1EhLi16ELi128ELi256ELb1ELi8EEvPKT_PKT0_S7_ifPKiS9_S9_iPKfiiiPfSC_PS2_PT2_iSB_SB_, .Lfunc_end937-_Z39paged_attention_ll4mi_QKV_mfma16_kernelIDF16_hLN4vllm18Fp8KVCacheDataTypeE1EhLi16ELi128ELi256ELb1ELi8EEvPKT_PKT0_S7_ifPKiS9_S9_iPKfiiiPfSC_PS2_PT2_iSB_SB_
                                        ; -- End function
	.set _Z39paged_attention_ll4mi_QKV_mfma16_kernelIDF16_hLN4vllm18Fp8KVCacheDataTypeE1EhLi16ELi128ELi256ELb1ELi8EEvPKT_PKT0_S7_ifPKiS9_S9_iPKfiiiPfSC_PS2_PT2_iSB_SB_.num_vgpr, max(3, .L__assert_fail.num_vgpr)
	.set _Z39paged_attention_ll4mi_QKV_mfma16_kernelIDF16_hLN4vllm18Fp8KVCacheDataTypeE1EhLi16ELi128ELi256ELb1ELi8EEvPKT_PKT0_S7_ifPKiS9_S9_iPKfiiiPfSC_PS2_PT2_iSB_SB_.num_agpr, max(0, .L__assert_fail.num_agpr)
	.set _Z39paged_attention_ll4mi_QKV_mfma16_kernelIDF16_hLN4vllm18Fp8KVCacheDataTypeE1EhLi16ELi128ELi256ELb1ELi8EEvPKT_PKT0_S7_ifPKiS9_S9_iPKfiiiPfSC_PS2_PT2_iSB_SB_.numbered_sgpr, max(33, .L__assert_fail.numbered_sgpr)
	.set _Z39paged_attention_ll4mi_QKV_mfma16_kernelIDF16_hLN4vllm18Fp8KVCacheDataTypeE1EhLi16ELi128ELi256ELb1ELi8EEvPKT_PKT0_S7_ifPKiS9_S9_iPKfiiiPfSC_PS2_PT2_iSB_SB_.num_named_barrier, max(0, .L__assert_fail.num_named_barrier)
	.set _Z39paged_attention_ll4mi_QKV_mfma16_kernelIDF16_hLN4vllm18Fp8KVCacheDataTypeE1EhLi16ELi128ELi256ELb1ELi8EEvPKT_PKT0_S7_ifPKiS9_S9_iPKfiiiPfSC_PS2_PT2_iSB_SB_.private_seg_size, 0+max(.L__assert_fail.private_seg_size)
	.set _Z39paged_attention_ll4mi_QKV_mfma16_kernelIDF16_hLN4vllm18Fp8KVCacheDataTypeE1EhLi16ELi128ELi256ELb1ELi8EEvPKT_PKT0_S7_ifPKiS9_S9_iPKfiiiPfSC_PS2_PT2_iSB_SB_.uses_vcc, or(1, .L__assert_fail.uses_vcc)
	.set _Z39paged_attention_ll4mi_QKV_mfma16_kernelIDF16_hLN4vllm18Fp8KVCacheDataTypeE1EhLi16ELi128ELi256ELb1ELi8EEvPKT_PKT0_S7_ifPKiS9_S9_iPKfiiiPfSC_PS2_PT2_iSB_SB_.uses_flat_scratch, or(0, .L__assert_fail.uses_flat_scratch)
	.set _Z39paged_attention_ll4mi_QKV_mfma16_kernelIDF16_hLN4vllm18Fp8KVCacheDataTypeE1EhLi16ELi128ELi256ELb1ELi8EEvPKT_PKT0_S7_ifPKiS9_S9_iPKfiiiPfSC_PS2_PT2_iSB_SB_.has_dyn_sized_stack, or(0, .L__assert_fail.has_dyn_sized_stack)
	.set _Z39paged_attention_ll4mi_QKV_mfma16_kernelIDF16_hLN4vllm18Fp8KVCacheDataTypeE1EhLi16ELi128ELi256ELb1ELi8EEvPKT_PKT0_S7_ifPKiS9_S9_iPKfiiiPfSC_PS2_PT2_iSB_SB_.has_recursion, or(0, .L__assert_fail.has_recursion)
	.set _Z39paged_attention_ll4mi_QKV_mfma16_kernelIDF16_hLN4vllm18Fp8KVCacheDataTypeE1EhLi16ELi128ELi256ELb1ELi8EEvPKT_PKT0_S7_ifPKiS9_S9_iPKfiiiPfSC_PS2_PT2_iSB_SB_.has_indirect_call, or(0, .L__assert_fail.has_indirect_call)
	.section	.AMDGPU.csdata,"",@progbits
; Kernel info:
; codeLenInByte = 68
; TotalNumSgprs: 36
; NumVgprs: 51
; ScratchSize: 64
; MemoryBound: 0
; FloatMode: 240
; IeeeMode: 1
; LDSByteSize: 0 bytes/workgroup (compile time only)
; SGPRBlocks: 0
; VGPRBlocks: 3
; NumSGPRsForWavesPerEU: 36
; NumVGPRsForWavesPerEU: 51
; NamedBarCnt: 0
; Occupancy: 16
; WaveLimiterHint : 1
; COMPUTE_PGM_RSRC2:SCRATCH_EN: 1
; COMPUTE_PGM_RSRC2:USER_SGPR: 2
; COMPUTE_PGM_RSRC2:TRAP_HANDLER: 0
; COMPUTE_PGM_RSRC2:TGID_X_EN: 1
; COMPUTE_PGM_RSRC2:TGID_Y_EN: 0
; COMPUTE_PGM_RSRC2:TGID_Z_EN: 0
; COMPUTE_PGM_RSRC2:TIDIG_COMP_CNT: 0
	.section	.text._Z39paged_attention_ll4mi_QKV_mfma16_kernelIDF16_hLN4vllm18Fp8KVCacheDataTypeE1EhLi16ELi128ELi256ELb1ELi9EEvPKT_PKT0_S7_ifPKiS9_S9_iPKfiiiPfSC_PS2_PT2_iSB_SB_,"axG",@progbits,_Z39paged_attention_ll4mi_QKV_mfma16_kernelIDF16_hLN4vllm18Fp8KVCacheDataTypeE1EhLi16ELi128ELi256ELb1ELi9EEvPKT_PKT0_S7_ifPKiS9_S9_iPKfiiiPfSC_PS2_PT2_iSB_SB_,comdat
	.protected	_Z39paged_attention_ll4mi_QKV_mfma16_kernelIDF16_hLN4vllm18Fp8KVCacheDataTypeE1EhLi16ELi128ELi256ELb1ELi9EEvPKT_PKT0_S7_ifPKiS9_S9_iPKfiiiPfSC_PS2_PT2_iSB_SB_ ; -- Begin function _Z39paged_attention_ll4mi_QKV_mfma16_kernelIDF16_hLN4vllm18Fp8KVCacheDataTypeE1EhLi16ELi128ELi256ELb1ELi9EEvPKT_PKT0_S7_ifPKiS9_S9_iPKfiiiPfSC_PS2_PT2_iSB_SB_
	.globl	_Z39paged_attention_ll4mi_QKV_mfma16_kernelIDF16_hLN4vllm18Fp8KVCacheDataTypeE1EhLi16ELi128ELi256ELb1ELi9EEvPKT_PKT0_S7_ifPKiS9_S9_iPKfiiiPfSC_PS2_PT2_iSB_SB_
	.p2align	8
	.type	_Z39paged_attention_ll4mi_QKV_mfma16_kernelIDF16_hLN4vllm18Fp8KVCacheDataTypeE1EhLi16ELi128ELi256ELb1ELi9EEvPKT_PKT0_S7_ifPKiS9_S9_iPKfiiiPfSC_PS2_PT2_iSB_SB_,@function
_Z39paged_attention_ll4mi_QKV_mfma16_kernelIDF16_hLN4vllm18Fp8KVCacheDataTypeE1EhLi16ELi128ELi256ELb1ELi9EEvPKT_PKT0_S7_ifPKiS9_S9_iPKfiiiPfSC_PS2_PT2_iSB_SB_: ; @_Z39paged_attention_ll4mi_QKV_mfma16_kernelIDF16_hLN4vllm18Fp8KVCacheDataTypeE1EhLi16ELi128ELi256ELb1ELi9EEvPKT_PKT0_S7_ifPKiS9_S9_iPKfiiiPfSC_PS2_PT2_iSB_SB_
; %bb.0:
	s_get_pc_i64 s[2:3]
	s_add_nc_u64 s[2:3], s[2:3], __PRETTY_FUNCTION__._Z39paged_attention_ll4mi_QKV_mfma16_kernelIDF16_hLN4vllm18Fp8KVCacheDataTypeE1EhLi16ELi128ELi256ELb1ELi9EEvPKT_PKT0_S7_ifPKiS9_S9_iPKfiiiPfSC_PS2_PT2_iSB_SB_@rel64+4
	s_delay_alu instid0(SALU_CYCLE_1)
	v_dual_mov_b32 v0, 0xbb3 :: v_dual_mov_b32 v1, s2
	v_mov_b32_e32 v2, s3
	s_add_nc_u64 s[8:9], s[0:1], 0x90
	s_get_pc_i64 s[0:1]
	s_add_nc_u64 s[0:1], s[0:1], __assert_fail@rel64+4
	s_mov_b32 s32, 0
	s_swap_pc_i64 s[30:31], s[0:1]
	.section	.rodata,"a",@progbits
	.p2align	6, 0x0
	.amdhsa_kernel _Z39paged_attention_ll4mi_QKV_mfma16_kernelIDF16_hLN4vllm18Fp8KVCacheDataTypeE1EhLi16ELi128ELi256ELb1ELi9EEvPKT_PKT0_S7_ifPKiS9_S9_iPKfiiiPfSC_PS2_PT2_iSB_SB_
		.amdhsa_group_segment_fixed_size 0
		.amdhsa_private_segment_fixed_size 64
		.amdhsa_kernarg_size 400
		.amdhsa_user_sgpr_count 2
		.amdhsa_user_sgpr_dispatch_ptr 0
		.amdhsa_user_sgpr_queue_ptr 0
		.amdhsa_user_sgpr_kernarg_segment_ptr 1
		.amdhsa_user_sgpr_dispatch_id 0
		.amdhsa_user_sgpr_kernarg_preload_length 0
		.amdhsa_user_sgpr_kernarg_preload_offset 0
		.amdhsa_user_sgpr_private_segment_size 0
		.amdhsa_wavefront_size32 1
		.amdhsa_uses_dynamic_stack 0
		.amdhsa_enable_private_segment 1
		.amdhsa_system_sgpr_workgroup_id_x 1
		.amdhsa_system_sgpr_workgroup_id_y 0
		.amdhsa_system_sgpr_workgroup_id_z 0
		.amdhsa_system_sgpr_workgroup_info 0
		.amdhsa_system_vgpr_workitem_id 0
		.amdhsa_next_free_vgpr 51
		.amdhsa_next_free_sgpr 34
		.amdhsa_named_barrier_count 0
		.amdhsa_reserve_vcc 1
		.amdhsa_float_round_mode_32 0
		.amdhsa_float_round_mode_16_64 0
		.amdhsa_float_denorm_mode_32 3
		.amdhsa_float_denorm_mode_16_64 3
		.amdhsa_fp16_overflow 0
		.amdhsa_memory_ordered 1
		.amdhsa_forward_progress 1
		.amdhsa_inst_pref_size 1
		.amdhsa_round_robin_scheduling 0
		.amdhsa_exception_fp_ieee_invalid_op 0
		.amdhsa_exception_fp_denorm_src 0
		.amdhsa_exception_fp_ieee_div_zero 0
		.amdhsa_exception_fp_ieee_overflow 0
		.amdhsa_exception_fp_ieee_underflow 0
		.amdhsa_exception_fp_ieee_inexact 0
		.amdhsa_exception_int_div_zero 0
	.end_amdhsa_kernel
	.section	.text._Z39paged_attention_ll4mi_QKV_mfma16_kernelIDF16_hLN4vllm18Fp8KVCacheDataTypeE1EhLi16ELi128ELi256ELb1ELi9EEvPKT_PKT0_S7_ifPKiS9_S9_iPKfiiiPfSC_PS2_PT2_iSB_SB_,"axG",@progbits,_Z39paged_attention_ll4mi_QKV_mfma16_kernelIDF16_hLN4vllm18Fp8KVCacheDataTypeE1EhLi16ELi128ELi256ELb1ELi9EEvPKT_PKT0_S7_ifPKiS9_S9_iPKfiiiPfSC_PS2_PT2_iSB_SB_,comdat
.Lfunc_end938:
	.size	_Z39paged_attention_ll4mi_QKV_mfma16_kernelIDF16_hLN4vllm18Fp8KVCacheDataTypeE1EhLi16ELi128ELi256ELb1ELi9EEvPKT_PKT0_S7_ifPKiS9_S9_iPKfiiiPfSC_PS2_PT2_iSB_SB_, .Lfunc_end938-_Z39paged_attention_ll4mi_QKV_mfma16_kernelIDF16_hLN4vllm18Fp8KVCacheDataTypeE1EhLi16ELi128ELi256ELb1ELi9EEvPKT_PKT0_S7_ifPKiS9_S9_iPKfiiiPfSC_PS2_PT2_iSB_SB_
                                        ; -- End function
	.set _Z39paged_attention_ll4mi_QKV_mfma16_kernelIDF16_hLN4vllm18Fp8KVCacheDataTypeE1EhLi16ELi128ELi256ELb1ELi9EEvPKT_PKT0_S7_ifPKiS9_S9_iPKfiiiPfSC_PS2_PT2_iSB_SB_.num_vgpr, max(3, .L__assert_fail.num_vgpr)
	.set _Z39paged_attention_ll4mi_QKV_mfma16_kernelIDF16_hLN4vllm18Fp8KVCacheDataTypeE1EhLi16ELi128ELi256ELb1ELi9EEvPKT_PKT0_S7_ifPKiS9_S9_iPKfiiiPfSC_PS2_PT2_iSB_SB_.num_agpr, max(0, .L__assert_fail.num_agpr)
	.set _Z39paged_attention_ll4mi_QKV_mfma16_kernelIDF16_hLN4vllm18Fp8KVCacheDataTypeE1EhLi16ELi128ELi256ELb1ELi9EEvPKT_PKT0_S7_ifPKiS9_S9_iPKfiiiPfSC_PS2_PT2_iSB_SB_.numbered_sgpr, max(33, .L__assert_fail.numbered_sgpr)
	.set _Z39paged_attention_ll4mi_QKV_mfma16_kernelIDF16_hLN4vllm18Fp8KVCacheDataTypeE1EhLi16ELi128ELi256ELb1ELi9EEvPKT_PKT0_S7_ifPKiS9_S9_iPKfiiiPfSC_PS2_PT2_iSB_SB_.num_named_barrier, max(0, .L__assert_fail.num_named_barrier)
	.set _Z39paged_attention_ll4mi_QKV_mfma16_kernelIDF16_hLN4vllm18Fp8KVCacheDataTypeE1EhLi16ELi128ELi256ELb1ELi9EEvPKT_PKT0_S7_ifPKiS9_S9_iPKfiiiPfSC_PS2_PT2_iSB_SB_.private_seg_size, 0+max(.L__assert_fail.private_seg_size)
	.set _Z39paged_attention_ll4mi_QKV_mfma16_kernelIDF16_hLN4vllm18Fp8KVCacheDataTypeE1EhLi16ELi128ELi256ELb1ELi9EEvPKT_PKT0_S7_ifPKiS9_S9_iPKfiiiPfSC_PS2_PT2_iSB_SB_.uses_vcc, or(1, .L__assert_fail.uses_vcc)
	.set _Z39paged_attention_ll4mi_QKV_mfma16_kernelIDF16_hLN4vllm18Fp8KVCacheDataTypeE1EhLi16ELi128ELi256ELb1ELi9EEvPKT_PKT0_S7_ifPKiS9_S9_iPKfiiiPfSC_PS2_PT2_iSB_SB_.uses_flat_scratch, or(0, .L__assert_fail.uses_flat_scratch)
	.set _Z39paged_attention_ll4mi_QKV_mfma16_kernelIDF16_hLN4vllm18Fp8KVCacheDataTypeE1EhLi16ELi128ELi256ELb1ELi9EEvPKT_PKT0_S7_ifPKiS9_S9_iPKfiiiPfSC_PS2_PT2_iSB_SB_.has_dyn_sized_stack, or(0, .L__assert_fail.has_dyn_sized_stack)
	.set _Z39paged_attention_ll4mi_QKV_mfma16_kernelIDF16_hLN4vllm18Fp8KVCacheDataTypeE1EhLi16ELi128ELi256ELb1ELi9EEvPKT_PKT0_S7_ifPKiS9_S9_iPKfiiiPfSC_PS2_PT2_iSB_SB_.has_recursion, or(0, .L__assert_fail.has_recursion)
	.set _Z39paged_attention_ll4mi_QKV_mfma16_kernelIDF16_hLN4vllm18Fp8KVCacheDataTypeE1EhLi16ELi128ELi256ELb1ELi9EEvPKT_PKT0_S7_ifPKiS9_S9_iPKfiiiPfSC_PS2_PT2_iSB_SB_.has_indirect_call, or(0, .L__assert_fail.has_indirect_call)
	.section	.AMDGPU.csdata,"",@progbits
; Kernel info:
; codeLenInByte = 68
; TotalNumSgprs: 36
; NumVgprs: 51
; ScratchSize: 64
; MemoryBound: 0
; FloatMode: 240
; IeeeMode: 1
; LDSByteSize: 0 bytes/workgroup (compile time only)
; SGPRBlocks: 0
; VGPRBlocks: 3
; NumSGPRsForWavesPerEU: 36
; NumVGPRsForWavesPerEU: 51
; NamedBarCnt: 0
; Occupancy: 16
; WaveLimiterHint : 1
; COMPUTE_PGM_RSRC2:SCRATCH_EN: 1
; COMPUTE_PGM_RSRC2:USER_SGPR: 2
; COMPUTE_PGM_RSRC2:TRAP_HANDLER: 0
; COMPUTE_PGM_RSRC2:TGID_X_EN: 1
; COMPUTE_PGM_RSRC2:TGID_Y_EN: 0
; COMPUTE_PGM_RSRC2:TGID_Z_EN: 0
; COMPUTE_PGM_RSRC2:TIDIG_COMP_CNT: 0
	.section	.text._Z39paged_attention_ll4mi_QKV_mfma16_kernelIDF16_hLN4vllm18Fp8KVCacheDataTypeE1EhLi16ELi128ELi256ELb1ELi10EEvPKT_PKT0_S7_ifPKiS9_S9_iPKfiiiPfSC_PS2_PT2_iSB_SB_,"axG",@progbits,_Z39paged_attention_ll4mi_QKV_mfma16_kernelIDF16_hLN4vllm18Fp8KVCacheDataTypeE1EhLi16ELi128ELi256ELb1ELi10EEvPKT_PKT0_S7_ifPKiS9_S9_iPKfiiiPfSC_PS2_PT2_iSB_SB_,comdat
	.protected	_Z39paged_attention_ll4mi_QKV_mfma16_kernelIDF16_hLN4vllm18Fp8KVCacheDataTypeE1EhLi16ELi128ELi256ELb1ELi10EEvPKT_PKT0_S7_ifPKiS9_S9_iPKfiiiPfSC_PS2_PT2_iSB_SB_ ; -- Begin function _Z39paged_attention_ll4mi_QKV_mfma16_kernelIDF16_hLN4vllm18Fp8KVCacheDataTypeE1EhLi16ELi128ELi256ELb1ELi10EEvPKT_PKT0_S7_ifPKiS9_S9_iPKfiiiPfSC_PS2_PT2_iSB_SB_
	.globl	_Z39paged_attention_ll4mi_QKV_mfma16_kernelIDF16_hLN4vllm18Fp8KVCacheDataTypeE1EhLi16ELi128ELi256ELb1ELi10EEvPKT_PKT0_S7_ifPKiS9_S9_iPKfiiiPfSC_PS2_PT2_iSB_SB_
	.p2align	8
	.type	_Z39paged_attention_ll4mi_QKV_mfma16_kernelIDF16_hLN4vllm18Fp8KVCacheDataTypeE1EhLi16ELi128ELi256ELb1ELi10EEvPKT_PKT0_S7_ifPKiS9_S9_iPKfiiiPfSC_PS2_PT2_iSB_SB_,@function
_Z39paged_attention_ll4mi_QKV_mfma16_kernelIDF16_hLN4vllm18Fp8KVCacheDataTypeE1EhLi16ELi128ELi256ELb1ELi10EEvPKT_PKT0_S7_ifPKiS9_S9_iPKfiiiPfSC_PS2_PT2_iSB_SB_: ; @_Z39paged_attention_ll4mi_QKV_mfma16_kernelIDF16_hLN4vllm18Fp8KVCacheDataTypeE1EhLi16ELi128ELi256ELb1ELi10EEvPKT_PKT0_S7_ifPKiS9_S9_iPKfiiiPfSC_PS2_PT2_iSB_SB_
; %bb.0:
	s_get_pc_i64 s[2:3]
	s_add_nc_u64 s[2:3], s[2:3], __PRETTY_FUNCTION__._Z39paged_attention_ll4mi_QKV_mfma16_kernelIDF16_hLN4vllm18Fp8KVCacheDataTypeE1EhLi16ELi128ELi256ELb1ELi10EEvPKT_PKT0_S7_ifPKiS9_S9_iPKfiiiPfSC_PS2_PT2_iSB_SB_@rel64+4
	s_delay_alu instid0(SALU_CYCLE_1)
	v_dual_mov_b32 v0, 0xbb3 :: v_dual_mov_b32 v1, s2
	v_mov_b32_e32 v2, s3
	s_add_nc_u64 s[8:9], s[0:1], 0x90
	s_get_pc_i64 s[0:1]
	s_add_nc_u64 s[0:1], s[0:1], __assert_fail@rel64+4
	s_mov_b32 s32, 0
	s_swap_pc_i64 s[30:31], s[0:1]
	.section	.rodata,"a",@progbits
	.p2align	6, 0x0
	.amdhsa_kernel _Z39paged_attention_ll4mi_QKV_mfma16_kernelIDF16_hLN4vllm18Fp8KVCacheDataTypeE1EhLi16ELi128ELi256ELb1ELi10EEvPKT_PKT0_S7_ifPKiS9_S9_iPKfiiiPfSC_PS2_PT2_iSB_SB_
		.amdhsa_group_segment_fixed_size 0
		.amdhsa_private_segment_fixed_size 64
		.amdhsa_kernarg_size 400
		.amdhsa_user_sgpr_count 2
		.amdhsa_user_sgpr_dispatch_ptr 0
		.amdhsa_user_sgpr_queue_ptr 0
		.amdhsa_user_sgpr_kernarg_segment_ptr 1
		.amdhsa_user_sgpr_dispatch_id 0
		.amdhsa_user_sgpr_kernarg_preload_length 0
		.amdhsa_user_sgpr_kernarg_preload_offset 0
		.amdhsa_user_sgpr_private_segment_size 0
		.amdhsa_wavefront_size32 1
		.amdhsa_uses_dynamic_stack 0
		.amdhsa_enable_private_segment 1
		.amdhsa_system_sgpr_workgroup_id_x 1
		.amdhsa_system_sgpr_workgroup_id_y 0
		.amdhsa_system_sgpr_workgroup_id_z 0
		.amdhsa_system_sgpr_workgroup_info 0
		.amdhsa_system_vgpr_workitem_id 0
		.amdhsa_next_free_vgpr 51
		.amdhsa_next_free_sgpr 34
		.amdhsa_named_barrier_count 0
		.amdhsa_reserve_vcc 1
		.amdhsa_float_round_mode_32 0
		.amdhsa_float_round_mode_16_64 0
		.amdhsa_float_denorm_mode_32 3
		.amdhsa_float_denorm_mode_16_64 3
		.amdhsa_fp16_overflow 0
		.amdhsa_memory_ordered 1
		.amdhsa_forward_progress 1
		.amdhsa_inst_pref_size 1
		.amdhsa_round_robin_scheduling 0
		.amdhsa_exception_fp_ieee_invalid_op 0
		.amdhsa_exception_fp_denorm_src 0
		.amdhsa_exception_fp_ieee_div_zero 0
		.amdhsa_exception_fp_ieee_overflow 0
		.amdhsa_exception_fp_ieee_underflow 0
		.amdhsa_exception_fp_ieee_inexact 0
		.amdhsa_exception_int_div_zero 0
	.end_amdhsa_kernel
	.section	.text._Z39paged_attention_ll4mi_QKV_mfma16_kernelIDF16_hLN4vllm18Fp8KVCacheDataTypeE1EhLi16ELi128ELi256ELb1ELi10EEvPKT_PKT0_S7_ifPKiS9_S9_iPKfiiiPfSC_PS2_PT2_iSB_SB_,"axG",@progbits,_Z39paged_attention_ll4mi_QKV_mfma16_kernelIDF16_hLN4vllm18Fp8KVCacheDataTypeE1EhLi16ELi128ELi256ELb1ELi10EEvPKT_PKT0_S7_ifPKiS9_S9_iPKfiiiPfSC_PS2_PT2_iSB_SB_,comdat
.Lfunc_end939:
	.size	_Z39paged_attention_ll4mi_QKV_mfma16_kernelIDF16_hLN4vllm18Fp8KVCacheDataTypeE1EhLi16ELi128ELi256ELb1ELi10EEvPKT_PKT0_S7_ifPKiS9_S9_iPKfiiiPfSC_PS2_PT2_iSB_SB_, .Lfunc_end939-_Z39paged_attention_ll4mi_QKV_mfma16_kernelIDF16_hLN4vllm18Fp8KVCacheDataTypeE1EhLi16ELi128ELi256ELb1ELi10EEvPKT_PKT0_S7_ifPKiS9_S9_iPKfiiiPfSC_PS2_PT2_iSB_SB_
                                        ; -- End function
	.set _Z39paged_attention_ll4mi_QKV_mfma16_kernelIDF16_hLN4vllm18Fp8KVCacheDataTypeE1EhLi16ELi128ELi256ELb1ELi10EEvPKT_PKT0_S7_ifPKiS9_S9_iPKfiiiPfSC_PS2_PT2_iSB_SB_.num_vgpr, max(3, .L__assert_fail.num_vgpr)
	.set _Z39paged_attention_ll4mi_QKV_mfma16_kernelIDF16_hLN4vllm18Fp8KVCacheDataTypeE1EhLi16ELi128ELi256ELb1ELi10EEvPKT_PKT0_S7_ifPKiS9_S9_iPKfiiiPfSC_PS2_PT2_iSB_SB_.num_agpr, max(0, .L__assert_fail.num_agpr)
	.set _Z39paged_attention_ll4mi_QKV_mfma16_kernelIDF16_hLN4vllm18Fp8KVCacheDataTypeE1EhLi16ELi128ELi256ELb1ELi10EEvPKT_PKT0_S7_ifPKiS9_S9_iPKfiiiPfSC_PS2_PT2_iSB_SB_.numbered_sgpr, max(33, .L__assert_fail.numbered_sgpr)
	.set _Z39paged_attention_ll4mi_QKV_mfma16_kernelIDF16_hLN4vllm18Fp8KVCacheDataTypeE1EhLi16ELi128ELi256ELb1ELi10EEvPKT_PKT0_S7_ifPKiS9_S9_iPKfiiiPfSC_PS2_PT2_iSB_SB_.num_named_barrier, max(0, .L__assert_fail.num_named_barrier)
	.set _Z39paged_attention_ll4mi_QKV_mfma16_kernelIDF16_hLN4vllm18Fp8KVCacheDataTypeE1EhLi16ELi128ELi256ELb1ELi10EEvPKT_PKT0_S7_ifPKiS9_S9_iPKfiiiPfSC_PS2_PT2_iSB_SB_.private_seg_size, 0+max(.L__assert_fail.private_seg_size)
	.set _Z39paged_attention_ll4mi_QKV_mfma16_kernelIDF16_hLN4vllm18Fp8KVCacheDataTypeE1EhLi16ELi128ELi256ELb1ELi10EEvPKT_PKT0_S7_ifPKiS9_S9_iPKfiiiPfSC_PS2_PT2_iSB_SB_.uses_vcc, or(1, .L__assert_fail.uses_vcc)
	.set _Z39paged_attention_ll4mi_QKV_mfma16_kernelIDF16_hLN4vllm18Fp8KVCacheDataTypeE1EhLi16ELi128ELi256ELb1ELi10EEvPKT_PKT0_S7_ifPKiS9_S9_iPKfiiiPfSC_PS2_PT2_iSB_SB_.uses_flat_scratch, or(0, .L__assert_fail.uses_flat_scratch)
	.set _Z39paged_attention_ll4mi_QKV_mfma16_kernelIDF16_hLN4vllm18Fp8KVCacheDataTypeE1EhLi16ELi128ELi256ELb1ELi10EEvPKT_PKT0_S7_ifPKiS9_S9_iPKfiiiPfSC_PS2_PT2_iSB_SB_.has_dyn_sized_stack, or(0, .L__assert_fail.has_dyn_sized_stack)
	.set _Z39paged_attention_ll4mi_QKV_mfma16_kernelIDF16_hLN4vllm18Fp8KVCacheDataTypeE1EhLi16ELi128ELi256ELb1ELi10EEvPKT_PKT0_S7_ifPKiS9_S9_iPKfiiiPfSC_PS2_PT2_iSB_SB_.has_recursion, or(0, .L__assert_fail.has_recursion)
	.set _Z39paged_attention_ll4mi_QKV_mfma16_kernelIDF16_hLN4vllm18Fp8KVCacheDataTypeE1EhLi16ELi128ELi256ELb1ELi10EEvPKT_PKT0_S7_ifPKiS9_S9_iPKfiiiPfSC_PS2_PT2_iSB_SB_.has_indirect_call, or(0, .L__assert_fail.has_indirect_call)
	.section	.AMDGPU.csdata,"",@progbits
; Kernel info:
; codeLenInByte = 68
; TotalNumSgprs: 36
; NumVgprs: 51
; ScratchSize: 64
; MemoryBound: 0
; FloatMode: 240
; IeeeMode: 1
; LDSByteSize: 0 bytes/workgroup (compile time only)
; SGPRBlocks: 0
; VGPRBlocks: 3
; NumSGPRsForWavesPerEU: 36
; NumVGPRsForWavesPerEU: 51
; NamedBarCnt: 0
; Occupancy: 16
; WaveLimiterHint : 1
; COMPUTE_PGM_RSRC2:SCRATCH_EN: 1
; COMPUTE_PGM_RSRC2:USER_SGPR: 2
; COMPUTE_PGM_RSRC2:TRAP_HANDLER: 0
; COMPUTE_PGM_RSRC2:TGID_X_EN: 1
; COMPUTE_PGM_RSRC2:TGID_Y_EN: 0
; COMPUTE_PGM_RSRC2:TGID_Z_EN: 0
; COMPUTE_PGM_RSRC2:TIDIG_COMP_CNT: 0
	.section	.text._Z39paged_attention_ll4mi_QKV_mfma16_kernelIDF16_hLN4vllm18Fp8KVCacheDataTypeE1EhLi16ELi128ELi256ELb1ELi11EEvPKT_PKT0_S7_ifPKiS9_S9_iPKfiiiPfSC_PS2_PT2_iSB_SB_,"axG",@progbits,_Z39paged_attention_ll4mi_QKV_mfma16_kernelIDF16_hLN4vllm18Fp8KVCacheDataTypeE1EhLi16ELi128ELi256ELb1ELi11EEvPKT_PKT0_S7_ifPKiS9_S9_iPKfiiiPfSC_PS2_PT2_iSB_SB_,comdat
	.protected	_Z39paged_attention_ll4mi_QKV_mfma16_kernelIDF16_hLN4vllm18Fp8KVCacheDataTypeE1EhLi16ELi128ELi256ELb1ELi11EEvPKT_PKT0_S7_ifPKiS9_S9_iPKfiiiPfSC_PS2_PT2_iSB_SB_ ; -- Begin function _Z39paged_attention_ll4mi_QKV_mfma16_kernelIDF16_hLN4vllm18Fp8KVCacheDataTypeE1EhLi16ELi128ELi256ELb1ELi11EEvPKT_PKT0_S7_ifPKiS9_S9_iPKfiiiPfSC_PS2_PT2_iSB_SB_
	.globl	_Z39paged_attention_ll4mi_QKV_mfma16_kernelIDF16_hLN4vllm18Fp8KVCacheDataTypeE1EhLi16ELi128ELi256ELb1ELi11EEvPKT_PKT0_S7_ifPKiS9_S9_iPKfiiiPfSC_PS2_PT2_iSB_SB_
	.p2align	8
	.type	_Z39paged_attention_ll4mi_QKV_mfma16_kernelIDF16_hLN4vllm18Fp8KVCacheDataTypeE1EhLi16ELi128ELi256ELb1ELi11EEvPKT_PKT0_S7_ifPKiS9_S9_iPKfiiiPfSC_PS2_PT2_iSB_SB_,@function
_Z39paged_attention_ll4mi_QKV_mfma16_kernelIDF16_hLN4vllm18Fp8KVCacheDataTypeE1EhLi16ELi128ELi256ELb1ELi11EEvPKT_PKT0_S7_ifPKiS9_S9_iPKfiiiPfSC_PS2_PT2_iSB_SB_: ; @_Z39paged_attention_ll4mi_QKV_mfma16_kernelIDF16_hLN4vllm18Fp8KVCacheDataTypeE1EhLi16ELi128ELi256ELb1ELi11EEvPKT_PKT0_S7_ifPKiS9_S9_iPKfiiiPfSC_PS2_PT2_iSB_SB_
; %bb.0:
	s_get_pc_i64 s[2:3]
	s_add_nc_u64 s[2:3], s[2:3], __PRETTY_FUNCTION__._Z39paged_attention_ll4mi_QKV_mfma16_kernelIDF16_hLN4vllm18Fp8KVCacheDataTypeE1EhLi16ELi128ELi256ELb1ELi11EEvPKT_PKT0_S7_ifPKiS9_S9_iPKfiiiPfSC_PS2_PT2_iSB_SB_@rel64+4
	s_delay_alu instid0(SALU_CYCLE_1)
	v_dual_mov_b32 v0, 0xbb3 :: v_dual_mov_b32 v1, s2
	v_mov_b32_e32 v2, s3
	s_add_nc_u64 s[8:9], s[0:1], 0x90
	s_get_pc_i64 s[0:1]
	s_add_nc_u64 s[0:1], s[0:1], __assert_fail@rel64+4
	s_mov_b32 s32, 0
	s_swap_pc_i64 s[30:31], s[0:1]
	.section	.rodata,"a",@progbits
	.p2align	6, 0x0
	.amdhsa_kernel _Z39paged_attention_ll4mi_QKV_mfma16_kernelIDF16_hLN4vllm18Fp8KVCacheDataTypeE1EhLi16ELi128ELi256ELb1ELi11EEvPKT_PKT0_S7_ifPKiS9_S9_iPKfiiiPfSC_PS2_PT2_iSB_SB_
		.amdhsa_group_segment_fixed_size 0
		.amdhsa_private_segment_fixed_size 64
		.amdhsa_kernarg_size 400
		.amdhsa_user_sgpr_count 2
		.amdhsa_user_sgpr_dispatch_ptr 0
		.amdhsa_user_sgpr_queue_ptr 0
		.amdhsa_user_sgpr_kernarg_segment_ptr 1
		.amdhsa_user_sgpr_dispatch_id 0
		.amdhsa_user_sgpr_kernarg_preload_length 0
		.amdhsa_user_sgpr_kernarg_preload_offset 0
		.amdhsa_user_sgpr_private_segment_size 0
		.amdhsa_wavefront_size32 1
		.amdhsa_uses_dynamic_stack 0
		.amdhsa_enable_private_segment 1
		.amdhsa_system_sgpr_workgroup_id_x 1
		.amdhsa_system_sgpr_workgroup_id_y 0
		.amdhsa_system_sgpr_workgroup_id_z 0
		.amdhsa_system_sgpr_workgroup_info 0
		.amdhsa_system_vgpr_workitem_id 0
		.amdhsa_next_free_vgpr 51
		.amdhsa_next_free_sgpr 34
		.amdhsa_named_barrier_count 0
		.amdhsa_reserve_vcc 1
		.amdhsa_float_round_mode_32 0
		.amdhsa_float_round_mode_16_64 0
		.amdhsa_float_denorm_mode_32 3
		.amdhsa_float_denorm_mode_16_64 3
		.amdhsa_fp16_overflow 0
		.amdhsa_memory_ordered 1
		.amdhsa_forward_progress 1
		.amdhsa_inst_pref_size 1
		.amdhsa_round_robin_scheduling 0
		.amdhsa_exception_fp_ieee_invalid_op 0
		.amdhsa_exception_fp_denorm_src 0
		.amdhsa_exception_fp_ieee_div_zero 0
		.amdhsa_exception_fp_ieee_overflow 0
		.amdhsa_exception_fp_ieee_underflow 0
		.amdhsa_exception_fp_ieee_inexact 0
		.amdhsa_exception_int_div_zero 0
	.end_amdhsa_kernel
	.section	.text._Z39paged_attention_ll4mi_QKV_mfma16_kernelIDF16_hLN4vllm18Fp8KVCacheDataTypeE1EhLi16ELi128ELi256ELb1ELi11EEvPKT_PKT0_S7_ifPKiS9_S9_iPKfiiiPfSC_PS2_PT2_iSB_SB_,"axG",@progbits,_Z39paged_attention_ll4mi_QKV_mfma16_kernelIDF16_hLN4vllm18Fp8KVCacheDataTypeE1EhLi16ELi128ELi256ELb1ELi11EEvPKT_PKT0_S7_ifPKiS9_S9_iPKfiiiPfSC_PS2_PT2_iSB_SB_,comdat
.Lfunc_end940:
	.size	_Z39paged_attention_ll4mi_QKV_mfma16_kernelIDF16_hLN4vllm18Fp8KVCacheDataTypeE1EhLi16ELi128ELi256ELb1ELi11EEvPKT_PKT0_S7_ifPKiS9_S9_iPKfiiiPfSC_PS2_PT2_iSB_SB_, .Lfunc_end940-_Z39paged_attention_ll4mi_QKV_mfma16_kernelIDF16_hLN4vllm18Fp8KVCacheDataTypeE1EhLi16ELi128ELi256ELb1ELi11EEvPKT_PKT0_S7_ifPKiS9_S9_iPKfiiiPfSC_PS2_PT2_iSB_SB_
                                        ; -- End function
	.set _Z39paged_attention_ll4mi_QKV_mfma16_kernelIDF16_hLN4vllm18Fp8KVCacheDataTypeE1EhLi16ELi128ELi256ELb1ELi11EEvPKT_PKT0_S7_ifPKiS9_S9_iPKfiiiPfSC_PS2_PT2_iSB_SB_.num_vgpr, max(3, .L__assert_fail.num_vgpr)
	.set _Z39paged_attention_ll4mi_QKV_mfma16_kernelIDF16_hLN4vllm18Fp8KVCacheDataTypeE1EhLi16ELi128ELi256ELb1ELi11EEvPKT_PKT0_S7_ifPKiS9_S9_iPKfiiiPfSC_PS2_PT2_iSB_SB_.num_agpr, max(0, .L__assert_fail.num_agpr)
	.set _Z39paged_attention_ll4mi_QKV_mfma16_kernelIDF16_hLN4vllm18Fp8KVCacheDataTypeE1EhLi16ELi128ELi256ELb1ELi11EEvPKT_PKT0_S7_ifPKiS9_S9_iPKfiiiPfSC_PS2_PT2_iSB_SB_.numbered_sgpr, max(33, .L__assert_fail.numbered_sgpr)
	.set _Z39paged_attention_ll4mi_QKV_mfma16_kernelIDF16_hLN4vllm18Fp8KVCacheDataTypeE1EhLi16ELi128ELi256ELb1ELi11EEvPKT_PKT0_S7_ifPKiS9_S9_iPKfiiiPfSC_PS2_PT2_iSB_SB_.num_named_barrier, max(0, .L__assert_fail.num_named_barrier)
	.set _Z39paged_attention_ll4mi_QKV_mfma16_kernelIDF16_hLN4vllm18Fp8KVCacheDataTypeE1EhLi16ELi128ELi256ELb1ELi11EEvPKT_PKT0_S7_ifPKiS9_S9_iPKfiiiPfSC_PS2_PT2_iSB_SB_.private_seg_size, 0+max(.L__assert_fail.private_seg_size)
	.set _Z39paged_attention_ll4mi_QKV_mfma16_kernelIDF16_hLN4vllm18Fp8KVCacheDataTypeE1EhLi16ELi128ELi256ELb1ELi11EEvPKT_PKT0_S7_ifPKiS9_S9_iPKfiiiPfSC_PS2_PT2_iSB_SB_.uses_vcc, or(1, .L__assert_fail.uses_vcc)
	.set _Z39paged_attention_ll4mi_QKV_mfma16_kernelIDF16_hLN4vllm18Fp8KVCacheDataTypeE1EhLi16ELi128ELi256ELb1ELi11EEvPKT_PKT0_S7_ifPKiS9_S9_iPKfiiiPfSC_PS2_PT2_iSB_SB_.uses_flat_scratch, or(0, .L__assert_fail.uses_flat_scratch)
	.set _Z39paged_attention_ll4mi_QKV_mfma16_kernelIDF16_hLN4vllm18Fp8KVCacheDataTypeE1EhLi16ELi128ELi256ELb1ELi11EEvPKT_PKT0_S7_ifPKiS9_S9_iPKfiiiPfSC_PS2_PT2_iSB_SB_.has_dyn_sized_stack, or(0, .L__assert_fail.has_dyn_sized_stack)
	.set _Z39paged_attention_ll4mi_QKV_mfma16_kernelIDF16_hLN4vllm18Fp8KVCacheDataTypeE1EhLi16ELi128ELi256ELb1ELi11EEvPKT_PKT0_S7_ifPKiS9_S9_iPKfiiiPfSC_PS2_PT2_iSB_SB_.has_recursion, or(0, .L__assert_fail.has_recursion)
	.set _Z39paged_attention_ll4mi_QKV_mfma16_kernelIDF16_hLN4vllm18Fp8KVCacheDataTypeE1EhLi16ELi128ELi256ELb1ELi11EEvPKT_PKT0_S7_ifPKiS9_S9_iPKfiiiPfSC_PS2_PT2_iSB_SB_.has_indirect_call, or(0, .L__assert_fail.has_indirect_call)
	.section	.AMDGPU.csdata,"",@progbits
; Kernel info:
; codeLenInByte = 68
; TotalNumSgprs: 36
; NumVgprs: 51
; ScratchSize: 64
; MemoryBound: 0
; FloatMode: 240
; IeeeMode: 1
; LDSByteSize: 0 bytes/workgroup (compile time only)
; SGPRBlocks: 0
; VGPRBlocks: 3
; NumSGPRsForWavesPerEU: 36
; NumVGPRsForWavesPerEU: 51
; NamedBarCnt: 0
; Occupancy: 16
; WaveLimiterHint : 1
; COMPUTE_PGM_RSRC2:SCRATCH_EN: 1
; COMPUTE_PGM_RSRC2:USER_SGPR: 2
; COMPUTE_PGM_RSRC2:TRAP_HANDLER: 0
; COMPUTE_PGM_RSRC2:TGID_X_EN: 1
; COMPUTE_PGM_RSRC2:TGID_Y_EN: 0
; COMPUTE_PGM_RSRC2:TGID_Z_EN: 0
; COMPUTE_PGM_RSRC2:TIDIG_COMP_CNT: 0
	.section	.text._Z39paged_attention_ll4mi_QKV_mfma16_kernelIDF16_hLN4vllm18Fp8KVCacheDataTypeE1EhLi16ELi128ELi256ELb1ELi12EEvPKT_PKT0_S7_ifPKiS9_S9_iPKfiiiPfSC_PS2_PT2_iSB_SB_,"axG",@progbits,_Z39paged_attention_ll4mi_QKV_mfma16_kernelIDF16_hLN4vllm18Fp8KVCacheDataTypeE1EhLi16ELi128ELi256ELb1ELi12EEvPKT_PKT0_S7_ifPKiS9_S9_iPKfiiiPfSC_PS2_PT2_iSB_SB_,comdat
	.protected	_Z39paged_attention_ll4mi_QKV_mfma16_kernelIDF16_hLN4vllm18Fp8KVCacheDataTypeE1EhLi16ELi128ELi256ELb1ELi12EEvPKT_PKT0_S7_ifPKiS9_S9_iPKfiiiPfSC_PS2_PT2_iSB_SB_ ; -- Begin function _Z39paged_attention_ll4mi_QKV_mfma16_kernelIDF16_hLN4vllm18Fp8KVCacheDataTypeE1EhLi16ELi128ELi256ELb1ELi12EEvPKT_PKT0_S7_ifPKiS9_S9_iPKfiiiPfSC_PS2_PT2_iSB_SB_
	.globl	_Z39paged_attention_ll4mi_QKV_mfma16_kernelIDF16_hLN4vllm18Fp8KVCacheDataTypeE1EhLi16ELi128ELi256ELb1ELi12EEvPKT_PKT0_S7_ifPKiS9_S9_iPKfiiiPfSC_PS2_PT2_iSB_SB_
	.p2align	8
	.type	_Z39paged_attention_ll4mi_QKV_mfma16_kernelIDF16_hLN4vllm18Fp8KVCacheDataTypeE1EhLi16ELi128ELi256ELb1ELi12EEvPKT_PKT0_S7_ifPKiS9_S9_iPKfiiiPfSC_PS2_PT2_iSB_SB_,@function
_Z39paged_attention_ll4mi_QKV_mfma16_kernelIDF16_hLN4vllm18Fp8KVCacheDataTypeE1EhLi16ELi128ELi256ELb1ELi12EEvPKT_PKT0_S7_ifPKiS9_S9_iPKfiiiPfSC_PS2_PT2_iSB_SB_: ; @_Z39paged_attention_ll4mi_QKV_mfma16_kernelIDF16_hLN4vllm18Fp8KVCacheDataTypeE1EhLi16ELi128ELi256ELb1ELi12EEvPKT_PKT0_S7_ifPKiS9_S9_iPKfiiiPfSC_PS2_PT2_iSB_SB_
; %bb.0:
	s_get_pc_i64 s[2:3]
	s_add_nc_u64 s[2:3], s[2:3], __PRETTY_FUNCTION__._Z39paged_attention_ll4mi_QKV_mfma16_kernelIDF16_hLN4vllm18Fp8KVCacheDataTypeE1EhLi16ELi128ELi256ELb1ELi12EEvPKT_PKT0_S7_ifPKiS9_S9_iPKfiiiPfSC_PS2_PT2_iSB_SB_@rel64+4
	s_delay_alu instid0(SALU_CYCLE_1)
	v_dual_mov_b32 v0, 0xbb3 :: v_dual_mov_b32 v1, s2
	v_mov_b32_e32 v2, s3
	s_add_nc_u64 s[8:9], s[0:1], 0x90
	s_get_pc_i64 s[0:1]
	s_add_nc_u64 s[0:1], s[0:1], __assert_fail@rel64+4
	s_mov_b32 s32, 0
	s_swap_pc_i64 s[30:31], s[0:1]
	.section	.rodata,"a",@progbits
	.p2align	6, 0x0
	.amdhsa_kernel _Z39paged_attention_ll4mi_QKV_mfma16_kernelIDF16_hLN4vllm18Fp8KVCacheDataTypeE1EhLi16ELi128ELi256ELb1ELi12EEvPKT_PKT0_S7_ifPKiS9_S9_iPKfiiiPfSC_PS2_PT2_iSB_SB_
		.amdhsa_group_segment_fixed_size 0
		.amdhsa_private_segment_fixed_size 64
		.amdhsa_kernarg_size 400
		.amdhsa_user_sgpr_count 2
		.amdhsa_user_sgpr_dispatch_ptr 0
		.amdhsa_user_sgpr_queue_ptr 0
		.amdhsa_user_sgpr_kernarg_segment_ptr 1
		.amdhsa_user_sgpr_dispatch_id 0
		.amdhsa_user_sgpr_kernarg_preload_length 0
		.amdhsa_user_sgpr_kernarg_preload_offset 0
		.amdhsa_user_sgpr_private_segment_size 0
		.amdhsa_wavefront_size32 1
		.amdhsa_uses_dynamic_stack 0
		.amdhsa_enable_private_segment 1
		.amdhsa_system_sgpr_workgroup_id_x 1
		.amdhsa_system_sgpr_workgroup_id_y 0
		.amdhsa_system_sgpr_workgroup_id_z 0
		.amdhsa_system_sgpr_workgroup_info 0
		.amdhsa_system_vgpr_workitem_id 0
		.amdhsa_next_free_vgpr 51
		.amdhsa_next_free_sgpr 34
		.amdhsa_named_barrier_count 0
		.amdhsa_reserve_vcc 1
		.amdhsa_float_round_mode_32 0
		.amdhsa_float_round_mode_16_64 0
		.amdhsa_float_denorm_mode_32 3
		.amdhsa_float_denorm_mode_16_64 3
		.amdhsa_fp16_overflow 0
		.amdhsa_memory_ordered 1
		.amdhsa_forward_progress 1
		.amdhsa_inst_pref_size 1
		.amdhsa_round_robin_scheduling 0
		.amdhsa_exception_fp_ieee_invalid_op 0
		.amdhsa_exception_fp_denorm_src 0
		.amdhsa_exception_fp_ieee_div_zero 0
		.amdhsa_exception_fp_ieee_overflow 0
		.amdhsa_exception_fp_ieee_underflow 0
		.amdhsa_exception_fp_ieee_inexact 0
		.amdhsa_exception_int_div_zero 0
	.end_amdhsa_kernel
	.section	.text._Z39paged_attention_ll4mi_QKV_mfma16_kernelIDF16_hLN4vllm18Fp8KVCacheDataTypeE1EhLi16ELi128ELi256ELb1ELi12EEvPKT_PKT0_S7_ifPKiS9_S9_iPKfiiiPfSC_PS2_PT2_iSB_SB_,"axG",@progbits,_Z39paged_attention_ll4mi_QKV_mfma16_kernelIDF16_hLN4vllm18Fp8KVCacheDataTypeE1EhLi16ELi128ELi256ELb1ELi12EEvPKT_PKT0_S7_ifPKiS9_S9_iPKfiiiPfSC_PS2_PT2_iSB_SB_,comdat
.Lfunc_end941:
	.size	_Z39paged_attention_ll4mi_QKV_mfma16_kernelIDF16_hLN4vllm18Fp8KVCacheDataTypeE1EhLi16ELi128ELi256ELb1ELi12EEvPKT_PKT0_S7_ifPKiS9_S9_iPKfiiiPfSC_PS2_PT2_iSB_SB_, .Lfunc_end941-_Z39paged_attention_ll4mi_QKV_mfma16_kernelIDF16_hLN4vllm18Fp8KVCacheDataTypeE1EhLi16ELi128ELi256ELb1ELi12EEvPKT_PKT0_S7_ifPKiS9_S9_iPKfiiiPfSC_PS2_PT2_iSB_SB_
                                        ; -- End function
	.set _Z39paged_attention_ll4mi_QKV_mfma16_kernelIDF16_hLN4vllm18Fp8KVCacheDataTypeE1EhLi16ELi128ELi256ELb1ELi12EEvPKT_PKT0_S7_ifPKiS9_S9_iPKfiiiPfSC_PS2_PT2_iSB_SB_.num_vgpr, max(3, .L__assert_fail.num_vgpr)
	.set _Z39paged_attention_ll4mi_QKV_mfma16_kernelIDF16_hLN4vllm18Fp8KVCacheDataTypeE1EhLi16ELi128ELi256ELb1ELi12EEvPKT_PKT0_S7_ifPKiS9_S9_iPKfiiiPfSC_PS2_PT2_iSB_SB_.num_agpr, max(0, .L__assert_fail.num_agpr)
	.set _Z39paged_attention_ll4mi_QKV_mfma16_kernelIDF16_hLN4vllm18Fp8KVCacheDataTypeE1EhLi16ELi128ELi256ELb1ELi12EEvPKT_PKT0_S7_ifPKiS9_S9_iPKfiiiPfSC_PS2_PT2_iSB_SB_.numbered_sgpr, max(33, .L__assert_fail.numbered_sgpr)
	.set _Z39paged_attention_ll4mi_QKV_mfma16_kernelIDF16_hLN4vllm18Fp8KVCacheDataTypeE1EhLi16ELi128ELi256ELb1ELi12EEvPKT_PKT0_S7_ifPKiS9_S9_iPKfiiiPfSC_PS2_PT2_iSB_SB_.num_named_barrier, max(0, .L__assert_fail.num_named_barrier)
	.set _Z39paged_attention_ll4mi_QKV_mfma16_kernelIDF16_hLN4vllm18Fp8KVCacheDataTypeE1EhLi16ELi128ELi256ELb1ELi12EEvPKT_PKT0_S7_ifPKiS9_S9_iPKfiiiPfSC_PS2_PT2_iSB_SB_.private_seg_size, 0+max(.L__assert_fail.private_seg_size)
	.set _Z39paged_attention_ll4mi_QKV_mfma16_kernelIDF16_hLN4vllm18Fp8KVCacheDataTypeE1EhLi16ELi128ELi256ELb1ELi12EEvPKT_PKT0_S7_ifPKiS9_S9_iPKfiiiPfSC_PS2_PT2_iSB_SB_.uses_vcc, or(1, .L__assert_fail.uses_vcc)
	.set _Z39paged_attention_ll4mi_QKV_mfma16_kernelIDF16_hLN4vllm18Fp8KVCacheDataTypeE1EhLi16ELi128ELi256ELb1ELi12EEvPKT_PKT0_S7_ifPKiS9_S9_iPKfiiiPfSC_PS2_PT2_iSB_SB_.uses_flat_scratch, or(0, .L__assert_fail.uses_flat_scratch)
	.set _Z39paged_attention_ll4mi_QKV_mfma16_kernelIDF16_hLN4vllm18Fp8KVCacheDataTypeE1EhLi16ELi128ELi256ELb1ELi12EEvPKT_PKT0_S7_ifPKiS9_S9_iPKfiiiPfSC_PS2_PT2_iSB_SB_.has_dyn_sized_stack, or(0, .L__assert_fail.has_dyn_sized_stack)
	.set _Z39paged_attention_ll4mi_QKV_mfma16_kernelIDF16_hLN4vllm18Fp8KVCacheDataTypeE1EhLi16ELi128ELi256ELb1ELi12EEvPKT_PKT0_S7_ifPKiS9_S9_iPKfiiiPfSC_PS2_PT2_iSB_SB_.has_recursion, or(0, .L__assert_fail.has_recursion)
	.set _Z39paged_attention_ll4mi_QKV_mfma16_kernelIDF16_hLN4vllm18Fp8KVCacheDataTypeE1EhLi16ELi128ELi256ELb1ELi12EEvPKT_PKT0_S7_ifPKiS9_S9_iPKfiiiPfSC_PS2_PT2_iSB_SB_.has_indirect_call, or(0, .L__assert_fail.has_indirect_call)
	.section	.AMDGPU.csdata,"",@progbits
; Kernel info:
; codeLenInByte = 68
; TotalNumSgprs: 36
; NumVgprs: 51
; ScratchSize: 64
; MemoryBound: 0
; FloatMode: 240
; IeeeMode: 1
; LDSByteSize: 0 bytes/workgroup (compile time only)
; SGPRBlocks: 0
; VGPRBlocks: 3
; NumSGPRsForWavesPerEU: 36
; NumVGPRsForWavesPerEU: 51
; NamedBarCnt: 0
; Occupancy: 16
; WaveLimiterHint : 1
; COMPUTE_PGM_RSRC2:SCRATCH_EN: 1
; COMPUTE_PGM_RSRC2:USER_SGPR: 2
; COMPUTE_PGM_RSRC2:TRAP_HANDLER: 0
; COMPUTE_PGM_RSRC2:TGID_X_EN: 1
; COMPUTE_PGM_RSRC2:TGID_Y_EN: 0
; COMPUTE_PGM_RSRC2:TGID_Z_EN: 0
; COMPUTE_PGM_RSRC2:TIDIG_COMP_CNT: 0
	.section	.text._Z39paged_attention_ll4mi_QKV_mfma16_kernelIDF16_hLN4vllm18Fp8KVCacheDataTypeE1EhLi16ELi128ELi256ELb1ELi13EEvPKT_PKT0_S7_ifPKiS9_S9_iPKfiiiPfSC_PS2_PT2_iSB_SB_,"axG",@progbits,_Z39paged_attention_ll4mi_QKV_mfma16_kernelIDF16_hLN4vllm18Fp8KVCacheDataTypeE1EhLi16ELi128ELi256ELb1ELi13EEvPKT_PKT0_S7_ifPKiS9_S9_iPKfiiiPfSC_PS2_PT2_iSB_SB_,comdat
	.protected	_Z39paged_attention_ll4mi_QKV_mfma16_kernelIDF16_hLN4vllm18Fp8KVCacheDataTypeE1EhLi16ELi128ELi256ELb1ELi13EEvPKT_PKT0_S7_ifPKiS9_S9_iPKfiiiPfSC_PS2_PT2_iSB_SB_ ; -- Begin function _Z39paged_attention_ll4mi_QKV_mfma16_kernelIDF16_hLN4vllm18Fp8KVCacheDataTypeE1EhLi16ELi128ELi256ELb1ELi13EEvPKT_PKT0_S7_ifPKiS9_S9_iPKfiiiPfSC_PS2_PT2_iSB_SB_
	.globl	_Z39paged_attention_ll4mi_QKV_mfma16_kernelIDF16_hLN4vllm18Fp8KVCacheDataTypeE1EhLi16ELi128ELi256ELb1ELi13EEvPKT_PKT0_S7_ifPKiS9_S9_iPKfiiiPfSC_PS2_PT2_iSB_SB_
	.p2align	8
	.type	_Z39paged_attention_ll4mi_QKV_mfma16_kernelIDF16_hLN4vllm18Fp8KVCacheDataTypeE1EhLi16ELi128ELi256ELb1ELi13EEvPKT_PKT0_S7_ifPKiS9_S9_iPKfiiiPfSC_PS2_PT2_iSB_SB_,@function
_Z39paged_attention_ll4mi_QKV_mfma16_kernelIDF16_hLN4vllm18Fp8KVCacheDataTypeE1EhLi16ELi128ELi256ELb1ELi13EEvPKT_PKT0_S7_ifPKiS9_S9_iPKfiiiPfSC_PS2_PT2_iSB_SB_: ; @_Z39paged_attention_ll4mi_QKV_mfma16_kernelIDF16_hLN4vllm18Fp8KVCacheDataTypeE1EhLi16ELi128ELi256ELb1ELi13EEvPKT_PKT0_S7_ifPKiS9_S9_iPKfiiiPfSC_PS2_PT2_iSB_SB_
; %bb.0:
	s_get_pc_i64 s[2:3]
	s_add_nc_u64 s[2:3], s[2:3], __PRETTY_FUNCTION__._Z39paged_attention_ll4mi_QKV_mfma16_kernelIDF16_hLN4vllm18Fp8KVCacheDataTypeE1EhLi16ELi128ELi256ELb1ELi13EEvPKT_PKT0_S7_ifPKiS9_S9_iPKfiiiPfSC_PS2_PT2_iSB_SB_@rel64+4
	s_delay_alu instid0(SALU_CYCLE_1)
	v_dual_mov_b32 v0, 0xbb3 :: v_dual_mov_b32 v1, s2
	v_mov_b32_e32 v2, s3
	s_add_nc_u64 s[8:9], s[0:1], 0x90
	s_get_pc_i64 s[0:1]
	s_add_nc_u64 s[0:1], s[0:1], __assert_fail@rel64+4
	s_mov_b32 s32, 0
	s_swap_pc_i64 s[30:31], s[0:1]
	.section	.rodata,"a",@progbits
	.p2align	6, 0x0
	.amdhsa_kernel _Z39paged_attention_ll4mi_QKV_mfma16_kernelIDF16_hLN4vllm18Fp8KVCacheDataTypeE1EhLi16ELi128ELi256ELb1ELi13EEvPKT_PKT0_S7_ifPKiS9_S9_iPKfiiiPfSC_PS2_PT2_iSB_SB_
		.amdhsa_group_segment_fixed_size 0
		.amdhsa_private_segment_fixed_size 64
		.amdhsa_kernarg_size 400
		.amdhsa_user_sgpr_count 2
		.amdhsa_user_sgpr_dispatch_ptr 0
		.amdhsa_user_sgpr_queue_ptr 0
		.amdhsa_user_sgpr_kernarg_segment_ptr 1
		.amdhsa_user_sgpr_dispatch_id 0
		.amdhsa_user_sgpr_kernarg_preload_length 0
		.amdhsa_user_sgpr_kernarg_preload_offset 0
		.amdhsa_user_sgpr_private_segment_size 0
		.amdhsa_wavefront_size32 1
		.amdhsa_uses_dynamic_stack 0
		.amdhsa_enable_private_segment 1
		.amdhsa_system_sgpr_workgroup_id_x 1
		.amdhsa_system_sgpr_workgroup_id_y 0
		.amdhsa_system_sgpr_workgroup_id_z 0
		.amdhsa_system_sgpr_workgroup_info 0
		.amdhsa_system_vgpr_workitem_id 0
		.amdhsa_next_free_vgpr 51
		.amdhsa_next_free_sgpr 34
		.amdhsa_named_barrier_count 0
		.amdhsa_reserve_vcc 1
		.amdhsa_float_round_mode_32 0
		.amdhsa_float_round_mode_16_64 0
		.amdhsa_float_denorm_mode_32 3
		.amdhsa_float_denorm_mode_16_64 3
		.amdhsa_fp16_overflow 0
		.amdhsa_memory_ordered 1
		.amdhsa_forward_progress 1
		.amdhsa_inst_pref_size 1
		.amdhsa_round_robin_scheduling 0
		.amdhsa_exception_fp_ieee_invalid_op 0
		.amdhsa_exception_fp_denorm_src 0
		.amdhsa_exception_fp_ieee_div_zero 0
		.amdhsa_exception_fp_ieee_overflow 0
		.amdhsa_exception_fp_ieee_underflow 0
		.amdhsa_exception_fp_ieee_inexact 0
		.amdhsa_exception_int_div_zero 0
	.end_amdhsa_kernel
	.section	.text._Z39paged_attention_ll4mi_QKV_mfma16_kernelIDF16_hLN4vllm18Fp8KVCacheDataTypeE1EhLi16ELi128ELi256ELb1ELi13EEvPKT_PKT0_S7_ifPKiS9_S9_iPKfiiiPfSC_PS2_PT2_iSB_SB_,"axG",@progbits,_Z39paged_attention_ll4mi_QKV_mfma16_kernelIDF16_hLN4vllm18Fp8KVCacheDataTypeE1EhLi16ELi128ELi256ELb1ELi13EEvPKT_PKT0_S7_ifPKiS9_S9_iPKfiiiPfSC_PS2_PT2_iSB_SB_,comdat
.Lfunc_end942:
	.size	_Z39paged_attention_ll4mi_QKV_mfma16_kernelIDF16_hLN4vllm18Fp8KVCacheDataTypeE1EhLi16ELi128ELi256ELb1ELi13EEvPKT_PKT0_S7_ifPKiS9_S9_iPKfiiiPfSC_PS2_PT2_iSB_SB_, .Lfunc_end942-_Z39paged_attention_ll4mi_QKV_mfma16_kernelIDF16_hLN4vllm18Fp8KVCacheDataTypeE1EhLi16ELi128ELi256ELb1ELi13EEvPKT_PKT0_S7_ifPKiS9_S9_iPKfiiiPfSC_PS2_PT2_iSB_SB_
                                        ; -- End function
	.set _Z39paged_attention_ll4mi_QKV_mfma16_kernelIDF16_hLN4vllm18Fp8KVCacheDataTypeE1EhLi16ELi128ELi256ELb1ELi13EEvPKT_PKT0_S7_ifPKiS9_S9_iPKfiiiPfSC_PS2_PT2_iSB_SB_.num_vgpr, max(3, .L__assert_fail.num_vgpr)
	.set _Z39paged_attention_ll4mi_QKV_mfma16_kernelIDF16_hLN4vllm18Fp8KVCacheDataTypeE1EhLi16ELi128ELi256ELb1ELi13EEvPKT_PKT0_S7_ifPKiS9_S9_iPKfiiiPfSC_PS2_PT2_iSB_SB_.num_agpr, max(0, .L__assert_fail.num_agpr)
	.set _Z39paged_attention_ll4mi_QKV_mfma16_kernelIDF16_hLN4vllm18Fp8KVCacheDataTypeE1EhLi16ELi128ELi256ELb1ELi13EEvPKT_PKT0_S7_ifPKiS9_S9_iPKfiiiPfSC_PS2_PT2_iSB_SB_.numbered_sgpr, max(33, .L__assert_fail.numbered_sgpr)
	.set _Z39paged_attention_ll4mi_QKV_mfma16_kernelIDF16_hLN4vllm18Fp8KVCacheDataTypeE1EhLi16ELi128ELi256ELb1ELi13EEvPKT_PKT0_S7_ifPKiS9_S9_iPKfiiiPfSC_PS2_PT2_iSB_SB_.num_named_barrier, max(0, .L__assert_fail.num_named_barrier)
	.set _Z39paged_attention_ll4mi_QKV_mfma16_kernelIDF16_hLN4vllm18Fp8KVCacheDataTypeE1EhLi16ELi128ELi256ELb1ELi13EEvPKT_PKT0_S7_ifPKiS9_S9_iPKfiiiPfSC_PS2_PT2_iSB_SB_.private_seg_size, 0+max(.L__assert_fail.private_seg_size)
	.set _Z39paged_attention_ll4mi_QKV_mfma16_kernelIDF16_hLN4vllm18Fp8KVCacheDataTypeE1EhLi16ELi128ELi256ELb1ELi13EEvPKT_PKT0_S7_ifPKiS9_S9_iPKfiiiPfSC_PS2_PT2_iSB_SB_.uses_vcc, or(1, .L__assert_fail.uses_vcc)
	.set _Z39paged_attention_ll4mi_QKV_mfma16_kernelIDF16_hLN4vllm18Fp8KVCacheDataTypeE1EhLi16ELi128ELi256ELb1ELi13EEvPKT_PKT0_S7_ifPKiS9_S9_iPKfiiiPfSC_PS2_PT2_iSB_SB_.uses_flat_scratch, or(0, .L__assert_fail.uses_flat_scratch)
	.set _Z39paged_attention_ll4mi_QKV_mfma16_kernelIDF16_hLN4vllm18Fp8KVCacheDataTypeE1EhLi16ELi128ELi256ELb1ELi13EEvPKT_PKT0_S7_ifPKiS9_S9_iPKfiiiPfSC_PS2_PT2_iSB_SB_.has_dyn_sized_stack, or(0, .L__assert_fail.has_dyn_sized_stack)
	.set _Z39paged_attention_ll4mi_QKV_mfma16_kernelIDF16_hLN4vllm18Fp8KVCacheDataTypeE1EhLi16ELi128ELi256ELb1ELi13EEvPKT_PKT0_S7_ifPKiS9_S9_iPKfiiiPfSC_PS2_PT2_iSB_SB_.has_recursion, or(0, .L__assert_fail.has_recursion)
	.set _Z39paged_attention_ll4mi_QKV_mfma16_kernelIDF16_hLN4vllm18Fp8KVCacheDataTypeE1EhLi16ELi128ELi256ELb1ELi13EEvPKT_PKT0_S7_ifPKiS9_S9_iPKfiiiPfSC_PS2_PT2_iSB_SB_.has_indirect_call, or(0, .L__assert_fail.has_indirect_call)
	.section	.AMDGPU.csdata,"",@progbits
; Kernel info:
; codeLenInByte = 68
; TotalNumSgprs: 36
; NumVgprs: 51
; ScratchSize: 64
; MemoryBound: 0
; FloatMode: 240
; IeeeMode: 1
; LDSByteSize: 0 bytes/workgroup (compile time only)
; SGPRBlocks: 0
; VGPRBlocks: 3
; NumSGPRsForWavesPerEU: 36
; NumVGPRsForWavesPerEU: 51
; NamedBarCnt: 0
; Occupancy: 16
; WaveLimiterHint : 1
; COMPUTE_PGM_RSRC2:SCRATCH_EN: 1
; COMPUTE_PGM_RSRC2:USER_SGPR: 2
; COMPUTE_PGM_RSRC2:TRAP_HANDLER: 0
; COMPUTE_PGM_RSRC2:TGID_X_EN: 1
; COMPUTE_PGM_RSRC2:TGID_Y_EN: 0
; COMPUTE_PGM_RSRC2:TGID_Z_EN: 0
; COMPUTE_PGM_RSRC2:TIDIG_COMP_CNT: 0
	.section	.text._Z39paged_attention_ll4mi_QKV_mfma16_kernelIDF16_hLN4vllm18Fp8KVCacheDataTypeE1EhLi16ELi128ELi256ELb1ELi14EEvPKT_PKT0_S7_ifPKiS9_S9_iPKfiiiPfSC_PS2_PT2_iSB_SB_,"axG",@progbits,_Z39paged_attention_ll4mi_QKV_mfma16_kernelIDF16_hLN4vllm18Fp8KVCacheDataTypeE1EhLi16ELi128ELi256ELb1ELi14EEvPKT_PKT0_S7_ifPKiS9_S9_iPKfiiiPfSC_PS2_PT2_iSB_SB_,comdat
	.protected	_Z39paged_attention_ll4mi_QKV_mfma16_kernelIDF16_hLN4vllm18Fp8KVCacheDataTypeE1EhLi16ELi128ELi256ELb1ELi14EEvPKT_PKT0_S7_ifPKiS9_S9_iPKfiiiPfSC_PS2_PT2_iSB_SB_ ; -- Begin function _Z39paged_attention_ll4mi_QKV_mfma16_kernelIDF16_hLN4vllm18Fp8KVCacheDataTypeE1EhLi16ELi128ELi256ELb1ELi14EEvPKT_PKT0_S7_ifPKiS9_S9_iPKfiiiPfSC_PS2_PT2_iSB_SB_
	.globl	_Z39paged_attention_ll4mi_QKV_mfma16_kernelIDF16_hLN4vllm18Fp8KVCacheDataTypeE1EhLi16ELi128ELi256ELb1ELi14EEvPKT_PKT0_S7_ifPKiS9_S9_iPKfiiiPfSC_PS2_PT2_iSB_SB_
	.p2align	8
	.type	_Z39paged_attention_ll4mi_QKV_mfma16_kernelIDF16_hLN4vllm18Fp8KVCacheDataTypeE1EhLi16ELi128ELi256ELb1ELi14EEvPKT_PKT0_S7_ifPKiS9_S9_iPKfiiiPfSC_PS2_PT2_iSB_SB_,@function
_Z39paged_attention_ll4mi_QKV_mfma16_kernelIDF16_hLN4vllm18Fp8KVCacheDataTypeE1EhLi16ELi128ELi256ELb1ELi14EEvPKT_PKT0_S7_ifPKiS9_S9_iPKfiiiPfSC_PS2_PT2_iSB_SB_: ; @_Z39paged_attention_ll4mi_QKV_mfma16_kernelIDF16_hLN4vllm18Fp8KVCacheDataTypeE1EhLi16ELi128ELi256ELb1ELi14EEvPKT_PKT0_S7_ifPKiS9_S9_iPKfiiiPfSC_PS2_PT2_iSB_SB_
; %bb.0:
	s_get_pc_i64 s[2:3]
	s_add_nc_u64 s[2:3], s[2:3], __PRETTY_FUNCTION__._Z39paged_attention_ll4mi_QKV_mfma16_kernelIDF16_hLN4vllm18Fp8KVCacheDataTypeE1EhLi16ELi128ELi256ELb1ELi14EEvPKT_PKT0_S7_ifPKiS9_S9_iPKfiiiPfSC_PS2_PT2_iSB_SB_@rel64+4
	s_delay_alu instid0(SALU_CYCLE_1)
	v_dual_mov_b32 v0, 0xbb3 :: v_dual_mov_b32 v1, s2
	v_mov_b32_e32 v2, s3
	s_add_nc_u64 s[8:9], s[0:1], 0x90
	s_get_pc_i64 s[0:1]
	s_add_nc_u64 s[0:1], s[0:1], __assert_fail@rel64+4
	s_mov_b32 s32, 0
	s_swap_pc_i64 s[30:31], s[0:1]
	.section	.rodata,"a",@progbits
	.p2align	6, 0x0
	.amdhsa_kernel _Z39paged_attention_ll4mi_QKV_mfma16_kernelIDF16_hLN4vllm18Fp8KVCacheDataTypeE1EhLi16ELi128ELi256ELb1ELi14EEvPKT_PKT0_S7_ifPKiS9_S9_iPKfiiiPfSC_PS2_PT2_iSB_SB_
		.amdhsa_group_segment_fixed_size 0
		.amdhsa_private_segment_fixed_size 64
		.amdhsa_kernarg_size 400
		.amdhsa_user_sgpr_count 2
		.amdhsa_user_sgpr_dispatch_ptr 0
		.amdhsa_user_sgpr_queue_ptr 0
		.amdhsa_user_sgpr_kernarg_segment_ptr 1
		.amdhsa_user_sgpr_dispatch_id 0
		.amdhsa_user_sgpr_kernarg_preload_length 0
		.amdhsa_user_sgpr_kernarg_preload_offset 0
		.amdhsa_user_sgpr_private_segment_size 0
		.amdhsa_wavefront_size32 1
		.amdhsa_uses_dynamic_stack 0
		.amdhsa_enable_private_segment 1
		.amdhsa_system_sgpr_workgroup_id_x 1
		.amdhsa_system_sgpr_workgroup_id_y 0
		.amdhsa_system_sgpr_workgroup_id_z 0
		.amdhsa_system_sgpr_workgroup_info 0
		.amdhsa_system_vgpr_workitem_id 0
		.amdhsa_next_free_vgpr 51
		.amdhsa_next_free_sgpr 34
		.amdhsa_named_barrier_count 0
		.amdhsa_reserve_vcc 1
		.amdhsa_float_round_mode_32 0
		.amdhsa_float_round_mode_16_64 0
		.amdhsa_float_denorm_mode_32 3
		.amdhsa_float_denorm_mode_16_64 3
		.amdhsa_fp16_overflow 0
		.amdhsa_memory_ordered 1
		.amdhsa_forward_progress 1
		.amdhsa_inst_pref_size 1
		.amdhsa_round_robin_scheduling 0
		.amdhsa_exception_fp_ieee_invalid_op 0
		.amdhsa_exception_fp_denorm_src 0
		.amdhsa_exception_fp_ieee_div_zero 0
		.amdhsa_exception_fp_ieee_overflow 0
		.amdhsa_exception_fp_ieee_underflow 0
		.amdhsa_exception_fp_ieee_inexact 0
		.amdhsa_exception_int_div_zero 0
	.end_amdhsa_kernel
	.section	.text._Z39paged_attention_ll4mi_QKV_mfma16_kernelIDF16_hLN4vllm18Fp8KVCacheDataTypeE1EhLi16ELi128ELi256ELb1ELi14EEvPKT_PKT0_S7_ifPKiS9_S9_iPKfiiiPfSC_PS2_PT2_iSB_SB_,"axG",@progbits,_Z39paged_attention_ll4mi_QKV_mfma16_kernelIDF16_hLN4vllm18Fp8KVCacheDataTypeE1EhLi16ELi128ELi256ELb1ELi14EEvPKT_PKT0_S7_ifPKiS9_S9_iPKfiiiPfSC_PS2_PT2_iSB_SB_,comdat
.Lfunc_end943:
	.size	_Z39paged_attention_ll4mi_QKV_mfma16_kernelIDF16_hLN4vllm18Fp8KVCacheDataTypeE1EhLi16ELi128ELi256ELb1ELi14EEvPKT_PKT0_S7_ifPKiS9_S9_iPKfiiiPfSC_PS2_PT2_iSB_SB_, .Lfunc_end943-_Z39paged_attention_ll4mi_QKV_mfma16_kernelIDF16_hLN4vllm18Fp8KVCacheDataTypeE1EhLi16ELi128ELi256ELb1ELi14EEvPKT_PKT0_S7_ifPKiS9_S9_iPKfiiiPfSC_PS2_PT2_iSB_SB_
                                        ; -- End function
	.set _Z39paged_attention_ll4mi_QKV_mfma16_kernelIDF16_hLN4vllm18Fp8KVCacheDataTypeE1EhLi16ELi128ELi256ELb1ELi14EEvPKT_PKT0_S7_ifPKiS9_S9_iPKfiiiPfSC_PS2_PT2_iSB_SB_.num_vgpr, max(3, .L__assert_fail.num_vgpr)
	.set _Z39paged_attention_ll4mi_QKV_mfma16_kernelIDF16_hLN4vllm18Fp8KVCacheDataTypeE1EhLi16ELi128ELi256ELb1ELi14EEvPKT_PKT0_S7_ifPKiS9_S9_iPKfiiiPfSC_PS2_PT2_iSB_SB_.num_agpr, max(0, .L__assert_fail.num_agpr)
	.set _Z39paged_attention_ll4mi_QKV_mfma16_kernelIDF16_hLN4vllm18Fp8KVCacheDataTypeE1EhLi16ELi128ELi256ELb1ELi14EEvPKT_PKT0_S7_ifPKiS9_S9_iPKfiiiPfSC_PS2_PT2_iSB_SB_.numbered_sgpr, max(33, .L__assert_fail.numbered_sgpr)
	.set _Z39paged_attention_ll4mi_QKV_mfma16_kernelIDF16_hLN4vllm18Fp8KVCacheDataTypeE1EhLi16ELi128ELi256ELb1ELi14EEvPKT_PKT0_S7_ifPKiS9_S9_iPKfiiiPfSC_PS2_PT2_iSB_SB_.num_named_barrier, max(0, .L__assert_fail.num_named_barrier)
	.set _Z39paged_attention_ll4mi_QKV_mfma16_kernelIDF16_hLN4vllm18Fp8KVCacheDataTypeE1EhLi16ELi128ELi256ELb1ELi14EEvPKT_PKT0_S7_ifPKiS9_S9_iPKfiiiPfSC_PS2_PT2_iSB_SB_.private_seg_size, 0+max(.L__assert_fail.private_seg_size)
	.set _Z39paged_attention_ll4mi_QKV_mfma16_kernelIDF16_hLN4vllm18Fp8KVCacheDataTypeE1EhLi16ELi128ELi256ELb1ELi14EEvPKT_PKT0_S7_ifPKiS9_S9_iPKfiiiPfSC_PS2_PT2_iSB_SB_.uses_vcc, or(1, .L__assert_fail.uses_vcc)
	.set _Z39paged_attention_ll4mi_QKV_mfma16_kernelIDF16_hLN4vllm18Fp8KVCacheDataTypeE1EhLi16ELi128ELi256ELb1ELi14EEvPKT_PKT0_S7_ifPKiS9_S9_iPKfiiiPfSC_PS2_PT2_iSB_SB_.uses_flat_scratch, or(0, .L__assert_fail.uses_flat_scratch)
	.set _Z39paged_attention_ll4mi_QKV_mfma16_kernelIDF16_hLN4vllm18Fp8KVCacheDataTypeE1EhLi16ELi128ELi256ELb1ELi14EEvPKT_PKT0_S7_ifPKiS9_S9_iPKfiiiPfSC_PS2_PT2_iSB_SB_.has_dyn_sized_stack, or(0, .L__assert_fail.has_dyn_sized_stack)
	.set _Z39paged_attention_ll4mi_QKV_mfma16_kernelIDF16_hLN4vllm18Fp8KVCacheDataTypeE1EhLi16ELi128ELi256ELb1ELi14EEvPKT_PKT0_S7_ifPKiS9_S9_iPKfiiiPfSC_PS2_PT2_iSB_SB_.has_recursion, or(0, .L__assert_fail.has_recursion)
	.set _Z39paged_attention_ll4mi_QKV_mfma16_kernelIDF16_hLN4vllm18Fp8KVCacheDataTypeE1EhLi16ELi128ELi256ELb1ELi14EEvPKT_PKT0_S7_ifPKiS9_S9_iPKfiiiPfSC_PS2_PT2_iSB_SB_.has_indirect_call, or(0, .L__assert_fail.has_indirect_call)
	.section	.AMDGPU.csdata,"",@progbits
; Kernel info:
; codeLenInByte = 68
; TotalNumSgprs: 36
; NumVgprs: 51
; ScratchSize: 64
; MemoryBound: 0
; FloatMode: 240
; IeeeMode: 1
; LDSByteSize: 0 bytes/workgroup (compile time only)
; SGPRBlocks: 0
; VGPRBlocks: 3
; NumSGPRsForWavesPerEU: 36
; NumVGPRsForWavesPerEU: 51
; NamedBarCnt: 0
; Occupancy: 16
; WaveLimiterHint : 1
; COMPUTE_PGM_RSRC2:SCRATCH_EN: 1
; COMPUTE_PGM_RSRC2:USER_SGPR: 2
; COMPUTE_PGM_RSRC2:TRAP_HANDLER: 0
; COMPUTE_PGM_RSRC2:TGID_X_EN: 1
; COMPUTE_PGM_RSRC2:TGID_Y_EN: 0
; COMPUTE_PGM_RSRC2:TGID_Z_EN: 0
; COMPUTE_PGM_RSRC2:TIDIG_COMP_CNT: 0
	.section	.text._Z39paged_attention_ll4mi_QKV_mfma16_kernelIDF16_hLN4vllm18Fp8KVCacheDataTypeE1EhLi16ELi128ELi256ELb1ELi15EEvPKT_PKT0_S7_ifPKiS9_S9_iPKfiiiPfSC_PS2_PT2_iSB_SB_,"axG",@progbits,_Z39paged_attention_ll4mi_QKV_mfma16_kernelIDF16_hLN4vllm18Fp8KVCacheDataTypeE1EhLi16ELi128ELi256ELb1ELi15EEvPKT_PKT0_S7_ifPKiS9_S9_iPKfiiiPfSC_PS2_PT2_iSB_SB_,comdat
	.protected	_Z39paged_attention_ll4mi_QKV_mfma16_kernelIDF16_hLN4vllm18Fp8KVCacheDataTypeE1EhLi16ELi128ELi256ELb1ELi15EEvPKT_PKT0_S7_ifPKiS9_S9_iPKfiiiPfSC_PS2_PT2_iSB_SB_ ; -- Begin function _Z39paged_attention_ll4mi_QKV_mfma16_kernelIDF16_hLN4vllm18Fp8KVCacheDataTypeE1EhLi16ELi128ELi256ELb1ELi15EEvPKT_PKT0_S7_ifPKiS9_S9_iPKfiiiPfSC_PS2_PT2_iSB_SB_
	.globl	_Z39paged_attention_ll4mi_QKV_mfma16_kernelIDF16_hLN4vllm18Fp8KVCacheDataTypeE1EhLi16ELi128ELi256ELb1ELi15EEvPKT_PKT0_S7_ifPKiS9_S9_iPKfiiiPfSC_PS2_PT2_iSB_SB_
	.p2align	8
	.type	_Z39paged_attention_ll4mi_QKV_mfma16_kernelIDF16_hLN4vllm18Fp8KVCacheDataTypeE1EhLi16ELi128ELi256ELb1ELi15EEvPKT_PKT0_S7_ifPKiS9_S9_iPKfiiiPfSC_PS2_PT2_iSB_SB_,@function
_Z39paged_attention_ll4mi_QKV_mfma16_kernelIDF16_hLN4vllm18Fp8KVCacheDataTypeE1EhLi16ELi128ELi256ELb1ELi15EEvPKT_PKT0_S7_ifPKiS9_S9_iPKfiiiPfSC_PS2_PT2_iSB_SB_: ; @_Z39paged_attention_ll4mi_QKV_mfma16_kernelIDF16_hLN4vllm18Fp8KVCacheDataTypeE1EhLi16ELi128ELi256ELb1ELi15EEvPKT_PKT0_S7_ifPKiS9_S9_iPKfiiiPfSC_PS2_PT2_iSB_SB_
; %bb.0:
	s_get_pc_i64 s[2:3]
	s_add_nc_u64 s[2:3], s[2:3], __PRETTY_FUNCTION__._Z39paged_attention_ll4mi_QKV_mfma16_kernelIDF16_hLN4vllm18Fp8KVCacheDataTypeE1EhLi16ELi128ELi256ELb1ELi15EEvPKT_PKT0_S7_ifPKiS9_S9_iPKfiiiPfSC_PS2_PT2_iSB_SB_@rel64+4
	s_delay_alu instid0(SALU_CYCLE_1)
	v_dual_mov_b32 v0, 0xbb3 :: v_dual_mov_b32 v1, s2
	v_mov_b32_e32 v2, s3
	s_add_nc_u64 s[8:9], s[0:1], 0x90
	s_get_pc_i64 s[0:1]
	s_add_nc_u64 s[0:1], s[0:1], __assert_fail@rel64+4
	s_mov_b32 s32, 0
	s_swap_pc_i64 s[30:31], s[0:1]
	.section	.rodata,"a",@progbits
	.p2align	6, 0x0
	.amdhsa_kernel _Z39paged_attention_ll4mi_QKV_mfma16_kernelIDF16_hLN4vllm18Fp8KVCacheDataTypeE1EhLi16ELi128ELi256ELb1ELi15EEvPKT_PKT0_S7_ifPKiS9_S9_iPKfiiiPfSC_PS2_PT2_iSB_SB_
		.amdhsa_group_segment_fixed_size 0
		.amdhsa_private_segment_fixed_size 64
		.amdhsa_kernarg_size 400
		.amdhsa_user_sgpr_count 2
		.amdhsa_user_sgpr_dispatch_ptr 0
		.amdhsa_user_sgpr_queue_ptr 0
		.amdhsa_user_sgpr_kernarg_segment_ptr 1
		.amdhsa_user_sgpr_dispatch_id 0
		.amdhsa_user_sgpr_kernarg_preload_length 0
		.amdhsa_user_sgpr_kernarg_preload_offset 0
		.amdhsa_user_sgpr_private_segment_size 0
		.amdhsa_wavefront_size32 1
		.amdhsa_uses_dynamic_stack 0
		.amdhsa_enable_private_segment 1
		.amdhsa_system_sgpr_workgroup_id_x 1
		.amdhsa_system_sgpr_workgroup_id_y 0
		.amdhsa_system_sgpr_workgroup_id_z 0
		.amdhsa_system_sgpr_workgroup_info 0
		.amdhsa_system_vgpr_workitem_id 0
		.amdhsa_next_free_vgpr 51
		.amdhsa_next_free_sgpr 34
		.amdhsa_named_barrier_count 0
		.amdhsa_reserve_vcc 1
		.amdhsa_float_round_mode_32 0
		.amdhsa_float_round_mode_16_64 0
		.amdhsa_float_denorm_mode_32 3
		.amdhsa_float_denorm_mode_16_64 3
		.amdhsa_fp16_overflow 0
		.amdhsa_memory_ordered 1
		.amdhsa_forward_progress 1
		.amdhsa_inst_pref_size 1
		.amdhsa_round_robin_scheduling 0
		.amdhsa_exception_fp_ieee_invalid_op 0
		.amdhsa_exception_fp_denorm_src 0
		.amdhsa_exception_fp_ieee_div_zero 0
		.amdhsa_exception_fp_ieee_overflow 0
		.amdhsa_exception_fp_ieee_underflow 0
		.amdhsa_exception_fp_ieee_inexact 0
		.amdhsa_exception_int_div_zero 0
	.end_amdhsa_kernel
	.section	.text._Z39paged_attention_ll4mi_QKV_mfma16_kernelIDF16_hLN4vllm18Fp8KVCacheDataTypeE1EhLi16ELi128ELi256ELb1ELi15EEvPKT_PKT0_S7_ifPKiS9_S9_iPKfiiiPfSC_PS2_PT2_iSB_SB_,"axG",@progbits,_Z39paged_attention_ll4mi_QKV_mfma16_kernelIDF16_hLN4vllm18Fp8KVCacheDataTypeE1EhLi16ELi128ELi256ELb1ELi15EEvPKT_PKT0_S7_ifPKiS9_S9_iPKfiiiPfSC_PS2_PT2_iSB_SB_,comdat
.Lfunc_end944:
	.size	_Z39paged_attention_ll4mi_QKV_mfma16_kernelIDF16_hLN4vllm18Fp8KVCacheDataTypeE1EhLi16ELi128ELi256ELb1ELi15EEvPKT_PKT0_S7_ifPKiS9_S9_iPKfiiiPfSC_PS2_PT2_iSB_SB_, .Lfunc_end944-_Z39paged_attention_ll4mi_QKV_mfma16_kernelIDF16_hLN4vllm18Fp8KVCacheDataTypeE1EhLi16ELi128ELi256ELb1ELi15EEvPKT_PKT0_S7_ifPKiS9_S9_iPKfiiiPfSC_PS2_PT2_iSB_SB_
                                        ; -- End function
	.set _Z39paged_attention_ll4mi_QKV_mfma16_kernelIDF16_hLN4vllm18Fp8KVCacheDataTypeE1EhLi16ELi128ELi256ELb1ELi15EEvPKT_PKT0_S7_ifPKiS9_S9_iPKfiiiPfSC_PS2_PT2_iSB_SB_.num_vgpr, max(3, .L__assert_fail.num_vgpr)
	.set _Z39paged_attention_ll4mi_QKV_mfma16_kernelIDF16_hLN4vllm18Fp8KVCacheDataTypeE1EhLi16ELi128ELi256ELb1ELi15EEvPKT_PKT0_S7_ifPKiS9_S9_iPKfiiiPfSC_PS2_PT2_iSB_SB_.num_agpr, max(0, .L__assert_fail.num_agpr)
	.set _Z39paged_attention_ll4mi_QKV_mfma16_kernelIDF16_hLN4vllm18Fp8KVCacheDataTypeE1EhLi16ELi128ELi256ELb1ELi15EEvPKT_PKT0_S7_ifPKiS9_S9_iPKfiiiPfSC_PS2_PT2_iSB_SB_.numbered_sgpr, max(33, .L__assert_fail.numbered_sgpr)
	.set _Z39paged_attention_ll4mi_QKV_mfma16_kernelIDF16_hLN4vllm18Fp8KVCacheDataTypeE1EhLi16ELi128ELi256ELb1ELi15EEvPKT_PKT0_S7_ifPKiS9_S9_iPKfiiiPfSC_PS2_PT2_iSB_SB_.num_named_barrier, max(0, .L__assert_fail.num_named_barrier)
	.set _Z39paged_attention_ll4mi_QKV_mfma16_kernelIDF16_hLN4vllm18Fp8KVCacheDataTypeE1EhLi16ELi128ELi256ELb1ELi15EEvPKT_PKT0_S7_ifPKiS9_S9_iPKfiiiPfSC_PS2_PT2_iSB_SB_.private_seg_size, 0+max(.L__assert_fail.private_seg_size)
	.set _Z39paged_attention_ll4mi_QKV_mfma16_kernelIDF16_hLN4vllm18Fp8KVCacheDataTypeE1EhLi16ELi128ELi256ELb1ELi15EEvPKT_PKT0_S7_ifPKiS9_S9_iPKfiiiPfSC_PS2_PT2_iSB_SB_.uses_vcc, or(1, .L__assert_fail.uses_vcc)
	.set _Z39paged_attention_ll4mi_QKV_mfma16_kernelIDF16_hLN4vllm18Fp8KVCacheDataTypeE1EhLi16ELi128ELi256ELb1ELi15EEvPKT_PKT0_S7_ifPKiS9_S9_iPKfiiiPfSC_PS2_PT2_iSB_SB_.uses_flat_scratch, or(0, .L__assert_fail.uses_flat_scratch)
	.set _Z39paged_attention_ll4mi_QKV_mfma16_kernelIDF16_hLN4vllm18Fp8KVCacheDataTypeE1EhLi16ELi128ELi256ELb1ELi15EEvPKT_PKT0_S7_ifPKiS9_S9_iPKfiiiPfSC_PS2_PT2_iSB_SB_.has_dyn_sized_stack, or(0, .L__assert_fail.has_dyn_sized_stack)
	.set _Z39paged_attention_ll4mi_QKV_mfma16_kernelIDF16_hLN4vllm18Fp8KVCacheDataTypeE1EhLi16ELi128ELi256ELb1ELi15EEvPKT_PKT0_S7_ifPKiS9_S9_iPKfiiiPfSC_PS2_PT2_iSB_SB_.has_recursion, or(0, .L__assert_fail.has_recursion)
	.set _Z39paged_attention_ll4mi_QKV_mfma16_kernelIDF16_hLN4vllm18Fp8KVCacheDataTypeE1EhLi16ELi128ELi256ELb1ELi15EEvPKT_PKT0_S7_ifPKiS9_S9_iPKfiiiPfSC_PS2_PT2_iSB_SB_.has_indirect_call, or(0, .L__assert_fail.has_indirect_call)
	.section	.AMDGPU.csdata,"",@progbits
; Kernel info:
; codeLenInByte = 68
; TotalNumSgprs: 36
; NumVgprs: 51
; ScratchSize: 64
; MemoryBound: 0
; FloatMode: 240
; IeeeMode: 1
; LDSByteSize: 0 bytes/workgroup (compile time only)
; SGPRBlocks: 0
; VGPRBlocks: 3
; NumSGPRsForWavesPerEU: 36
; NumVGPRsForWavesPerEU: 51
; NamedBarCnt: 0
; Occupancy: 16
; WaveLimiterHint : 1
; COMPUTE_PGM_RSRC2:SCRATCH_EN: 1
; COMPUTE_PGM_RSRC2:USER_SGPR: 2
; COMPUTE_PGM_RSRC2:TRAP_HANDLER: 0
; COMPUTE_PGM_RSRC2:TGID_X_EN: 1
; COMPUTE_PGM_RSRC2:TGID_Y_EN: 0
; COMPUTE_PGM_RSRC2:TGID_Z_EN: 0
; COMPUTE_PGM_RSRC2:TIDIG_COMP_CNT: 0
	.section	.text._Z39paged_attention_ll4mi_QKV_mfma16_kernelIDF16_hLN4vllm18Fp8KVCacheDataTypeE1EhLi16ELi128ELi256ELb1ELi16EEvPKT_PKT0_S7_ifPKiS9_S9_iPKfiiiPfSC_PS2_PT2_iSB_SB_,"axG",@progbits,_Z39paged_attention_ll4mi_QKV_mfma16_kernelIDF16_hLN4vllm18Fp8KVCacheDataTypeE1EhLi16ELi128ELi256ELb1ELi16EEvPKT_PKT0_S7_ifPKiS9_S9_iPKfiiiPfSC_PS2_PT2_iSB_SB_,comdat
	.protected	_Z39paged_attention_ll4mi_QKV_mfma16_kernelIDF16_hLN4vllm18Fp8KVCacheDataTypeE1EhLi16ELi128ELi256ELb1ELi16EEvPKT_PKT0_S7_ifPKiS9_S9_iPKfiiiPfSC_PS2_PT2_iSB_SB_ ; -- Begin function _Z39paged_attention_ll4mi_QKV_mfma16_kernelIDF16_hLN4vllm18Fp8KVCacheDataTypeE1EhLi16ELi128ELi256ELb1ELi16EEvPKT_PKT0_S7_ifPKiS9_S9_iPKfiiiPfSC_PS2_PT2_iSB_SB_
	.globl	_Z39paged_attention_ll4mi_QKV_mfma16_kernelIDF16_hLN4vllm18Fp8KVCacheDataTypeE1EhLi16ELi128ELi256ELb1ELi16EEvPKT_PKT0_S7_ifPKiS9_S9_iPKfiiiPfSC_PS2_PT2_iSB_SB_
	.p2align	8
	.type	_Z39paged_attention_ll4mi_QKV_mfma16_kernelIDF16_hLN4vllm18Fp8KVCacheDataTypeE1EhLi16ELi128ELi256ELb1ELi16EEvPKT_PKT0_S7_ifPKiS9_S9_iPKfiiiPfSC_PS2_PT2_iSB_SB_,@function
_Z39paged_attention_ll4mi_QKV_mfma16_kernelIDF16_hLN4vllm18Fp8KVCacheDataTypeE1EhLi16ELi128ELi256ELb1ELi16EEvPKT_PKT0_S7_ifPKiS9_S9_iPKfiiiPfSC_PS2_PT2_iSB_SB_: ; @_Z39paged_attention_ll4mi_QKV_mfma16_kernelIDF16_hLN4vllm18Fp8KVCacheDataTypeE1EhLi16ELi128ELi256ELb1ELi16EEvPKT_PKT0_S7_ifPKiS9_S9_iPKfiiiPfSC_PS2_PT2_iSB_SB_
; %bb.0:
	s_get_pc_i64 s[2:3]
	s_add_nc_u64 s[2:3], s[2:3], __PRETTY_FUNCTION__._Z39paged_attention_ll4mi_QKV_mfma16_kernelIDF16_hLN4vllm18Fp8KVCacheDataTypeE1EhLi16ELi128ELi256ELb1ELi16EEvPKT_PKT0_S7_ifPKiS9_S9_iPKfiiiPfSC_PS2_PT2_iSB_SB_@rel64+4
	s_delay_alu instid0(SALU_CYCLE_1)
	v_dual_mov_b32 v0, 0xbb3 :: v_dual_mov_b32 v1, s2
	v_mov_b32_e32 v2, s3
	s_add_nc_u64 s[8:9], s[0:1], 0x90
	s_get_pc_i64 s[0:1]
	s_add_nc_u64 s[0:1], s[0:1], __assert_fail@rel64+4
	s_mov_b32 s32, 0
	s_swap_pc_i64 s[30:31], s[0:1]
	.section	.rodata,"a",@progbits
	.p2align	6, 0x0
	.amdhsa_kernel _Z39paged_attention_ll4mi_QKV_mfma16_kernelIDF16_hLN4vllm18Fp8KVCacheDataTypeE1EhLi16ELi128ELi256ELb1ELi16EEvPKT_PKT0_S7_ifPKiS9_S9_iPKfiiiPfSC_PS2_PT2_iSB_SB_
		.amdhsa_group_segment_fixed_size 0
		.amdhsa_private_segment_fixed_size 64
		.amdhsa_kernarg_size 400
		.amdhsa_user_sgpr_count 2
		.amdhsa_user_sgpr_dispatch_ptr 0
		.amdhsa_user_sgpr_queue_ptr 0
		.amdhsa_user_sgpr_kernarg_segment_ptr 1
		.amdhsa_user_sgpr_dispatch_id 0
		.amdhsa_user_sgpr_kernarg_preload_length 0
		.amdhsa_user_sgpr_kernarg_preload_offset 0
		.amdhsa_user_sgpr_private_segment_size 0
		.amdhsa_wavefront_size32 1
		.amdhsa_uses_dynamic_stack 0
		.amdhsa_enable_private_segment 1
		.amdhsa_system_sgpr_workgroup_id_x 1
		.amdhsa_system_sgpr_workgroup_id_y 0
		.amdhsa_system_sgpr_workgroup_id_z 0
		.amdhsa_system_sgpr_workgroup_info 0
		.amdhsa_system_vgpr_workitem_id 0
		.amdhsa_next_free_vgpr 51
		.amdhsa_next_free_sgpr 34
		.amdhsa_named_barrier_count 0
		.amdhsa_reserve_vcc 1
		.amdhsa_float_round_mode_32 0
		.amdhsa_float_round_mode_16_64 0
		.amdhsa_float_denorm_mode_32 3
		.amdhsa_float_denorm_mode_16_64 3
		.amdhsa_fp16_overflow 0
		.amdhsa_memory_ordered 1
		.amdhsa_forward_progress 1
		.amdhsa_inst_pref_size 1
		.amdhsa_round_robin_scheduling 0
		.amdhsa_exception_fp_ieee_invalid_op 0
		.amdhsa_exception_fp_denorm_src 0
		.amdhsa_exception_fp_ieee_div_zero 0
		.amdhsa_exception_fp_ieee_overflow 0
		.amdhsa_exception_fp_ieee_underflow 0
		.amdhsa_exception_fp_ieee_inexact 0
		.amdhsa_exception_int_div_zero 0
	.end_amdhsa_kernel
	.section	.text._Z39paged_attention_ll4mi_QKV_mfma16_kernelIDF16_hLN4vllm18Fp8KVCacheDataTypeE1EhLi16ELi128ELi256ELb1ELi16EEvPKT_PKT0_S7_ifPKiS9_S9_iPKfiiiPfSC_PS2_PT2_iSB_SB_,"axG",@progbits,_Z39paged_attention_ll4mi_QKV_mfma16_kernelIDF16_hLN4vllm18Fp8KVCacheDataTypeE1EhLi16ELi128ELi256ELb1ELi16EEvPKT_PKT0_S7_ifPKiS9_S9_iPKfiiiPfSC_PS2_PT2_iSB_SB_,comdat
.Lfunc_end945:
	.size	_Z39paged_attention_ll4mi_QKV_mfma16_kernelIDF16_hLN4vllm18Fp8KVCacheDataTypeE1EhLi16ELi128ELi256ELb1ELi16EEvPKT_PKT0_S7_ifPKiS9_S9_iPKfiiiPfSC_PS2_PT2_iSB_SB_, .Lfunc_end945-_Z39paged_attention_ll4mi_QKV_mfma16_kernelIDF16_hLN4vllm18Fp8KVCacheDataTypeE1EhLi16ELi128ELi256ELb1ELi16EEvPKT_PKT0_S7_ifPKiS9_S9_iPKfiiiPfSC_PS2_PT2_iSB_SB_
                                        ; -- End function
	.set _Z39paged_attention_ll4mi_QKV_mfma16_kernelIDF16_hLN4vllm18Fp8KVCacheDataTypeE1EhLi16ELi128ELi256ELb1ELi16EEvPKT_PKT0_S7_ifPKiS9_S9_iPKfiiiPfSC_PS2_PT2_iSB_SB_.num_vgpr, max(3, .L__assert_fail.num_vgpr)
	.set _Z39paged_attention_ll4mi_QKV_mfma16_kernelIDF16_hLN4vllm18Fp8KVCacheDataTypeE1EhLi16ELi128ELi256ELb1ELi16EEvPKT_PKT0_S7_ifPKiS9_S9_iPKfiiiPfSC_PS2_PT2_iSB_SB_.num_agpr, max(0, .L__assert_fail.num_agpr)
	.set _Z39paged_attention_ll4mi_QKV_mfma16_kernelIDF16_hLN4vllm18Fp8KVCacheDataTypeE1EhLi16ELi128ELi256ELb1ELi16EEvPKT_PKT0_S7_ifPKiS9_S9_iPKfiiiPfSC_PS2_PT2_iSB_SB_.numbered_sgpr, max(33, .L__assert_fail.numbered_sgpr)
	.set _Z39paged_attention_ll4mi_QKV_mfma16_kernelIDF16_hLN4vllm18Fp8KVCacheDataTypeE1EhLi16ELi128ELi256ELb1ELi16EEvPKT_PKT0_S7_ifPKiS9_S9_iPKfiiiPfSC_PS2_PT2_iSB_SB_.num_named_barrier, max(0, .L__assert_fail.num_named_barrier)
	.set _Z39paged_attention_ll4mi_QKV_mfma16_kernelIDF16_hLN4vllm18Fp8KVCacheDataTypeE1EhLi16ELi128ELi256ELb1ELi16EEvPKT_PKT0_S7_ifPKiS9_S9_iPKfiiiPfSC_PS2_PT2_iSB_SB_.private_seg_size, 0+max(.L__assert_fail.private_seg_size)
	.set _Z39paged_attention_ll4mi_QKV_mfma16_kernelIDF16_hLN4vllm18Fp8KVCacheDataTypeE1EhLi16ELi128ELi256ELb1ELi16EEvPKT_PKT0_S7_ifPKiS9_S9_iPKfiiiPfSC_PS2_PT2_iSB_SB_.uses_vcc, or(1, .L__assert_fail.uses_vcc)
	.set _Z39paged_attention_ll4mi_QKV_mfma16_kernelIDF16_hLN4vllm18Fp8KVCacheDataTypeE1EhLi16ELi128ELi256ELb1ELi16EEvPKT_PKT0_S7_ifPKiS9_S9_iPKfiiiPfSC_PS2_PT2_iSB_SB_.uses_flat_scratch, or(0, .L__assert_fail.uses_flat_scratch)
	.set _Z39paged_attention_ll4mi_QKV_mfma16_kernelIDF16_hLN4vllm18Fp8KVCacheDataTypeE1EhLi16ELi128ELi256ELb1ELi16EEvPKT_PKT0_S7_ifPKiS9_S9_iPKfiiiPfSC_PS2_PT2_iSB_SB_.has_dyn_sized_stack, or(0, .L__assert_fail.has_dyn_sized_stack)
	.set _Z39paged_attention_ll4mi_QKV_mfma16_kernelIDF16_hLN4vllm18Fp8KVCacheDataTypeE1EhLi16ELi128ELi256ELb1ELi16EEvPKT_PKT0_S7_ifPKiS9_S9_iPKfiiiPfSC_PS2_PT2_iSB_SB_.has_recursion, or(0, .L__assert_fail.has_recursion)
	.set _Z39paged_attention_ll4mi_QKV_mfma16_kernelIDF16_hLN4vllm18Fp8KVCacheDataTypeE1EhLi16ELi128ELi256ELb1ELi16EEvPKT_PKT0_S7_ifPKiS9_S9_iPKfiiiPfSC_PS2_PT2_iSB_SB_.has_indirect_call, or(0, .L__assert_fail.has_indirect_call)
	.section	.AMDGPU.csdata,"",@progbits
; Kernel info:
; codeLenInByte = 68
; TotalNumSgprs: 36
; NumVgprs: 51
; ScratchSize: 64
; MemoryBound: 0
; FloatMode: 240
; IeeeMode: 1
; LDSByteSize: 0 bytes/workgroup (compile time only)
; SGPRBlocks: 0
; VGPRBlocks: 3
; NumSGPRsForWavesPerEU: 36
; NumVGPRsForWavesPerEU: 51
; NamedBarCnt: 0
; Occupancy: 16
; WaveLimiterHint : 1
; COMPUTE_PGM_RSRC2:SCRATCH_EN: 1
; COMPUTE_PGM_RSRC2:USER_SGPR: 2
; COMPUTE_PGM_RSRC2:TRAP_HANDLER: 0
; COMPUTE_PGM_RSRC2:TGID_X_EN: 1
; COMPUTE_PGM_RSRC2:TGID_Y_EN: 0
; COMPUTE_PGM_RSRC2:TGID_Z_EN: 0
; COMPUTE_PGM_RSRC2:TIDIG_COMP_CNT: 0
	.section	.text._Z39paged_attention_ll4mi_QKV_mfma16_kernelIDF16_hLN4vllm18Fp8KVCacheDataTypeE1EhLi16ELi128ELi256ELb1ELi1EEvPKT_PKT0_S7_ifPKiS9_S9_iPKfiiiPfSC_PS2_PT2_iSB_SB_,"axG",@progbits,_Z39paged_attention_ll4mi_QKV_mfma16_kernelIDF16_hLN4vllm18Fp8KVCacheDataTypeE1EhLi16ELi128ELi256ELb1ELi1EEvPKT_PKT0_S7_ifPKiS9_S9_iPKfiiiPfSC_PS2_PT2_iSB_SB_,comdat
	.protected	_Z39paged_attention_ll4mi_QKV_mfma16_kernelIDF16_hLN4vllm18Fp8KVCacheDataTypeE1EhLi16ELi128ELi256ELb1ELi1EEvPKT_PKT0_S7_ifPKiS9_S9_iPKfiiiPfSC_PS2_PT2_iSB_SB_ ; -- Begin function _Z39paged_attention_ll4mi_QKV_mfma16_kernelIDF16_hLN4vllm18Fp8KVCacheDataTypeE1EhLi16ELi128ELi256ELb1ELi1EEvPKT_PKT0_S7_ifPKiS9_S9_iPKfiiiPfSC_PS2_PT2_iSB_SB_
	.globl	_Z39paged_attention_ll4mi_QKV_mfma16_kernelIDF16_hLN4vllm18Fp8KVCacheDataTypeE1EhLi16ELi128ELi256ELb1ELi1EEvPKT_PKT0_S7_ifPKiS9_S9_iPKfiiiPfSC_PS2_PT2_iSB_SB_
	.p2align	8
	.type	_Z39paged_attention_ll4mi_QKV_mfma16_kernelIDF16_hLN4vllm18Fp8KVCacheDataTypeE1EhLi16ELi128ELi256ELb1ELi1EEvPKT_PKT0_S7_ifPKiS9_S9_iPKfiiiPfSC_PS2_PT2_iSB_SB_,@function
_Z39paged_attention_ll4mi_QKV_mfma16_kernelIDF16_hLN4vllm18Fp8KVCacheDataTypeE1EhLi16ELi128ELi256ELb1ELi1EEvPKT_PKT0_S7_ifPKiS9_S9_iPKfiiiPfSC_PS2_PT2_iSB_SB_: ; @_Z39paged_attention_ll4mi_QKV_mfma16_kernelIDF16_hLN4vllm18Fp8KVCacheDataTypeE1EhLi16ELi128ELi256ELb1ELi1EEvPKT_PKT0_S7_ifPKiS9_S9_iPKfiiiPfSC_PS2_PT2_iSB_SB_
; %bb.0:
	s_get_pc_i64 s[2:3]
	s_add_nc_u64 s[2:3], s[2:3], __PRETTY_FUNCTION__._Z39paged_attention_ll4mi_QKV_mfma16_kernelIDF16_hLN4vllm18Fp8KVCacheDataTypeE1EhLi16ELi128ELi256ELb1ELi1EEvPKT_PKT0_S7_ifPKiS9_S9_iPKfiiiPfSC_PS2_PT2_iSB_SB_@rel64+4
	s_delay_alu instid0(SALU_CYCLE_1)
	v_dual_mov_b32 v0, 0xbb3 :: v_dual_mov_b32 v1, s2
	v_mov_b32_e32 v2, s3
	s_add_nc_u64 s[8:9], s[0:1], 0x90
	s_get_pc_i64 s[0:1]
	s_add_nc_u64 s[0:1], s[0:1], __assert_fail@rel64+4
	s_mov_b32 s32, 0
	s_swap_pc_i64 s[30:31], s[0:1]
	.section	.rodata,"a",@progbits
	.p2align	6, 0x0
	.amdhsa_kernel _Z39paged_attention_ll4mi_QKV_mfma16_kernelIDF16_hLN4vllm18Fp8KVCacheDataTypeE1EhLi16ELi128ELi256ELb1ELi1EEvPKT_PKT0_S7_ifPKiS9_S9_iPKfiiiPfSC_PS2_PT2_iSB_SB_
		.amdhsa_group_segment_fixed_size 0
		.amdhsa_private_segment_fixed_size 64
		.amdhsa_kernarg_size 400
		.amdhsa_user_sgpr_count 2
		.amdhsa_user_sgpr_dispatch_ptr 0
		.amdhsa_user_sgpr_queue_ptr 0
		.amdhsa_user_sgpr_kernarg_segment_ptr 1
		.amdhsa_user_sgpr_dispatch_id 0
		.amdhsa_user_sgpr_kernarg_preload_length 0
		.amdhsa_user_sgpr_kernarg_preload_offset 0
		.amdhsa_user_sgpr_private_segment_size 0
		.amdhsa_wavefront_size32 1
		.amdhsa_uses_dynamic_stack 0
		.amdhsa_enable_private_segment 1
		.amdhsa_system_sgpr_workgroup_id_x 1
		.amdhsa_system_sgpr_workgroup_id_y 0
		.amdhsa_system_sgpr_workgroup_id_z 0
		.amdhsa_system_sgpr_workgroup_info 0
		.amdhsa_system_vgpr_workitem_id 0
		.amdhsa_next_free_vgpr 51
		.amdhsa_next_free_sgpr 34
		.amdhsa_named_barrier_count 0
		.amdhsa_reserve_vcc 1
		.amdhsa_float_round_mode_32 0
		.amdhsa_float_round_mode_16_64 0
		.amdhsa_float_denorm_mode_32 3
		.amdhsa_float_denorm_mode_16_64 3
		.amdhsa_fp16_overflow 0
		.amdhsa_memory_ordered 1
		.amdhsa_forward_progress 1
		.amdhsa_inst_pref_size 1
		.amdhsa_round_robin_scheduling 0
		.amdhsa_exception_fp_ieee_invalid_op 0
		.amdhsa_exception_fp_denorm_src 0
		.amdhsa_exception_fp_ieee_div_zero 0
		.amdhsa_exception_fp_ieee_overflow 0
		.amdhsa_exception_fp_ieee_underflow 0
		.amdhsa_exception_fp_ieee_inexact 0
		.amdhsa_exception_int_div_zero 0
	.end_amdhsa_kernel
	.section	.text._Z39paged_attention_ll4mi_QKV_mfma16_kernelIDF16_hLN4vllm18Fp8KVCacheDataTypeE1EhLi16ELi128ELi256ELb1ELi1EEvPKT_PKT0_S7_ifPKiS9_S9_iPKfiiiPfSC_PS2_PT2_iSB_SB_,"axG",@progbits,_Z39paged_attention_ll4mi_QKV_mfma16_kernelIDF16_hLN4vllm18Fp8KVCacheDataTypeE1EhLi16ELi128ELi256ELb1ELi1EEvPKT_PKT0_S7_ifPKiS9_S9_iPKfiiiPfSC_PS2_PT2_iSB_SB_,comdat
.Lfunc_end946:
	.size	_Z39paged_attention_ll4mi_QKV_mfma16_kernelIDF16_hLN4vllm18Fp8KVCacheDataTypeE1EhLi16ELi128ELi256ELb1ELi1EEvPKT_PKT0_S7_ifPKiS9_S9_iPKfiiiPfSC_PS2_PT2_iSB_SB_, .Lfunc_end946-_Z39paged_attention_ll4mi_QKV_mfma16_kernelIDF16_hLN4vllm18Fp8KVCacheDataTypeE1EhLi16ELi128ELi256ELb1ELi1EEvPKT_PKT0_S7_ifPKiS9_S9_iPKfiiiPfSC_PS2_PT2_iSB_SB_
                                        ; -- End function
	.set _Z39paged_attention_ll4mi_QKV_mfma16_kernelIDF16_hLN4vllm18Fp8KVCacheDataTypeE1EhLi16ELi128ELi256ELb1ELi1EEvPKT_PKT0_S7_ifPKiS9_S9_iPKfiiiPfSC_PS2_PT2_iSB_SB_.num_vgpr, max(3, .L__assert_fail.num_vgpr)
	.set _Z39paged_attention_ll4mi_QKV_mfma16_kernelIDF16_hLN4vllm18Fp8KVCacheDataTypeE1EhLi16ELi128ELi256ELb1ELi1EEvPKT_PKT0_S7_ifPKiS9_S9_iPKfiiiPfSC_PS2_PT2_iSB_SB_.num_agpr, max(0, .L__assert_fail.num_agpr)
	.set _Z39paged_attention_ll4mi_QKV_mfma16_kernelIDF16_hLN4vllm18Fp8KVCacheDataTypeE1EhLi16ELi128ELi256ELb1ELi1EEvPKT_PKT0_S7_ifPKiS9_S9_iPKfiiiPfSC_PS2_PT2_iSB_SB_.numbered_sgpr, max(33, .L__assert_fail.numbered_sgpr)
	.set _Z39paged_attention_ll4mi_QKV_mfma16_kernelIDF16_hLN4vllm18Fp8KVCacheDataTypeE1EhLi16ELi128ELi256ELb1ELi1EEvPKT_PKT0_S7_ifPKiS9_S9_iPKfiiiPfSC_PS2_PT2_iSB_SB_.num_named_barrier, max(0, .L__assert_fail.num_named_barrier)
	.set _Z39paged_attention_ll4mi_QKV_mfma16_kernelIDF16_hLN4vllm18Fp8KVCacheDataTypeE1EhLi16ELi128ELi256ELb1ELi1EEvPKT_PKT0_S7_ifPKiS9_S9_iPKfiiiPfSC_PS2_PT2_iSB_SB_.private_seg_size, 0+max(.L__assert_fail.private_seg_size)
	.set _Z39paged_attention_ll4mi_QKV_mfma16_kernelIDF16_hLN4vllm18Fp8KVCacheDataTypeE1EhLi16ELi128ELi256ELb1ELi1EEvPKT_PKT0_S7_ifPKiS9_S9_iPKfiiiPfSC_PS2_PT2_iSB_SB_.uses_vcc, or(1, .L__assert_fail.uses_vcc)
	.set _Z39paged_attention_ll4mi_QKV_mfma16_kernelIDF16_hLN4vllm18Fp8KVCacheDataTypeE1EhLi16ELi128ELi256ELb1ELi1EEvPKT_PKT0_S7_ifPKiS9_S9_iPKfiiiPfSC_PS2_PT2_iSB_SB_.uses_flat_scratch, or(0, .L__assert_fail.uses_flat_scratch)
	.set _Z39paged_attention_ll4mi_QKV_mfma16_kernelIDF16_hLN4vllm18Fp8KVCacheDataTypeE1EhLi16ELi128ELi256ELb1ELi1EEvPKT_PKT0_S7_ifPKiS9_S9_iPKfiiiPfSC_PS2_PT2_iSB_SB_.has_dyn_sized_stack, or(0, .L__assert_fail.has_dyn_sized_stack)
	.set _Z39paged_attention_ll4mi_QKV_mfma16_kernelIDF16_hLN4vllm18Fp8KVCacheDataTypeE1EhLi16ELi128ELi256ELb1ELi1EEvPKT_PKT0_S7_ifPKiS9_S9_iPKfiiiPfSC_PS2_PT2_iSB_SB_.has_recursion, or(0, .L__assert_fail.has_recursion)
	.set _Z39paged_attention_ll4mi_QKV_mfma16_kernelIDF16_hLN4vllm18Fp8KVCacheDataTypeE1EhLi16ELi128ELi256ELb1ELi1EEvPKT_PKT0_S7_ifPKiS9_S9_iPKfiiiPfSC_PS2_PT2_iSB_SB_.has_indirect_call, or(0, .L__assert_fail.has_indirect_call)
	.section	.AMDGPU.csdata,"",@progbits
; Kernel info:
; codeLenInByte = 68
; TotalNumSgprs: 36
; NumVgprs: 51
; ScratchSize: 64
; MemoryBound: 0
; FloatMode: 240
; IeeeMode: 1
; LDSByteSize: 0 bytes/workgroup (compile time only)
; SGPRBlocks: 0
; VGPRBlocks: 3
; NumSGPRsForWavesPerEU: 36
; NumVGPRsForWavesPerEU: 51
; NamedBarCnt: 0
; Occupancy: 16
; WaveLimiterHint : 1
; COMPUTE_PGM_RSRC2:SCRATCH_EN: 1
; COMPUTE_PGM_RSRC2:USER_SGPR: 2
; COMPUTE_PGM_RSRC2:TRAP_HANDLER: 0
; COMPUTE_PGM_RSRC2:TGID_X_EN: 1
; COMPUTE_PGM_RSRC2:TGID_Y_EN: 0
; COMPUTE_PGM_RSRC2:TGID_Z_EN: 0
; COMPUTE_PGM_RSRC2:TIDIG_COMP_CNT: 0
	.section	.text._Z39paged_attention_ll4mi_QKV_mfma16_kernelIDF16_hLN4vllm18Fp8KVCacheDataTypeE1EhLi16ELi128ELi256ELb1ELi2EEvPKT_PKT0_S7_ifPKiS9_S9_iPKfiiiPfSC_PS2_PT2_iSB_SB_,"axG",@progbits,_Z39paged_attention_ll4mi_QKV_mfma16_kernelIDF16_hLN4vllm18Fp8KVCacheDataTypeE1EhLi16ELi128ELi256ELb1ELi2EEvPKT_PKT0_S7_ifPKiS9_S9_iPKfiiiPfSC_PS2_PT2_iSB_SB_,comdat
	.protected	_Z39paged_attention_ll4mi_QKV_mfma16_kernelIDF16_hLN4vllm18Fp8KVCacheDataTypeE1EhLi16ELi128ELi256ELb1ELi2EEvPKT_PKT0_S7_ifPKiS9_S9_iPKfiiiPfSC_PS2_PT2_iSB_SB_ ; -- Begin function _Z39paged_attention_ll4mi_QKV_mfma16_kernelIDF16_hLN4vllm18Fp8KVCacheDataTypeE1EhLi16ELi128ELi256ELb1ELi2EEvPKT_PKT0_S7_ifPKiS9_S9_iPKfiiiPfSC_PS2_PT2_iSB_SB_
	.globl	_Z39paged_attention_ll4mi_QKV_mfma16_kernelIDF16_hLN4vllm18Fp8KVCacheDataTypeE1EhLi16ELi128ELi256ELb1ELi2EEvPKT_PKT0_S7_ifPKiS9_S9_iPKfiiiPfSC_PS2_PT2_iSB_SB_
	.p2align	8
	.type	_Z39paged_attention_ll4mi_QKV_mfma16_kernelIDF16_hLN4vllm18Fp8KVCacheDataTypeE1EhLi16ELi128ELi256ELb1ELi2EEvPKT_PKT0_S7_ifPKiS9_S9_iPKfiiiPfSC_PS2_PT2_iSB_SB_,@function
_Z39paged_attention_ll4mi_QKV_mfma16_kernelIDF16_hLN4vllm18Fp8KVCacheDataTypeE1EhLi16ELi128ELi256ELb1ELi2EEvPKT_PKT0_S7_ifPKiS9_S9_iPKfiiiPfSC_PS2_PT2_iSB_SB_: ; @_Z39paged_attention_ll4mi_QKV_mfma16_kernelIDF16_hLN4vllm18Fp8KVCacheDataTypeE1EhLi16ELi128ELi256ELb1ELi2EEvPKT_PKT0_S7_ifPKiS9_S9_iPKfiiiPfSC_PS2_PT2_iSB_SB_
; %bb.0:
	s_get_pc_i64 s[2:3]
	s_add_nc_u64 s[2:3], s[2:3], __PRETTY_FUNCTION__._Z39paged_attention_ll4mi_QKV_mfma16_kernelIDF16_hLN4vllm18Fp8KVCacheDataTypeE1EhLi16ELi128ELi256ELb1ELi2EEvPKT_PKT0_S7_ifPKiS9_S9_iPKfiiiPfSC_PS2_PT2_iSB_SB_@rel64+4
	s_delay_alu instid0(SALU_CYCLE_1)
	v_dual_mov_b32 v0, 0xbb3 :: v_dual_mov_b32 v1, s2
	v_mov_b32_e32 v2, s3
	s_add_nc_u64 s[8:9], s[0:1], 0x90
	s_get_pc_i64 s[0:1]
	s_add_nc_u64 s[0:1], s[0:1], __assert_fail@rel64+4
	s_mov_b32 s32, 0
	s_swap_pc_i64 s[30:31], s[0:1]
	.section	.rodata,"a",@progbits
	.p2align	6, 0x0
	.amdhsa_kernel _Z39paged_attention_ll4mi_QKV_mfma16_kernelIDF16_hLN4vllm18Fp8KVCacheDataTypeE1EhLi16ELi128ELi256ELb1ELi2EEvPKT_PKT0_S7_ifPKiS9_S9_iPKfiiiPfSC_PS2_PT2_iSB_SB_
		.amdhsa_group_segment_fixed_size 0
		.amdhsa_private_segment_fixed_size 64
		.amdhsa_kernarg_size 400
		.amdhsa_user_sgpr_count 2
		.amdhsa_user_sgpr_dispatch_ptr 0
		.amdhsa_user_sgpr_queue_ptr 0
		.amdhsa_user_sgpr_kernarg_segment_ptr 1
		.amdhsa_user_sgpr_dispatch_id 0
		.amdhsa_user_sgpr_kernarg_preload_length 0
		.amdhsa_user_sgpr_kernarg_preload_offset 0
		.amdhsa_user_sgpr_private_segment_size 0
		.amdhsa_wavefront_size32 1
		.amdhsa_uses_dynamic_stack 0
		.amdhsa_enable_private_segment 1
		.amdhsa_system_sgpr_workgroup_id_x 1
		.amdhsa_system_sgpr_workgroup_id_y 0
		.amdhsa_system_sgpr_workgroup_id_z 0
		.amdhsa_system_sgpr_workgroup_info 0
		.amdhsa_system_vgpr_workitem_id 0
		.amdhsa_next_free_vgpr 51
		.amdhsa_next_free_sgpr 34
		.amdhsa_named_barrier_count 0
		.amdhsa_reserve_vcc 1
		.amdhsa_float_round_mode_32 0
		.amdhsa_float_round_mode_16_64 0
		.amdhsa_float_denorm_mode_32 3
		.amdhsa_float_denorm_mode_16_64 3
		.amdhsa_fp16_overflow 0
		.amdhsa_memory_ordered 1
		.amdhsa_forward_progress 1
		.amdhsa_inst_pref_size 1
		.amdhsa_round_robin_scheduling 0
		.amdhsa_exception_fp_ieee_invalid_op 0
		.amdhsa_exception_fp_denorm_src 0
		.amdhsa_exception_fp_ieee_div_zero 0
		.amdhsa_exception_fp_ieee_overflow 0
		.amdhsa_exception_fp_ieee_underflow 0
		.amdhsa_exception_fp_ieee_inexact 0
		.amdhsa_exception_int_div_zero 0
	.end_amdhsa_kernel
	.section	.text._Z39paged_attention_ll4mi_QKV_mfma16_kernelIDF16_hLN4vllm18Fp8KVCacheDataTypeE1EhLi16ELi128ELi256ELb1ELi2EEvPKT_PKT0_S7_ifPKiS9_S9_iPKfiiiPfSC_PS2_PT2_iSB_SB_,"axG",@progbits,_Z39paged_attention_ll4mi_QKV_mfma16_kernelIDF16_hLN4vllm18Fp8KVCacheDataTypeE1EhLi16ELi128ELi256ELb1ELi2EEvPKT_PKT0_S7_ifPKiS9_S9_iPKfiiiPfSC_PS2_PT2_iSB_SB_,comdat
.Lfunc_end947:
	.size	_Z39paged_attention_ll4mi_QKV_mfma16_kernelIDF16_hLN4vllm18Fp8KVCacheDataTypeE1EhLi16ELi128ELi256ELb1ELi2EEvPKT_PKT0_S7_ifPKiS9_S9_iPKfiiiPfSC_PS2_PT2_iSB_SB_, .Lfunc_end947-_Z39paged_attention_ll4mi_QKV_mfma16_kernelIDF16_hLN4vllm18Fp8KVCacheDataTypeE1EhLi16ELi128ELi256ELb1ELi2EEvPKT_PKT0_S7_ifPKiS9_S9_iPKfiiiPfSC_PS2_PT2_iSB_SB_
                                        ; -- End function
	.set _Z39paged_attention_ll4mi_QKV_mfma16_kernelIDF16_hLN4vllm18Fp8KVCacheDataTypeE1EhLi16ELi128ELi256ELb1ELi2EEvPKT_PKT0_S7_ifPKiS9_S9_iPKfiiiPfSC_PS2_PT2_iSB_SB_.num_vgpr, max(3, .L__assert_fail.num_vgpr)
	.set _Z39paged_attention_ll4mi_QKV_mfma16_kernelIDF16_hLN4vllm18Fp8KVCacheDataTypeE1EhLi16ELi128ELi256ELb1ELi2EEvPKT_PKT0_S7_ifPKiS9_S9_iPKfiiiPfSC_PS2_PT2_iSB_SB_.num_agpr, max(0, .L__assert_fail.num_agpr)
	.set _Z39paged_attention_ll4mi_QKV_mfma16_kernelIDF16_hLN4vllm18Fp8KVCacheDataTypeE1EhLi16ELi128ELi256ELb1ELi2EEvPKT_PKT0_S7_ifPKiS9_S9_iPKfiiiPfSC_PS2_PT2_iSB_SB_.numbered_sgpr, max(33, .L__assert_fail.numbered_sgpr)
	.set _Z39paged_attention_ll4mi_QKV_mfma16_kernelIDF16_hLN4vllm18Fp8KVCacheDataTypeE1EhLi16ELi128ELi256ELb1ELi2EEvPKT_PKT0_S7_ifPKiS9_S9_iPKfiiiPfSC_PS2_PT2_iSB_SB_.num_named_barrier, max(0, .L__assert_fail.num_named_barrier)
	.set _Z39paged_attention_ll4mi_QKV_mfma16_kernelIDF16_hLN4vllm18Fp8KVCacheDataTypeE1EhLi16ELi128ELi256ELb1ELi2EEvPKT_PKT0_S7_ifPKiS9_S9_iPKfiiiPfSC_PS2_PT2_iSB_SB_.private_seg_size, 0+max(.L__assert_fail.private_seg_size)
	.set _Z39paged_attention_ll4mi_QKV_mfma16_kernelIDF16_hLN4vllm18Fp8KVCacheDataTypeE1EhLi16ELi128ELi256ELb1ELi2EEvPKT_PKT0_S7_ifPKiS9_S9_iPKfiiiPfSC_PS2_PT2_iSB_SB_.uses_vcc, or(1, .L__assert_fail.uses_vcc)
	.set _Z39paged_attention_ll4mi_QKV_mfma16_kernelIDF16_hLN4vllm18Fp8KVCacheDataTypeE1EhLi16ELi128ELi256ELb1ELi2EEvPKT_PKT0_S7_ifPKiS9_S9_iPKfiiiPfSC_PS2_PT2_iSB_SB_.uses_flat_scratch, or(0, .L__assert_fail.uses_flat_scratch)
	.set _Z39paged_attention_ll4mi_QKV_mfma16_kernelIDF16_hLN4vllm18Fp8KVCacheDataTypeE1EhLi16ELi128ELi256ELb1ELi2EEvPKT_PKT0_S7_ifPKiS9_S9_iPKfiiiPfSC_PS2_PT2_iSB_SB_.has_dyn_sized_stack, or(0, .L__assert_fail.has_dyn_sized_stack)
	.set _Z39paged_attention_ll4mi_QKV_mfma16_kernelIDF16_hLN4vllm18Fp8KVCacheDataTypeE1EhLi16ELi128ELi256ELb1ELi2EEvPKT_PKT0_S7_ifPKiS9_S9_iPKfiiiPfSC_PS2_PT2_iSB_SB_.has_recursion, or(0, .L__assert_fail.has_recursion)
	.set _Z39paged_attention_ll4mi_QKV_mfma16_kernelIDF16_hLN4vllm18Fp8KVCacheDataTypeE1EhLi16ELi128ELi256ELb1ELi2EEvPKT_PKT0_S7_ifPKiS9_S9_iPKfiiiPfSC_PS2_PT2_iSB_SB_.has_indirect_call, or(0, .L__assert_fail.has_indirect_call)
	.section	.AMDGPU.csdata,"",@progbits
; Kernel info:
; codeLenInByte = 68
; TotalNumSgprs: 36
; NumVgprs: 51
; ScratchSize: 64
; MemoryBound: 0
; FloatMode: 240
; IeeeMode: 1
; LDSByteSize: 0 bytes/workgroup (compile time only)
; SGPRBlocks: 0
; VGPRBlocks: 3
; NumSGPRsForWavesPerEU: 36
; NumVGPRsForWavesPerEU: 51
; NamedBarCnt: 0
; Occupancy: 16
; WaveLimiterHint : 1
; COMPUTE_PGM_RSRC2:SCRATCH_EN: 1
; COMPUTE_PGM_RSRC2:USER_SGPR: 2
; COMPUTE_PGM_RSRC2:TRAP_HANDLER: 0
; COMPUTE_PGM_RSRC2:TGID_X_EN: 1
; COMPUTE_PGM_RSRC2:TGID_Y_EN: 0
; COMPUTE_PGM_RSRC2:TGID_Z_EN: 0
; COMPUTE_PGM_RSRC2:TIDIG_COMP_CNT: 0
	.section	.text._Z39paged_attention_ll4mi_QKV_mfma16_kernelIDF16_hLN4vllm18Fp8KVCacheDataTypeE1EhLi16ELi128ELi256ELb1ELi3EEvPKT_PKT0_S7_ifPKiS9_S9_iPKfiiiPfSC_PS2_PT2_iSB_SB_,"axG",@progbits,_Z39paged_attention_ll4mi_QKV_mfma16_kernelIDF16_hLN4vllm18Fp8KVCacheDataTypeE1EhLi16ELi128ELi256ELb1ELi3EEvPKT_PKT0_S7_ifPKiS9_S9_iPKfiiiPfSC_PS2_PT2_iSB_SB_,comdat
	.protected	_Z39paged_attention_ll4mi_QKV_mfma16_kernelIDF16_hLN4vllm18Fp8KVCacheDataTypeE1EhLi16ELi128ELi256ELb1ELi3EEvPKT_PKT0_S7_ifPKiS9_S9_iPKfiiiPfSC_PS2_PT2_iSB_SB_ ; -- Begin function _Z39paged_attention_ll4mi_QKV_mfma16_kernelIDF16_hLN4vllm18Fp8KVCacheDataTypeE1EhLi16ELi128ELi256ELb1ELi3EEvPKT_PKT0_S7_ifPKiS9_S9_iPKfiiiPfSC_PS2_PT2_iSB_SB_
	.globl	_Z39paged_attention_ll4mi_QKV_mfma16_kernelIDF16_hLN4vllm18Fp8KVCacheDataTypeE1EhLi16ELi128ELi256ELb1ELi3EEvPKT_PKT0_S7_ifPKiS9_S9_iPKfiiiPfSC_PS2_PT2_iSB_SB_
	.p2align	8
	.type	_Z39paged_attention_ll4mi_QKV_mfma16_kernelIDF16_hLN4vllm18Fp8KVCacheDataTypeE1EhLi16ELi128ELi256ELb1ELi3EEvPKT_PKT0_S7_ifPKiS9_S9_iPKfiiiPfSC_PS2_PT2_iSB_SB_,@function
_Z39paged_attention_ll4mi_QKV_mfma16_kernelIDF16_hLN4vllm18Fp8KVCacheDataTypeE1EhLi16ELi128ELi256ELb1ELi3EEvPKT_PKT0_S7_ifPKiS9_S9_iPKfiiiPfSC_PS2_PT2_iSB_SB_: ; @_Z39paged_attention_ll4mi_QKV_mfma16_kernelIDF16_hLN4vllm18Fp8KVCacheDataTypeE1EhLi16ELi128ELi256ELb1ELi3EEvPKT_PKT0_S7_ifPKiS9_S9_iPKfiiiPfSC_PS2_PT2_iSB_SB_
; %bb.0:
	s_get_pc_i64 s[2:3]
	s_add_nc_u64 s[2:3], s[2:3], __PRETTY_FUNCTION__._Z39paged_attention_ll4mi_QKV_mfma16_kernelIDF16_hLN4vllm18Fp8KVCacheDataTypeE1EhLi16ELi128ELi256ELb1ELi3EEvPKT_PKT0_S7_ifPKiS9_S9_iPKfiiiPfSC_PS2_PT2_iSB_SB_@rel64+4
	s_delay_alu instid0(SALU_CYCLE_1)
	v_dual_mov_b32 v0, 0xbb3 :: v_dual_mov_b32 v1, s2
	v_mov_b32_e32 v2, s3
	s_add_nc_u64 s[8:9], s[0:1], 0x90
	s_get_pc_i64 s[0:1]
	s_add_nc_u64 s[0:1], s[0:1], __assert_fail@rel64+4
	s_mov_b32 s32, 0
	s_swap_pc_i64 s[30:31], s[0:1]
	.section	.rodata,"a",@progbits
	.p2align	6, 0x0
	.amdhsa_kernel _Z39paged_attention_ll4mi_QKV_mfma16_kernelIDF16_hLN4vllm18Fp8KVCacheDataTypeE1EhLi16ELi128ELi256ELb1ELi3EEvPKT_PKT0_S7_ifPKiS9_S9_iPKfiiiPfSC_PS2_PT2_iSB_SB_
		.amdhsa_group_segment_fixed_size 0
		.amdhsa_private_segment_fixed_size 64
		.amdhsa_kernarg_size 400
		.amdhsa_user_sgpr_count 2
		.amdhsa_user_sgpr_dispatch_ptr 0
		.amdhsa_user_sgpr_queue_ptr 0
		.amdhsa_user_sgpr_kernarg_segment_ptr 1
		.amdhsa_user_sgpr_dispatch_id 0
		.amdhsa_user_sgpr_kernarg_preload_length 0
		.amdhsa_user_sgpr_kernarg_preload_offset 0
		.amdhsa_user_sgpr_private_segment_size 0
		.amdhsa_wavefront_size32 1
		.amdhsa_uses_dynamic_stack 0
		.amdhsa_enable_private_segment 1
		.amdhsa_system_sgpr_workgroup_id_x 1
		.amdhsa_system_sgpr_workgroup_id_y 0
		.amdhsa_system_sgpr_workgroup_id_z 0
		.amdhsa_system_sgpr_workgroup_info 0
		.amdhsa_system_vgpr_workitem_id 0
		.amdhsa_next_free_vgpr 51
		.amdhsa_next_free_sgpr 34
		.amdhsa_named_barrier_count 0
		.amdhsa_reserve_vcc 1
		.amdhsa_float_round_mode_32 0
		.amdhsa_float_round_mode_16_64 0
		.amdhsa_float_denorm_mode_32 3
		.amdhsa_float_denorm_mode_16_64 3
		.amdhsa_fp16_overflow 0
		.amdhsa_memory_ordered 1
		.amdhsa_forward_progress 1
		.amdhsa_inst_pref_size 1
		.amdhsa_round_robin_scheduling 0
		.amdhsa_exception_fp_ieee_invalid_op 0
		.amdhsa_exception_fp_denorm_src 0
		.amdhsa_exception_fp_ieee_div_zero 0
		.amdhsa_exception_fp_ieee_overflow 0
		.amdhsa_exception_fp_ieee_underflow 0
		.amdhsa_exception_fp_ieee_inexact 0
		.amdhsa_exception_int_div_zero 0
	.end_amdhsa_kernel
	.section	.text._Z39paged_attention_ll4mi_QKV_mfma16_kernelIDF16_hLN4vllm18Fp8KVCacheDataTypeE1EhLi16ELi128ELi256ELb1ELi3EEvPKT_PKT0_S7_ifPKiS9_S9_iPKfiiiPfSC_PS2_PT2_iSB_SB_,"axG",@progbits,_Z39paged_attention_ll4mi_QKV_mfma16_kernelIDF16_hLN4vllm18Fp8KVCacheDataTypeE1EhLi16ELi128ELi256ELb1ELi3EEvPKT_PKT0_S7_ifPKiS9_S9_iPKfiiiPfSC_PS2_PT2_iSB_SB_,comdat
.Lfunc_end948:
	.size	_Z39paged_attention_ll4mi_QKV_mfma16_kernelIDF16_hLN4vllm18Fp8KVCacheDataTypeE1EhLi16ELi128ELi256ELb1ELi3EEvPKT_PKT0_S7_ifPKiS9_S9_iPKfiiiPfSC_PS2_PT2_iSB_SB_, .Lfunc_end948-_Z39paged_attention_ll4mi_QKV_mfma16_kernelIDF16_hLN4vllm18Fp8KVCacheDataTypeE1EhLi16ELi128ELi256ELb1ELi3EEvPKT_PKT0_S7_ifPKiS9_S9_iPKfiiiPfSC_PS2_PT2_iSB_SB_
                                        ; -- End function
	.set _Z39paged_attention_ll4mi_QKV_mfma16_kernelIDF16_hLN4vllm18Fp8KVCacheDataTypeE1EhLi16ELi128ELi256ELb1ELi3EEvPKT_PKT0_S7_ifPKiS9_S9_iPKfiiiPfSC_PS2_PT2_iSB_SB_.num_vgpr, max(3, .L__assert_fail.num_vgpr)
	.set _Z39paged_attention_ll4mi_QKV_mfma16_kernelIDF16_hLN4vllm18Fp8KVCacheDataTypeE1EhLi16ELi128ELi256ELb1ELi3EEvPKT_PKT0_S7_ifPKiS9_S9_iPKfiiiPfSC_PS2_PT2_iSB_SB_.num_agpr, max(0, .L__assert_fail.num_agpr)
	.set _Z39paged_attention_ll4mi_QKV_mfma16_kernelIDF16_hLN4vllm18Fp8KVCacheDataTypeE1EhLi16ELi128ELi256ELb1ELi3EEvPKT_PKT0_S7_ifPKiS9_S9_iPKfiiiPfSC_PS2_PT2_iSB_SB_.numbered_sgpr, max(33, .L__assert_fail.numbered_sgpr)
	.set _Z39paged_attention_ll4mi_QKV_mfma16_kernelIDF16_hLN4vllm18Fp8KVCacheDataTypeE1EhLi16ELi128ELi256ELb1ELi3EEvPKT_PKT0_S7_ifPKiS9_S9_iPKfiiiPfSC_PS2_PT2_iSB_SB_.num_named_barrier, max(0, .L__assert_fail.num_named_barrier)
	.set _Z39paged_attention_ll4mi_QKV_mfma16_kernelIDF16_hLN4vllm18Fp8KVCacheDataTypeE1EhLi16ELi128ELi256ELb1ELi3EEvPKT_PKT0_S7_ifPKiS9_S9_iPKfiiiPfSC_PS2_PT2_iSB_SB_.private_seg_size, 0+max(.L__assert_fail.private_seg_size)
	.set _Z39paged_attention_ll4mi_QKV_mfma16_kernelIDF16_hLN4vllm18Fp8KVCacheDataTypeE1EhLi16ELi128ELi256ELb1ELi3EEvPKT_PKT0_S7_ifPKiS9_S9_iPKfiiiPfSC_PS2_PT2_iSB_SB_.uses_vcc, or(1, .L__assert_fail.uses_vcc)
	.set _Z39paged_attention_ll4mi_QKV_mfma16_kernelIDF16_hLN4vllm18Fp8KVCacheDataTypeE1EhLi16ELi128ELi256ELb1ELi3EEvPKT_PKT0_S7_ifPKiS9_S9_iPKfiiiPfSC_PS2_PT2_iSB_SB_.uses_flat_scratch, or(0, .L__assert_fail.uses_flat_scratch)
	.set _Z39paged_attention_ll4mi_QKV_mfma16_kernelIDF16_hLN4vllm18Fp8KVCacheDataTypeE1EhLi16ELi128ELi256ELb1ELi3EEvPKT_PKT0_S7_ifPKiS9_S9_iPKfiiiPfSC_PS2_PT2_iSB_SB_.has_dyn_sized_stack, or(0, .L__assert_fail.has_dyn_sized_stack)
	.set _Z39paged_attention_ll4mi_QKV_mfma16_kernelIDF16_hLN4vllm18Fp8KVCacheDataTypeE1EhLi16ELi128ELi256ELb1ELi3EEvPKT_PKT0_S7_ifPKiS9_S9_iPKfiiiPfSC_PS2_PT2_iSB_SB_.has_recursion, or(0, .L__assert_fail.has_recursion)
	.set _Z39paged_attention_ll4mi_QKV_mfma16_kernelIDF16_hLN4vllm18Fp8KVCacheDataTypeE1EhLi16ELi128ELi256ELb1ELi3EEvPKT_PKT0_S7_ifPKiS9_S9_iPKfiiiPfSC_PS2_PT2_iSB_SB_.has_indirect_call, or(0, .L__assert_fail.has_indirect_call)
	.section	.AMDGPU.csdata,"",@progbits
; Kernel info:
; codeLenInByte = 68
; TotalNumSgprs: 36
; NumVgprs: 51
; ScratchSize: 64
; MemoryBound: 0
; FloatMode: 240
; IeeeMode: 1
; LDSByteSize: 0 bytes/workgroup (compile time only)
; SGPRBlocks: 0
; VGPRBlocks: 3
; NumSGPRsForWavesPerEU: 36
; NumVGPRsForWavesPerEU: 51
; NamedBarCnt: 0
; Occupancy: 16
; WaveLimiterHint : 1
; COMPUTE_PGM_RSRC2:SCRATCH_EN: 1
; COMPUTE_PGM_RSRC2:USER_SGPR: 2
; COMPUTE_PGM_RSRC2:TRAP_HANDLER: 0
; COMPUTE_PGM_RSRC2:TGID_X_EN: 1
; COMPUTE_PGM_RSRC2:TGID_Y_EN: 0
; COMPUTE_PGM_RSRC2:TGID_Z_EN: 0
; COMPUTE_PGM_RSRC2:TIDIG_COMP_CNT: 0
	.section	.text._Z39paged_attention_ll4mi_QKV_mfma16_kernelIDF16_hLN4vllm18Fp8KVCacheDataTypeE1EhLi16ELi128ELi256ELb1ELi4EEvPKT_PKT0_S7_ifPKiS9_S9_iPKfiiiPfSC_PS2_PT2_iSB_SB_,"axG",@progbits,_Z39paged_attention_ll4mi_QKV_mfma16_kernelIDF16_hLN4vllm18Fp8KVCacheDataTypeE1EhLi16ELi128ELi256ELb1ELi4EEvPKT_PKT0_S7_ifPKiS9_S9_iPKfiiiPfSC_PS2_PT2_iSB_SB_,comdat
	.protected	_Z39paged_attention_ll4mi_QKV_mfma16_kernelIDF16_hLN4vllm18Fp8KVCacheDataTypeE1EhLi16ELi128ELi256ELb1ELi4EEvPKT_PKT0_S7_ifPKiS9_S9_iPKfiiiPfSC_PS2_PT2_iSB_SB_ ; -- Begin function _Z39paged_attention_ll4mi_QKV_mfma16_kernelIDF16_hLN4vllm18Fp8KVCacheDataTypeE1EhLi16ELi128ELi256ELb1ELi4EEvPKT_PKT0_S7_ifPKiS9_S9_iPKfiiiPfSC_PS2_PT2_iSB_SB_
	.globl	_Z39paged_attention_ll4mi_QKV_mfma16_kernelIDF16_hLN4vllm18Fp8KVCacheDataTypeE1EhLi16ELi128ELi256ELb1ELi4EEvPKT_PKT0_S7_ifPKiS9_S9_iPKfiiiPfSC_PS2_PT2_iSB_SB_
	.p2align	8
	.type	_Z39paged_attention_ll4mi_QKV_mfma16_kernelIDF16_hLN4vllm18Fp8KVCacheDataTypeE1EhLi16ELi128ELi256ELb1ELi4EEvPKT_PKT0_S7_ifPKiS9_S9_iPKfiiiPfSC_PS2_PT2_iSB_SB_,@function
_Z39paged_attention_ll4mi_QKV_mfma16_kernelIDF16_hLN4vllm18Fp8KVCacheDataTypeE1EhLi16ELi128ELi256ELb1ELi4EEvPKT_PKT0_S7_ifPKiS9_S9_iPKfiiiPfSC_PS2_PT2_iSB_SB_: ; @_Z39paged_attention_ll4mi_QKV_mfma16_kernelIDF16_hLN4vllm18Fp8KVCacheDataTypeE1EhLi16ELi128ELi256ELb1ELi4EEvPKT_PKT0_S7_ifPKiS9_S9_iPKfiiiPfSC_PS2_PT2_iSB_SB_
; %bb.0:
	s_get_pc_i64 s[2:3]
	s_add_nc_u64 s[2:3], s[2:3], __PRETTY_FUNCTION__._Z39paged_attention_ll4mi_QKV_mfma16_kernelIDF16_hLN4vllm18Fp8KVCacheDataTypeE1EhLi16ELi128ELi256ELb1ELi4EEvPKT_PKT0_S7_ifPKiS9_S9_iPKfiiiPfSC_PS2_PT2_iSB_SB_@rel64+4
	s_delay_alu instid0(SALU_CYCLE_1)
	v_dual_mov_b32 v0, 0xbb3 :: v_dual_mov_b32 v1, s2
	v_mov_b32_e32 v2, s3
	s_add_nc_u64 s[8:9], s[0:1], 0x90
	s_get_pc_i64 s[0:1]
	s_add_nc_u64 s[0:1], s[0:1], __assert_fail@rel64+4
	s_mov_b32 s32, 0
	s_swap_pc_i64 s[30:31], s[0:1]
	.section	.rodata,"a",@progbits
	.p2align	6, 0x0
	.amdhsa_kernel _Z39paged_attention_ll4mi_QKV_mfma16_kernelIDF16_hLN4vllm18Fp8KVCacheDataTypeE1EhLi16ELi128ELi256ELb1ELi4EEvPKT_PKT0_S7_ifPKiS9_S9_iPKfiiiPfSC_PS2_PT2_iSB_SB_
		.amdhsa_group_segment_fixed_size 0
		.amdhsa_private_segment_fixed_size 64
		.amdhsa_kernarg_size 400
		.amdhsa_user_sgpr_count 2
		.amdhsa_user_sgpr_dispatch_ptr 0
		.amdhsa_user_sgpr_queue_ptr 0
		.amdhsa_user_sgpr_kernarg_segment_ptr 1
		.amdhsa_user_sgpr_dispatch_id 0
		.amdhsa_user_sgpr_kernarg_preload_length 0
		.amdhsa_user_sgpr_kernarg_preload_offset 0
		.amdhsa_user_sgpr_private_segment_size 0
		.amdhsa_wavefront_size32 1
		.amdhsa_uses_dynamic_stack 0
		.amdhsa_enable_private_segment 1
		.amdhsa_system_sgpr_workgroup_id_x 1
		.amdhsa_system_sgpr_workgroup_id_y 0
		.amdhsa_system_sgpr_workgroup_id_z 0
		.amdhsa_system_sgpr_workgroup_info 0
		.amdhsa_system_vgpr_workitem_id 0
		.amdhsa_next_free_vgpr 51
		.amdhsa_next_free_sgpr 34
		.amdhsa_named_barrier_count 0
		.amdhsa_reserve_vcc 1
		.amdhsa_float_round_mode_32 0
		.amdhsa_float_round_mode_16_64 0
		.amdhsa_float_denorm_mode_32 3
		.amdhsa_float_denorm_mode_16_64 3
		.amdhsa_fp16_overflow 0
		.amdhsa_memory_ordered 1
		.amdhsa_forward_progress 1
		.amdhsa_inst_pref_size 1
		.amdhsa_round_robin_scheduling 0
		.amdhsa_exception_fp_ieee_invalid_op 0
		.amdhsa_exception_fp_denorm_src 0
		.amdhsa_exception_fp_ieee_div_zero 0
		.amdhsa_exception_fp_ieee_overflow 0
		.amdhsa_exception_fp_ieee_underflow 0
		.amdhsa_exception_fp_ieee_inexact 0
		.amdhsa_exception_int_div_zero 0
	.end_amdhsa_kernel
	.section	.text._Z39paged_attention_ll4mi_QKV_mfma16_kernelIDF16_hLN4vllm18Fp8KVCacheDataTypeE1EhLi16ELi128ELi256ELb1ELi4EEvPKT_PKT0_S7_ifPKiS9_S9_iPKfiiiPfSC_PS2_PT2_iSB_SB_,"axG",@progbits,_Z39paged_attention_ll4mi_QKV_mfma16_kernelIDF16_hLN4vllm18Fp8KVCacheDataTypeE1EhLi16ELi128ELi256ELb1ELi4EEvPKT_PKT0_S7_ifPKiS9_S9_iPKfiiiPfSC_PS2_PT2_iSB_SB_,comdat
.Lfunc_end949:
	.size	_Z39paged_attention_ll4mi_QKV_mfma16_kernelIDF16_hLN4vllm18Fp8KVCacheDataTypeE1EhLi16ELi128ELi256ELb1ELi4EEvPKT_PKT0_S7_ifPKiS9_S9_iPKfiiiPfSC_PS2_PT2_iSB_SB_, .Lfunc_end949-_Z39paged_attention_ll4mi_QKV_mfma16_kernelIDF16_hLN4vllm18Fp8KVCacheDataTypeE1EhLi16ELi128ELi256ELb1ELi4EEvPKT_PKT0_S7_ifPKiS9_S9_iPKfiiiPfSC_PS2_PT2_iSB_SB_
                                        ; -- End function
	.set _Z39paged_attention_ll4mi_QKV_mfma16_kernelIDF16_hLN4vllm18Fp8KVCacheDataTypeE1EhLi16ELi128ELi256ELb1ELi4EEvPKT_PKT0_S7_ifPKiS9_S9_iPKfiiiPfSC_PS2_PT2_iSB_SB_.num_vgpr, max(3, .L__assert_fail.num_vgpr)
	.set _Z39paged_attention_ll4mi_QKV_mfma16_kernelIDF16_hLN4vllm18Fp8KVCacheDataTypeE1EhLi16ELi128ELi256ELb1ELi4EEvPKT_PKT0_S7_ifPKiS9_S9_iPKfiiiPfSC_PS2_PT2_iSB_SB_.num_agpr, max(0, .L__assert_fail.num_agpr)
	.set _Z39paged_attention_ll4mi_QKV_mfma16_kernelIDF16_hLN4vllm18Fp8KVCacheDataTypeE1EhLi16ELi128ELi256ELb1ELi4EEvPKT_PKT0_S7_ifPKiS9_S9_iPKfiiiPfSC_PS2_PT2_iSB_SB_.numbered_sgpr, max(33, .L__assert_fail.numbered_sgpr)
	.set _Z39paged_attention_ll4mi_QKV_mfma16_kernelIDF16_hLN4vllm18Fp8KVCacheDataTypeE1EhLi16ELi128ELi256ELb1ELi4EEvPKT_PKT0_S7_ifPKiS9_S9_iPKfiiiPfSC_PS2_PT2_iSB_SB_.num_named_barrier, max(0, .L__assert_fail.num_named_barrier)
	.set _Z39paged_attention_ll4mi_QKV_mfma16_kernelIDF16_hLN4vllm18Fp8KVCacheDataTypeE1EhLi16ELi128ELi256ELb1ELi4EEvPKT_PKT0_S7_ifPKiS9_S9_iPKfiiiPfSC_PS2_PT2_iSB_SB_.private_seg_size, 0+max(.L__assert_fail.private_seg_size)
	.set _Z39paged_attention_ll4mi_QKV_mfma16_kernelIDF16_hLN4vllm18Fp8KVCacheDataTypeE1EhLi16ELi128ELi256ELb1ELi4EEvPKT_PKT0_S7_ifPKiS9_S9_iPKfiiiPfSC_PS2_PT2_iSB_SB_.uses_vcc, or(1, .L__assert_fail.uses_vcc)
	.set _Z39paged_attention_ll4mi_QKV_mfma16_kernelIDF16_hLN4vllm18Fp8KVCacheDataTypeE1EhLi16ELi128ELi256ELb1ELi4EEvPKT_PKT0_S7_ifPKiS9_S9_iPKfiiiPfSC_PS2_PT2_iSB_SB_.uses_flat_scratch, or(0, .L__assert_fail.uses_flat_scratch)
	.set _Z39paged_attention_ll4mi_QKV_mfma16_kernelIDF16_hLN4vllm18Fp8KVCacheDataTypeE1EhLi16ELi128ELi256ELb1ELi4EEvPKT_PKT0_S7_ifPKiS9_S9_iPKfiiiPfSC_PS2_PT2_iSB_SB_.has_dyn_sized_stack, or(0, .L__assert_fail.has_dyn_sized_stack)
	.set _Z39paged_attention_ll4mi_QKV_mfma16_kernelIDF16_hLN4vllm18Fp8KVCacheDataTypeE1EhLi16ELi128ELi256ELb1ELi4EEvPKT_PKT0_S7_ifPKiS9_S9_iPKfiiiPfSC_PS2_PT2_iSB_SB_.has_recursion, or(0, .L__assert_fail.has_recursion)
	.set _Z39paged_attention_ll4mi_QKV_mfma16_kernelIDF16_hLN4vllm18Fp8KVCacheDataTypeE1EhLi16ELi128ELi256ELb1ELi4EEvPKT_PKT0_S7_ifPKiS9_S9_iPKfiiiPfSC_PS2_PT2_iSB_SB_.has_indirect_call, or(0, .L__assert_fail.has_indirect_call)
	.section	.AMDGPU.csdata,"",@progbits
; Kernel info:
; codeLenInByte = 68
; TotalNumSgprs: 36
; NumVgprs: 51
; ScratchSize: 64
; MemoryBound: 0
; FloatMode: 240
; IeeeMode: 1
; LDSByteSize: 0 bytes/workgroup (compile time only)
; SGPRBlocks: 0
; VGPRBlocks: 3
; NumSGPRsForWavesPerEU: 36
; NumVGPRsForWavesPerEU: 51
; NamedBarCnt: 0
; Occupancy: 16
; WaveLimiterHint : 1
; COMPUTE_PGM_RSRC2:SCRATCH_EN: 1
; COMPUTE_PGM_RSRC2:USER_SGPR: 2
; COMPUTE_PGM_RSRC2:TRAP_HANDLER: 0
; COMPUTE_PGM_RSRC2:TGID_X_EN: 1
; COMPUTE_PGM_RSRC2:TGID_Y_EN: 0
; COMPUTE_PGM_RSRC2:TGID_Z_EN: 0
; COMPUTE_PGM_RSRC2:TIDIG_COMP_CNT: 0
	.section	.text._Z38paged_attention_ll4mi_QKV_mfma4_kernelIDF16_hLN4vllm18Fp8KVCacheDataTypeE1EhLi16ELi128ELi256ELb0ELi1EEvPKT_PKT0_S7_ifPKiS9_S9_iPKfiiiPfSC_PS2_PT2_iSB_SB_,"axG",@progbits,_Z38paged_attention_ll4mi_QKV_mfma4_kernelIDF16_hLN4vllm18Fp8KVCacheDataTypeE1EhLi16ELi128ELi256ELb0ELi1EEvPKT_PKT0_S7_ifPKiS9_S9_iPKfiiiPfSC_PS2_PT2_iSB_SB_,comdat
	.protected	_Z38paged_attention_ll4mi_QKV_mfma4_kernelIDF16_hLN4vllm18Fp8KVCacheDataTypeE1EhLi16ELi128ELi256ELb0ELi1EEvPKT_PKT0_S7_ifPKiS9_S9_iPKfiiiPfSC_PS2_PT2_iSB_SB_ ; -- Begin function _Z38paged_attention_ll4mi_QKV_mfma4_kernelIDF16_hLN4vllm18Fp8KVCacheDataTypeE1EhLi16ELi128ELi256ELb0ELi1EEvPKT_PKT0_S7_ifPKiS9_S9_iPKfiiiPfSC_PS2_PT2_iSB_SB_
	.globl	_Z38paged_attention_ll4mi_QKV_mfma4_kernelIDF16_hLN4vllm18Fp8KVCacheDataTypeE1EhLi16ELi128ELi256ELb0ELi1EEvPKT_PKT0_S7_ifPKiS9_S9_iPKfiiiPfSC_PS2_PT2_iSB_SB_
	.p2align	8
	.type	_Z38paged_attention_ll4mi_QKV_mfma4_kernelIDF16_hLN4vllm18Fp8KVCacheDataTypeE1EhLi16ELi128ELi256ELb0ELi1EEvPKT_PKT0_S7_ifPKiS9_S9_iPKfiiiPfSC_PS2_PT2_iSB_SB_,@function
_Z38paged_attention_ll4mi_QKV_mfma4_kernelIDF16_hLN4vllm18Fp8KVCacheDataTypeE1EhLi16ELi128ELi256ELb0ELi1EEvPKT_PKT0_S7_ifPKiS9_S9_iPKfiiiPfSC_PS2_PT2_iSB_SB_: ; @_Z38paged_attention_ll4mi_QKV_mfma4_kernelIDF16_hLN4vllm18Fp8KVCacheDataTypeE1EhLi16ELi128ELi256ELb0ELi1EEvPKT_PKT0_S7_ifPKiS9_S9_iPKfiiiPfSC_PS2_PT2_iSB_SB_
; %bb.0:
	s_get_pc_i64 s[2:3]
	s_add_nc_u64 s[2:3], s[2:3], __PRETTY_FUNCTION__._Z38paged_attention_ll4mi_QKV_mfma4_kernelIDF16_hLN4vllm18Fp8KVCacheDataTypeE1EhLi16ELi128ELi256ELb0ELi1EEvPKT_PKT0_S7_ifPKiS9_S9_iPKfiiiPfSC_PS2_PT2_iSB_SB_@rel64+4
	s_delay_alu instid0(SALU_CYCLE_1)
	v_dual_mov_b32 v0, 0xbce :: v_dual_mov_b32 v1, s2
	v_mov_b32_e32 v2, s3
	s_add_nc_u64 s[8:9], s[0:1], 0x90
	s_get_pc_i64 s[0:1]
	s_add_nc_u64 s[0:1], s[0:1], __assert_fail@rel64+4
	s_mov_b32 s32, 0
	s_swap_pc_i64 s[30:31], s[0:1]
	.section	.rodata,"a",@progbits
	.p2align	6, 0x0
	.amdhsa_kernel _Z38paged_attention_ll4mi_QKV_mfma4_kernelIDF16_hLN4vllm18Fp8KVCacheDataTypeE1EhLi16ELi128ELi256ELb0ELi1EEvPKT_PKT0_S7_ifPKiS9_S9_iPKfiiiPfSC_PS2_PT2_iSB_SB_
		.amdhsa_group_segment_fixed_size 0
		.amdhsa_private_segment_fixed_size 64
		.amdhsa_kernarg_size 400
		.amdhsa_user_sgpr_count 2
		.amdhsa_user_sgpr_dispatch_ptr 0
		.amdhsa_user_sgpr_queue_ptr 0
		.amdhsa_user_sgpr_kernarg_segment_ptr 1
		.amdhsa_user_sgpr_dispatch_id 0
		.amdhsa_user_sgpr_kernarg_preload_length 0
		.amdhsa_user_sgpr_kernarg_preload_offset 0
		.amdhsa_user_sgpr_private_segment_size 0
		.amdhsa_wavefront_size32 1
		.amdhsa_uses_dynamic_stack 0
		.amdhsa_enable_private_segment 1
		.amdhsa_system_sgpr_workgroup_id_x 1
		.amdhsa_system_sgpr_workgroup_id_y 0
		.amdhsa_system_sgpr_workgroup_id_z 0
		.amdhsa_system_sgpr_workgroup_info 0
		.amdhsa_system_vgpr_workitem_id 0
		.amdhsa_next_free_vgpr 51
		.amdhsa_next_free_sgpr 34
		.amdhsa_named_barrier_count 0
		.amdhsa_reserve_vcc 1
		.amdhsa_float_round_mode_32 0
		.amdhsa_float_round_mode_16_64 0
		.amdhsa_float_denorm_mode_32 3
		.amdhsa_float_denorm_mode_16_64 3
		.amdhsa_fp16_overflow 0
		.amdhsa_memory_ordered 1
		.amdhsa_forward_progress 1
		.amdhsa_inst_pref_size 1
		.amdhsa_round_robin_scheduling 0
		.amdhsa_exception_fp_ieee_invalid_op 0
		.amdhsa_exception_fp_denorm_src 0
		.amdhsa_exception_fp_ieee_div_zero 0
		.amdhsa_exception_fp_ieee_overflow 0
		.amdhsa_exception_fp_ieee_underflow 0
		.amdhsa_exception_fp_ieee_inexact 0
		.amdhsa_exception_int_div_zero 0
	.end_amdhsa_kernel
	.section	.text._Z38paged_attention_ll4mi_QKV_mfma4_kernelIDF16_hLN4vllm18Fp8KVCacheDataTypeE1EhLi16ELi128ELi256ELb0ELi1EEvPKT_PKT0_S7_ifPKiS9_S9_iPKfiiiPfSC_PS2_PT2_iSB_SB_,"axG",@progbits,_Z38paged_attention_ll4mi_QKV_mfma4_kernelIDF16_hLN4vllm18Fp8KVCacheDataTypeE1EhLi16ELi128ELi256ELb0ELi1EEvPKT_PKT0_S7_ifPKiS9_S9_iPKfiiiPfSC_PS2_PT2_iSB_SB_,comdat
.Lfunc_end950:
	.size	_Z38paged_attention_ll4mi_QKV_mfma4_kernelIDF16_hLN4vllm18Fp8KVCacheDataTypeE1EhLi16ELi128ELi256ELb0ELi1EEvPKT_PKT0_S7_ifPKiS9_S9_iPKfiiiPfSC_PS2_PT2_iSB_SB_, .Lfunc_end950-_Z38paged_attention_ll4mi_QKV_mfma4_kernelIDF16_hLN4vllm18Fp8KVCacheDataTypeE1EhLi16ELi128ELi256ELb0ELi1EEvPKT_PKT0_S7_ifPKiS9_S9_iPKfiiiPfSC_PS2_PT2_iSB_SB_
                                        ; -- End function
	.set _Z38paged_attention_ll4mi_QKV_mfma4_kernelIDF16_hLN4vllm18Fp8KVCacheDataTypeE1EhLi16ELi128ELi256ELb0ELi1EEvPKT_PKT0_S7_ifPKiS9_S9_iPKfiiiPfSC_PS2_PT2_iSB_SB_.num_vgpr, max(3, .L__assert_fail.num_vgpr)
	.set _Z38paged_attention_ll4mi_QKV_mfma4_kernelIDF16_hLN4vllm18Fp8KVCacheDataTypeE1EhLi16ELi128ELi256ELb0ELi1EEvPKT_PKT0_S7_ifPKiS9_S9_iPKfiiiPfSC_PS2_PT2_iSB_SB_.num_agpr, max(0, .L__assert_fail.num_agpr)
	.set _Z38paged_attention_ll4mi_QKV_mfma4_kernelIDF16_hLN4vllm18Fp8KVCacheDataTypeE1EhLi16ELi128ELi256ELb0ELi1EEvPKT_PKT0_S7_ifPKiS9_S9_iPKfiiiPfSC_PS2_PT2_iSB_SB_.numbered_sgpr, max(33, .L__assert_fail.numbered_sgpr)
	.set _Z38paged_attention_ll4mi_QKV_mfma4_kernelIDF16_hLN4vllm18Fp8KVCacheDataTypeE1EhLi16ELi128ELi256ELb0ELi1EEvPKT_PKT0_S7_ifPKiS9_S9_iPKfiiiPfSC_PS2_PT2_iSB_SB_.num_named_barrier, max(0, .L__assert_fail.num_named_barrier)
	.set _Z38paged_attention_ll4mi_QKV_mfma4_kernelIDF16_hLN4vllm18Fp8KVCacheDataTypeE1EhLi16ELi128ELi256ELb0ELi1EEvPKT_PKT0_S7_ifPKiS9_S9_iPKfiiiPfSC_PS2_PT2_iSB_SB_.private_seg_size, 0+max(.L__assert_fail.private_seg_size)
	.set _Z38paged_attention_ll4mi_QKV_mfma4_kernelIDF16_hLN4vllm18Fp8KVCacheDataTypeE1EhLi16ELi128ELi256ELb0ELi1EEvPKT_PKT0_S7_ifPKiS9_S9_iPKfiiiPfSC_PS2_PT2_iSB_SB_.uses_vcc, or(1, .L__assert_fail.uses_vcc)
	.set _Z38paged_attention_ll4mi_QKV_mfma4_kernelIDF16_hLN4vllm18Fp8KVCacheDataTypeE1EhLi16ELi128ELi256ELb0ELi1EEvPKT_PKT0_S7_ifPKiS9_S9_iPKfiiiPfSC_PS2_PT2_iSB_SB_.uses_flat_scratch, or(0, .L__assert_fail.uses_flat_scratch)
	.set _Z38paged_attention_ll4mi_QKV_mfma4_kernelIDF16_hLN4vllm18Fp8KVCacheDataTypeE1EhLi16ELi128ELi256ELb0ELi1EEvPKT_PKT0_S7_ifPKiS9_S9_iPKfiiiPfSC_PS2_PT2_iSB_SB_.has_dyn_sized_stack, or(0, .L__assert_fail.has_dyn_sized_stack)
	.set _Z38paged_attention_ll4mi_QKV_mfma4_kernelIDF16_hLN4vllm18Fp8KVCacheDataTypeE1EhLi16ELi128ELi256ELb0ELi1EEvPKT_PKT0_S7_ifPKiS9_S9_iPKfiiiPfSC_PS2_PT2_iSB_SB_.has_recursion, or(0, .L__assert_fail.has_recursion)
	.set _Z38paged_attention_ll4mi_QKV_mfma4_kernelIDF16_hLN4vllm18Fp8KVCacheDataTypeE1EhLi16ELi128ELi256ELb0ELi1EEvPKT_PKT0_S7_ifPKiS9_S9_iPKfiiiPfSC_PS2_PT2_iSB_SB_.has_indirect_call, or(0, .L__assert_fail.has_indirect_call)
	.section	.AMDGPU.csdata,"",@progbits
; Kernel info:
; codeLenInByte = 68
; TotalNumSgprs: 36
; NumVgprs: 51
; ScratchSize: 64
; MemoryBound: 0
; FloatMode: 240
; IeeeMode: 1
; LDSByteSize: 0 bytes/workgroup (compile time only)
; SGPRBlocks: 0
; VGPRBlocks: 3
; NumSGPRsForWavesPerEU: 36
; NumVGPRsForWavesPerEU: 51
; NamedBarCnt: 0
; Occupancy: 16
; WaveLimiterHint : 1
; COMPUTE_PGM_RSRC2:SCRATCH_EN: 1
; COMPUTE_PGM_RSRC2:USER_SGPR: 2
; COMPUTE_PGM_RSRC2:TRAP_HANDLER: 0
; COMPUTE_PGM_RSRC2:TGID_X_EN: 1
; COMPUTE_PGM_RSRC2:TGID_Y_EN: 0
; COMPUTE_PGM_RSRC2:TGID_Z_EN: 0
; COMPUTE_PGM_RSRC2:TIDIG_COMP_CNT: 0
	.section	.text._Z38paged_attention_ll4mi_QKV_mfma4_kernelIDF16_hLN4vllm18Fp8KVCacheDataTypeE1EhLi16ELi128ELi256ELb0ELi2EEvPKT_PKT0_S7_ifPKiS9_S9_iPKfiiiPfSC_PS2_PT2_iSB_SB_,"axG",@progbits,_Z38paged_attention_ll4mi_QKV_mfma4_kernelIDF16_hLN4vllm18Fp8KVCacheDataTypeE1EhLi16ELi128ELi256ELb0ELi2EEvPKT_PKT0_S7_ifPKiS9_S9_iPKfiiiPfSC_PS2_PT2_iSB_SB_,comdat
	.protected	_Z38paged_attention_ll4mi_QKV_mfma4_kernelIDF16_hLN4vllm18Fp8KVCacheDataTypeE1EhLi16ELi128ELi256ELb0ELi2EEvPKT_PKT0_S7_ifPKiS9_S9_iPKfiiiPfSC_PS2_PT2_iSB_SB_ ; -- Begin function _Z38paged_attention_ll4mi_QKV_mfma4_kernelIDF16_hLN4vllm18Fp8KVCacheDataTypeE1EhLi16ELi128ELi256ELb0ELi2EEvPKT_PKT0_S7_ifPKiS9_S9_iPKfiiiPfSC_PS2_PT2_iSB_SB_
	.globl	_Z38paged_attention_ll4mi_QKV_mfma4_kernelIDF16_hLN4vllm18Fp8KVCacheDataTypeE1EhLi16ELi128ELi256ELb0ELi2EEvPKT_PKT0_S7_ifPKiS9_S9_iPKfiiiPfSC_PS2_PT2_iSB_SB_
	.p2align	8
	.type	_Z38paged_attention_ll4mi_QKV_mfma4_kernelIDF16_hLN4vllm18Fp8KVCacheDataTypeE1EhLi16ELi128ELi256ELb0ELi2EEvPKT_PKT0_S7_ifPKiS9_S9_iPKfiiiPfSC_PS2_PT2_iSB_SB_,@function
_Z38paged_attention_ll4mi_QKV_mfma4_kernelIDF16_hLN4vllm18Fp8KVCacheDataTypeE1EhLi16ELi128ELi256ELb0ELi2EEvPKT_PKT0_S7_ifPKiS9_S9_iPKfiiiPfSC_PS2_PT2_iSB_SB_: ; @_Z38paged_attention_ll4mi_QKV_mfma4_kernelIDF16_hLN4vllm18Fp8KVCacheDataTypeE1EhLi16ELi128ELi256ELb0ELi2EEvPKT_PKT0_S7_ifPKiS9_S9_iPKfiiiPfSC_PS2_PT2_iSB_SB_
; %bb.0:
	s_get_pc_i64 s[2:3]
	s_add_nc_u64 s[2:3], s[2:3], __PRETTY_FUNCTION__._Z38paged_attention_ll4mi_QKV_mfma4_kernelIDF16_hLN4vllm18Fp8KVCacheDataTypeE1EhLi16ELi128ELi256ELb0ELi2EEvPKT_PKT0_S7_ifPKiS9_S9_iPKfiiiPfSC_PS2_PT2_iSB_SB_@rel64+4
	s_delay_alu instid0(SALU_CYCLE_1)
	v_dual_mov_b32 v0, 0xbce :: v_dual_mov_b32 v1, s2
	v_mov_b32_e32 v2, s3
	s_add_nc_u64 s[8:9], s[0:1], 0x90
	s_get_pc_i64 s[0:1]
	s_add_nc_u64 s[0:1], s[0:1], __assert_fail@rel64+4
	s_mov_b32 s32, 0
	s_swap_pc_i64 s[30:31], s[0:1]
	.section	.rodata,"a",@progbits
	.p2align	6, 0x0
	.amdhsa_kernel _Z38paged_attention_ll4mi_QKV_mfma4_kernelIDF16_hLN4vllm18Fp8KVCacheDataTypeE1EhLi16ELi128ELi256ELb0ELi2EEvPKT_PKT0_S7_ifPKiS9_S9_iPKfiiiPfSC_PS2_PT2_iSB_SB_
		.amdhsa_group_segment_fixed_size 0
		.amdhsa_private_segment_fixed_size 64
		.amdhsa_kernarg_size 400
		.amdhsa_user_sgpr_count 2
		.amdhsa_user_sgpr_dispatch_ptr 0
		.amdhsa_user_sgpr_queue_ptr 0
		.amdhsa_user_sgpr_kernarg_segment_ptr 1
		.amdhsa_user_sgpr_dispatch_id 0
		.amdhsa_user_sgpr_kernarg_preload_length 0
		.amdhsa_user_sgpr_kernarg_preload_offset 0
		.amdhsa_user_sgpr_private_segment_size 0
		.amdhsa_wavefront_size32 1
		.amdhsa_uses_dynamic_stack 0
		.amdhsa_enable_private_segment 1
		.amdhsa_system_sgpr_workgroup_id_x 1
		.amdhsa_system_sgpr_workgroup_id_y 0
		.amdhsa_system_sgpr_workgroup_id_z 0
		.amdhsa_system_sgpr_workgroup_info 0
		.amdhsa_system_vgpr_workitem_id 0
		.amdhsa_next_free_vgpr 51
		.amdhsa_next_free_sgpr 34
		.amdhsa_named_barrier_count 0
		.amdhsa_reserve_vcc 1
		.amdhsa_float_round_mode_32 0
		.amdhsa_float_round_mode_16_64 0
		.amdhsa_float_denorm_mode_32 3
		.amdhsa_float_denorm_mode_16_64 3
		.amdhsa_fp16_overflow 0
		.amdhsa_memory_ordered 1
		.amdhsa_forward_progress 1
		.amdhsa_inst_pref_size 1
		.amdhsa_round_robin_scheduling 0
		.amdhsa_exception_fp_ieee_invalid_op 0
		.amdhsa_exception_fp_denorm_src 0
		.amdhsa_exception_fp_ieee_div_zero 0
		.amdhsa_exception_fp_ieee_overflow 0
		.amdhsa_exception_fp_ieee_underflow 0
		.amdhsa_exception_fp_ieee_inexact 0
		.amdhsa_exception_int_div_zero 0
	.end_amdhsa_kernel
	.section	.text._Z38paged_attention_ll4mi_QKV_mfma4_kernelIDF16_hLN4vllm18Fp8KVCacheDataTypeE1EhLi16ELi128ELi256ELb0ELi2EEvPKT_PKT0_S7_ifPKiS9_S9_iPKfiiiPfSC_PS2_PT2_iSB_SB_,"axG",@progbits,_Z38paged_attention_ll4mi_QKV_mfma4_kernelIDF16_hLN4vllm18Fp8KVCacheDataTypeE1EhLi16ELi128ELi256ELb0ELi2EEvPKT_PKT0_S7_ifPKiS9_S9_iPKfiiiPfSC_PS2_PT2_iSB_SB_,comdat
.Lfunc_end951:
	.size	_Z38paged_attention_ll4mi_QKV_mfma4_kernelIDF16_hLN4vllm18Fp8KVCacheDataTypeE1EhLi16ELi128ELi256ELb0ELi2EEvPKT_PKT0_S7_ifPKiS9_S9_iPKfiiiPfSC_PS2_PT2_iSB_SB_, .Lfunc_end951-_Z38paged_attention_ll4mi_QKV_mfma4_kernelIDF16_hLN4vllm18Fp8KVCacheDataTypeE1EhLi16ELi128ELi256ELb0ELi2EEvPKT_PKT0_S7_ifPKiS9_S9_iPKfiiiPfSC_PS2_PT2_iSB_SB_
                                        ; -- End function
	.set _Z38paged_attention_ll4mi_QKV_mfma4_kernelIDF16_hLN4vllm18Fp8KVCacheDataTypeE1EhLi16ELi128ELi256ELb0ELi2EEvPKT_PKT0_S7_ifPKiS9_S9_iPKfiiiPfSC_PS2_PT2_iSB_SB_.num_vgpr, max(3, .L__assert_fail.num_vgpr)
	.set _Z38paged_attention_ll4mi_QKV_mfma4_kernelIDF16_hLN4vllm18Fp8KVCacheDataTypeE1EhLi16ELi128ELi256ELb0ELi2EEvPKT_PKT0_S7_ifPKiS9_S9_iPKfiiiPfSC_PS2_PT2_iSB_SB_.num_agpr, max(0, .L__assert_fail.num_agpr)
	.set _Z38paged_attention_ll4mi_QKV_mfma4_kernelIDF16_hLN4vllm18Fp8KVCacheDataTypeE1EhLi16ELi128ELi256ELb0ELi2EEvPKT_PKT0_S7_ifPKiS9_S9_iPKfiiiPfSC_PS2_PT2_iSB_SB_.numbered_sgpr, max(33, .L__assert_fail.numbered_sgpr)
	.set _Z38paged_attention_ll4mi_QKV_mfma4_kernelIDF16_hLN4vllm18Fp8KVCacheDataTypeE1EhLi16ELi128ELi256ELb0ELi2EEvPKT_PKT0_S7_ifPKiS9_S9_iPKfiiiPfSC_PS2_PT2_iSB_SB_.num_named_barrier, max(0, .L__assert_fail.num_named_barrier)
	.set _Z38paged_attention_ll4mi_QKV_mfma4_kernelIDF16_hLN4vllm18Fp8KVCacheDataTypeE1EhLi16ELi128ELi256ELb0ELi2EEvPKT_PKT0_S7_ifPKiS9_S9_iPKfiiiPfSC_PS2_PT2_iSB_SB_.private_seg_size, 0+max(.L__assert_fail.private_seg_size)
	.set _Z38paged_attention_ll4mi_QKV_mfma4_kernelIDF16_hLN4vllm18Fp8KVCacheDataTypeE1EhLi16ELi128ELi256ELb0ELi2EEvPKT_PKT0_S7_ifPKiS9_S9_iPKfiiiPfSC_PS2_PT2_iSB_SB_.uses_vcc, or(1, .L__assert_fail.uses_vcc)
	.set _Z38paged_attention_ll4mi_QKV_mfma4_kernelIDF16_hLN4vllm18Fp8KVCacheDataTypeE1EhLi16ELi128ELi256ELb0ELi2EEvPKT_PKT0_S7_ifPKiS9_S9_iPKfiiiPfSC_PS2_PT2_iSB_SB_.uses_flat_scratch, or(0, .L__assert_fail.uses_flat_scratch)
	.set _Z38paged_attention_ll4mi_QKV_mfma4_kernelIDF16_hLN4vllm18Fp8KVCacheDataTypeE1EhLi16ELi128ELi256ELb0ELi2EEvPKT_PKT0_S7_ifPKiS9_S9_iPKfiiiPfSC_PS2_PT2_iSB_SB_.has_dyn_sized_stack, or(0, .L__assert_fail.has_dyn_sized_stack)
	.set _Z38paged_attention_ll4mi_QKV_mfma4_kernelIDF16_hLN4vllm18Fp8KVCacheDataTypeE1EhLi16ELi128ELi256ELb0ELi2EEvPKT_PKT0_S7_ifPKiS9_S9_iPKfiiiPfSC_PS2_PT2_iSB_SB_.has_recursion, or(0, .L__assert_fail.has_recursion)
	.set _Z38paged_attention_ll4mi_QKV_mfma4_kernelIDF16_hLN4vllm18Fp8KVCacheDataTypeE1EhLi16ELi128ELi256ELb0ELi2EEvPKT_PKT0_S7_ifPKiS9_S9_iPKfiiiPfSC_PS2_PT2_iSB_SB_.has_indirect_call, or(0, .L__assert_fail.has_indirect_call)
	.section	.AMDGPU.csdata,"",@progbits
; Kernel info:
; codeLenInByte = 68
; TotalNumSgprs: 36
; NumVgprs: 51
; ScratchSize: 64
; MemoryBound: 0
; FloatMode: 240
; IeeeMode: 1
; LDSByteSize: 0 bytes/workgroup (compile time only)
; SGPRBlocks: 0
; VGPRBlocks: 3
; NumSGPRsForWavesPerEU: 36
; NumVGPRsForWavesPerEU: 51
; NamedBarCnt: 0
; Occupancy: 16
; WaveLimiterHint : 1
; COMPUTE_PGM_RSRC2:SCRATCH_EN: 1
; COMPUTE_PGM_RSRC2:USER_SGPR: 2
; COMPUTE_PGM_RSRC2:TRAP_HANDLER: 0
; COMPUTE_PGM_RSRC2:TGID_X_EN: 1
; COMPUTE_PGM_RSRC2:TGID_Y_EN: 0
; COMPUTE_PGM_RSRC2:TGID_Z_EN: 0
; COMPUTE_PGM_RSRC2:TIDIG_COMP_CNT: 0
	.section	.text._Z38paged_attention_ll4mi_QKV_mfma4_kernelIDF16_hLN4vllm18Fp8KVCacheDataTypeE1EhLi16ELi128ELi256ELb0ELi3EEvPKT_PKT0_S7_ifPKiS9_S9_iPKfiiiPfSC_PS2_PT2_iSB_SB_,"axG",@progbits,_Z38paged_attention_ll4mi_QKV_mfma4_kernelIDF16_hLN4vllm18Fp8KVCacheDataTypeE1EhLi16ELi128ELi256ELb0ELi3EEvPKT_PKT0_S7_ifPKiS9_S9_iPKfiiiPfSC_PS2_PT2_iSB_SB_,comdat
	.protected	_Z38paged_attention_ll4mi_QKV_mfma4_kernelIDF16_hLN4vllm18Fp8KVCacheDataTypeE1EhLi16ELi128ELi256ELb0ELi3EEvPKT_PKT0_S7_ifPKiS9_S9_iPKfiiiPfSC_PS2_PT2_iSB_SB_ ; -- Begin function _Z38paged_attention_ll4mi_QKV_mfma4_kernelIDF16_hLN4vllm18Fp8KVCacheDataTypeE1EhLi16ELi128ELi256ELb0ELi3EEvPKT_PKT0_S7_ifPKiS9_S9_iPKfiiiPfSC_PS2_PT2_iSB_SB_
	.globl	_Z38paged_attention_ll4mi_QKV_mfma4_kernelIDF16_hLN4vllm18Fp8KVCacheDataTypeE1EhLi16ELi128ELi256ELb0ELi3EEvPKT_PKT0_S7_ifPKiS9_S9_iPKfiiiPfSC_PS2_PT2_iSB_SB_
	.p2align	8
	.type	_Z38paged_attention_ll4mi_QKV_mfma4_kernelIDF16_hLN4vllm18Fp8KVCacheDataTypeE1EhLi16ELi128ELi256ELb0ELi3EEvPKT_PKT0_S7_ifPKiS9_S9_iPKfiiiPfSC_PS2_PT2_iSB_SB_,@function
_Z38paged_attention_ll4mi_QKV_mfma4_kernelIDF16_hLN4vllm18Fp8KVCacheDataTypeE1EhLi16ELi128ELi256ELb0ELi3EEvPKT_PKT0_S7_ifPKiS9_S9_iPKfiiiPfSC_PS2_PT2_iSB_SB_: ; @_Z38paged_attention_ll4mi_QKV_mfma4_kernelIDF16_hLN4vllm18Fp8KVCacheDataTypeE1EhLi16ELi128ELi256ELb0ELi3EEvPKT_PKT0_S7_ifPKiS9_S9_iPKfiiiPfSC_PS2_PT2_iSB_SB_
; %bb.0:
	s_get_pc_i64 s[2:3]
	s_add_nc_u64 s[2:3], s[2:3], __PRETTY_FUNCTION__._Z38paged_attention_ll4mi_QKV_mfma4_kernelIDF16_hLN4vllm18Fp8KVCacheDataTypeE1EhLi16ELi128ELi256ELb0ELi3EEvPKT_PKT0_S7_ifPKiS9_S9_iPKfiiiPfSC_PS2_PT2_iSB_SB_@rel64+4
	s_delay_alu instid0(SALU_CYCLE_1)
	v_dual_mov_b32 v0, 0xbce :: v_dual_mov_b32 v1, s2
	v_mov_b32_e32 v2, s3
	s_add_nc_u64 s[8:9], s[0:1], 0x90
	s_get_pc_i64 s[0:1]
	s_add_nc_u64 s[0:1], s[0:1], __assert_fail@rel64+4
	s_mov_b32 s32, 0
	s_swap_pc_i64 s[30:31], s[0:1]
	.section	.rodata,"a",@progbits
	.p2align	6, 0x0
	.amdhsa_kernel _Z38paged_attention_ll4mi_QKV_mfma4_kernelIDF16_hLN4vllm18Fp8KVCacheDataTypeE1EhLi16ELi128ELi256ELb0ELi3EEvPKT_PKT0_S7_ifPKiS9_S9_iPKfiiiPfSC_PS2_PT2_iSB_SB_
		.amdhsa_group_segment_fixed_size 0
		.amdhsa_private_segment_fixed_size 64
		.amdhsa_kernarg_size 400
		.amdhsa_user_sgpr_count 2
		.amdhsa_user_sgpr_dispatch_ptr 0
		.amdhsa_user_sgpr_queue_ptr 0
		.amdhsa_user_sgpr_kernarg_segment_ptr 1
		.amdhsa_user_sgpr_dispatch_id 0
		.amdhsa_user_sgpr_kernarg_preload_length 0
		.amdhsa_user_sgpr_kernarg_preload_offset 0
		.amdhsa_user_sgpr_private_segment_size 0
		.amdhsa_wavefront_size32 1
		.amdhsa_uses_dynamic_stack 0
		.amdhsa_enable_private_segment 1
		.amdhsa_system_sgpr_workgroup_id_x 1
		.amdhsa_system_sgpr_workgroup_id_y 0
		.amdhsa_system_sgpr_workgroup_id_z 0
		.amdhsa_system_sgpr_workgroup_info 0
		.amdhsa_system_vgpr_workitem_id 0
		.amdhsa_next_free_vgpr 51
		.amdhsa_next_free_sgpr 34
		.amdhsa_named_barrier_count 0
		.amdhsa_reserve_vcc 1
		.amdhsa_float_round_mode_32 0
		.amdhsa_float_round_mode_16_64 0
		.amdhsa_float_denorm_mode_32 3
		.amdhsa_float_denorm_mode_16_64 3
		.amdhsa_fp16_overflow 0
		.amdhsa_memory_ordered 1
		.amdhsa_forward_progress 1
		.amdhsa_inst_pref_size 1
		.amdhsa_round_robin_scheduling 0
		.amdhsa_exception_fp_ieee_invalid_op 0
		.amdhsa_exception_fp_denorm_src 0
		.amdhsa_exception_fp_ieee_div_zero 0
		.amdhsa_exception_fp_ieee_overflow 0
		.amdhsa_exception_fp_ieee_underflow 0
		.amdhsa_exception_fp_ieee_inexact 0
		.amdhsa_exception_int_div_zero 0
	.end_amdhsa_kernel
	.section	.text._Z38paged_attention_ll4mi_QKV_mfma4_kernelIDF16_hLN4vllm18Fp8KVCacheDataTypeE1EhLi16ELi128ELi256ELb0ELi3EEvPKT_PKT0_S7_ifPKiS9_S9_iPKfiiiPfSC_PS2_PT2_iSB_SB_,"axG",@progbits,_Z38paged_attention_ll4mi_QKV_mfma4_kernelIDF16_hLN4vllm18Fp8KVCacheDataTypeE1EhLi16ELi128ELi256ELb0ELi3EEvPKT_PKT0_S7_ifPKiS9_S9_iPKfiiiPfSC_PS2_PT2_iSB_SB_,comdat
.Lfunc_end952:
	.size	_Z38paged_attention_ll4mi_QKV_mfma4_kernelIDF16_hLN4vllm18Fp8KVCacheDataTypeE1EhLi16ELi128ELi256ELb0ELi3EEvPKT_PKT0_S7_ifPKiS9_S9_iPKfiiiPfSC_PS2_PT2_iSB_SB_, .Lfunc_end952-_Z38paged_attention_ll4mi_QKV_mfma4_kernelIDF16_hLN4vllm18Fp8KVCacheDataTypeE1EhLi16ELi128ELi256ELb0ELi3EEvPKT_PKT0_S7_ifPKiS9_S9_iPKfiiiPfSC_PS2_PT2_iSB_SB_
                                        ; -- End function
	.set _Z38paged_attention_ll4mi_QKV_mfma4_kernelIDF16_hLN4vllm18Fp8KVCacheDataTypeE1EhLi16ELi128ELi256ELb0ELi3EEvPKT_PKT0_S7_ifPKiS9_S9_iPKfiiiPfSC_PS2_PT2_iSB_SB_.num_vgpr, max(3, .L__assert_fail.num_vgpr)
	.set _Z38paged_attention_ll4mi_QKV_mfma4_kernelIDF16_hLN4vllm18Fp8KVCacheDataTypeE1EhLi16ELi128ELi256ELb0ELi3EEvPKT_PKT0_S7_ifPKiS9_S9_iPKfiiiPfSC_PS2_PT2_iSB_SB_.num_agpr, max(0, .L__assert_fail.num_agpr)
	.set _Z38paged_attention_ll4mi_QKV_mfma4_kernelIDF16_hLN4vllm18Fp8KVCacheDataTypeE1EhLi16ELi128ELi256ELb0ELi3EEvPKT_PKT0_S7_ifPKiS9_S9_iPKfiiiPfSC_PS2_PT2_iSB_SB_.numbered_sgpr, max(33, .L__assert_fail.numbered_sgpr)
	.set _Z38paged_attention_ll4mi_QKV_mfma4_kernelIDF16_hLN4vllm18Fp8KVCacheDataTypeE1EhLi16ELi128ELi256ELb0ELi3EEvPKT_PKT0_S7_ifPKiS9_S9_iPKfiiiPfSC_PS2_PT2_iSB_SB_.num_named_barrier, max(0, .L__assert_fail.num_named_barrier)
	.set _Z38paged_attention_ll4mi_QKV_mfma4_kernelIDF16_hLN4vllm18Fp8KVCacheDataTypeE1EhLi16ELi128ELi256ELb0ELi3EEvPKT_PKT0_S7_ifPKiS9_S9_iPKfiiiPfSC_PS2_PT2_iSB_SB_.private_seg_size, 0+max(.L__assert_fail.private_seg_size)
	.set _Z38paged_attention_ll4mi_QKV_mfma4_kernelIDF16_hLN4vllm18Fp8KVCacheDataTypeE1EhLi16ELi128ELi256ELb0ELi3EEvPKT_PKT0_S7_ifPKiS9_S9_iPKfiiiPfSC_PS2_PT2_iSB_SB_.uses_vcc, or(1, .L__assert_fail.uses_vcc)
	.set _Z38paged_attention_ll4mi_QKV_mfma4_kernelIDF16_hLN4vllm18Fp8KVCacheDataTypeE1EhLi16ELi128ELi256ELb0ELi3EEvPKT_PKT0_S7_ifPKiS9_S9_iPKfiiiPfSC_PS2_PT2_iSB_SB_.uses_flat_scratch, or(0, .L__assert_fail.uses_flat_scratch)
	.set _Z38paged_attention_ll4mi_QKV_mfma4_kernelIDF16_hLN4vllm18Fp8KVCacheDataTypeE1EhLi16ELi128ELi256ELb0ELi3EEvPKT_PKT0_S7_ifPKiS9_S9_iPKfiiiPfSC_PS2_PT2_iSB_SB_.has_dyn_sized_stack, or(0, .L__assert_fail.has_dyn_sized_stack)
	.set _Z38paged_attention_ll4mi_QKV_mfma4_kernelIDF16_hLN4vllm18Fp8KVCacheDataTypeE1EhLi16ELi128ELi256ELb0ELi3EEvPKT_PKT0_S7_ifPKiS9_S9_iPKfiiiPfSC_PS2_PT2_iSB_SB_.has_recursion, or(0, .L__assert_fail.has_recursion)
	.set _Z38paged_attention_ll4mi_QKV_mfma4_kernelIDF16_hLN4vllm18Fp8KVCacheDataTypeE1EhLi16ELi128ELi256ELb0ELi3EEvPKT_PKT0_S7_ifPKiS9_S9_iPKfiiiPfSC_PS2_PT2_iSB_SB_.has_indirect_call, or(0, .L__assert_fail.has_indirect_call)
	.section	.AMDGPU.csdata,"",@progbits
; Kernel info:
; codeLenInByte = 68
; TotalNumSgprs: 36
; NumVgprs: 51
; ScratchSize: 64
; MemoryBound: 0
; FloatMode: 240
; IeeeMode: 1
; LDSByteSize: 0 bytes/workgroup (compile time only)
; SGPRBlocks: 0
; VGPRBlocks: 3
; NumSGPRsForWavesPerEU: 36
; NumVGPRsForWavesPerEU: 51
; NamedBarCnt: 0
; Occupancy: 16
; WaveLimiterHint : 1
; COMPUTE_PGM_RSRC2:SCRATCH_EN: 1
; COMPUTE_PGM_RSRC2:USER_SGPR: 2
; COMPUTE_PGM_RSRC2:TRAP_HANDLER: 0
; COMPUTE_PGM_RSRC2:TGID_X_EN: 1
; COMPUTE_PGM_RSRC2:TGID_Y_EN: 0
; COMPUTE_PGM_RSRC2:TGID_Z_EN: 0
; COMPUTE_PGM_RSRC2:TIDIG_COMP_CNT: 0
	.section	.text._Z38paged_attention_ll4mi_QKV_mfma4_kernelIDF16_hLN4vllm18Fp8KVCacheDataTypeE1EhLi16ELi128ELi256ELb0ELi4EEvPKT_PKT0_S7_ifPKiS9_S9_iPKfiiiPfSC_PS2_PT2_iSB_SB_,"axG",@progbits,_Z38paged_attention_ll4mi_QKV_mfma4_kernelIDF16_hLN4vllm18Fp8KVCacheDataTypeE1EhLi16ELi128ELi256ELb0ELi4EEvPKT_PKT0_S7_ifPKiS9_S9_iPKfiiiPfSC_PS2_PT2_iSB_SB_,comdat
	.protected	_Z38paged_attention_ll4mi_QKV_mfma4_kernelIDF16_hLN4vllm18Fp8KVCacheDataTypeE1EhLi16ELi128ELi256ELb0ELi4EEvPKT_PKT0_S7_ifPKiS9_S9_iPKfiiiPfSC_PS2_PT2_iSB_SB_ ; -- Begin function _Z38paged_attention_ll4mi_QKV_mfma4_kernelIDF16_hLN4vllm18Fp8KVCacheDataTypeE1EhLi16ELi128ELi256ELb0ELi4EEvPKT_PKT0_S7_ifPKiS9_S9_iPKfiiiPfSC_PS2_PT2_iSB_SB_
	.globl	_Z38paged_attention_ll4mi_QKV_mfma4_kernelIDF16_hLN4vllm18Fp8KVCacheDataTypeE1EhLi16ELi128ELi256ELb0ELi4EEvPKT_PKT0_S7_ifPKiS9_S9_iPKfiiiPfSC_PS2_PT2_iSB_SB_
	.p2align	8
	.type	_Z38paged_attention_ll4mi_QKV_mfma4_kernelIDF16_hLN4vllm18Fp8KVCacheDataTypeE1EhLi16ELi128ELi256ELb0ELi4EEvPKT_PKT0_S7_ifPKiS9_S9_iPKfiiiPfSC_PS2_PT2_iSB_SB_,@function
_Z38paged_attention_ll4mi_QKV_mfma4_kernelIDF16_hLN4vllm18Fp8KVCacheDataTypeE1EhLi16ELi128ELi256ELb0ELi4EEvPKT_PKT0_S7_ifPKiS9_S9_iPKfiiiPfSC_PS2_PT2_iSB_SB_: ; @_Z38paged_attention_ll4mi_QKV_mfma4_kernelIDF16_hLN4vllm18Fp8KVCacheDataTypeE1EhLi16ELi128ELi256ELb0ELi4EEvPKT_PKT0_S7_ifPKiS9_S9_iPKfiiiPfSC_PS2_PT2_iSB_SB_
; %bb.0:
	s_get_pc_i64 s[2:3]
	s_add_nc_u64 s[2:3], s[2:3], __PRETTY_FUNCTION__._Z38paged_attention_ll4mi_QKV_mfma4_kernelIDF16_hLN4vllm18Fp8KVCacheDataTypeE1EhLi16ELi128ELi256ELb0ELi4EEvPKT_PKT0_S7_ifPKiS9_S9_iPKfiiiPfSC_PS2_PT2_iSB_SB_@rel64+4
	s_delay_alu instid0(SALU_CYCLE_1)
	v_dual_mov_b32 v0, 0xbce :: v_dual_mov_b32 v1, s2
	v_mov_b32_e32 v2, s3
	s_add_nc_u64 s[8:9], s[0:1], 0x90
	s_get_pc_i64 s[0:1]
	s_add_nc_u64 s[0:1], s[0:1], __assert_fail@rel64+4
	s_mov_b32 s32, 0
	s_swap_pc_i64 s[30:31], s[0:1]
	.section	.rodata,"a",@progbits
	.p2align	6, 0x0
	.amdhsa_kernel _Z38paged_attention_ll4mi_QKV_mfma4_kernelIDF16_hLN4vllm18Fp8KVCacheDataTypeE1EhLi16ELi128ELi256ELb0ELi4EEvPKT_PKT0_S7_ifPKiS9_S9_iPKfiiiPfSC_PS2_PT2_iSB_SB_
		.amdhsa_group_segment_fixed_size 0
		.amdhsa_private_segment_fixed_size 64
		.amdhsa_kernarg_size 400
		.amdhsa_user_sgpr_count 2
		.amdhsa_user_sgpr_dispatch_ptr 0
		.amdhsa_user_sgpr_queue_ptr 0
		.amdhsa_user_sgpr_kernarg_segment_ptr 1
		.amdhsa_user_sgpr_dispatch_id 0
		.amdhsa_user_sgpr_kernarg_preload_length 0
		.amdhsa_user_sgpr_kernarg_preload_offset 0
		.amdhsa_user_sgpr_private_segment_size 0
		.amdhsa_wavefront_size32 1
		.amdhsa_uses_dynamic_stack 0
		.amdhsa_enable_private_segment 1
		.amdhsa_system_sgpr_workgroup_id_x 1
		.amdhsa_system_sgpr_workgroup_id_y 0
		.amdhsa_system_sgpr_workgroup_id_z 0
		.amdhsa_system_sgpr_workgroup_info 0
		.amdhsa_system_vgpr_workitem_id 0
		.amdhsa_next_free_vgpr 51
		.amdhsa_next_free_sgpr 34
		.amdhsa_named_barrier_count 0
		.amdhsa_reserve_vcc 1
		.amdhsa_float_round_mode_32 0
		.amdhsa_float_round_mode_16_64 0
		.amdhsa_float_denorm_mode_32 3
		.amdhsa_float_denorm_mode_16_64 3
		.amdhsa_fp16_overflow 0
		.amdhsa_memory_ordered 1
		.amdhsa_forward_progress 1
		.amdhsa_inst_pref_size 1
		.amdhsa_round_robin_scheduling 0
		.amdhsa_exception_fp_ieee_invalid_op 0
		.amdhsa_exception_fp_denorm_src 0
		.amdhsa_exception_fp_ieee_div_zero 0
		.amdhsa_exception_fp_ieee_overflow 0
		.amdhsa_exception_fp_ieee_underflow 0
		.amdhsa_exception_fp_ieee_inexact 0
		.amdhsa_exception_int_div_zero 0
	.end_amdhsa_kernel
	.section	.text._Z38paged_attention_ll4mi_QKV_mfma4_kernelIDF16_hLN4vllm18Fp8KVCacheDataTypeE1EhLi16ELi128ELi256ELb0ELi4EEvPKT_PKT0_S7_ifPKiS9_S9_iPKfiiiPfSC_PS2_PT2_iSB_SB_,"axG",@progbits,_Z38paged_attention_ll4mi_QKV_mfma4_kernelIDF16_hLN4vllm18Fp8KVCacheDataTypeE1EhLi16ELi128ELi256ELb0ELi4EEvPKT_PKT0_S7_ifPKiS9_S9_iPKfiiiPfSC_PS2_PT2_iSB_SB_,comdat
.Lfunc_end953:
	.size	_Z38paged_attention_ll4mi_QKV_mfma4_kernelIDF16_hLN4vllm18Fp8KVCacheDataTypeE1EhLi16ELi128ELi256ELb0ELi4EEvPKT_PKT0_S7_ifPKiS9_S9_iPKfiiiPfSC_PS2_PT2_iSB_SB_, .Lfunc_end953-_Z38paged_attention_ll4mi_QKV_mfma4_kernelIDF16_hLN4vllm18Fp8KVCacheDataTypeE1EhLi16ELi128ELi256ELb0ELi4EEvPKT_PKT0_S7_ifPKiS9_S9_iPKfiiiPfSC_PS2_PT2_iSB_SB_
                                        ; -- End function
	.set _Z38paged_attention_ll4mi_QKV_mfma4_kernelIDF16_hLN4vllm18Fp8KVCacheDataTypeE1EhLi16ELi128ELi256ELb0ELi4EEvPKT_PKT0_S7_ifPKiS9_S9_iPKfiiiPfSC_PS2_PT2_iSB_SB_.num_vgpr, max(3, .L__assert_fail.num_vgpr)
	.set _Z38paged_attention_ll4mi_QKV_mfma4_kernelIDF16_hLN4vllm18Fp8KVCacheDataTypeE1EhLi16ELi128ELi256ELb0ELi4EEvPKT_PKT0_S7_ifPKiS9_S9_iPKfiiiPfSC_PS2_PT2_iSB_SB_.num_agpr, max(0, .L__assert_fail.num_agpr)
	.set _Z38paged_attention_ll4mi_QKV_mfma4_kernelIDF16_hLN4vllm18Fp8KVCacheDataTypeE1EhLi16ELi128ELi256ELb0ELi4EEvPKT_PKT0_S7_ifPKiS9_S9_iPKfiiiPfSC_PS2_PT2_iSB_SB_.numbered_sgpr, max(33, .L__assert_fail.numbered_sgpr)
	.set _Z38paged_attention_ll4mi_QKV_mfma4_kernelIDF16_hLN4vllm18Fp8KVCacheDataTypeE1EhLi16ELi128ELi256ELb0ELi4EEvPKT_PKT0_S7_ifPKiS9_S9_iPKfiiiPfSC_PS2_PT2_iSB_SB_.num_named_barrier, max(0, .L__assert_fail.num_named_barrier)
	.set _Z38paged_attention_ll4mi_QKV_mfma4_kernelIDF16_hLN4vllm18Fp8KVCacheDataTypeE1EhLi16ELi128ELi256ELb0ELi4EEvPKT_PKT0_S7_ifPKiS9_S9_iPKfiiiPfSC_PS2_PT2_iSB_SB_.private_seg_size, 0+max(.L__assert_fail.private_seg_size)
	.set _Z38paged_attention_ll4mi_QKV_mfma4_kernelIDF16_hLN4vllm18Fp8KVCacheDataTypeE1EhLi16ELi128ELi256ELb0ELi4EEvPKT_PKT0_S7_ifPKiS9_S9_iPKfiiiPfSC_PS2_PT2_iSB_SB_.uses_vcc, or(1, .L__assert_fail.uses_vcc)
	.set _Z38paged_attention_ll4mi_QKV_mfma4_kernelIDF16_hLN4vllm18Fp8KVCacheDataTypeE1EhLi16ELi128ELi256ELb0ELi4EEvPKT_PKT0_S7_ifPKiS9_S9_iPKfiiiPfSC_PS2_PT2_iSB_SB_.uses_flat_scratch, or(0, .L__assert_fail.uses_flat_scratch)
	.set _Z38paged_attention_ll4mi_QKV_mfma4_kernelIDF16_hLN4vllm18Fp8KVCacheDataTypeE1EhLi16ELi128ELi256ELb0ELi4EEvPKT_PKT0_S7_ifPKiS9_S9_iPKfiiiPfSC_PS2_PT2_iSB_SB_.has_dyn_sized_stack, or(0, .L__assert_fail.has_dyn_sized_stack)
	.set _Z38paged_attention_ll4mi_QKV_mfma4_kernelIDF16_hLN4vllm18Fp8KVCacheDataTypeE1EhLi16ELi128ELi256ELb0ELi4EEvPKT_PKT0_S7_ifPKiS9_S9_iPKfiiiPfSC_PS2_PT2_iSB_SB_.has_recursion, or(0, .L__assert_fail.has_recursion)
	.set _Z38paged_attention_ll4mi_QKV_mfma4_kernelIDF16_hLN4vllm18Fp8KVCacheDataTypeE1EhLi16ELi128ELi256ELb0ELi4EEvPKT_PKT0_S7_ifPKiS9_S9_iPKfiiiPfSC_PS2_PT2_iSB_SB_.has_indirect_call, or(0, .L__assert_fail.has_indirect_call)
	.section	.AMDGPU.csdata,"",@progbits
; Kernel info:
; codeLenInByte = 68
; TotalNumSgprs: 36
; NumVgprs: 51
; ScratchSize: 64
; MemoryBound: 0
; FloatMode: 240
; IeeeMode: 1
; LDSByteSize: 0 bytes/workgroup (compile time only)
; SGPRBlocks: 0
; VGPRBlocks: 3
; NumSGPRsForWavesPerEU: 36
; NumVGPRsForWavesPerEU: 51
; NamedBarCnt: 0
; Occupancy: 16
; WaveLimiterHint : 1
; COMPUTE_PGM_RSRC2:SCRATCH_EN: 1
; COMPUTE_PGM_RSRC2:USER_SGPR: 2
; COMPUTE_PGM_RSRC2:TRAP_HANDLER: 0
; COMPUTE_PGM_RSRC2:TGID_X_EN: 1
; COMPUTE_PGM_RSRC2:TGID_Y_EN: 0
; COMPUTE_PGM_RSRC2:TGID_Z_EN: 0
; COMPUTE_PGM_RSRC2:TIDIG_COMP_CNT: 0
	.section	.text._Z39paged_attention_ll4mi_QKV_mfma16_kernelIDF16_hLN4vllm18Fp8KVCacheDataTypeE1EhLi16ELi128ELi256ELb0ELi5EEvPKT_PKT0_S7_ifPKiS9_S9_iPKfiiiPfSC_PS2_PT2_iSB_SB_,"axG",@progbits,_Z39paged_attention_ll4mi_QKV_mfma16_kernelIDF16_hLN4vllm18Fp8KVCacheDataTypeE1EhLi16ELi128ELi256ELb0ELi5EEvPKT_PKT0_S7_ifPKiS9_S9_iPKfiiiPfSC_PS2_PT2_iSB_SB_,comdat
	.protected	_Z39paged_attention_ll4mi_QKV_mfma16_kernelIDF16_hLN4vllm18Fp8KVCacheDataTypeE1EhLi16ELi128ELi256ELb0ELi5EEvPKT_PKT0_S7_ifPKiS9_S9_iPKfiiiPfSC_PS2_PT2_iSB_SB_ ; -- Begin function _Z39paged_attention_ll4mi_QKV_mfma16_kernelIDF16_hLN4vllm18Fp8KVCacheDataTypeE1EhLi16ELi128ELi256ELb0ELi5EEvPKT_PKT0_S7_ifPKiS9_S9_iPKfiiiPfSC_PS2_PT2_iSB_SB_
	.globl	_Z39paged_attention_ll4mi_QKV_mfma16_kernelIDF16_hLN4vllm18Fp8KVCacheDataTypeE1EhLi16ELi128ELi256ELb0ELi5EEvPKT_PKT0_S7_ifPKiS9_S9_iPKfiiiPfSC_PS2_PT2_iSB_SB_
	.p2align	8
	.type	_Z39paged_attention_ll4mi_QKV_mfma16_kernelIDF16_hLN4vllm18Fp8KVCacheDataTypeE1EhLi16ELi128ELi256ELb0ELi5EEvPKT_PKT0_S7_ifPKiS9_S9_iPKfiiiPfSC_PS2_PT2_iSB_SB_,@function
_Z39paged_attention_ll4mi_QKV_mfma16_kernelIDF16_hLN4vllm18Fp8KVCacheDataTypeE1EhLi16ELi128ELi256ELb0ELi5EEvPKT_PKT0_S7_ifPKiS9_S9_iPKfiiiPfSC_PS2_PT2_iSB_SB_: ; @_Z39paged_attention_ll4mi_QKV_mfma16_kernelIDF16_hLN4vllm18Fp8KVCacheDataTypeE1EhLi16ELi128ELi256ELb0ELi5EEvPKT_PKT0_S7_ifPKiS9_S9_iPKfiiiPfSC_PS2_PT2_iSB_SB_
; %bb.0:
	s_get_pc_i64 s[2:3]
	s_add_nc_u64 s[2:3], s[2:3], __PRETTY_FUNCTION__._Z39paged_attention_ll4mi_QKV_mfma16_kernelIDF16_hLN4vllm18Fp8KVCacheDataTypeE1EhLi16ELi128ELi256ELb0ELi5EEvPKT_PKT0_S7_ifPKiS9_S9_iPKfiiiPfSC_PS2_PT2_iSB_SB_@rel64+4
	s_delay_alu instid0(SALU_CYCLE_1)
	v_dual_mov_b32 v0, 0xbb3 :: v_dual_mov_b32 v1, s2
	v_mov_b32_e32 v2, s3
	s_add_nc_u64 s[8:9], s[0:1], 0x90
	s_get_pc_i64 s[0:1]
	s_add_nc_u64 s[0:1], s[0:1], __assert_fail@rel64+4
	s_mov_b32 s32, 0
	s_swap_pc_i64 s[30:31], s[0:1]
	.section	.rodata,"a",@progbits
	.p2align	6, 0x0
	.amdhsa_kernel _Z39paged_attention_ll4mi_QKV_mfma16_kernelIDF16_hLN4vllm18Fp8KVCacheDataTypeE1EhLi16ELi128ELi256ELb0ELi5EEvPKT_PKT0_S7_ifPKiS9_S9_iPKfiiiPfSC_PS2_PT2_iSB_SB_
		.amdhsa_group_segment_fixed_size 0
		.amdhsa_private_segment_fixed_size 64
		.amdhsa_kernarg_size 400
		.amdhsa_user_sgpr_count 2
		.amdhsa_user_sgpr_dispatch_ptr 0
		.amdhsa_user_sgpr_queue_ptr 0
		.amdhsa_user_sgpr_kernarg_segment_ptr 1
		.amdhsa_user_sgpr_dispatch_id 0
		.amdhsa_user_sgpr_kernarg_preload_length 0
		.amdhsa_user_sgpr_kernarg_preload_offset 0
		.amdhsa_user_sgpr_private_segment_size 0
		.amdhsa_wavefront_size32 1
		.amdhsa_uses_dynamic_stack 0
		.amdhsa_enable_private_segment 1
		.amdhsa_system_sgpr_workgroup_id_x 1
		.amdhsa_system_sgpr_workgroup_id_y 0
		.amdhsa_system_sgpr_workgroup_id_z 0
		.amdhsa_system_sgpr_workgroup_info 0
		.amdhsa_system_vgpr_workitem_id 0
		.amdhsa_next_free_vgpr 51
		.amdhsa_next_free_sgpr 34
		.amdhsa_named_barrier_count 0
		.amdhsa_reserve_vcc 1
		.amdhsa_float_round_mode_32 0
		.amdhsa_float_round_mode_16_64 0
		.amdhsa_float_denorm_mode_32 3
		.amdhsa_float_denorm_mode_16_64 3
		.amdhsa_fp16_overflow 0
		.amdhsa_memory_ordered 1
		.amdhsa_forward_progress 1
		.amdhsa_inst_pref_size 1
		.amdhsa_round_robin_scheduling 0
		.amdhsa_exception_fp_ieee_invalid_op 0
		.amdhsa_exception_fp_denorm_src 0
		.amdhsa_exception_fp_ieee_div_zero 0
		.amdhsa_exception_fp_ieee_overflow 0
		.amdhsa_exception_fp_ieee_underflow 0
		.amdhsa_exception_fp_ieee_inexact 0
		.amdhsa_exception_int_div_zero 0
	.end_amdhsa_kernel
	.section	.text._Z39paged_attention_ll4mi_QKV_mfma16_kernelIDF16_hLN4vllm18Fp8KVCacheDataTypeE1EhLi16ELi128ELi256ELb0ELi5EEvPKT_PKT0_S7_ifPKiS9_S9_iPKfiiiPfSC_PS2_PT2_iSB_SB_,"axG",@progbits,_Z39paged_attention_ll4mi_QKV_mfma16_kernelIDF16_hLN4vllm18Fp8KVCacheDataTypeE1EhLi16ELi128ELi256ELb0ELi5EEvPKT_PKT0_S7_ifPKiS9_S9_iPKfiiiPfSC_PS2_PT2_iSB_SB_,comdat
.Lfunc_end954:
	.size	_Z39paged_attention_ll4mi_QKV_mfma16_kernelIDF16_hLN4vllm18Fp8KVCacheDataTypeE1EhLi16ELi128ELi256ELb0ELi5EEvPKT_PKT0_S7_ifPKiS9_S9_iPKfiiiPfSC_PS2_PT2_iSB_SB_, .Lfunc_end954-_Z39paged_attention_ll4mi_QKV_mfma16_kernelIDF16_hLN4vllm18Fp8KVCacheDataTypeE1EhLi16ELi128ELi256ELb0ELi5EEvPKT_PKT0_S7_ifPKiS9_S9_iPKfiiiPfSC_PS2_PT2_iSB_SB_
                                        ; -- End function
	.set _Z39paged_attention_ll4mi_QKV_mfma16_kernelIDF16_hLN4vllm18Fp8KVCacheDataTypeE1EhLi16ELi128ELi256ELb0ELi5EEvPKT_PKT0_S7_ifPKiS9_S9_iPKfiiiPfSC_PS2_PT2_iSB_SB_.num_vgpr, max(3, .L__assert_fail.num_vgpr)
	.set _Z39paged_attention_ll4mi_QKV_mfma16_kernelIDF16_hLN4vllm18Fp8KVCacheDataTypeE1EhLi16ELi128ELi256ELb0ELi5EEvPKT_PKT0_S7_ifPKiS9_S9_iPKfiiiPfSC_PS2_PT2_iSB_SB_.num_agpr, max(0, .L__assert_fail.num_agpr)
	.set _Z39paged_attention_ll4mi_QKV_mfma16_kernelIDF16_hLN4vllm18Fp8KVCacheDataTypeE1EhLi16ELi128ELi256ELb0ELi5EEvPKT_PKT0_S7_ifPKiS9_S9_iPKfiiiPfSC_PS2_PT2_iSB_SB_.numbered_sgpr, max(33, .L__assert_fail.numbered_sgpr)
	.set _Z39paged_attention_ll4mi_QKV_mfma16_kernelIDF16_hLN4vllm18Fp8KVCacheDataTypeE1EhLi16ELi128ELi256ELb0ELi5EEvPKT_PKT0_S7_ifPKiS9_S9_iPKfiiiPfSC_PS2_PT2_iSB_SB_.num_named_barrier, max(0, .L__assert_fail.num_named_barrier)
	.set _Z39paged_attention_ll4mi_QKV_mfma16_kernelIDF16_hLN4vllm18Fp8KVCacheDataTypeE1EhLi16ELi128ELi256ELb0ELi5EEvPKT_PKT0_S7_ifPKiS9_S9_iPKfiiiPfSC_PS2_PT2_iSB_SB_.private_seg_size, 0+max(.L__assert_fail.private_seg_size)
	.set _Z39paged_attention_ll4mi_QKV_mfma16_kernelIDF16_hLN4vllm18Fp8KVCacheDataTypeE1EhLi16ELi128ELi256ELb0ELi5EEvPKT_PKT0_S7_ifPKiS9_S9_iPKfiiiPfSC_PS2_PT2_iSB_SB_.uses_vcc, or(1, .L__assert_fail.uses_vcc)
	.set _Z39paged_attention_ll4mi_QKV_mfma16_kernelIDF16_hLN4vllm18Fp8KVCacheDataTypeE1EhLi16ELi128ELi256ELb0ELi5EEvPKT_PKT0_S7_ifPKiS9_S9_iPKfiiiPfSC_PS2_PT2_iSB_SB_.uses_flat_scratch, or(0, .L__assert_fail.uses_flat_scratch)
	.set _Z39paged_attention_ll4mi_QKV_mfma16_kernelIDF16_hLN4vllm18Fp8KVCacheDataTypeE1EhLi16ELi128ELi256ELb0ELi5EEvPKT_PKT0_S7_ifPKiS9_S9_iPKfiiiPfSC_PS2_PT2_iSB_SB_.has_dyn_sized_stack, or(0, .L__assert_fail.has_dyn_sized_stack)
	.set _Z39paged_attention_ll4mi_QKV_mfma16_kernelIDF16_hLN4vllm18Fp8KVCacheDataTypeE1EhLi16ELi128ELi256ELb0ELi5EEvPKT_PKT0_S7_ifPKiS9_S9_iPKfiiiPfSC_PS2_PT2_iSB_SB_.has_recursion, or(0, .L__assert_fail.has_recursion)
	.set _Z39paged_attention_ll4mi_QKV_mfma16_kernelIDF16_hLN4vllm18Fp8KVCacheDataTypeE1EhLi16ELi128ELi256ELb0ELi5EEvPKT_PKT0_S7_ifPKiS9_S9_iPKfiiiPfSC_PS2_PT2_iSB_SB_.has_indirect_call, or(0, .L__assert_fail.has_indirect_call)
	.section	.AMDGPU.csdata,"",@progbits
; Kernel info:
; codeLenInByte = 68
; TotalNumSgprs: 36
; NumVgprs: 51
; ScratchSize: 64
; MemoryBound: 0
; FloatMode: 240
; IeeeMode: 1
; LDSByteSize: 0 bytes/workgroup (compile time only)
; SGPRBlocks: 0
; VGPRBlocks: 3
; NumSGPRsForWavesPerEU: 36
; NumVGPRsForWavesPerEU: 51
; NamedBarCnt: 0
; Occupancy: 16
; WaveLimiterHint : 1
; COMPUTE_PGM_RSRC2:SCRATCH_EN: 1
; COMPUTE_PGM_RSRC2:USER_SGPR: 2
; COMPUTE_PGM_RSRC2:TRAP_HANDLER: 0
; COMPUTE_PGM_RSRC2:TGID_X_EN: 1
; COMPUTE_PGM_RSRC2:TGID_Y_EN: 0
; COMPUTE_PGM_RSRC2:TGID_Z_EN: 0
; COMPUTE_PGM_RSRC2:TIDIG_COMP_CNT: 0
	.section	.text._Z39paged_attention_ll4mi_QKV_mfma16_kernelIDF16_hLN4vllm18Fp8KVCacheDataTypeE1EhLi16ELi128ELi256ELb0ELi6EEvPKT_PKT0_S7_ifPKiS9_S9_iPKfiiiPfSC_PS2_PT2_iSB_SB_,"axG",@progbits,_Z39paged_attention_ll4mi_QKV_mfma16_kernelIDF16_hLN4vllm18Fp8KVCacheDataTypeE1EhLi16ELi128ELi256ELb0ELi6EEvPKT_PKT0_S7_ifPKiS9_S9_iPKfiiiPfSC_PS2_PT2_iSB_SB_,comdat
	.protected	_Z39paged_attention_ll4mi_QKV_mfma16_kernelIDF16_hLN4vllm18Fp8KVCacheDataTypeE1EhLi16ELi128ELi256ELb0ELi6EEvPKT_PKT0_S7_ifPKiS9_S9_iPKfiiiPfSC_PS2_PT2_iSB_SB_ ; -- Begin function _Z39paged_attention_ll4mi_QKV_mfma16_kernelIDF16_hLN4vllm18Fp8KVCacheDataTypeE1EhLi16ELi128ELi256ELb0ELi6EEvPKT_PKT0_S7_ifPKiS9_S9_iPKfiiiPfSC_PS2_PT2_iSB_SB_
	.globl	_Z39paged_attention_ll4mi_QKV_mfma16_kernelIDF16_hLN4vllm18Fp8KVCacheDataTypeE1EhLi16ELi128ELi256ELb0ELi6EEvPKT_PKT0_S7_ifPKiS9_S9_iPKfiiiPfSC_PS2_PT2_iSB_SB_
	.p2align	8
	.type	_Z39paged_attention_ll4mi_QKV_mfma16_kernelIDF16_hLN4vllm18Fp8KVCacheDataTypeE1EhLi16ELi128ELi256ELb0ELi6EEvPKT_PKT0_S7_ifPKiS9_S9_iPKfiiiPfSC_PS2_PT2_iSB_SB_,@function
_Z39paged_attention_ll4mi_QKV_mfma16_kernelIDF16_hLN4vllm18Fp8KVCacheDataTypeE1EhLi16ELi128ELi256ELb0ELi6EEvPKT_PKT0_S7_ifPKiS9_S9_iPKfiiiPfSC_PS2_PT2_iSB_SB_: ; @_Z39paged_attention_ll4mi_QKV_mfma16_kernelIDF16_hLN4vllm18Fp8KVCacheDataTypeE1EhLi16ELi128ELi256ELb0ELi6EEvPKT_PKT0_S7_ifPKiS9_S9_iPKfiiiPfSC_PS2_PT2_iSB_SB_
; %bb.0:
	s_get_pc_i64 s[2:3]
	s_add_nc_u64 s[2:3], s[2:3], __PRETTY_FUNCTION__._Z39paged_attention_ll4mi_QKV_mfma16_kernelIDF16_hLN4vllm18Fp8KVCacheDataTypeE1EhLi16ELi128ELi256ELb0ELi6EEvPKT_PKT0_S7_ifPKiS9_S9_iPKfiiiPfSC_PS2_PT2_iSB_SB_@rel64+4
	s_delay_alu instid0(SALU_CYCLE_1)
	v_dual_mov_b32 v0, 0xbb3 :: v_dual_mov_b32 v1, s2
	v_mov_b32_e32 v2, s3
	s_add_nc_u64 s[8:9], s[0:1], 0x90
	s_get_pc_i64 s[0:1]
	s_add_nc_u64 s[0:1], s[0:1], __assert_fail@rel64+4
	s_mov_b32 s32, 0
	s_swap_pc_i64 s[30:31], s[0:1]
	.section	.rodata,"a",@progbits
	.p2align	6, 0x0
	.amdhsa_kernel _Z39paged_attention_ll4mi_QKV_mfma16_kernelIDF16_hLN4vllm18Fp8KVCacheDataTypeE1EhLi16ELi128ELi256ELb0ELi6EEvPKT_PKT0_S7_ifPKiS9_S9_iPKfiiiPfSC_PS2_PT2_iSB_SB_
		.amdhsa_group_segment_fixed_size 0
		.amdhsa_private_segment_fixed_size 64
		.amdhsa_kernarg_size 400
		.amdhsa_user_sgpr_count 2
		.amdhsa_user_sgpr_dispatch_ptr 0
		.amdhsa_user_sgpr_queue_ptr 0
		.amdhsa_user_sgpr_kernarg_segment_ptr 1
		.amdhsa_user_sgpr_dispatch_id 0
		.amdhsa_user_sgpr_kernarg_preload_length 0
		.amdhsa_user_sgpr_kernarg_preload_offset 0
		.amdhsa_user_sgpr_private_segment_size 0
		.amdhsa_wavefront_size32 1
		.amdhsa_uses_dynamic_stack 0
		.amdhsa_enable_private_segment 1
		.amdhsa_system_sgpr_workgroup_id_x 1
		.amdhsa_system_sgpr_workgroup_id_y 0
		.amdhsa_system_sgpr_workgroup_id_z 0
		.amdhsa_system_sgpr_workgroup_info 0
		.amdhsa_system_vgpr_workitem_id 0
		.amdhsa_next_free_vgpr 51
		.amdhsa_next_free_sgpr 34
		.amdhsa_named_barrier_count 0
		.amdhsa_reserve_vcc 1
		.amdhsa_float_round_mode_32 0
		.amdhsa_float_round_mode_16_64 0
		.amdhsa_float_denorm_mode_32 3
		.amdhsa_float_denorm_mode_16_64 3
		.amdhsa_fp16_overflow 0
		.amdhsa_memory_ordered 1
		.amdhsa_forward_progress 1
		.amdhsa_inst_pref_size 1
		.amdhsa_round_robin_scheduling 0
		.amdhsa_exception_fp_ieee_invalid_op 0
		.amdhsa_exception_fp_denorm_src 0
		.amdhsa_exception_fp_ieee_div_zero 0
		.amdhsa_exception_fp_ieee_overflow 0
		.amdhsa_exception_fp_ieee_underflow 0
		.amdhsa_exception_fp_ieee_inexact 0
		.amdhsa_exception_int_div_zero 0
	.end_amdhsa_kernel
	.section	.text._Z39paged_attention_ll4mi_QKV_mfma16_kernelIDF16_hLN4vllm18Fp8KVCacheDataTypeE1EhLi16ELi128ELi256ELb0ELi6EEvPKT_PKT0_S7_ifPKiS9_S9_iPKfiiiPfSC_PS2_PT2_iSB_SB_,"axG",@progbits,_Z39paged_attention_ll4mi_QKV_mfma16_kernelIDF16_hLN4vllm18Fp8KVCacheDataTypeE1EhLi16ELi128ELi256ELb0ELi6EEvPKT_PKT0_S7_ifPKiS9_S9_iPKfiiiPfSC_PS2_PT2_iSB_SB_,comdat
.Lfunc_end955:
	.size	_Z39paged_attention_ll4mi_QKV_mfma16_kernelIDF16_hLN4vllm18Fp8KVCacheDataTypeE1EhLi16ELi128ELi256ELb0ELi6EEvPKT_PKT0_S7_ifPKiS9_S9_iPKfiiiPfSC_PS2_PT2_iSB_SB_, .Lfunc_end955-_Z39paged_attention_ll4mi_QKV_mfma16_kernelIDF16_hLN4vllm18Fp8KVCacheDataTypeE1EhLi16ELi128ELi256ELb0ELi6EEvPKT_PKT0_S7_ifPKiS9_S9_iPKfiiiPfSC_PS2_PT2_iSB_SB_
                                        ; -- End function
	.set _Z39paged_attention_ll4mi_QKV_mfma16_kernelIDF16_hLN4vllm18Fp8KVCacheDataTypeE1EhLi16ELi128ELi256ELb0ELi6EEvPKT_PKT0_S7_ifPKiS9_S9_iPKfiiiPfSC_PS2_PT2_iSB_SB_.num_vgpr, max(3, .L__assert_fail.num_vgpr)
	.set _Z39paged_attention_ll4mi_QKV_mfma16_kernelIDF16_hLN4vllm18Fp8KVCacheDataTypeE1EhLi16ELi128ELi256ELb0ELi6EEvPKT_PKT0_S7_ifPKiS9_S9_iPKfiiiPfSC_PS2_PT2_iSB_SB_.num_agpr, max(0, .L__assert_fail.num_agpr)
	.set _Z39paged_attention_ll4mi_QKV_mfma16_kernelIDF16_hLN4vllm18Fp8KVCacheDataTypeE1EhLi16ELi128ELi256ELb0ELi6EEvPKT_PKT0_S7_ifPKiS9_S9_iPKfiiiPfSC_PS2_PT2_iSB_SB_.numbered_sgpr, max(33, .L__assert_fail.numbered_sgpr)
	.set _Z39paged_attention_ll4mi_QKV_mfma16_kernelIDF16_hLN4vllm18Fp8KVCacheDataTypeE1EhLi16ELi128ELi256ELb0ELi6EEvPKT_PKT0_S7_ifPKiS9_S9_iPKfiiiPfSC_PS2_PT2_iSB_SB_.num_named_barrier, max(0, .L__assert_fail.num_named_barrier)
	.set _Z39paged_attention_ll4mi_QKV_mfma16_kernelIDF16_hLN4vllm18Fp8KVCacheDataTypeE1EhLi16ELi128ELi256ELb0ELi6EEvPKT_PKT0_S7_ifPKiS9_S9_iPKfiiiPfSC_PS2_PT2_iSB_SB_.private_seg_size, 0+max(.L__assert_fail.private_seg_size)
	.set _Z39paged_attention_ll4mi_QKV_mfma16_kernelIDF16_hLN4vllm18Fp8KVCacheDataTypeE1EhLi16ELi128ELi256ELb0ELi6EEvPKT_PKT0_S7_ifPKiS9_S9_iPKfiiiPfSC_PS2_PT2_iSB_SB_.uses_vcc, or(1, .L__assert_fail.uses_vcc)
	.set _Z39paged_attention_ll4mi_QKV_mfma16_kernelIDF16_hLN4vllm18Fp8KVCacheDataTypeE1EhLi16ELi128ELi256ELb0ELi6EEvPKT_PKT0_S7_ifPKiS9_S9_iPKfiiiPfSC_PS2_PT2_iSB_SB_.uses_flat_scratch, or(0, .L__assert_fail.uses_flat_scratch)
	.set _Z39paged_attention_ll4mi_QKV_mfma16_kernelIDF16_hLN4vllm18Fp8KVCacheDataTypeE1EhLi16ELi128ELi256ELb0ELi6EEvPKT_PKT0_S7_ifPKiS9_S9_iPKfiiiPfSC_PS2_PT2_iSB_SB_.has_dyn_sized_stack, or(0, .L__assert_fail.has_dyn_sized_stack)
	.set _Z39paged_attention_ll4mi_QKV_mfma16_kernelIDF16_hLN4vllm18Fp8KVCacheDataTypeE1EhLi16ELi128ELi256ELb0ELi6EEvPKT_PKT0_S7_ifPKiS9_S9_iPKfiiiPfSC_PS2_PT2_iSB_SB_.has_recursion, or(0, .L__assert_fail.has_recursion)
	.set _Z39paged_attention_ll4mi_QKV_mfma16_kernelIDF16_hLN4vllm18Fp8KVCacheDataTypeE1EhLi16ELi128ELi256ELb0ELi6EEvPKT_PKT0_S7_ifPKiS9_S9_iPKfiiiPfSC_PS2_PT2_iSB_SB_.has_indirect_call, or(0, .L__assert_fail.has_indirect_call)
	.section	.AMDGPU.csdata,"",@progbits
; Kernel info:
; codeLenInByte = 68
; TotalNumSgprs: 36
; NumVgprs: 51
; ScratchSize: 64
; MemoryBound: 0
; FloatMode: 240
; IeeeMode: 1
; LDSByteSize: 0 bytes/workgroup (compile time only)
; SGPRBlocks: 0
; VGPRBlocks: 3
; NumSGPRsForWavesPerEU: 36
; NumVGPRsForWavesPerEU: 51
; NamedBarCnt: 0
; Occupancy: 16
; WaveLimiterHint : 1
; COMPUTE_PGM_RSRC2:SCRATCH_EN: 1
; COMPUTE_PGM_RSRC2:USER_SGPR: 2
; COMPUTE_PGM_RSRC2:TRAP_HANDLER: 0
; COMPUTE_PGM_RSRC2:TGID_X_EN: 1
; COMPUTE_PGM_RSRC2:TGID_Y_EN: 0
; COMPUTE_PGM_RSRC2:TGID_Z_EN: 0
; COMPUTE_PGM_RSRC2:TIDIG_COMP_CNT: 0
	.section	.text._Z39paged_attention_ll4mi_QKV_mfma16_kernelIDF16_hLN4vllm18Fp8KVCacheDataTypeE1EhLi16ELi128ELi256ELb0ELi7EEvPKT_PKT0_S7_ifPKiS9_S9_iPKfiiiPfSC_PS2_PT2_iSB_SB_,"axG",@progbits,_Z39paged_attention_ll4mi_QKV_mfma16_kernelIDF16_hLN4vllm18Fp8KVCacheDataTypeE1EhLi16ELi128ELi256ELb0ELi7EEvPKT_PKT0_S7_ifPKiS9_S9_iPKfiiiPfSC_PS2_PT2_iSB_SB_,comdat
	.protected	_Z39paged_attention_ll4mi_QKV_mfma16_kernelIDF16_hLN4vllm18Fp8KVCacheDataTypeE1EhLi16ELi128ELi256ELb0ELi7EEvPKT_PKT0_S7_ifPKiS9_S9_iPKfiiiPfSC_PS2_PT2_iSB_SB_ ; -- Begin function _Z39paged_attention_ll4mi_QKV_mfma16_kernelIDF16_hLN4vllm18Fp8KVCacheDataTypeE1EhLi16ELi128ELi256ELb0ELi7EEvPKT_PKT0_S7_ifPKiS9_S9_iPKfiiiPfSC_PS2_PT2_iSB_SB_
	.globl	_Z39paged_attention_ll4mi_QKV_mfma16_kernelIDF16_hLN4vllm18Fp8KVCacheDataTypeE1EhLi16ELi128ELi256ELb0ELi7EEvPKT_PKT0_S7_ifPKiS9_S9_iPKfiiiPfSC_PS2_PT2_iSB_SB_
	.p2align	8
	.type	_Z39paged_attention_ll4mi_QKV_mfma16_kernelIDF16_hLN4vllm18Fp8KVCacheDataTypeE1EhLi16ELi128ELi256ELb0ELi7EEvPKT_PKT0_S7_ifPKiS9_S9_iPKfiiiPfSC_PS2_PT2_iSB_SB_,@function
_Z39paged_attention_ll4mi_QKV_mfma16_kernelIDF16_hLN4vllm18Fp8KVCacheDataTypeE1EhLi16ELi128ELi256ELb0ELi7EEvPKT_PKT0_S7_ifPKiS9_S9_iPKfiiiPfSC_PS2_PT2_iSB_SB_: ; @_Z39paged_attention_ll4mi_QKV_mfma16_kernelIDF16_hLN4vllm18Fp8KVCacheDataTypeE1EhLi16ELi128ELi256ELb0ELi7EEvPKT_PKT0_S7_ifPKiS9_S9_iPKfiiiPfSC_PS2_PT2_iSB_SB_
; %bb.0:
	s_get_pc_i64 s[2:3]
	s_add_nc_u64 s[2:3], s[2:3], __PRETTY_FUNCTION__._Z39paged_attention_ll4mi_QKV_mfma16_kernelIDF16_hLN4vllm18Fp8KVCacheDataTypeE1EhLi16ELi128ELi256ELb0ELi7EEvPKT_PKT0_S7_ifPKiS9_S9_iPKfiiiPfSC_PS2_PT2_iSB_SB_@rel64+4
	s_delay_alu instid0(SALU_CYCLE_1)
	v_dual_mov_b32 v0, 0xbb3 :: v_dual_mov_b32 v1, s2
	v_mov_b32_e32 v2, s3
	s_add_nc_u64 s[8:9], s[0:1], 0x90
	s_get_pc_i64 s[0:1]
	s_add_nc_u64 s[0:1], s[0:1], __assert_fail@rel64+4
	s_mov_b32 s32, 0
	s_swap_pc_i64 s[30:31], s[0:1]
	.section	.rodata,"a",@progbits
	.p2align	6, 0x0
	.amdhsa_kernel _Z39paged_attention_ll4mi_QKV_mfma16_kernelIDF16_hLN4vllm18Fp8KVCacheDataTypeE1EhLi16ELi128ELi256ELb0ELi7EEvPKT_PKT0_S7_ifPKiS9_S9_iPKfiiiPfSC_PS2_PT2_iSB_SB_
		.amdhsa_group_segment_fixed_size 0
		.amdhsa_private_segment_fixed_size 64
		.amdhsa_kernarg_size 400
		.amdhsa_user_sgpr_count 2
		.amdhsa_user_sgpr_dispatch_ptr 0
		.amdhsa_user_sgpr_queue_ptr 0
		.amdhsa_user_sgpr_kernarg_segment_ptr 1
		.amdhsa_user_sgpr_dispatch_id 0
		.amdhsa_user_sgpr_kernarg_preload_length 0
		.amdhsa_user_sgpr_kernarg_preload_offset 0
		.amdhsa_user_sgpr_private_segment_size 0
		.amdhsa_wavefront_size32 1
		.amdhsa_uses_dynamic_stack 0
		.amdhsa_enable_private_segment 1
		.amdhsa_system_sgpr_workgroup_id_x 1
		.amdhsa_system_sgpr_workgroup_id_y 0
		.amdhsa_system_sgpr_workgroup_id_z 0
		.amdhsa_system_sgpr_workgroup_info 0
		.amdhsa_system_vgpr_workitem_id 0
		.amdhsa_next_free_vgpr 51
		.amdhsa_next_free_sgpr 34
		.amdhsa_named_barrier_count 0
		.amdhsa_reserve_vcc 1
		.amdhsa_float_round_mode_32 0
		.amdhsa_float_round_mode_16_64 0
		.amdhsa_float_denorm_mode_32 3
		.amdhsa_float_denorm_mode_16_64 3
		.amdhsa_fp16_overflow 0
		.amdhsa_memory_ordered 1
		.amdhsa_forward_progress 1
		.amdhsa_inst_pref_size 1
		.amdhsa_round_robin_scheduling 0
		.amdhsa_exception_fp_ieee_invalid_op 0
		.amdhsa_exception_fp_denorm_src 0
		.amdhsa_exception_fp_ieee_div_zero 0
		.amdhsa_exception_fp_ieee_overflow 0
		.amdhsa_exception_fp_ieee_underflow 0
		.amdhsa_exception_fp_ieee_inexact 0
		.amdhsa_exception_int_div_zero 0
	.end_amdhsa_kernel
	.section	.text._Z39paged_attention_ll4mi_QKV_mfma16_kernelIDF16_hLN4vllm18Fp8KVCacheDataTypeE1EhLi16ELi128ELi256ELb0ELi7EEvPKT_PKT0_S7_ifPKiS9_S9_iPKfiiiPfSC_PS2_PT2_iSB_SB_,"axG",@progbits,_Z39paged_attention_ll4mi_QKV_mfma16_kernelIDF16_hLN4vllm18Fp8KVCacheDataTypeE1EhLi16ELi128ELi256ELb0ELi7EEvPKT_PKT0_S7_ifPKiS9_S9_iPKfiiiPfSC_PS2_PT2_iSB_SB_,comdat
.Lfunc_end956:
	.size	_Z39paged_attention_ll4mi_QKV_mfma16_kernelIDF16_hLN4vllm18Fp8KVCacheDataTypeE1EhLi16ELi128ELi256ELb0ELi7EEvPKT_PKT0_S7_ifPKiS9_S9_iPKfiiiPfSC_PS2_PT2_iSB_SB_, .Lfunc_end956-_Z39paged_attention_ll4mi_QKV_mfma16_kernelIDF16_hLN4vllm18Fp8KVCacheDataTypeE1EhLi16ELi128ELi256ELb0ELi7EEvPKT_PKT0_S7_ifPKiS9_S9_iPKfiiiPfSC_PS2_PT2_iSB_SB_
                                        ; -- End function
	.set _Z39paged_attention_ll4mi_QKV_mfma16_kernelIDF16_hLN4vllm18Fp8KVCacheDataTypeE1EhLi16ELi128ELi256ELb0ELi7EEvPKT_PKT0_S7_ifPKiS9_S9_iPKfiiiPfSC_PS2_PT2_iSB_SB_.num_vgpr, max(3, .L__assert_fail.num_vgpr)
	.set _Z39paged_attention_ll4mi_QKV_mfma16_kernelIDF16_hLN4vllm18Fp8KVCacheDataTypeE1EhLi16ELi128ELi256ELb0ELi7EEvPKT_PKT0_S7_ifPKiS9_S9_iPKfiiiPfSC_PS2_PT2_iSB_SB_.num_agpr, max(0, .L__assert_fail.num_agpr)
	.set _Z39paged_attention_ll4mi_QKV_mfma16_kernelIDF16_hLN4vllm18Fp8KVCacheDataTypeE1EhLi16ELi128ELi256ELb0ELi7EEvPKT_PKT0_S7_ifPKiS9_S9_iPKfiiiPfSC_PS2_PT2_iSB_SB_.numbered_sgpr, max(33, .L__assert_fail.numbered_sgpr)
	.set _Z39paged_attention_ll4mi_QKV_mfma16_kernelIDF16_hLN4vllm18Fp8KVCacheDataTypeE1EhLi16ELi128ELi256ELb0ELi7EEvPKT_PKT0_S7_ifPKiS9_S9_iPKfiiiPfSC_PS2_PT2_iSB_SB_.num_named_barrier, max(0, .L__assert_fail.num_named_barrier)
	.set _Z39paged_attention_ll4mi_QKV_mfma16_kernelIDF16_hLN4vllm18Fp8KVCacheDataTypeE1EhLi16ELi128ELi256ELb0ELi7EEvPKT_PKT0_S7_ifPKiS9_S9_iPKfiiiPfSC_PS2_PT2_iSB_SB_.private_seg_size, 0+max(.L__assert_fail.private_seg_size)
	.set _Z39paged_attention_ll4mi_QKV_mfma16_kernelIDF16_hLN4vllm18Fp8KVCacheDataTypeE1EhLi16ELi128ELi256ELb0ELi7EEvPKT_PKT0_S7_ifPKiS9_S9_iPKfiiiPfSC_PS2_PT2_iSB_SB_.uses_vcc, or(1, .L__assert_fail.uses_vcc)
	.set _Z39paged_attention_ll4mi_QKV_mfma16_kernelIDF16_hLN4vllm18Fp8KVCacheDataTypeE1EhLi16ELi128ELi256ELb0ELi7EEvPKT_PKT0_S7_ifPKiS9_S9_iPKfiiiPfSC_PS2_PT2_iSB_SB_.uses_flat_scratch, or(0, .L__assert_fail.uses_flat_scratch)
	.set _Z39paged_attention_ll4mi_QKV_mfma16_kernelIDF16_hLN4vllm18Fp8KVCacheDataTypeE1EhLi16ELi128ELi256ELb0ELi7EEvPKT_PKT0_S7_ifPKiS9_S9_iPKfiiiPfSC_PS2_PT2_iSB_SB_.has_dyn_sized_stack, or(0, .L__assert_fail.has_dyn_sized_stack)
	.set _Z39paged_attention_ll4mi_QKV_mfma16_kernelIDF16_hLN4vllm18Fp8KVCacheDataTypeE1EhLi16ELi128ELi256ELb0ELi7EEvPKT_PKT0_S7_ifPKiS9_S9_iPKfiiiPfSC_PS2_PT2_iSB_SB_.has_recursion, or(0, .L__assert_fail.has_recursion)
	.set _Z39paged_attention_ll4mi_QKV_mfma16_kernelIDF16_hLN4vllm18Fp8KVCacheDataTypeE1EhLi16ELi128ELi256ELb0ELi7EEvPKT_PKT0_S7_ifPKiS9_S9_iPKfiiiPfSC_PS2_PT2_iSB_SB_.has_indirect_call, or(0, .L__assert_fail.has_indirect_call)
	.section	.AMDGPU.csdata,"",@progbits
; Kernel info:
; codeLenInByte = 68
; TotalNumSgprs: 36
; NumVgprs: 51
; ScratchSize: 64
; MemoryBound: 0
; FloatMode: 240
; IeeeMode: 1
; LDSByteSize: 0 bytes/workgroup (compile time only)
; SGPRBlocks: 0
; VGPRBlocks: 3
; NumSGPRsForWavesPerEU: 36
; NumVGPRsForWavesPerEU: 51
; NamedBarCnt: 0
; Occupancy: 16
; WaveLimiterHint : 1
; COMPUTE_PGM_RSRC2:SCRATCH_EN: 1
; COMPUTE_PGM_RSRC2:USER_SGPR: 2
; COMPUTE_PGM_RSRC2:TRAP_HANDLER: 0
; COMPUTE_PGM_RSRC2:TGID_X_EN: 1
; COMPUTE_PGM_RSRC2:TGID_Y_EN: 0
; COMPUTE_PGM_RSRC2:TGID_Z_EN: 0
; COMPUTE_PGM_RSRC2:TIDIG_COMP_CNT: 0
	.section	.text._Z39paged_attention_ll4mi_QKV_mfma16_kernelIDF16_hLN4vllm18Fp8KVCacheDataTypeE1EhLi16ELi128ELi256ELb0ELi8EEvPKT_PKT0_S7_ifPKiS9_S9_iPKfiiiPfSC_PS2_PT2_iSB_SB_,"axG",@progbits,_Z39paged_attention_ll4mi_QKV_mfma16_kernelIDF16_hLN4vllm18Fp8KVCacheDataTypeE1EhLi16ELi128ELi256ELb0ELi8EEvPKT_PKT0_S7_ifPKiS9_S9_iPKfiiiPfSC_PS2_PT2_iSB_SB_,comdat
	.protected	_Z39paged_attention_ll4mi_QKV_mfma16_kernelIDF16_hLN4vllm18Fp8KVCacheDataTypeE1EhLi16ELi128ELi256ELb0ELi8EEvPKT_PKT0_S7_ifPKiS9_S9_iPKfiiiPfSC_PS2_PT2_iSB_SB_ ; -- Begin function _Z39paged_attention_ll4mi_QKV_mfma16_kernelIDF16_hLN4vllm18Fp8KVCacheDataTypeE1EhLi16ELi128ELi256ELb0ELi8EEvPKT_PKT0_S7_ifPKiS9_S9_iPKfiiiPfSC_PS2_PT2_iSB_SB_
	.globl	_Z39paged_attention_ll4mi_QKV_mfma16_kernelIDF16_hLN4vllm18Fp8KVCacheDataTypeE1EhLi16ELi128ELi256ELb0ELi8EEvPKT_PKT0_S7_ifPKiS9_S9_iPKfiiiPfSC_PS2_PT2_iSB_SB_
	.p2align	8
	.type	_Z39paged_attention_ll4mi_QKV_mfma16_kernelIDF16_hLN4vllm18Fp8KVCacheDataTypeE1EhLi16ELi128ELi256ELb0ELi8EEvPKT_PKT0_S7_ifPKiS9_S9_iPKfiiiPfSC_PS2_PT2_iSB_SB_,@function
_Z39paged_attention_ll4mi_QKV_mfma16_kernelIDF16_hLN4vllm18Fp8KVCacheDataTypeE1EhLi16ELi128ELi256ELb0ELi8EEvPKT_PKT0_S7_ifPKiS9_S9_iPKfiiiPfSC_PS2_PT2_iSB_SB_: ; @_Z39paged_attention_ll4mi_QKV_mfma16_kernelIDF16_hLN4vllm18Fp8KVCacheDataTypeE1EhLi16ELi128ELi256ELb0ELi8EEvPKT_PKT0_S7_ifPKiS9_S9_iPKfiiiPfSC_PS2_PT2_iSB_SB_
; %bb.0:
	s_get_pc_i64 s[2:3]
	s_add_nc_u64 s[2:3], s[2:3], __PRETTY_FUNCTION__._Z39paged_attention_ll4mi_QKV_mfma16_kernelIDF16_hLN4vllm18Fp8KVCacheDataTypeE1EhLi16ELi128ELi256ELb0ELi8EEvPKT_PKT0_S7_ifPKiS9_S9_iPKfiiiPfSC_PS2_PT2_iSB_SB_@rel64+4
	s_delay_alu instid0(SALU_CYCLE_1)
	v_dual_mov_b32 v0, 0xbb3 :: v_dual_mov_b32 v1, s2
	v_mov_b32_e32 v2, s3
	s_add_nc_u64 s[8:9], s[0:1], 0x90
	s_get_pc_i64 s[0:1]
	s_add_nc_u64 s[0:1], s[0:1], __assert_fail@rel64+4
	s_mov_b32 s32, 0
	s_swap_pc_i64 s[30:31], s[0:1]
	.section	.rodata,"a",@progbits
	.p2align	6, 0x0
	.amdhsa_kernel _Z39paged_attention_ll4mi_QKV_mfma16_kernelIDF16_hLN4vllm18Fp8KVCacheDataTypeE1EhLi16ELi128ELi256ELb0ELi8EEvPKT_PKT0_S7_ifPKiS9_S9_iPKfiiiPfSC_PS2_PT2_iSB_SB_
		.amdhsa_group_segment_fixed_size 0
		.amdhsa_private_segment_fixed_size 64
		.amdhsa_kernarg_size 400
		.amdhsa_user_sgpr_count 2
		.amdhsa_user_sgpr_dispatch_ptr 0
		.amdhsa_user_sgpr_queue_ptr 0
		.amdhsa_user_sgpr_kernarg_segment_ptr 1
		.amdhsa_user_sgpr_dispatch_id 0
		.amdhsa_user_sgpr_kernarg_preload_length 0
		.amdhsa_user_sgpr_kernarg_preload_offset 0
		.amdhsa_user_sgpr_private_segment_size 0
		.amdhsa_wavefront_size32 1
		.amdhsa_uses_dynamic_stack 0
		.amdhsa_enable_private_segment 1
		.amdhsa_system_sgpr_workgroup_id_x 1
		.amdhsa_system_sgpr_workgroup_id_y 0
		.amdhsa_system_sgpr_workgroup_id_z 0
		.amdhsa_system_sgpr_workgroup_info 0
		.amdhsa_system_vgpr_workitem_id 0
		.amdhsa_next_free_vgpr 51
		.amdhsa_next_free_sgpr 34
		.amdhsa_named_barrier_count 0
		.amdhsa_reserve_vcc 1
		.amdhsa_float_round_mode_32 0
		.amdhsa_float_round_mode_16_64 0
		.amdhsa_float_denorm_mode_32 3
		.amdhsa_float_denorm_mode_16_64 3
		.amdhsa_fp16_overflow 0
		.amdhsa_memory_ordered 1
		.amdhsa_forward_progress 1
		.amdhsa_inst_pref_size 1
		.amdhsa_round_robin_scheduling 0
		.amdhsa_exception_fp_ieee_invalid_op 0
		.amdhsa_exception_fp_denorm_src 0
		.amdhsa_exception_fp_ieee_div_zero 0
		.amdhsa_exception_fp_ieee_overflow 0
		.amdhsa_exception_fp_ieee_underflow 0
		.amdhsa_exception_fp_ieee_inexact 0
		.amdhsa_exception_int_div_zero 0
	.end_amdhsa_kernel
	.section	.text._Z39paged_attention_ll4mi_QKV_mfma16_kernelIDF16_hLN4vllm18Fp8KVCacheDataTypeE1EhLi16ELi128ELi256ELb0ELi8EEvPKT_PKT0_S7_ifPKiS9_S9_iPKfiiiPfSC_PS2_PT2_iSB_SB_,"axG",@progbits,_Z39paged_attention_ll4mi_QKV_mfma16_kernelIDF16_hLN4vllm18Fp8KVCacheDataTypeE1EhLi16ELi128ELi256ELb0ELi8EEvPKT_PKT0_S7_ifPKiS9_S9_iPKfiiiPfSC_PS2_PT2_iSB_SB_,comdat
.Lfunc_end957:
	.size	_Z39paged_attention_ll4mi_QKV_mfma16_kernelIDF16_hLN4vllm18Fp8KVCacheDataTypeE1EhLi16ELi128ELi256ELb0ELi8EEvPKT_PKT0_S7_ifPKiS9_S9_iPKfiiiPfSC_PS2_PT2_iSB_SB_, .Lfunc_end957-_Z39paged_attention_ll4mi_QKV_mfma16_kernelIDF16_hLN4vllm18Fp8KVCacheDataTypeE1EhLi16ELi128ELi256ELb0ELi8EEvPKT_PKT0_S7_ifPKiS9_S9_iPKfiiiPfSC_PS2_PT2_iSB_SB_
                                        ; -- End function
	.set _Z39paged_attention_ll4mi_QKV_mfma16_kernelIDF16_hLN4vllm18Fp8KVCacheDataTypeE1EhLi16ELi128ELi256ELb0ELi8EEvPKT_PKT0_S7_ifPKiS9_S9_iPKfiiiPfSC_PS2_PT2_iSB_SB_.num_vgpr, max(3, .L__assert_fail.num_vgpr)
	.set _Z39paged_attention_ll4mi_QKV_mfma16_kernelIDF16_hLN4vllm18Fp8KVCacheDataTypeE1EhLi16ELi128ELi256ELb0ELi8EEvPKT_PKT0_S7_ifPKiS9_S9_iPKfiiiPfSC_PS2_PT2_iSB_SB_.num_agpr, max(0, .L__assert_fail.num_agpr)
	.set _Z39paged_attention_ll4mi_QKV_mfma16_kernelIDF16_hLN4vllm18Fp8KVCacheDataTypeE1EhLi16ELi128ELi256ELb0ELi8EEvPKT_PKT0_S7_ifPKiS9_S9_iPKfiiiPfSC_PS2_PT2_iSB_SB_.numbered_sgpr, max(33, .L__assert_fail.numbered_sgpr)
	.set _Z39paged_attention_ll4mi_QKV_mfma16_kernelIDF16_hLN4vllm18Fp8KVCacheDataTypeE1EhLi16ELi128ELi256ELb0ELi8EEvPKT_PKT0_S7_ifPKiS9_S9_iPKfiiiPfSC_PS2_PT2_iSB_SB_.num_named_barrier, max(0, .L__assert_fail.num_named_barrier)
	.set _Z39paged_attention_ll4mi_QKV_mfma16_kernelIDF16_hLN4vllm18Fp8KVCacheDataTypeE1EhLi16ELi128ELi256ELb0ELi8EEvPKT_PKT0_S7_ifPKiS9_S9_iPKfiiiPfSC_PS2_PT2_iSB_SB_.private_seg_size, 0+max(.L__assert_fail.private_seg_size)
	.set _Z39paged_attention_ll4mi_QKV_mfma16_kernelIDF16_hLN4vllm18Fp8KVCacheDataTypeE1EhLi16ELi128ELi256ELb0ELi8EEvPKT_PKT0_S7_ifPKiS9_S9_iPKfiiiPfSC_PS2_PT2_iSB_SB_.uses_vcc, or(1, .L__assert_fail.uses_vcc)
	.set _Z39paged_attention_ll4mi_QKV_mfma16_kernelIDF16_hLN4vllm18Fp8KVCacheDataTypeE1EhLi16ELi128ELi256ELb0ELi8EEvPKT_PKT0_S7_ifPKiS9_S9_iPKfiiiPfSC_PS2_PT2_iSB_SB_.uses_flat_scratch, or(0, .L__assert_fail.uses_flat_scratch)
	.set _Z39paged_attention_ll4mi_QKV_mfma16_kernelIDF16_hLN4vllm18Fp8KVCacheDataTypeE1EhLi16ELi128ELi256ELb0ELi8EEvPKT_PKT0_S7_ifPKiS9_S9_iPKfiiiPfSC_PS2_PT2_iSB_SB_.has_dyn_sized_stack, or(0, .L__assert_fail.has_dyn_sized_stack)
	.set _Z39paged_attention_ll4mi_QKV_mfma16_kernelIDF16_hLN4vllm18Fp8KVCacheDataTypeE1EhLi16ELi128ELi256ELb0ELi8EEvPKT_PKT0_S7_ifPKiS9_S9_iPKfiiiPfSC_PS2_PT2_iSB_SB_.has_recursion, or(0, .L__assert_fail.has_recursion)
	.set _Z39paged_attention_ll4mi_QKV_mfma16_kernelIDF16_hLN4vllm18Fp8KVCacheDataTypeE1EhLi16ELi128ELi256ELb0ELi8EEvPKT_PKT0_S7_ifPKiS9_S9_iPKfiiiPfSC_PS2_PT2_iSB_SB_.has_indirect_call, or(0, .L__assert_fail.has_indirect_call)
	.section	.AMDGPU.csdata,"",@progbits
; Kernel info:
; codeLenInByte = 68
; TotalNumSgprs: 36
; NumVgprs: 51
; ScratchSize: 64
; MemoryBound: 0
; FloatMode: 240
; IeeeMode: 1
; LDSByteSize: 0 bytes/workgroup (compile time only)
; SGPRBlocks: 0
; VGPRBlocks: 3
; NumSGPRsForWavesPerEU: 36
; NumVGPRsForWavesPerEU: 51
; NamedBarCnt: 0
; Occupancy: 16
; WaveLimiterHint : 1
; COMPUTE_PGM_RSRC2:SCRATCH_EN: 1
; COMPUTE_PGM_RSRC2:USER_SGPR: 2
; COMPUTE_PGM_RSRC2:TRAP_HANDLER: 0
; COMPUTE_PGM_RSRC2:TGID_X_EN: 1
; COMPUTE_PGM_RSRC2:TGID_Y_EN: 0
; COMPUTE_PGM_RSRC2:TGID_Z_EN: 0
; COMPUTE_PGM_RSRC2:TIDIG_COMP_CNT: 0
	.section	.text._Z39paged_attention_ll4mi_QKV_mfma16_kernelIDF16_hLN4vllm18Fp8KVCacheDataTypeE1EhLi16ELi128ELi256ELb0ELi9EEvPKT_PKT0_S7_ifPKiS9_S9_iPKfiiiPfSC_PS2_PT2_iSB_SB_,"axG",@progbits,_Z39paged_attention_ll4mi_QKV_mfma16_kernelIDF16_hLN4vllm18Fp8KVCacheDataTypeE1EhLi16ELi128ELi256ELb0ELi9EEvPKT_PKT0_S7_ifPKiS9_S9_iPKfiiiPfSC_PS2_PT2_iSB_SB_,comdat
	.protected	_Z39paged_attention_ll4mi_QKV_mfma16_kernelIDF16_hLN4vllm18Fp8KVCacheDataTypeE1EhLi16ELi128ELi256ELb0ELi9EEvPKT_PKT0_S7_ifPKiS9_S9_iPKfiiiPfSC_PS2_PT2_iSB_SB_ ; -- Begin function _Z39paged_attention_ll4mi_QKV_mfma16_kernelIDF16_hLN4vllm18Fp8KVCacheDataTypeE1EhLi16ELi128ELi256ELb0ELi9EEvPKT_PKT0_S7_ifPKiS9_S9_iPKfiiiPfSC_PS2_PT2_iSB_SB_
	.globl	_Z39paged_attention_ll4mi_QKV_mfma16_kernelIDF16_hLN4vllm18Fp8KVCacheDataTypeE1EhLi16ELi128ELi256ELb0ELi9EEvPKT_PKT0_S7_ifPKiS9_S9_iPKfiiiPfSC_PS2_PT2_iSB_SB_
	.p2align	8
	.type	_Z39paged_attention_ll4mi_QKV_mfma16_kernelIDF16_hLN4vllm18Fp8KVCacheDataTypeE1EhLi16ELi128ELi256ELb0ELi9EEvPKT_PKT0_S7_ifPKiS9_S9_iPKfiiiPfSC_PS2_PT2_iSB_SB_,@function
_Z39paged_attention_ll4mi_QKV_mfma16_kernelIDF16_hLN4vllm18Fp8KVCacheDataTypeE1EhLi16ELi128ELi256ELb0ELi9EEvPKT_PKT0_S7_ifPKiS9_S9_iPKfiiiPfSC_PS2_PT2_iSB_SB_: ; @_Z39paged_attention_ll4mi_QKV_mfma16_kernelIDF16_hLN4vllm18Fp8KVCacheDataTypeE1EhLi16ELi128ELi256ELb0ELi9EEvPKT_PKT0_S7_ifPKiS9_S9_iPKfiiiPfSC_PS2_PT2_iSB_SB_
; %bb.0:
	s_get_pc_i64 s[2:3]
	s_add_nc_u64 s[2:3], s[2:3], __PRETTY_FUNCTION__._Z39paged_attention_ll4mi_QKV_mfma16_kernelIDF16_hLN4vllm18Fp8KVCacheDataTypeE1EhLi16ELi128ELi256ELb0ELi9EEvPKT_PKT0_S7_ifPKiS9_S9_iPKfiiiPfSC_PS2_PT2_iSB_SB_@rel64+4
	s_delay_alu instid0(SALU_CYCLE_1)
	v_dual_mov_b32 v0, 0xbb3 :: v_dual_mov_b32 v1, s2
	v_mov_b32_e32 v2, s3
	s_add_nc_u64 s[8:9], s[0:1], 0x90
	s_get_pc_i64 s[0:1]
	s_add_nc_u64 s[0:1], s[0:1], __assert_fail@rel64+4
	s_mov_b32 s32, 0
	s_swap_pc_i64 s[30:31], s[0:1]
	.section	.rodata,"a",@progbits
	.p2align	6, 0x0
	.amdhsa_kernel _Z39paged_attention_ll4mi_QKV_mfma16_kernelIDF16_hLN4vllm18Fp8KVCacheDataTypeE1EhLi16ELi128ELi256ELb0ELi9EEvPKT_PKT0_S7_ifPKiS9_S9_iPKfiiiPfSC_PS2_PT2_iSB_SB_
		.amdhsa_group_segment_fixed_size 0
		.amdhsa_private_segment_fixed_size 64
		.amdhsa_kernarg_size 400
		.amdhsa_user_sgpr_count 2
		.amdhsa_user_sgpr_dispatch_ptr 0
		.amdhsa_user_sgpr_queue_ptr 0
		.amdhsa_user_sgpr_kernarg_segment_ptr 1
		.amdhsa_user_sgpr_dispatch_id 0
		.amdhsa_user_sgpr_kernarg_preload_length 0
		.amdhsa_user_sgpr_kernarg_preload_offset 0
		.amdhsa_user_sgpr_private_segment_size 0
		.amdhsa_wavefront_size32 1
		.amdhsa_uses_dynamic_stack 0
		.amdhsa_enable_private_segment 1
		.amdhsa_system_sgpr_workgroup_id_x 1
		.amdhsa_system_sgpr_workgroup_id_y 0
		.amdhsa_system_sgpr_workgroup_id_z 0
		.amdhsa_system_sgpr_workgroup_info 0
		.amdhsa_system_vgpr_workitem_id 0
		.amdhsa_next_free_vgpr 51
		.amdhsa_next_free_sgpr 34
		.amdhsa_named_barrier_count 0
		.amdhsa_reserve_vcc 1
		.amdhsa_float_round_mode_32 0
		.amdhsa_float_round_mode_16_64 0
		.amdhsa_float_denorm_mode_32 3
		.amdhsa_float_denorm_mode_16_64 3
		.amdhsa_fp16_overflow 0
		.amdhsa_memory_ordered 1
		.amdhsa_forward_progress 1
		.amdhsa_inst_pref_size 1
		.amdhsa_round_robin_scheduling 0
		.amdhsa_exception_fp_ieee_invalid_op 0
		.amdhsa_exception_fp_denorm_src 0
		.amdhsa_exception_fp_ieee_div_zero 0
		.amdhsa_exception_fp_ieee_overflow 0
		.amdhsa_exception_fp_ieee_underflow 0
		.amdhsa_exception_fp_ieee_inexact 0
		.amdhsa_exception_int_div_zero 0
	.end_amdhsa_kernel
	.section	.text._Z39paged_attention_ll4mi_QKV_mfma16_kernelIDF16_hLN4vllm18Fp8KVCacheDataTypeE1EhLi16ELi128ELi256ELb0ELi9EEvPKT_PKT0_S7_ifPKiS9_S9_iPKfiiiPfSC_PS2_PT2_iSB_SB_,"axG",@progbits,_Z39paged_attention_ll4mi_QKV_mfma16_kernelIDF16_hLN4vllm18Fp8KVCacheDataTypeE1EhLi16ELi128ELi256ELb0ELi9EEvPKT_PKT0_S7_ifPKiS9_S9_iPKfiiiPfSC_PS2_PT2_iSB_SB_,comdat
.Lfunc_end958:
	.size	_Z39paged_attention_ll4mi_QKV_mfma16_kernelIDF16_hLN4vllm18Fp8KVCacheDataTypeE1EhLi16ELi128ELi256ELb0ELi9EEvPKT_PKT0_S7_ifPKiS9_S9_iPKfiiiPfSC_PS2_PT2_iSB_SB_, .Lfunc_end958-_Z39paged_attention_ll4mi_QKV_mfma16_kernelIDF16_hLN4vllm18Fp8KVCacheDataTypeE1EhLi16ELi128ELi256ELb0ELi9EEvPKT_PKT0_S7_ifPKiS9_S9_iPKfiiiPfSC_PS2_PT2_iSB_SB_
                                        ; -- End function
	.set _Z39paged_attention_ll4mi_QKV_mfma16_kernelIDF16_hLN4vllm18Fp8KVCacheDataTypeE1EhLi16ELi128ELi256ELb0ELi9EEvPKT_PKT0_S7_ifPKiS9_S9_iPKfiiiPfSC_PS2_PT2_iSB_SB_.num_vgpr, max(3, .L__assert_fail.num_vgpr)
	.set _Z39paged_attention_ll4mi_QKV_mfma16_kernelIDF16_hLN4vllm18Fp8KVCacheDataTypeE1EhLi16ELi128ELi256ELb0ELi9EEvPKT_PKT0_S7_ifPKiS9_S9_iPKfiiiPfSC_PS2_PT2_iSB_SB_.num_agpr, max(0, .L__assert_fail.num_agpr)
	.set _Z39paged_attention_ll4mi_QKV_mfma16_kernelIDF16_hLN4vllm18Fp8KVCacheDataTypeE1EhLi16ELi128ELi256ELb0ELi9EEvPKT_PKT0_S7_ifPKiS9_S9_iPKfiiiPfSC_PS2_PT2_iSB_SB_.numbered_sgpr, max(33, .L__assert_fail.numbered_sgpr)
	.set _Z39paged_attention_ll4mi_QKV_mfma16_kernelIDF16_hLN4vllm18Fp8KVCacheDataTypeE1EhLi16ELi128ELi256ELb0ELi9EEvPKT_PKT0_S7_ifPKiS9_S9_iPKfiiiPfSC_PS2_PT2_iSB_SB_.num_named_barrier, max(0, .L__assert_fail.num_named_barrier)
	.set _Z39paged_attention_ll4mi_QKV_mfma16_kernelIDF16_hLN4vllm18Fp8KVCacheDataTypeE1EhLi16ELi128ELi256ELb0ELi9EEvPKT_PKT0_S7_ifPKiS9_S9_iPKfiiiPfSC_PS2_PT2_iSB_SB_.private_seg_size, 0+max(.L__assert_fail.private_seg_size)
	.set _Z39paged_attention_ll4mi_QKV_mfma16_kernelIDF16_hLN4vllm18Fp8KVCacheDataTypeE1EhLi16ELi128ELi256ELb0ELi9EEvPKT_PKT0_S7_ifPKiS9_S9_iPKfiiiPfSC_PS2_PT2_iSB_SB_.uses_vcc, or(1, .L__assert_fail.uses_vcc)
	.set _Z39paged_attention_ll4mi_QKV_mfma16_kernelIDF16_hLN4vllm18Fp8KVCacheDataTypeE1EhLi16ELi128ELi256ELb0ELi9EEvPKT_PKT0_S7_ifPKiS9_S9_iPKfiiiPfSC_PS2_PT2_iSB_SB_.uses_flat_scratch, or(0, .L__assert_fail.uses_flat_scratch)
	.set _Z39paged_attention_ll4mi_QKV_mfma16_kernelIDF16_hLN4vllm18Fp8KVCacheDataTypeE1EhLi16ELi128ELi256ELb0ELi9EEvPKT_PKT0_S7_ifPKiS9_S9_iPKfiiiPfSC_PS2_PT2_iSB_SB_.has_dyn_sized_stack, or(0, .L__assert_fail.has_dyn_sized_stack)
	.set _Z39paged_attention_ll4mi_QKV_mfma16_kernelIDF16_hLN4vllm18Fp8KVCacheDataTypeE1EhLi16ELi128ELi256ELb0ELi9EEvPKT_PKT0_S7_ifPKiS9_S9_iPKfiiiPfSC_PS2_PT2_iSB_SB_.has_recursion, or(0, .L__assert_fail.has_recursion)
	.set _Z39paged_attention_ll4mi_QKV_mfma16_kernelIDF16_hLN4vllm18Fp8KVCacheDataTypeE1EhLi16ELi128ELi256ELb0ELi9EEvPKT_PKT0_S7_ifPKiS9_S9_iPKfiiiPfSC_PS2_PT2_iSB_SB_.has_indirect_call, or(0, .L__assert_fail.has_indirect_call)
	.section	.AMDGPU.csdata,"",@progbits
; Kernel info:
; codeLenInByte = 68
; TotalNumSgprs: 36
; NumVgprs: 51
; ScratchSize: 64
; MemoryBound: 0
; FloatMode: 240
; IeeeMode: 1
; LDSByteSize: 0 bytes/workgroup (compile time only)
; SGPRBlocks: 0
; VGPRBlocks: 3
; NumSGPRsForWavesPerEU: 36
; NumVGPRsForWavesPerEU: 51
; NamedBarCnt: 0
; Occupancy: 16
; WaveLimiterHint : 1
; COMPUTE_PGM_RSRC2:SCRATCH_EN: 1
; COMPUTE_PGM_RSRC2:USER_SGPR: 2
; COMPUTE_PGM_RSRC2:TRAP_HANDLER: 0
; COMPUTE_PGM_RSRC2:TGID_X_EN: 1
; COMPUTE_PGM_RSRC2:TGID_Y_EN: 0
; COMPUTE_PGM_RSRC2:TGID_Z_EN: 0
; COMPUTE_PGM_RSRC2:TIDIG_COMP_CNT: 0
	.section	.text._Z39paged_attention_ll4mi_QKV_mfma16_kernelIDF16_hLN4vllm18Fp8KVCacheDataTypeE1EhLi16ELi128ELi256ELb0ELi10EEvPKT_PKT0_S7_ifPKiS9_S9_iPKfiiiPfSC_PS2_PT2_iSB_SB_,"axG",@progbits,_Z39paged_attention_ll4mi_QKV_mfma16_kernelIDF16_hLN4vllm18Fp8KVCacheDataTypeE1EhLi16ELi128ELi256ELb0ELi10EEvPKT_PKT0_S7_ifPKiS9_S9_iPKfiiiPfSC_PS2_PT2_iSB_SB_,comdat
	.protected	_Z39paged_attention_ll4mi_QKV_mfma16_kernelIDF16_hLN4vllm18Fp8KVCacheDataTypeE1EhLi16ELi128ELi256ELb0ELi10EEvPKT_PKT0_S7_ifPKiS9_S9_iPKfiiiPfSC_PS2_PT2_iSB_SB_ ; -- Begin function _Z39paged_attention_ll4mi_QKV_mfma16_kernelIDF16_hLN4vllm18Fp8KVCacheDataTypeE1EhLi16ELi128ELi256ELb0ELi10EEvPKT_PKT0_S7_ifPKiS9_S9_iPKfiiiPfSC_PS2_PT2_iSB_SB_
	.globl	_Z39paged_attention_ll4mi_QKV_mfma16_kernelIDF16_hLN4vllm18Fp8KVCacheDataTypeE1EhLi16ELi128ELi256ELb0ELi10EEvPKT_PKT0_S7_ifPKiS9_S9_iPKfiiiPfSC_PS2_PT2_iSB_SB_
	.p2align	8
	.type	_Z39paged_attention_ll4mi_QKV_mfma16_kernelIDF16_hLN4vllm18Fp8KVCacheDataTypeE1EhLi16ELi128ELi256ELb0ELi10EEvPKT_PKT0_S7_ifPKiS9_S9_iPKfiiiPfSC_PS2_PT2_iSB_SB_,@function
_Z39paged_attention_ll4mi_QKV_mfma16_kernelIDF16_hLN4vllm18Fp8KVCacheDataTypeE1EhLi16ELi128ELi256ELb0ELi10EEvPKT_PKT0_S7_ifPKiS9_S9_iPKfiiiPfSC_PS2_PT2_iSB_SB_: ; @_Z39paged_attention_ll4mi_QKV_mfma16_kernelIDF16_hLN4vllm18Fp8KVCacheDataTypeE1EhLi16ELi128ELi256ELb0ELi10EEvPKT_PKT0_S7_ifPKiS9_S9_iPKfiiiPfSC_PS2_PT2_iSB_SB_
; %bb.0:
	s_get_pc_i64 s[2:3]
	s_add_nc_u64 s[2:3], s[2:3], __PRETTY_FUNCTION__._Z39paged_attention_ll4mi_QKV_mfma16_kernelIDF16_hLN4vllm18Fp8KVCacheDataTypeE1EhLi16ELi128ELi256ELb0ELi10EEvPKT_PKT0_S7_ifPKiS9_S9_iPKfiiiPfSC_PS2_PT2_iSB_SB_@rel64+4
	s_delay_alu instid0(SALU_CYCLE_1)
	v_dual_mov_b32 v0, 0xbb3 :: v_dual_mov_b32 v1, s2
	v_mov_b32_e32 v2, s3
	s_add_nc_u64 s[8:9], s[0:1], 0x90
	s_get_pc_i64 s[0:1]
	s_add_nc_u64 s[0:1], s[0:1], __assert_fail@rel64+4
	s_mov_b32 s32, 0
	s_swap_pc_i64 s[30:31], s[0:1]
	.section	.rodata,"a",@progbits
	.p2align	6, 0x0
	.amdhsa_kernel _Z39paged_attention_ll4mi_QKV_mfma16_kernelIDF16_hLN4vllm18Fp8KVCacheDataTypeE1EhLi16ELi128ELi256ELb0ELi10EEvPKT_PKT0_S7_ifPKiS9_S9_iPKfiiiPfSC_PS2_PT2_iSB_SB_
		.amdhsa_group_segment_fixed_size 0
		.amdhsa_private_segment_fixed_size 64
		.amdhsa_kernarg_size 400
		.amdhsa_user_sgpr_count 2
		.amdhsa_user_sgpr_dispatch_ptr 0
		.amdhsa_user_sgpr_queue_ptr 0
		.amdhsa_user_sgpr_kernarg_segment_ptr 1
		.amdhsa_user_sgpr_dispatch_id 0
		.amdhsa_user_sgpr_kernarg_preload_length 0
		.amdhsa_user_sgpr_kernarg_preload_offset 0
		.amdhsa_user_sgpr_private_segment_size 0
		.amdhsa_wavefront_size32 1
		.amdhsa_uses_dynamic_stack 0
		.amdhsa_enable_private_segment 1
		.amdhsa_system_sgpr_workgroup_id_x 1
		.amdhsa_system_sgpr_workgroup_id_y 0
		.amdhsa_system_sgpr_workgroup_id_z 0
		.amdhsa_system_sgpr_workgroup_info 0
		.amdhsa_system_vgpr_workitem_id 0
		.amdhsa_next_free_vgpr 51
		.amdhsa_next_free_sgpr 34
		.amdhsa_named_barrier_count 0
		.amdhsa_reserve_vcc 1
		.amdhsa_float_round_mode_32 0
		.amdhsa_float_round_mode_16_64 0
		.amdhsa_float_denorm_mode_32 3
		.amdhsa_float_denorm_mode_16_64 3
		.amdhsa_fp16_overflow 0
		.amdhsa_memory_ordered 1
		.amdhsa_forward_progress 1
		.amdhsa_inst_pref_size 1
		.amdhsa_round_robin_scheduling 0
		.amdhsa_exception_fp_ieee_invalid_op 0
		.amdhsa_exception_fp_denorm_src 0
		.amdhsa_exception_fp_ieee_div_zero 0
		.amdhsa_exception_fp_ieee_overflow 0
		.amdhsa_exception_fp_ieee_underflow 0
		.amdhsa_exception_fp_ieee_inexact 0
		.amdhsa_exception_int_div_zero 0
	.end_amdhsa_kernel
	.section	.text._Z39paged_attention_ll4mi_QKV_mfma16_kernelIDF16_hLN4vllm18Fp8KVCacheDataTypeE1EhLi16ELi128ELi256ELb0ELi10EEvPKT_PKT0_S7_ifPKiS9_S9_iPKfiiiPfSC_PS2_PT2_iSB_SB_,"axG",@progbits,_Z39paged_attention_ll4mi_QKV_mfma16_kernelIDF16_hLN4vllm18Fp8KVCacheDataTypeE1EhLi16ELi128ELi256ELb0ELi10EEvPKT_PKT0_S7_ifPKiS9_S9_iPKfiiiPfSC_PS2_PT2_iSB_SB_,comdat
.Lfunc_end959:
	.size	_Z39paged_attention_ll4mi_QKV_mfma16_kernelIDF16_hLN4vllm18Fp8KVCacheDataTypeE1EhLi16ELi128ELi256ELb0ELi10EEvPKT_PKT0_S7_ifPKiS9_S9_iPKfiiiPfSC_PS2_PT2_iSB_SB_, .Lfunc_end959-_Z39paged_attention_ll4mi_QKV_mfma16_kernelIDF16_hLN4vllm18Fp8KVCacheDataTypeE1EhLi16ELi128ELi256ELb0ELi10EEvPKT_PKT0_S7_ifPKiS9_S9_iPKfiiiPfSC_PS2_PT2_iSB_SB_
                                        ; -- End function
	.set _Z39paged_attention_ll4mi_QKV_mfma16_kernelIDF16_hLN4vllm18Fp8KVCacheDataTypeE1EhLi16ELi128ELi256ELb0ELi10EEvPKT_PKT0_S7_ifPKiS9_S9_iPKfiiiPfSC_PS2_PT2_iSB_SB_.num_vgpr, max(3, .L__assert_fail.num_vgpr)
	.set _Z39paged_attention_ll4mi_QKV_mfma16_kernelIDF16_hLN4vllm18Fp8KVCacheDataTypeE1EhLi16ELi128ELi256ELb0ELi10EEvPKT_PKT0_S7_ifPKiS9_S9_iPKfiiiPfSC_PS2_PT2_iSB_SB_.num_agpr, max(0, .L__assert_fail.num_agpr)
	.set _Z39paged_attention_ll4mi_QKV_mfma16_kernelIDF16_hLN4vllm18Fp8KVCacheDataTypeE1EhLi16ELi128ELi256ELb0ELi10EEvPKT_PKT0_S7_ifPKiS9_S9_iPKfiiiPfSC_PS2_PT2_iSB_SB_.numbered_sgpr, max(33, .L__assert_fail.numbered_sgpr)
	.set _Z39paged_attention_ll4mi_QKV_mfma16_kernelIDF16_hLN4vllm18Fp8KVCacheDataTypeE1EhLi16ELi128ELi256ELb0ELi10EEvPKT_PKT0_S7_ifPKiS9_S9_iPKfiiiPfSC_PS2_PT2_iSB_SB_.num_named_barrier, max(0, .L__assert_fail.num_named_barrier)
	.set _Z39paged_attention_ll4mi_QKV_mfma16_kernelIDF16_hLN4vllm18Fp8KVCacheDataTypeE1EhLi16ELi128ELi256ELb0ELi10EEvPKT_PKT0_S7_ifPKiS9_S9_iPKfiiiPfSC_PS2_PT2_iSB_SB_.private_seg_size, 0+max(.L__assert_fail.private_seg_size)
	.set _Z39paged_attention_ll4mi_QKV_mfma16_kernelIDF16_hLN4vllm18Fp8KVCacheDataTypeE1EhLi16ELi128ELi256ELb0ELi10EEvPKT_PKT0_S7_ifPKiS9_S9_iPKfiiiPfSC_PS2_PT2_iSB_SB_.uses_vcc, or(1, .L__assert_fail.uses_vcc)
	.set _Z39paged_attention_ll4mi_QKV_mfma16_kernelIDF16_hLN4vllm18Fp8KVCacheDataTypeE1EhLi16ELi128ELi256ELb0ELi10EEvPKT_PKT0_S7_ifPKiS9_S9_iPKfiiiPfSC_PS2_PT2_iSB_SB_.uses_flat_scratch, or(0, .L__assert_fail.uses_flat_scratch)
	.set _Z39paged_attention_ll4mi_QKV_mfma16_kernelIDF16_hLN4vllm18Fp8KVCacheDataTypeE1EhLi16ELi128ELi256ELb0ELi10EEvPKT_PKT0_S7_ifPKiS9_S9_iPKfiiiPfSC_PS2_PT2_iSB_SB_.has_dyn_sized_stack, or(0, .L__assert_fail.has_dyn_sized_stack)
	.set _Z39paged_attention_ll4mi_QKV_mfma16_kernelIDF16_hLN4vllm18Fp8KVCacheDataTypeE1EhLi16ELi128ELi256ELb0ELi10EEvPKT_PKT0_S7_ifPKiS9_S9_iPKfiiiPfSC_PS2_PT2_iSB_SB_.has_recursion, or(0, .L__assert_fail.has_recursion)
	.set _Z39paged_attention_ll4mi_QKV_mfma16_kernelIDF16_hLN4vllm18Fp8KVCacheDataTypeE1EhLi16ELi128ELi256ELb0ELi10EEvPKT_PKT0_S7_ifPKiS9_S9_iPKfiiiPfSC_PS2_PT2_iSB_SB_.has_indirect_call, or(0, .L__assert_fail.has_indirect_call)
	.section	.AMDGPU.csdata,"",@progbits
; Kernel info:
; codeLenInByte = 68
; TotalNumSgprs: 36
; NumVgprs: 51
; ScratchSize: 64
; MemoryBound: 0
; FloatMode: 240
; IeeeMode: 1
; LDSByteSize: 0 bytes/workgroup (compile time only)
; SGPRBlocks: 0
; VGPRBlocks: 3
; NumSGPRsForWavesPerEU: 36
; NumVGPRsForWavesPerEU: 51
; NamedBarCnt: 0
; Occupancy: 16
; WaveLimiterHint : 1
; COMPUTE_PGM_RSRC2:SCRATCH_EN: 1
; COMPUTE_PGM_RSRC2:USER_SGPR: 2
; COMPUTE_PGM_RSRC2:TRAP_HANDLER: 0
; COMPUTE_PGM_RSRC2:TGID_X_EN: 1
; COMPUTE_PGM_RSRC2:TGID_Y_EN: 0
; COMPUTE_PGM_RSRC2:TGID_Z_EN: 0
; COMPUTE_PGM_RSRC2:TIDIG_COMP_CNT: 0
	.section	.text._Z39paged_attention_ll4mi_QKV_mfma16_kernelIDF16_hLN4vllm18Fp8KVCacheDataTypeE1EhLi16ELi128ELi256ELb0ELi11EEvPKT_PKT0_S7_ifPKiS9_S9_iPKfiiiPfSC_PS2_PT2_iSB_SB_,"axG",@progbits,_Z39paged_attention_ll4mi_QKV_mfma16_kernelIDF16_hLN4vllm18Fp8KVCacheDataTypeE1EhLi16ELi128ELi256ELb0ELi11EEvPKT_PKT0_S7_ifPKiS9_S9_iPKfiiiPfSC_PS2_PT2_iSB_SB_,comdat
	.protected	_Z39paged_attention_ll4mi_QKV_mfma16_kernelIDF16_hLN4vllm18Fp8KVCacheDataTypeE1EhLi16ELi128ELi256ELb0ELi11EEvPKT_PKT0_S7_ifPKiS9_S9_iPKfiiiPfSC_PS2_PT2_iSB_SB_ ; -- Begin function _Z39paged_attention_ll4mi_QKV_mfma16_kernelIDF16_hLN4vllm18Fp8KVCacheDataTypeE1EhLi16ELi128ELi256ELb0ELi11EEvPKT_PKT0_S7_ifPKiS9_S9_iPKfiiiPfSC_PS2_PT2_iSB_SB_
	.globl	_Z39paged_attention_ll4mi_QKV_mfma16_kernelIDF16_hLN4vllm18Fp8KVCacheDataTypeE1EhLi16ELi128ELi256ELb0ELi11EEvPKT_PKT0_S7_ifPKiS9_S9_iPKfiiiPfSC_PS2_PT2_iSB_SB_
	.p2align	8
	.type	_Z39paged_attention_ll4mi_QKV_mfma16_kernelIDF16_hLN4vllm18Fp8KVCacheDataTypeE1EhLi16ELi128ELi256ELb0ELi11EEvPKT_PKT0_S7_ifPKiS9_S9_iPKfiiiPfSC_PS2_PT2_iSB_SB_,@function
_Z39paged_attention_ll4mi_QKV_mfma16_kernelIDF16_hLN4vllm18Fp8KVCacheDataTypeE1EhLi16ELi128ELi256ELb0ELi11EEvPKT_PKT0_S7_ifPKiS9_S9_iPKfiiiPfSC_PS2_PT2_iSB_SB_: ; @_Z39paged_attention_ll4mi_QKV_mfma16_kernelIDF16_hLN4vllm18Fp8KVCacheDataTypeE1EhLi16ELi128ELi256ELb0ELi11EEvPKT_PKT0_S7_ifPKiS9_S9_iPKfiiiPfSC_PS2_PT2_iSB_SB_
; %bb.0:
	s_get_pc_i64 s[2:3]
	s_add_nc_u64 s[2:3], s[2:3], __PRETTY_FUNCTION__._Z39paged_attention_ll4mi_QKV_mfma16_kernelIDF16_hLN4vllm18Fp8KVCacheDataTypeE1EhLi16ELi128ELi256ELb0ELi11EEvPKT_PKT0_S7_ifPKiS9_S9_iPKfiiiPfSC_PS2_PT2_iSB_SB_@rel64+4
	s_delay_alu instid0(SALU_CYCLE_1)
	v_dual_mov_b32 v0, 0xbb3 :: v_dual_mov_b32 v1, s2
	v_mov_b32_e32 v2, s3
	s_add_nc_u64 s[8:9], s[0:1], 0x90
	s_get_pc_i64 s[0:1]
	s_add_nc_u64 s[0:1], s[0:1], __assert_fail@rel64+4
	s_mov_b32 s32, 0
	s_swap_pc_i64 s[30:31], s[0:1]
	.section	.rodata,"a",@progbits
	.p2align	6, 0x0
	.amdhsa_kernel _Z39paged_attention_ll4mi_QKV_mfma16_kernelIDF16_hLN4vllm18Fp8KVCacheDataTypeE1EhLi16ELi128ELi256ELb0ELi11EEvPKT_PKT0_S7_ifPKiS9_S9_iPKfiiiPfSC_PS2_PT2_iSB_SB_
		.amdhsa_group_segment_fixed_size 0
		.amdhsa_private_segment_fixed_size 64
		.amdhsa_kernarg_size 400
		.amdhsa_user_sgpr_count 2
		.amdhsa_user_sgpr_dispatch_ptr 0
		.amdhsa_user_sgpr_queue_ptr 0
		.amdhsa_user_sgpr_kernarg_segment_ptr 1
		.amdhsa_user_sgpr_dispatch_id 0
		.amdhsa_user_sgpr_kernarg_preload_length 0
		.amdhsa_user_sgpr_kernarg_preload_offset 0
		.amdhsa_user_sgpr_private_segment_size 0
		.amdhsa_wavefront_size32 1
		.amdhsa_uses_dynamic_stack 0
		.amdhsa_enable_private_segment 1
		.amdhsa_system_sgpr_workgroup_id_x 1
		.amdhsa_system_sgpr_workgroup_id_y 0
		.amdhsa_system_sgpr_workgroup_id_z 0
		.amdhsa_system_sgpr_workgroup_info 0
		.amdhsa_system_vgpr_workitem_id 0
		.amdhsa_next_free_vgpr 51
		.amdhsa_next_free_sgpr 34
		.amdhsa_named_barrier_count 0
		.amdhsa_reserve_vcc 1
		.amdhsa_float_round_mode_32 0
		.amdhsa_float_round_mode_16_64 0
		.amdhsa_float_denorm_mode_32 3
		.amdhsa_float_denorm_mode_16_64 3
		.amdhsa_fp16_overflow 0
		.amdhsa_memory_ordered 1
		.amdhsa_forward_progress 1
		.amdhsa_inst_pref_size 1
		.amdhsa_round_robin_scheduling 0
		.amdhsa_exception_fp_ieee_invalid_op 0
		.amdhsa_exception_fp_denorm_src 0
		.amdhsa_exception_fp_ieee_div_zero 0
		.amdhsa_exception_fp_ieee_overflow 0
		.amdhsa_exception_fp_ieee_underflow 0
		.amdhsa_exception_fp_ieee_inexact 0
		.amdhsa_exception_int_div_zero 0
	.end_amdhsa_kernel
	.section	.text._Z39paged_attention_ll4mi_QKV_mfma16_kernelIDF16_hLN4vllm18Fp8KVCacheDataTypeE1EhLi16ELi128ELi256ELb0ELi11EEvPKT_PKT0_S7_ifPKiS9_S9_iPKfiiiPfSC_PS2_PT2_iSB_SB_,"axG",@progbits,_Z39paged_attention_ll4mi_QKV_mfma16_kernelIDF16_hLN4vllm18Fp8KVCacheDataTypeE1EhLi16ELi128ELi256ELb0ELi11EEvPKT_PKT0_S7_ifPKiS9_S9_iPKfiiiPfSC_PS2_PT2_iSB_SB_,comdat
.Lfunc_end960:
	.size	_Z39paged_attention_ll4mi_QKV_mfma16_kernelIDF16_hLN4vllm18Fp8KVCacheDataTypeE1EhLi16ELi128ELi256ELb0ELi11EEvPKT_PKT0_S7_ifPKiS9_S9_iPKfiiiPfSC_PS2_PT2_iSB_SB_, .Lfunc_end960-_Z39paged_attention_ll4mi_QKV_mfma16_kernelIDF16_hLN4vllm18Fp8KVCacheDataTypeE1EhLi16ELi128ELi256ELb0ELi11EEvPKT_PKT0_S7_ifPKiS9_S9_iPKfiiiPfSC_PS2_PT2_iSB_SB_
                                        ; -- End function
	.set _Z39paged_attention_ll4mi_QKV_mfma16_kernelIDF16_hLN4vllm18Fp8KVCacheDataTypeE1EhLi16ELi128ELi256ELb0ELi11EEvPKT_PKT0_S7_ifPKiS9_S9_iPKfiiiPfSC_PS2_PT2_iSB_SB_.num_vgpr, max(3, .L__assert_fail.num_vgpr)
	.set _Z39paged_attention_ll4mi_QKV_mfma16_kernelIDF16_hLN4vllm18Fp8KVCacheDataTypeE1EhLi16ELi128ELi256ELb0ELi11EEvPKT_PKT0_S7_ifPKiS9_S9_iPKfiiiPfSC_PS2_PT2_iSB_SB_.num_agpr, max(0, .L__assert_fail.num_agpr)
	.set _Z39paged_attention_ll4mi_QKV_mfma16_kernelIDF16_hLN4vllm18Fp8KVCacheDataTypeE1EhLi16ELi128ELi256ELb0ELi11EEvPKT_PKT0_S7_ifPKiS9_S9_iPKfiiiPfSC_PS2_PT2_iSB_SB_.numbered_sgpr, max(33, .L__assert_fail.numbered_sgpr)
	.set _Z39paged_attention_ll4mi_QKV_mfma16_kernelIDF16_hLN4vllm18Fp8KVCacheDataTypeE1EhLi16ELi128ELi256ELb0ELi11EEvPKT_PKT0_S7_ifPKiS9_S9_iPKfiiiPfSC_PS2_PT2_iSB_SB_.num_named_barrier, max(0, .L__assert_fail.num_named_barrier)
	.set _Z39paged_attention_ll4mi_QKV_mfma16_kernelIDF16_hLN4vllm18Fp8KVCacheDataTypeE1EhLi16ELi128ELi256ELb0ELi11EEvPKT_PKT0_S7_ifPKiS9_S9_iPKfiiiPfSC_PS2_PT2_iSB_SB_.private_seg_size, 0+max(.L__assert_fail.private_seg_size)
	.set _Z39paged_attention_ll4mi_QKV_mfma16_kernelIDF16_hLN4vllm18Fp8KVCacheDataTypeE1EhLi16ELi128ELi256ELb0ELi11EEvPKT_PKT0_S7_ifPKiS9_S9_iPKfiiiPfSC_PS2_PT2_iSB_SB_.uses_vcc, or(1, .L__assert_fail.uses_vcc)
	.set _Z39paged_attention_ll4mi_QKV_mfma16_kernelIDF16_hLN4vllm18Fp8KVCacheDataTypeE1EhLi16ELi128ELi256ELb0ELi11EEvPKT_PKT0_S7_ifPKiS9_S9_iPKfiiiPfSC_PS2_PT2_iSB_SB_.uses_flat_scratch, or(0, .L__assert_fail.uses_flat_scratch)
	.set _Z39paged_attention_ll4mi_QKV_mfma16_kernelIDF16_hLN4vllm18Fp8KVCacheDataTypeE1EhLi16ELi128ELi256ELb0ELi11EEvPKT_PKT0_S7_ifPKiS9_S9_iPKfiiiPfSC_PS2_PT2_iSB_SB_.has_dyn_sized_stack, or(0, .L__assert_fail.has_dyn_sized_stack)
	.set _Z39paged_attention_ll4mi_QKV_mfma16_kernelIDF16_hLN4vllm18Fp8KVCacheDataTypeE1EhLi16ELi128ELi256ELb0ELi11EEvPKT_PKT0_S7_ifPKiS9_S9_iPKfiiiPfSC_PS2_PT2_iSB_SB_.has_recursion, or(0, .L__assert_fail.has_recursion)
	.set _Z39paged_attention_ll4mi_QKV_mfma16_kernelIDF16_hLN4vllm18Fp8KVCacheDataTypeE1EhLi16ELi128ELi256ELb0ELi11EEvPKT_PKT0_S7_ifPKiS9_S9_iPKfiiiPfSC_PS2_PT2_iSB_SB_.has_indirect_call, or(0, .L__assert_fail.has_indirect_call)
	.section	.AMDGPU.csdata,"",@progbits
; Kernel info:
; codeLenInByte = 68
; TotalNumSgprs: 36
; NumVgprs: 51
; ScratchSize: 64
; MemoryBound: 0
; FloatMode: 240
; IeeeMode: 1
; LDSByteSize: 0 bytes/workgroup (compile time only)
; SGPRBlocks: 0
; VGPRBlocks: 3
; NumSGPRsForWavesPerEU: 36
; NumVGPRsForWavesPerEU: 51
; NamedBarCnt: 0
; Occupancy: 16
; WaveLimiterHint : 1
; COMPUTE_PGM_RSRC2:SCRATCH_EN: 1
; COMPUTE_PGM_RSRC2:USER_SGPR: 2
; COMPUTE_PGM_RSRC2:TRAP_HANDLER: 0
; COMPUTE_PGM_RSRC2:TGID_X_EN: 1
; COMPUTE_PGM_RSRC2:TGID_Y_EN: 0
; COMPUTE_PGM_RSRC2:TGID_Z_EN: 0
; COMPUTE_PGM_RSRC2:TIDIG_COMP_CNT: 0
	.section	.text._Z39paged_attention_ll4mi_QKV_mfma16_kernelIDF16_hLN4vllm18Fp8KVCacheDataTypeE1EhLi16ELi128ELi256ELb0ELi12EEvPKT_PKT0_S7_ifPKiS9_S9_iPKfiiiPfSC_PS2_PT2_iSB_SB_,"axG",@progbits,_Z39paged_attention_ll4mi_QKV_mfma16_kernelIDF16_hLN4vllm18Fp8KVCacheDataTypeE1EhLi16ELi128ELi256ELb0ELi12EEvPKT_PKT0_S7_ifPKiS9_S9_iPKfiiiPfSC_PS2_PT2_iSB_SB_,comdat
	.protected	_Z39paged_attention_ll4mi_QKV_mfma16_kernelIDF16_hLN4vllm18Fp8KVCacheDataTypeE1EhLi16ELi128ELi256ELb0ELi12EEvPKT_PKT0_S7_ifPKiS9_S9_iPKfiiiPfSC_PS2_PT2_iSB_SB_ ; -- Begin function _Z39paged_attention_ll4mi_QKV_mfma16_kernelIDF16_hLN4vllm18Fp8KVCacheDataTypeE1EhLi16ELi128ELi256ELb0ELi12EEvPKT_PKT0_S7_ifPKiS9_S9_iPKfiiiPfSC_PS2_PT2_iSB_SB_
	.globl	_Z39paged_attention_ll4mi_QKV_mfma16_kernelIDF16_hLN4vllm18Fp8KVCacheDataTypeE1EhLi16ELi128ELi256ELb0ELi12EEvPKT_PKT0_S7_ifPKiS9_S9_iPKfiiiPfSC_PS2_PT2_iSB_SB_
	.p2align	8
	.type	_Z39paged_attention_ll4mi_QKV_mfma16_kernelIDF16_hLN4vllm18Fp8KVCacheDataTypeE1EhLi16ELi128ELi256ELb0ELi12EEvPKT_PKT0_S7_ifPKiS9_S9_iPKfiiiPfSC_PS2_PT2_iSB_SB_,@function
_Z39paged_attention_ll4mi_QKV_mfma16_kernelIDF16_hLN4vllm18Fp8KVCacheDataTypeE1EhLi16ELi128ELi256ELb0ELi12EEvPKT_PKT0_S7_ifPKiS9_S9_iPKfiiiPfSC_PS2_PT2_iSB_SB_: ; @_Z39paged_attention_ll4mi_QKV_mfma16_kernelIDF16_hLN4vllm18Fp8KVCacheDataTypeE1EhLi16ELi128ELi256ELb0ELi12EEvPKT_PKT0_S7_ifPKiS9_S9_iPKfiiiPfSC_PS2_PT2_iSB_SB_
; %bb.0:
	s_get_pc_i64 s[2:3]
	s_add_nc_u64 s[2:3], s[2:3], __PRETTY_FUNCTION__._Z39paged_attention_ll4mi_QKV_mfma16_kernelIDF16_hLN4vllm18Fp8KVCacheDataTypeE1EhLi16ELi128ELi256ELb0ELi12EEvPKT_PKT0_S7_ifPKiS9_S9_iPKfiiiPfSC_PS2_PT2_iSB_SB_@rel64+4
	s_delay_alu instid0(SALU_CYCLE_1)
	v_dual_mov_b32 v0, 0xbb3 :: v_dual_mov_b32 v1, s2
	v_mov_b32_e32 v2, s3
	s_add_nc_u64 s[8:9], s[0:1], 0x90
	s_get_pc_i64 s[0:1]
	s_add_nc_u64 s[0:1], s[0:1], __assert_fail@rel64+4
	s_mov_b32 s32, 0
	s_swap_pc_i64 s[30:31], s[0:1]
	.section	.rodata,"a",@progbits
	.p2align	6, 0x0
	.amdhsa_kernel _Z39paged_attention_ll4mi_QKV_mfma16_kernelIDF16_hLN4vllm18Fp8KVCacheDataTypeE1EhLi16ELi128ELi256ELb0ELi12EEvPKT_PKT0_S7_ifPKiS9_S9_iPKfiiiPfSC_PS2_PT2_iSB_SB_
		.amdhsa_group_segment_fixed_size 0
		.amdhsa_private_segment_fixed_size 64
		.amdhsa_kernarg_size 400
		.amdhsa_user_sgpr_count 2
		.amdhsa_user_sgpr_dispatch_ptr 0
		.amdhsa_user_sgpr_queue_ptr 0
		.amdhsa_user_sgpr_kernarg_segment_ptr 1
		.amdhsa_user_sgpr_dispatch_id 0
		.amdhsa_user_sgpr_kernarg_preload_length 0
		.amdhsa_user_sgpr_kernarg_preload_offset 0
		.amdhsa_user_sgpr_private_segment_size 0
		.amdhsa_wavefront_size32 1
		.amdhsa_uses_dynamic_stack 0
		.amdhsa_enable_private_segment 1
		.amdhsa_system_sgpr_workgroup_id_x 1
		.amdhsa_system_sgpr_workgroup_id_y 0
		.amdhsa_system_sgpr_workgroup_id_z 0
		.amdhsa_system_sgpr_workgroup_info 0
		.amdhsa_system_vgpr_workitem_id 0
		.amdhsa_next_free_vgpr 51
		.amdhsa_next_free_sgpr 34
		.amdhsa_named_barrier_count 0
		.amdhsa_reserve_vcc 1
		.amdhsa_float_round_mode_32 0
		.amdhsa_float_round_mode_16_64 0
		.amdhsa_float_denorm_mode_32 3
		.amdhsa_float_denorm_mode_16_64 3
		.amdhsa_fp16_overflow 0
		.amdhsa_memory_ordered 1
		.amdhsa_forward_progress 1
		.amdhsa_inst_pref_size 1
		.amdhsa_round_robin_scheduling 0
		.amdhsa_exception_fp_ieee_invalid_op 0
		.amdhsa_exception_fp_denorm_src 0
		.amdhsa_exception_fp_ieee_div_zero 0
		.amdhsa_exception_fp_ieee_overflow 0
		.amdhsa_exception_fp_ieee_underflow 0
		.amdhsa_exception_fp_ieee_inexact 0
		.amdhsa_exception_int_div_zero 0
	.end_amdhsa_kernel
	.section	.text._Z39paged_attention_ll4mi_QKV_mfma16_kernelIDF16_hLN4vllm18Fp8KVCacheDataTypeE1EhLi16ELi128ELi256ELb0ELi12EEvPKT_PKT0_S7_ifPKiS9_S9_iPKfiiiPfSC_PS2_PT2_iSB_SB_,"axG",@progbits,_Z39paged_attention_ll4mi_QKV_mfma16_kernelIDF16_hLN4vllm18Fp8KVCacheDataTypeE1EhLi16ELi128ELi256ELb0ELi12EEvPKT_PKT0_S7_ifPKiS9_S9_iPKfiiiPfSC_PS2_PT2_iSB_SB_,comdat
.Lfunc_end961:
	.size	_Z39paged_attention_ll4mi_QKV_mfma16_kernelIDF16_hLN4vllm18Fp8KVCacheDataTypeE1EhLi16ELi128ELi256ELb0ELi12EEvPKT_PKT0_S7_ifPKiS9_S9_iPKfiiiPfSC_PS2_PT2_iSB_SB_, .Lfunc_end961-_Z39paged_attention_ll4mi_QKV_mfma16_kernelIDF16_hLN4vllm18Fp8KVCacheDataTypeE1EhLi16ELi128ELi256ELb0ELi12EEvPKT_PKT0_S7_ifPKiS9_S9_iPKfiiiPfSC_PS2_PT2_iSB_SB_
                                        ; -- End function
	.set _Z39paged_attention_ll4mi_QKV_mfma16_kernelIDF16_hLN4vllm18Fp8KVCacheDataTypeE1EhLi16ELi128ELi256ELb0ELi12EEvPKT_PKT0_S7_ifPKiS9_S9_iPKfiiiPfSC_PS2_PT2_iSB_SB_.num_vgpr, max(3, .L__assert_fail.num_vgpr)
	.set _Z39paged_attention_ll4mi_QKV_mfma16_kernelIDF16_hLN4vllm18Fp8KVCacheDataTypeE1EhLi16ELi128ELi256ELb0ELi12EEvPKT_PKT0_S7_ifPKiS9_S9_iPKfiiiPfSC_PS2_PT2_iSB_SB_.num_agpr, max(0, .L__assert_fail.num_agpr)
	.set _Z39paged_attention_ll4mi_QKV_mfma16_kernelIDF16_hLN4vllm18Fp8KVCacheDataTypeE1EhLi16ELi128ELi256ELb0ELi12EEvPKT_PKT0_S7_ifPKiS9_S9_iPKfiiiPfSC_PS2_PT2_iSB_SB_.numbered_sgpr, max(33, .L__assert_fail.numbered_sgpr)
	.set _Z39paged_attention_ll4mi_QKV_mfma16_kernelIDF16_hLN4vllm18Fp8KVCacheDataTypeE1EhLi16ELi128ELi256ELb0ELi12EEvPKT_PKT0_S7_ifPKiS9_S9_iPKfiiiPfSC_PS2_PT2_iSB_SB_.num_named_barrier, max(0, .L__assert_fail.num_named_barrier)
	.set _Z39paged_attention_ll4mi_QKV_mfma16_kernelIDF16_hLN4vllm18Fp8KVCacheDataTypeE1EhLi16ELi128ELi256ELb0ELi12EEvPKT_PKT0_S7_ifPKiS9_S9_iPKfiiiPfSC_PS2_PT2_iSB_SB_.private_seg_size, 0+max(.L__assert_fail.private_seg_size)
	.set _Z39paged_attention_ll4mi_QKV_mfma16_kernelIDF16_hLN4vllm18Fp8KVCacheDataTypeE1EhLi16ELi128ELi256ELb0ELi12EEvPKT_PKT0_S7_ifPKiS9_S9_iPKfiiiPfSC_PS2_PT2_iSB_SB_.uses_vcc, or(1, .L__assert_fail.uses_vcc)
	.set _Z39paged_attention_ll4mi_QKV_mfma16_kernelIDF16_hLN4vllm18Fp8KVCacheDataTypeE1EhLi16ELi128ELi256ELb0ELi12EEvPKT_PKT0_S7_ifPKiS9_S9_iPKfiiiPfSC_PS2_PT2_iSB_SB_.uses_flat_scratch, or(0, .L__assert_fail.uses_flat_scratch)
	.set _Z39paged_attention_ll4mi_QKV_mfma16_kernelIDF16_hLN4vllm18Fp8KVCacheDataTypeE1EhLi16ELi128ELi256ELb0ELi12EEvPKT_PKT0_S7_ifPKiS9_S9_iPKfiiiPfSC_PS2_PT2_iSB_SB_.has_dyn_sized_stack, or(0, .L__assert_fail.has_dyn_sized_stack)
	.set _Z39paged_attention_ll4mi_QKV_mfma16_kernelIDF16_hLN4vllm18Fp8KVCacheDataTypeE1EhLi16ELi128ELi256ELb0ELi12EEvPKT_PKT0_S7_ifPKiS9_S9_iPKfiiiPfSC_PS2_PT2_iSB_SB_.has_recursion, or(0, .L__assert_fail.has_recursion)
	.set _Z39paged_attention_ll4mi_QKV_mfma16_kernelIDF16_hLN4vllm18Fp8KVCacheDataTypeE1EhLi16ELi128ELi256ELb0ELi12EEvPKT_PKT0_S7_ifPKiS9_S9_iPKfiiiPfSC_PS2_PT2_iSB_SB_.has_indirect_call, or(0, .L__assert_fail.has_indirect_call)
	.section	.AMDGPU.csdata,"",@progbits
; Kernel info:
; codeLenInByte = 68
; TotalNumSgprs: 36
; NumVgprs: 51
; ScratchSize: 64
; MemoryBound: 0
; FloatMode: 240
; IeeeMode: 1
; LDSByteSize: 0 bytes/workgroup (compile time only)
; SGPRBlocks: 0
; VGPRBlocks: 3
; NumSGPRsForWavesPerEU: 36
; NumVGPRsForWavesPerEU: 51
; NamedBarCnt: 0
; Occupancy: 16
; WaveLimiterHint : 1
; COMPUTE_PGM_RSRC2:SCRATCH_EN: 1
; COMPUTE_PGM_RSRC2:USER_SGPR: 2
; COMPUTE_PGM_RSRC2:TRAP_HANDLER: 0
; COMPUTE_PGM_RSRC2:TGID_X_EN: 1
; COMPUTE_PGM_RSRC2:TGID_Y_EN: 0
; COMPUTE_PGM_RSRC2:TGID_Z_EN: 0
; COMPUTE_PGM_RSRC2:TIDIG_COMP_CNT: 0
	.section	.text._Z39paged_attention_ll4mi_QKV_mfma16_kernelIDF16_hLN4vllm18Fp8KVCacheDataTypeE1EhLi16ELi128ELi256ELb0ELi13EEvPKT_PKT0_S7_ifPKiS9_S9_iPKfiiiPfSC_PS2_PT2_iSB_SB_,"axG",@progbits,_Z39paged_attention_ll4mi_QKV_mfma16_kernelIDF16_hLN4vllm18Fp8KVCacheDataTypeE1EhLi16ELi128ELi256ELb0ELi13EEvPKT_PKT0_S7_ifPKiS9_S9_iPKfiiiPfSC_PS2_PT2_iSB_SB_,comdat
	.protected	_Z39paged_attention_ll4mi_QKV_mfma16_kernelIDF16_hLN4vllm18Fp8KVCacheDataTypeE1EhLi16ELi128ELi256ELb0ELi13EEvPKT_PKT0_S7_ifPKiS9_S9_iPKfiiiPfSC_PS2_PT2_iSB_SB_ ; -- Begin function _Z39paged_attention_ll4mi_QKV_mfma16_kernelIDF16_hLN4vllm18Fp8KVCacheDataTypeE1EhLi16ELi128ELi256ELb0ELi13EEvPKT_PKT0_S7_ifPKiS9_S9_iPKfiiiPfSC_PS2_PT2_iSB_SB_
	.globl	_Z39paged_attention_ll4mi_QKV_mfma16_kernelIDF16_hLN4vllm18Fp8KVCacheDataTypeE1EhLi16ELi128ELi256ELb0ELi13EEvPKT_PKT0_S7_ifPKiS9_S9_iPKfiiiPfSC_PS2_PT2_iSB_SB_
	.p2align	8
	.type	_Z39paged_attention_ll4mi_QKV_mfma16_kernelIDF16_hLN4vllm18Fp8KVCacheDataTypeE1EhLi16ELi128ELi256ELb0ELi13EEvPKT_PKT0_S7_ifPKiS9_S9_iPKfiiiPfSC_PS2_PT2_iSB_SB_,@function
_Z39paged_attention_ll4mi_QKV_mfma16_kernelIDF16_hLN4vllm18Fp8KVCacheDataTypeE1EhLi16ELi128ELi256ELb0ELi13EEvPKT_PKT0_S7_ifPKiS9_S9_iPKfiiiPfSC_PS2_PT2_iSB_SB_: ; @_Z39paged_attention_ll4mi_QKV_mfma16_kernelIDF16_hLN4vllm18Fp8KVCacheDataTypeE1EhLi16ELi128ELi256ELb0ELi13EEvPKT_PKT0_S7_ifPKiS9_S9_iPKfiiiPfSC_PS2_PT2_iSB_SB_
; %bb.0:
	s_get_pc_i64 s[2:3]
	s_add_nc_u64 s[2:3], s[2:3], __PRETTY_FUNCTION__._Z39paged_attention_ll4mi_QKV_mfma16_kernelIDF16_hLN4vllm18Fp8KVCacheDataTypeE1EhLi16ELi128ELi256ELb0ELi13EEvPKT_PKT0_S7_ifPKiS9_S9_iPKfiiiPfSC_PS2_PT2_iSB_SB_@rel64+4
	s_delay_alu instid0(SALU_CYCLE_1)
	v_dual_mov_b32 v0, 0xbb3 :: v_dual_mov_b32 v1, s2
	v_mov_b32_e32 v2, s3
	s_add_nc_u64 s[8:9], s[0:1], 0x90
	s_get_pc_i64 s[0:1]
	s_add_nc_u64 s[0:1], s[0:1], __assert_fail@rel64+4
	s_mov_b32 s32, 0
	s_swap_pc_i64 s[30:31], s[0:1]
	.section	.rodata,"a",@progbits
	.p2align	6, 0x0
	.amdhsa_kernel _Z39paged_attention_ll4mi_QKV_mfma16_kernelIDF16_hLN4vllm18Fp8KVCacheDataTypeE1EhLi16ELi128ELi256ELb0ELi13EEvPKT_PKT0_S7_ifPKiS9_S9_iPKfiiiPfSC_PS2_PT2_iSB_SB_
		.amdhsa_group_segment_fixed_size 0
		.amdhsa_private_segment_fixed_size 64
		.amdhsa_kernarg_size 400
		.amdhsa_user_sgpr_count 2
		.amdhsa_user_sgpr_dispatch_ptr 0
		.amdhsa_user_sgpr_queue_ptr 0
		.amdhsa_user_sgpr_kernarg_segment_ptr 1
		.amdhsa_user_sgpr_dispatch_id 0
		.amdhsa_user_sgpr_kernarg_preload_length 0
		.amdhsa_user_sgpr_kernarg_preload_offset 0
		.amdhsa_user_sgpr_private_segment_size 0
		.amdhsa_wavefront_size32 1
		.amdhsa_uses_dynamic_stack 0
		.amdhsa_enable_private_segment 1
		.amdhsa_system_sgpr_workgroup_id_x 1
		.amdhsa_system_sgpr_workgroup_id_y 0
		.amdhsa_system_sgpr_workgroup_id_z 0
		.amdhsa_system_sgpr_workgroup_info 0
		.amdhsa_system_vgpr_workitem_id 0
		.amdhsa_next_free_vgpr 51
		.amdhsa_next_free_sgpr 34
		.amdhsa_named_barrier_count 0
		.amdhsa_reserve_vcc 1
		.amdhsa_float_round_mode_32 0
		.amdhsa_float_round_mode_16_64 0
		.amdhsa_float_denorm_mode_32 3
		.amdhsa_float_denorm_mode_16_64 3
		.amdhsa_fp16_overflow 0
		.amdhsa_memory_ordered 1
		.amdhsa_forward_progress 1
		.amdhsa_inst_pref_size 1
		.amdhsa_round_robin_scheduling 0
		.amdhsa_exception_fp_ieee_invalid_op 0
		.amdhsa_exception_fp_denorm_src 0
		.amdhsa_exception_fp_ieee_div_zero 0
		.amdhsa_exception_fp_ieee_overflow 0
		.amdhsa_exception_fp_ieee_underflow 0
		.amdhsa_exception_fp_ieee_inexact 0
		.amdhsa_exception_int_div_zero 0
	.end_amdhsa_kernel
	.section	.text._Z39paged_attention_ll4mi_QKV_mfma16_kernelIDF16_hLN4vllm18Fp8KVCacheDataTypeE1EhLi16ELi128ELi256ELb0ELi13EEvPKT_PKT0_S7_ifPKiS9_S9_iPKfiiiPfSC_PS2_PT2_iSB_SB_,"axG",@progbits,_Z39paged_attention_ll4mi_QKV_mfma16_kernelIDF16_hLN4vllm18Fp8KVCacheDataTypeE1EhLi16ELi128ELi256ELb0ELi13EEvPKT_PKT0_S7_ifPKiS9_S9_iPKfiiiPfSC_PS2_PT2_iSB_SB_,comdat
.Lfunc_end962:
	.size	_Z39paged_attention_ll4mi_QKV_mfma16_kernelIDF16_hLN4vllm18Fp8KVCacheDataTypeE1EhLi16ELi128ELi256ELb0ELi13EEvPKT_PKT0_S7_ifPKiS9_S9_iPKfiiiPfSC_PS2_PT2_iSB_SB_, .Lfunc_end962-_Z39paged_attention_ll4mi_QKV_mfma16_kernelIDF16_hLN4vllm18Fp8KVCacheDataTypeE1EhLi16ELi128ELi256ELb0ELi13EEvPKT_PKT0_S7_ifPKiS9_S9_iPKfiiiPfSC_PS2_PT2_iSB_SB_
                                        ; -- End function
	.set _Z39paged_attention_ll4mi_QKV_mfma16_kernelIDF16_hLN4vllm18Fp8KVCacheDataTypeE1EhLi16ELi128ELi256ELb0ELi13EEvPKT_PKT0_S7_ifPKiS9_S9_iPKfiiiPfSC_PS2_PT2_iSB_SB_.num_vgpr, max(3, .L__assert_fail.num_vgpr)
	.set _Z39paged_attention_ll4mi_QKV_mfma16_kernelIDF16_hLN4vllm18Fp8KVCacheDataTypeE1EhLi16ELi128ELi256ELb0ELi13EEvPKT_PKT0_S7_ifPKiS9_S9_iPKfiiiPfSC_PS2_PT2_iSB_SB_.num_agpr, max(0, .L__assert_fail.num_agpr)
	.set _Z39paged_attention_ll4mi_QKV_mfma16_kernelIDF16_hLN4vllm18Fp8KVCacheDataTypeE1EhLi16ELi128ELi256ELb0ELi13EEvPKT_PKT0_S7_ifPKiS9_S9_iPKfiiiPfSC_PS2_PT2_iSB_SB_.numbered_sgpr, max(33, .L__assert_fail.numbered_sgpr)
	.set _Z39paged_attention_ll4mi_QKV_mfma16_kernelIDF16_hLN4vllm18Fp8KVCacheDataTypeE1EhLi16ELi128ELi256ELb0ELi13EEvPKT_PKT0_S7_ifPKiS9_S9_iPKfiiiPfSC_PS2_PT2_iSB_SB_.num_named_barrier, max(0, .L__assert_fail.num_named_barrier)
	.set _Z39paged_attention_ll4mi_QKV_mfma16_kernelIDF16_hLN4vllm18Fp8KVCacheDataTypeE1EhLi16ELi128ELi256ELb0ELi13EEvPKT_PKT0_S7_ifPKiS9_S9_iPKfiiiPfSC_PS2_PT2_iSB_SB_.private_seg_size, 0+max(.L__assert_fail.private_seg_size)
	.set _Z39paged_attention_ll4mi_QKV_mfma16_kernelIDF16_hLN4vllm18Fp8KVCacheDataTypeE1EhLi16ELi128ELi256ELb0ELi13EEvPKT_PKT0_S7_ifPKiS9_S9_iPKfiiiPfSC_PS2_PT2_iSB_SB_.uses_vcc, or(1, .L__assert_fail.uses_vcc)
	.set _Z39paged_attention_ll4mi_QKV_mfma16_kernelIDF16_hLN4vllm18Fp8KVCacheDataTypeE1EhLi16ELi128ELi256ELb0ELi13EEvPKT_PKT0_S7_ifPKiS9_S9_iPKfiiiPfSC_PS2_PT2_iSB_SB_.uses_flat_scratch, or(0, .L__assert_fail.uses_flat_scratch)
	.set _Z39paged_attention_ll4mi_QKV_mfma16_kernelIDF16_hLN4vllm18Fp8KVCacheDataTypeE1EhLi16ELi128ELi256ELb0ELi13EEvPKT_PKT0_S7_ifPKiS9_S9_iPKfiiiPfSC_PS2_PT2_iSB_SB_.has_dyn_sized_stack, or(0, .L__assert_fail.has_dyn_sized_stack)
	.set _Z39paged_attention_ll4mi_QKV_mfma16_kernelIDF16_hLN4vllm18Fp8KVCacheDataTypeE1EhLi16ELi128ELi256ELb0ELi13EEvPKT_PKT0_S7_ifPKiS9_S9_iPKfiiiPfSC_PS2_PT2_iSB_SB_.has_recursion, or(0, .L__assert_fail.has_recursion)
	.set _Z39paged_attention_ll4mi_QKV_mfma16_kernelIDF16_hLN4vllm18Fp8KVCacheDataTypeE1EhLi16ELi128ELi256ELb0ELi13EEvPKT_PKT0_S7_ifPKiS9_S9_iPKfiiiPfSC_PS2_PT2_iSB_SB_.has_indirect_call, or(0, .L__assert_fail.has_indirect_call)
	.section	.AMDGPU.csdata,"",@progbits
; Kernel info:
; codeLenInByte = 68
; TotalNumSgprs: 36
; NumVgprs: 51
; ScratchSize: 64
; MemoryBound: 0
; FloatMode: 240
; IeeeMode: 1
; LDSByteSize: 0 bytes/workgroup (compile time only)
; SGPRBlocks: 0
; VGPRBlocks: 3
; NumSGPRsForWavesPerEU: 36
; NumVGPRsForWavesPerEU: 51
; NamedBarCnt: 0
; Occupancy: 16
; WaveLimiterHint : 1
; COMPUTE_PGM_RSRC2:SCRATCH_EN: 1
; COMPUTE_PGM_RSRC2:USER_SGPR: 2
; COMPUTE_PGM_RSRC2:TRAP_HANDLER: 0
; COMPUTE_PGM_RSRC2:TGID_X_EN: 1
; COMPUTE_PGM_RSRC2:TGID_Y_EN: 0
; COMPUTE_PGM_RSRC2:TGID_Z_EN: 0
; COMPUTE_PGM_RSRC2:TIDIG_COMP_CNT: 0
	.section	.text._Z39paged_attention_ll4mi_QKV_mfma16_kernelIDF16_hLN4vllm18Fp8KVCacheDataTypeE1EhLi16ELi128ELi256ELb0ELi14EEvPKT_PKT0_S7_ifPKiS9_S9_iPKfiiiPfSC_PS2_PT2_iSB_SB_,"axG",@progbits,_Z39paged_attention_ll4mi_QKV_mfma16_kernelIDF16_hLN4vllm18Fp8KVCacheDataTypeE1EhLi16ELi128ELi256ELb0ELi14EEvPKT_PKT0_S7_ifPKiS9_S9_iPKfiiiPfSC_PS2_PT2_iSB_SB_,comdat
	.protected	_Z39paged_attention_ll4mi_QKV_mfma16_kernelIDF16_hLN4vllm18Fp8KVCacheDataTypeE1EhLi16ELi128ELi256ELb0ELi14EEvPKT_PKT0_S7_ifPKiS9_S9_iPKfiiiPfSC_PS2_PT2_iSB_SB_ ; -- Begin function _Z39paged_attention_ll4mi_QKV_mfma16_kernelIDF16_hLN4vllm18Fp8KVCacheDataTypeE1EhLi16ELi128ELi256ELb0ELi14EEvPKT_PKT0_S7_ifPKiS9_S9_iPKfiiiPfSC_PS2_PT2_iSB_SB_
	.globl	_Z39paged_attention_ll4mi_QKV_mfma16_kernelIDF16_hLN4vllm18Fp8KVCacheDataTypeE1EhLi16ELi128ELi256ELb0ELi14EEvPKT_PKT0_S7_ifPKiS9_S9_iPKfiiiPfSC_PS2_PT2_iSB_SB_
	.p2align	8
	.type	_Z39paged_attention_ll4mi_QKV_mfma16_kernelIDF16_hLN4vllm18Fp8KVCacheDataTypeE1EhLi16ELi128ELi256ELb0ELi14EEvPKT_PKT0_S7_ifPKiS9_S9_iPKfiiiPfSC_PS2_PT2_iSB_SB_,@function
_Z39paged_attention_ll4mi_QKV_mfma16_kernelIDF16_hLN4vllm18Fp8KVCacheDataTypeE1EhLi16ELi128ELi256ELb0ELi14EEvPKT_PKT0_S7_ifPKiS9_S9_iPKfiiiPfSC_PS2_PT2_iSB_SB_: ; @_Z39paged_attention_ll4mi_QKV_mfma16_kernelIDF16_hLN4vllm18Fp8KVCacheDataTypeE1EhLi16ELi128ELi256ELb0ELi14EEvPKT_PKT0_S7_ifPKiS9_S9_iPKfiiiPfSC_PS2_PT2_iSB_SB_
; %bb.0:
	s_get_pc_i64 s[2:3]
	s_add_nc_u64 s[2:3], s[2:3], __PRETTY_FUNCTION__._Z39paged_attention_ll4mi_QKV_mfma16_kernelIDF16_hLN4vllm18Fp8KVCacheDataTypeE1EhLi16ELi128ELi256ELb0ELi14EEvPKT_PKT0_S7_ifPKiS9_S9_iPKfiiiPfSC_PS2_PT2_iSB_SB_@rel64+4
	s_delay_alu instid0(SALU_CYCLE_1)
	v_dual_mov_b32 v0, 0xbb3 :: v_dual_mov_b32 v1, s2
	v_mov_b32_e32 v2, s3
	s_add_nc_u64 s[8:9], s[0:1], 0x90
	s_get_pc_i64 s[0:1]
	s_add_nc_u64 s[0:1], s[0:1], __assert_fail@rel64+4
	s_mov_b32 s32, 0
	s_swap_pc_i64 s[30:31], s[0:1]
	.section	.rodata,"a",@progbits
	.p2align	6, 0x0
	.amdhsa_kernel _Z39paged_attention_ll4mi_QKV_mfma16_kernelIDF16_hLN4vllm18Fp8KVCacheDataTypeE1EhLi16ELi128ELi256ELb0ELi14EEvPKT_PKT0_S7_ifPKiS9_S9_iPKfiiiPfSC_PS2_PT2_iSB_SB_
		.amdhsa_group_segment_fixed_size 0
		.amdhsa_private_segment_fixed_size 64
		.amdhsa_kernarg_size 400
		.amdhsa_user_sgpr_count 2
		.amdhsa_user_sgpr_dispatch_ptr 0
		.amdhsa_user_sgpr_queue_ptr 0
		.amdhsa_user_sgpr_kernarg_segment_ptr 1
		.amdhsa_user_sgpr_dispatch_id 0
		.amdhsa_user_sgpr_kernarg_preload_length 0
		.amdhsa_user_sgpr_kernarg_preload_offset 0
		.amdhsa_user_sgpr_private_segment_size 0
		.amdhsa_wavefront_size32 1
		.amdhsa_uses_dynamic_stack 0
		.amdhsa_enable_private_segment 1
		.amdhsa_system_sgpr_workgroup_id_x 1
		.amdhsa_system_sgpr_workgroup_id_y 0
		.amdhsa_system_sgpr_workgroup_id_z 0
		.amdhsa_system_sgpr_workgroup_info 0
		.amdhsa_system_vgpr_workitem_id 0
		.amdhsa_next_free_vgpr 51
		.amdhsa_next_free_sgpr 34
		.amdhsa_named_barrier_count 0
		.amdhsa_reserve_vcc 1
		.amdhsa_float_round_mode_32 0
		.amdhsa_float_round_mode_16_64 0
		.amdhsa_float_denorm_mode_32 3
		.amdhsa_float_denorm_mode_16_64 3
		.amdhsa_fp16_overflow 0
		.amdhsa_memory_ordered 1
		.amdhsa_forward_progress 1
		.amdhsa_inst_pref_size 1
		.amdhsa_round_robin_scheduling 0
		.amdhsa_exception_fp_ieee_invalid_op 0
		.amdhsa_exception_fp_denorm_src 0
		.amdhsa_exception_fp_ieee_div_zero 0
		.amdhsa_exception_fp_ieee_overflow 0
		.amdhsa_exception_fp_ieee_underflow 0
		.amdhsa_exception_fp_ieee_inexact 0
		.amdhsa_exception_int_div_zero 0
	.end_amdhsa_kernel
	.section	.text._Z39paged_attention_ll4mi_QKV_mfma16_kernelIDF16_hLN4vllm18Fp8KVCacheDataTypeE1EhLi16ELi128ELi256ELb0ELi14EEvPKT_PKT0_S7_ifPKiS9_S9_iPKfiiiPfSC_PS2_PT2_iSB_SB_,"axG",@progbits,_Z39paged_attention_ll4mi_QKV_mfma16_kernelIDF16_hLN4vllm18Fp8KVCacheDataTypeE1EhLi16ELi128ELi256ELb0ELi14EEvPKT_PKT0_S7_ifPKiS9_S9_iPKfiiiPfSC_PS2_PT2_iSB_SB_,comdat
.Lfunc_end963:
	.size	_Z39paged_attention_ll4mi_QKV_mfma16_kernelIDF16_hLN4vllm18Fp8KVCacheDataTypeE1EhLi16ELi128ELi256ELb0ELi14EEvPKT_PKT0_S7_ifPKiS9_S9_iPKfiiiPfSC_PS2_PT2_iSB_SB_, .Lfunc_end963-_Z39paged_attention_ll4mi_QKV_mfma16_kernelIDF16_hLN4vllm18Fp8KVCacheDataTypeE1EhLi16ELi128ELi256ELb0ELi14EEvPKT_PKT0_S7_ifPKiS9_S9_iPKfiiiPfSC_PS2_PT2_iSB_SB_
                                        ; -- End function
	.set _Z39paged_attention_ll4mi_QKV_mfma16_kernelIDF16_hLN4vllm18Fp8KVCacheDataTypeE1EhLi16ELi128ELi256ELb0ELi14EEvPKT_PKT0_S7_ifPKiS9_S9_iPKfiiiPfSC_PS2_PT2_iSB_SB_.num_vgpr, max(3, .L__assert_fail.num_vgpr)
	.set _Z39paged_attention_ll4mi_QKV_mfma16_kernelIDF16_hLN4vllm18Fp8KVCacheDataTypeE1EhLi16ELi128ELi256ELb0ELi14EEvPKT_PKT0_S7_ifPKiS9_S9_iPKfiiiPfSC_PS2_PT2_iSB_SB_.num_agpr, max(0, .L__assert_fail.num_agpr)
	.set _Z39paged_attention_ll4mi_QKV_mfma16_kernelIDF16_hLN4vllm18Fp8KVCacheDataTypeE1EhLi16ELi128ELi256ELb0ELi14EEvPKT_PKT0_S7_ifPKiS9_S9_iPKfiiiPfSC_PS2_PT2_iSB_SB_.numbered_sgpr, max(33, .L__assert_fail.numbered_sgpr)
	.set _Z39paged_attention_ll4mi_QKV_mfma16_kernelIDF16_hLN4vllm18Fp8KVCacheDataTypeE1EhLi16ELi128ELi256ELb0ELi14EEvPKT_PKT0_S7_ifPKiS9_S9_iPKfiiiPfSC_PS2_PT2_iSB_SB_.num_named_barrier, max(0, .L__assert_fail.num_named_barrier)
	.set _Z39paged_attention_ll4mi_QKV_mfma16_kernelIDF16_hLN4vllm18Fp8KVCacheDataTypeE1EhLi16ELi128ELi256ELb0ELi14EEvPKT_PKT0_S7_ifPKiS9_S9_iPKfiiiPfSC_PS2_PT2_iSB_SB_.private_seg_size, 0+max(.L__assert_fail.private_seg_size)
	.set _Z39paged_attention_ll4mi_QKV_mfma16_kernelIDF16_hLN4vllm18Fp8KVCacheDataTypeE1EhLi16ELi128ELi256ELb0ELi14EEvPKT_PKT0_S7_ifPKiS9_S9_iPKfiiiPfSC_PS2_PT2_iSB_SB_.uses_vcc, or(1, .L__assert_fail.uses_vcc)
	.set _Z39paged_attention_ll4mi_QKV_mfma16_kernelIDF16_hLN4vllm18Fp8KVCacheDataTypeE1EhLi16ELi128ELi256ELb0ELi14EEvPKT_PKT0_S7_ifPKiS9_S9_iPKfiiiPfSC_PS2_PT2_iSB_SB_.uses_flat_scratch, or(0, .L__assert_fail.uses_flat_scratch)
	.set _Z39paged_attention_ll4mi_QKV_mfma16_kernelIDF16_hLN4vllm18Fp8KVCacheDataTypeE1EhLi16ELi128ELi256ELb0ELi14EEvPKT_PKT0_S7_ifPKiS9_S9_iPKfiiiPfSC_PS2_PT2_iSB_SB_.has_dyn_sized_stack, or(0, .L__assert_fail.has_dyn_sized_stack)
	.set _Z39paged_attention_ll4mi_QKV_mfma16_kernelIDF16_hLN4vllm18Fp8KVCacheDataTypeE1EhLi16ELi128ELi256ELb0ELi14EEvPKT_PKT0_S7_ifPKiS9_S9_iPKfiiiPfSC_PS2_PT2_iSB_SB_.has_recursion, or(0, .L__assert_fail.has_recursion)
	.set _Z39paged_attention_ll4mi_QKV_mfma16_kernelIDF16_hLN4vllm18Fp8KVCacheDataTypeE1EhLi16ELi128ELi256ELb0ELi14EEvPKT_PKT0_S7_ifPKiS9_S9_iPKfiiiPfSC_PS2_PT2_iSB_SB_.has_indirect_call, or(0, .L__assert_fail.has_indirect_call)
	.section	.AMDGPU.csdata,"",@progbits
; Kernel info:
; codeLenInByte = 68
; TotalNumSgprs: 36
; NumVgprs: 51
; ScratchSize: 64
; MemoryBound: 0
; FloatMode: 240
; IeeeMode: 1
; LDSByteSize: 0 bytes/workgroup (compile time only)
; SGPRBlocks: 0
; VGPRBlocks: 3
; NumSGPRsForWavesPerEU: 36
; NumVGPRsForWavesPerEU: 51
; NamedBarCnt: 0
; Occupancy: 16
; WaveLimiterHint : 1
; COMPUTE_PGM_RSRC2:SCRATCH_EN: 1
; COMPUTE_PGM_RSRC2:USER_SGPR: 2
; COMPUTE_PGM_RSRC2:TRAP_HANDLER: 0
; COMPUTE_PGM_RSRC2:TGID_X_EN: 1
; COMPUTE_PGM_RSRC2:TGID_Y_EN: 0
; COMPUTE_PGM_RSRC2:TGID_Z_EN: 0
; COMPUTE_PGM_RSRC2:TIDIG_COMP_CNT: 0
	.section	.text._Z39paged_attention_ll4mi_QKV_mfma16_kernelIDF16_hLN4vllm18Fp8KVCacheDataTypeE1EhLi16ELi128ELi256ELb0ELi15EEvPKT_PKT0_S7_ifPKiS9_S9_iPKfiiiPfSC_PS2_PT2_iSB_SB_,"axG",@progbits,_Z39paged_attention_ll4mi_QKV_mfma16_kernelIDF16_hLN4vllm18Fp8KVCacheDataTypeE1EhLi16ELi128ELi256ELb0ELi15EEvPKT_PKT0_S7_ifPKiS9_S9_iPKfiiiPfSC_PS2_PT2_iSB_SB_,comdat
	.protected	_Z39paged_attention_ll4mi_QKV_mfma16_kernelIDF16_hLN4vllm18Fp8KVCacheDataTypeE1EhLi16ELi128ELi256ELb0ELi15EEvPKT_PKT0_S7_ifPKiS9_S9_iPKfiiiPfSC_PS2_PT2_iSB_SB_ ; -- Begin function _Z39paged_attention_ll4mi_QKV_mfma16_kernelIDF16_hLN4vllm18Fp8KVCacheDataTypeE1EhLi16ELi128ELi256ELb0ELi15EEvPKT_PKT0_S7_ifPKiS9_S9_iPKfiiiPfSC_PS2_PT2_iSB_SB_
	.globl	_Z39paged_attention_ll4mi_QKV_mfma16_kernelIDF16_hLN4vllm18Fp8KVCacheDataTypeE1EhLi16ELi128ELi256ELb0ELi15EEvPKT_PKT0_S7_ifPKiS9_S9_iPKfiiiPfSC_PS2_PT2_iSB_SB_
	.p2align	8
	.type	_Z39paged_attention_ll4mi_QKV_mfma16_kernelIDF16_hLN4vllm18Fp8KVCacheDataTypeE1EhLi16ELi128ELi256ELb0ELi15EEvPKT_PKT0_S7_ifPKiS9_S9_iPKfiiiPfSC_PS2_PT2_iSB_SB_,@function
_Z39paged_attention_ll4mi_QKV_mfma16_kernelIDF16_hLN4vllm18Fp8KVCacheDataTypeE1EhLi16ELi128ELi256ELb0ELi15EEvPKT_PKT0_S7_ifPKiS9_S9_iPKfiiiPfSC_PS2_PT2_iSB_SB_: ; @_Z39paged_attention_ll4mi_QKV_mfma16_kernelIDF16_hLN4vllm18Fp8KVCacheDataTypeE1EhLi16ELi128ELi256ELb0ELi15EEvPKT_PKT0_S7_ifPKiS9_S9_iPKfiiiPfSC_PS2_PT2_iSB_SB_
; %bb.0:
	s_get_pc_i64 s[2:3]
	s_add_nc_u64 s[2:3], s[2:3], __PRETTY_FUNCTION__._Z39paged_attention_ll4mi_QKV_mfma16_kernelIDF16_hLN4vllm18Fp8KVCacheDataTypeE1EhLi16ELi128ELi256ELb0ELi15EEvPKT_PKT0_S7_ifPKiS9_S9_iPKfiiiPfSC_PS2_PT2_iSB_SB_@rel64+4
	s_delay_alu instid0(SALU_CYCLE_1)
	v_dual_mov_b32 v0, 0xbb3 :: v_dual_mov_b32 v1, s2
	v_mov_b32_e32 v2, s3
	s_add_nc_u64 s[8:9], s[0:1], 0x90
	s_get_pc_i64 s[0:1]
	s_add_nc_u64 s[0:1], s[0:1], __assert_fail@rel64+4
	s_mov_b32 s32, 0
	s_swap_pc_i64 s[30:31], s[0:1]
	.section	.rodata,"a",@progbits
	.p2align	6, 0x0
	.amdhsa_kernel _Z39paged_attention_ll4mi_QKV_mfma16_kernelIDF16_hLN4vllm18Fp8KVCacheDataTypeE1EhLi16ELi128ELi256ELb0ELi15EEvPKT_PKT0_S7_ifPKiS9_S9_iPKfiiiPfSC_PS2_PT2_iSB_SB_
		.amdhsa_group_segment_fixed_size 0
		.amdhsa_private_segment_fixed_size 64
		.amdhsa_kernarg_size 400
		.amdhsa_user_sgpr_count 2
		.amdhsa_user_sgpr_dispatch_ptr 0
		.amdhsa_user_sgpr_queue_ptr 0
		.amdhsa_user_sgpr_kernarg_segment_ptr 1
		.amdhsa_user_sgpr_dispatch_id 0
		.amdhsa_user_sgpr_kernarg_preload_length 0
		.amdhsa_user_sgpr_kernarg_preload_offset 0
		.amdhsa_user_sgpr_private_segment_size 0
		.amdhsa_wavefront_size32 1
		.amdhsa_uses_dynamic_stack 0
		.amdhsa_enable_private_segment 1
		.amdhsa_system_sgpr_workgroup_id_x 1
		.amdhsa_system_sgpr_workgroup_id_y 0
		.amdhsa_system_sgpr_workgroup_id_z 0
		.amdhsa_system_sgpr_workgroup_info 0
		.amdhsa_system_vgpr_workitem_id 0
		.amdhsa_next_free_vgpr 51
		.amdhsa_next_free_sgpr 34
		.amdhsa_named_barrier_count 0
		.amdhsa_reserve_vcc 1
		.amdhsa_float_round_mode_32 0
		.amdhsa_float_round_mode_16_64 0
		.amdhsa_float_denorm_mode_32 3
		.amdhsa_float_denorm_mode_16_64 3
		.amdhsa_fp16_overflow 0
		.amdhsa_memory_ordered 1
		.amdhsa_forward_progress 1
		.amdhsa_inst_pref_size 1
		.amdhsa_round_robin_scheduling 0
		.amdhsa_exception_fp_ieee_invalid_op 0
		.amdhsa_exception_fp_denorm_src 0
		.amdhsa_exception_fp_ieee_div_zero 0
		.amdhsa_exception_fp_ieee_overflow 0
		.amdhsa_exception_fp_ieee_underflow 0
		.amdhsa_exception_fp_ieee_inexact 0
		.amdhsa_exception_int_div_zero 0
	.end_amdhsa_kernel
	.section	.text._Z39paged_attention_ll4mi_QKV_mfma16_kernelIDF16_hLN4vllm18Fp8KVCacheDataTypeE1EhLi16ELi128ELi256ELb0ELi15EEvPKT_PKT0_S7_ifPKiS9_S9_iPKfiiiPfSC_PS2_PT2_iSB_SB_,"axG",@progbits,_Z39paged_attention_ll4mi_QKV_mfma16_kernelIDF16_hLN4vllm18Fp8KVCacheDataTypeE1EhLi16ELi128ELi256ELb0ELi15EEvPKT_PKT0_S7_ifPKiS9_S9_iPKfiiiPfSC_PS2_PT2_iSB_SB_,comdat
.Lfunc_end964:
	.size	_Z39paged_attention_ll4mi_QKV_mfma16_kernelIDF16_hLN4vllm18Fp8KVCacheDataTypeE1EhLi16ELi128ELi256ELb0ELi15EEvPKT_PKT0_S7_ifPKiS9_S9_iPKfiiiPfSC_PS2_PT2_iSB_SB_, .Lfunc_end964-_Z39paged_attention_ll4mi_QKV_mfma16_kernelIDF16_hLN4vllm18Fp8KVCacheDataTypeE1EhLi16ELi128ELi256ELb0ELi15EEvPKT_PKT0_S7_ifPKiS9_S9_iPKfiiiPfSC_PS2_PT2_iSB_SB_
                                        ; -- End function
	.set _Z39paged_attention_ll4mi_QKV_mfma16_kernelIDF16_hLN4vllm18Fp8KVCacheDataTypeE1EhLi16ELi128ELi256ELb0ELi15EEvPKT_PKT0_S7_ifPKiS9_S9_iPKfiiiPfSC_PS2_PT2_iSB_SB_.num_vgpr, max(3, .L__assert_fail.num_vgpr)
	.set _Z39paged_attention_ll4mi_QKV_mfma16_kernelIDF16_hLN4vllm18Fp8KVCacheDataTypeE1EhLi16ELi128ELi256ELb0ELi15EEvPKT_PKT0_S7_ifPKiS9_S9_iPKfiiiPfSC_PS2_PT2_iSB_SB_.num_agpr, max(0, .L__assert_fail.num_agpr)
	.set _Z39paged_attention_ll4mi_QKV_mfma16_kernelIDF16_hLN4vllm18Fp8KVCacheDataTypeE1EhLi16ELi128ELi256ELb0ELi15EEvPKT_PKT0_S7_ifPKiS9_S9_iPKfiiiPfSC_PS2_PT2_iSB_SB_.numbered_sgpr, max(33, .L__assert_fail.numbered_sgpr)
	.set _Z39paged_attention_ll4mi_QKV_mfma16_kernelIDF16_hLN4vllm18Fp8KVCacheDataTypeE1EhLi16ELi128ELi256ELb0ELi15EEvPKT_PKT0_S7_ifPKiS9_S9_iPKfiiiPfSC_PS2_PT2_iSB_SB_.num_named_barrier, max(0, .L__assert_fail.num_named_barrier)
	.set _Z39paged_attention_ll4mi_QKV_mfma16_kernelIDF16_hLN4vllm18Fp8KVCacheDataTypeE1EhLi16ELi128ELi256ELb0ELi15EEvPKT_PKT0_S7_ifPKiS9_S9_iPKfiiiPfSC_PS2_PT2_iSB_SB_.private_seg_size, 0+max(.L__assert_fail.private_seg_size)
	.set _Z39paged_attention_ll4mi_QKV_mfma16_kernelIDF16_hLN4vllm18Fp8KVCacheDataTypeE1EhLi16ELi128ELi256ELb0ELi15EEvPKT_PKT0_S7_ifPKiS9_S9_iPKfiiiPfSC_PS2_PT2_iSB_SB_.uses_vcc, or(1, .L__assert_fail.uses_vcc)
	.set _Z39paged_attention_ll4mi_QKV_mfma16_kernelIDF16_hLN4vllm18Fp8KVCacheDataTypeE1EhLi16ELi128ELi256ELb0ELi15EEvPKT_PKT0_S7_ifPKiS9_S9_iPKfiiiPfSC_PS2_PT2_iSB_SB_.uses_flat_scratch, or(0, .L__assert_fail.uses_flat_scratch)
	.set _Z39paged_attention_ll4mi_QKV_mfma16_kernelIDF16_hLN4vllm18Fp8KVCacheDataTypeE1EhLi16ELi128ELi256ELb0ELi15EEvPKT_PKT0_S7_ifPKiS9_S9_iPKfiiiPfSC_PS2_PT2_iSB_SB_.has_dyn_sized_stack, or(0, .L__assert_fail.has_dyn_sized_stack)
	.set _Z39paged_attention_ll4mi_QKV_mfma16_kernelIDF16_hLN4vllm18Fp8KVCacheDataTypeE1EhLi16ELi128ELi256ELb0ELi15EEvPKT_PKT0_S7_ifPKiS9_S9_iPKfiiiPfSC_PS2_PT2_iSB_SB_.has_recursion, or(0, .L__assert_fail.has_recursion)
	.set _Z39paged_attention_ll4mi_QKV_mfma16_kernelIDF16_hLN4vllm18Fp8KVCacheDataTypeE1EhLi16ELi128ELi256ELb0ELi15EEvPKT_PKT0_S7_ifPKiS9_S9_iPKfiiiPfSC_PS2_PT2_iSB_SB_.has_indirect_call, or(0, .L__assert_fail.has_indirect_call)
	.section	.AMDGPU.csdata,"",@progbits
; Kernel info:
; codeLenInByte = 68
; TotalNumSgprs: 36
; NumVgprs: 51
; ScratchSize: 64
; MemoryBound: 0
; FloatMode: 240
; IeeeMode: 1
; LDSByteSize: 0 bytes/workgroup (compile time only)
; SGPRBlocks: 0
; VGPRBlocks: 3
; NumSGPRsForWavesPerEU: 36
; NumVGPRsForWavesPerEU: 51
; NamedBarCnt: 0
; Occupancy: 16
; WaveLimiterHint : 1
; COMPUTE_PGM_RSRC2:SCRATCH_EN: 1
; COMPUTE_PGM_RSRC2:USER_SGPR: 2
; COMPUTE_PGM_RSRC2:TRAP_HANDLER: 0
; COMPUTE_PGM_RSRC2:TGID_X_EN: 1
; COMPUTE_PGM_RSRC2:TGID_Y_EN: 0
; COMPUTE_PGM_RSRC2:TGID_Z_EN: 0
; COMPUTE_PGM_RSRC2:TIDIG_COMP_CNT: 0
	.section	.text._Z39paged_attention_ll4mi_QKV_mfma16_kernelIDF16_hLN4vllm18Fp8KVCacheDataTypeE1EhLi16ELi128ELi256ELb0ELi16EEvPKT_PKT0_S7_ifPKiS9_S9_iPKfiiiPfSC_PS2_PT2_iSB_SB_,"axG",@progbits,_Z39paged_attention_ll4mi_QKV_mfma16_kernelIDF16_hLN4vllm18Fp8KVCacheDataTypeE1EhLi16ELi128ELi256ELb0ELi16EEvPKT_PKT0_S7_ifPKiS9_S9_iPKfiiiPfSC_PS2_PT2_iSB_SB_,comdat
	.protected	_Z39paged_attention_ll4mi_QKV_mfma16_kernelIDF16_hLN4vllm18Fp8KVCacheDataTypeE1EhLi16ELi128ELi256ELb0ELi16EEvPKT_PKT0_S7_ifPKiS9_S9_iPKfiiiPfSC_PS2_PT2_iSB_SB_ ; -- Begin function _Z39paged_attention_ll4mi_QKV_mfma16_kernelIDF16_hLN4vllm18Fp8KVCacheDataTypeE1EhLi16ELi128ELi256ELb0ELi16EEvPKT_PKT0_S7_ifPKiS9_S9_iPKfiiiPfSC_PS2_PT2_iSB_SB_
	.globl	_Z39paged_attention_ll4mi_QKV_mfma16_kernelIDF16_hLN4vllm18Fp8KVCacheDataTypeE1EhLi16ELi128ELi256ELb0ELi16EEvPKT_PKT0_S7_ifPKiS9_S9_iPKfiiiPfSC_PS2_PT2_iSB_SB_
	.p2align	8
	.type	_Z39paged_attention_ll4mi_QKV_mfma16_kernelIDF16_hLN4vllm18Fp8KVCacheDataTypeE1EhLi16ELi128ELi256ELb0ELi16EEvPKT_PKT0_S7_ifPKiS9_S9_iPKfiiiPfSC_PS2_PT2_iSB_SB_,@function
_Z39paged_attention_ll4mi_QKV_mfma16_kernelIDF16_hLN4vllm18Fp8KVCacheDataTypeE1EhLi16ELi128ELi256ELb0ELi16EEvPKT_PKT0_S7_ifPKiS9_S9_iPKfiiiPfSC_PS2_PT2_iSB_SB_: ; @_Z39paged_attention_ll4mi_QKV_mfma16_kernelIDF16_hLN4vllm18Fp8KVCacheDataTypeE1EhLi16ELi128ELi256ELb0ELi16EEvPKT_PKT0_S7_ifPKiS9_S9_iPKfiiiPfSC_PS2_PT2_iSB_SB_
; %bb.0:
	s_get_pc_i64 s[2:3]
	s_add_nc_u64 s[2:3], s[2:3], __PRETTY_FUNCTION__._Z39paged_attention_ll4mi_QKV_mfma16_kernelIDF16_hLN4vllm18Fp8KVCacheDataTypeE1EhLi16ELi128ELi256ELb0ELi16EEvPKT_PKT0_S7_ifPKiS9_S9_iPKfiiiPfSC_PS2_PT2_iSB_SB_@rel64+4
	s_delay_alu instid0(SALU_CYCLE_1)
	v_dual_mov_b32 v0, 0xbb3 :: v_dual_mov_b32 v1, s2
	v_mov_b32_e32 v2, s3
	s_add_nc_u64 s[8:9], s[0:1], 0x90
	s_get_pc_i64 s[0:1]
	s_add_nc_u64 s[0:1], s[0:1], __assert_fail@rel64+4
	s_mov_b32 s32, 0
	s_swap_pc_i64 s[30:31], s[0:1]
	.section	.rodata,"a",@progbits
	.p2align	6, 0x0
	.amdhsa_kernel _Z39paged_attention_ll4mi_QKV_mfma16_kernelIDF16_hLN4vllm18Fp8KVCacheDataTypeE1EhLi16ELi128ELi256ELb0ELi16EEvPKT_PKT0_S7_ifPKiS9_S9_iPKfiiiPfSC_PS2_PT2_iSB_SB_
		.amdhsa_group_segment_fixed_size 0
		.amdhsa_private_segment_fixed_size 64
		.amdhsa_kernarg_size 400
		.amdhsa_user_sgpr_count 2
		.amdhsa_user_sgpr_dispatch_ptr 0
		.amdhsa_user_sgpr_queue_ptr 0
		.amdhsa_user_sgpr_kernarg_segment_ptr 1
		.amdhsa_user_sgpr_dispatch_id 0
		.amdhsa_user_sgpr_kernarg_preload_length 0
		.amdhsa_user_sgpr_kernarg_preload_offset 0
		.amdhsa_user_sgpr_private_segment_size 0
		.amdhsa_wavefront_size32 1
		.amdhsa_uses_dynamic_stack 0
		.amdhsa_enable_private_segment 1
		.amdhsa_system_sgpr_workgroup_id_x 1
		.amdhsa_system_sgpr_workgroup_id_y 0
		.amdhsa_system_sgpr_workgroup_id_z 0
		.amdhsa_system_sgpr_workgroup_info 0
		.amdhsa_system_vgpr_workitem_id 0
		.amdhsa_next_free_vgpr 51
		.amdhsa_next_free_sgpr 34
		.amdhsa_named_barrier_count 0
		.amdhsa_reserve_vcc 1
		.amdhsa_float_round_mode_32 0
		.amdhsa_float_round_mode_16_64 0
		.amdhsa_float_denorm_mode_32 3
		.amdhsa_float_denorm_mode_16_64 3
		.amdhsa_fp16_overflow 0
		.amdhsa_memory_ordered 1
		.amdhsa_forward_progress 1
		.amdhsa_inst_pref_size 1
		.amdhsa_round_robin_scheduling 0
		.amdhsa_exception_fp_ieee_invalid_op 0
		.amdhsa_exception_fp_denorm_src 0
		.amdhsa_exception_fp_ieee_div_zero 0
		.amdhsa_exception_fp_ieee_overflow 0
		.amdhsa_exception_fp_ieee_underflow 0
		.amdhsa_exception_fp_ieee_inexact 0
		.amdhsa_exception_int_div_zero 0
	.end_amdhsa_kernel
	.section	.text._Z39paged_attention_ll4mi_QKV_mfma16_kernelIDF16_hLN4vllm18Fp8KVCacheDataTypeE1EhLi16ELi128ELi256ELb0ELi16EEvPKT_PKT0_S7_ifPKiS9_S9_iPKfiiiPfSC_PS2_PT2_iSB_SB_,"axG",@progbits,_Z39paged_attention_ll4mi_QKV_mfma16_kernelIDF16_hLN4vllm18Fp8KVCacheDataTypeE1EhLi16ELi128ELi256ELb0ELi16EEvPKT_PKT0_S7_ifPKiS9_S9_iPKfiiiPfSC_PS2_PT2_iSB_SB_,comdat
.Lfunc_end965:
	.size	_Z39paged_attention_ll4mi_QKV_mfma16_kernelIDF16_hLN4vllm18Fp8KVCacheDataTypeE1EhLi16ELi128ELi256ELb0ELi16EEvPKT_PKT0_S7_ifPKiS9_S9_iPKfiiiPfSC_PS2_PT2_iSB_SB_, .Lfunc_end965-_Z39paged_attention_ll4mi_QKV_mfma16_kernelIDF16_hLN4vllm18Fp8KVCacheDataTypeE1EhLi16ELi128ELi256ELb0ELi16EEvPKT_PKT0_S7_ifPKiS9_S9_iPKfiiiPfSC_PS2_PT2_iSB_SB_
                                        ; -- End function
	.set _Z39paged_attention_ll4mi_QKV_mfma16_kernelIDF16_hLN4vllm18Fp8KVCacheDataTypeE1EhLi16ELi128ELi256ELb0ELi16EEvPKT_PKT0_S7_ifPKiS9_S9_iPKfiiiPfSC_PS2_PT2_iSB_SB_.num_vgpr, max(3, .L__assert_fail.num_vgpr)
	.set _Z39paged_attention_ll4mi_QKV_mfma16_kernelIDF16_hLN4vllm18Fp8KVCacheDataTypeE1EhLi16ELi128ELi256ELb0ELi16EEvPKT_PKT0_S7_ifPKiS9_S9_iPKfiiiPfSC_PS2_PT2_iSB_SB_.num_agpr, max(0, .L__assert_fail.num_agpr)
	.set _Z39paged_attention_ll4mi_QKV_mfma16_kernelIDF16_hLN4vllm18Fp8KVCacheDataTypeE1EhLi16ELi128ELi256ELb0ELi16EEvPKT_PKT0_S7_ifPKiS9_S9_iPKfiiiPfSC_PS2_PT2_iSB_SB_.numbered_sgpr, max(33, .L__assert_fail.numbered_sgpr)
	.set _Z39paged_attention_ll4mi_QKV_mfma16_kernelIDF16_hLN4vllm18Fp8KVCacheDataTypeE1EhLi16ELi128ELi256ELb0ELi16EEvPKT_PKT0_S7_ifPKiS9_S9_iPKfiiiPfSC_PS2_PT2_iSB_SB_.num_named_barrier, max(0, .L__assert_fail.num_named_barrier)
	.set _Z39paged_attention_ll4mi_QKV_mfma16_kernelIDF16_hLN4vllm18Fp8KVCacheDataTypeE1EhLi16ELi128ELi256ELb0ELi16EEvPKT_PKT0_S7_ifPKiS9_S9_iPKfiiiPfSC_PS2_PT2_iSB_SB_.private_seg_size, 0+max(.L__assert_fail.private_seg_size)
	.set _Z39paged_attention_ll4mi_QKV_mfma16_kernelIDF16_hLN4vllm18Fp8KVCacheDataTypeE1EhLi16ELi128ELi256ELb0ELi16EEvPKT_PKT0_S7_ifPKiS9_S9_iPKfiiiPfSC_PS2_PT2_iSB_SB_.uses_vcc, or(1, .L__assert_fail.uses_vcc)
	.set _Z39paged_attention_ll4mi_QKV_mfma16_kernelIDF16_hLN4vllm18Fp8KVCacheDataTypeE1EhLi16ELi128ELi256ELb0ELi16EEvPKT_PKT0_S7_ifPKiS9_S9_iPKfiiiPfSC_PS2_PT2_iSB_SB_.uses_flat_scratch, or(0, .L__assert_fail.uses_flat_scratch)
	.set _Z39paged_attention_ll4mi_QKV_mfma16_kernelIDF16_hLN4vllm18Fp8KVCacheDataTypeE1EhLi16ELi128ELi256ELb0ELi16EEvPKT_PKT0_S7_ifPKiS9_S9_iPKfiiiPfSC_PS2_PT2_iSB_SB_.has_dyn_sized_stack, or(0, .L__assert_fail.has_dyn_sized_stack)
	.set _Z39paged_attention_ll4mi_QKV_mfma16_kernelIDF16_hLN4vllm18Fp8KVCacheDataTypeE1EhLi16ELi128ELi256ELb0ELi16EEvPKT_PKT0_S7_ifPKiS9_S9_iPKfiiiPfSC_PS2_PT2_iSB_SB_.has_recursion, or(0, .L__assert_fail.has_recursion)
	.set _Z39paged_attention_ll4mi_QKV_mfma16_kernelIDF16_hLN4vllm18Fp8KVCacheDataTypeE1EhLi16ELi128ELi256ELb0ELi16EEvPKT_PKT0_S7_ifPKiS9_S9_iPKfiiiPfSC_PS2_PT2_iSB_SB_.has_indirect_call, or(0, .L__assert_fail.has_indirect_call)
	.section	.AMDGPU.csdata,"",@progbits
; Kernel info:
; codeLenInByte = 68
; TotalNumSgprs: 36
; NumVgprs: 51
; ScratchSize: 64
; MemoryBound: 0
; FloatMode: 240
; IeeeMode: 1
; LDSByteSize: 0 bytes/workgroup (compile time only)
; SGPRBlocks: 0
; VGPRBlocks: 3
; NumSGPRsForWavesPerEU: 36
; NumVGPRsForWavesPerEU: 51
; NamedBarCnt: 0
; Occupancy: 16
; WaveLimiterHint : 1
; COMPUTE_PGM_RSRC2:SCRATCH_EN: 1
; COMPUTE_PGM_RSRC2:USER_SGPR: 2
; COMPUTE_PGM_RSRC2:TRAP_HANDLER: 0
; COMPUTE_PGM_RSRC2:TGID_X_EN: 1
; COMPUTE_PGM_RSRC2:TGID_Y_EN: 0
; COMPUTE_PGM_RSRC2:TGID_Z_EN: 0
; COMPUTE_PGM_RSRC2:TIDIG_COMP_CNT: 0
	.section	.text._Z39paged_attention_ll4mi_QKV_mfma16_kernelIDF16_hLN4vllm18Fp8KVCacheDataTypeE1EhLi16ELi128ELi256ELb0ELi1EEvPKT_PKT0_S7_ifPKiS9_S9_iPKfiiiPfSC_PS2_PT2_iSB_SB_,"axG",@progbits,_Z39paged_attention_ll4mi_QKV_mfma16_kernelIDF16_hLN4vllm18Fp8KVCacheDataTypeE1EhLi16ELi128ELi256ELb0ELi1EEvPKT_PKT0_S7_ifPKiS9_S9_iPKfiiiPfSC_PS2_PT2_iSB_SB_,comdat
	.protected	_Z39paged_attention_ll4mi_QKV_mfma16_kernelIDF16_hLN4vllm18Fp8KVCacheDataTypeE1EhLi16ELi128ELi256ELb0ELi1EEvPKT_PKT0_S7_ifPKiS9_S9_iPKfiiiPfSC_PS2_PT2_iSB_SB_ ; -- Begin function _Z39paged_attention_ll4mi_QKV_mfma16_kernelIDF16_hLN4vllm18Fp8KVCacheDataTypeE1EhLi16ELi128ELi256ELb0ELi1EEvPKT_PKT0_S7_ifPKiS9_S9_iPKfiiiPfSC_PS2_PT2_iSB_SB_
	.globl	_Z39paged_attention_ll4mi_QKV_mfma16_kernelIDF16_hLN4vllm18Fp8KVCacheDataTypeE1EhLi16ELi128ELi256ELb0ELi1EEvPKT_PKT0_S7_ifPKiS9_S9_iPKfiiiPfSC_PS2_PT2_iSB_SB_
	.p2align	8
	.type	_Z39paged_attention_ll4mi_QKV_mfma16_kernelIDF16_hLN4vllm18Fp8KVCacheDataTypeE1EhLi16ELi128ELi256ELb0ELi1EEvPKT_PKT0_S7_ifPKiS9_S9_iPKfiiiPfSC_PS2_PT2_iSB_SB_,@function
_Z39paged_attention_ll4mi_QKV_mfma16_kernelIDF16_hLN4vllm18Fp8KVCacheDataTypeE1EhLi16ELi128ELi256ELb0ELi1EEvPKT_PKT0_S7_ifPKiS9_S9_iPKfiiiPfSC_PS2_PT2_iSB_SB_: ; @_Z39paged_attention_ll4mi_QKV_mfma16_kernelIDF16_hLN4vllm18Fp8KVCacheDataTypeE1EhLi16ELi128ELi256ELb0ELi1EEvPKT_PKT0_S7_ifPKiS9_S9_iPKfiiiPfSC_PS2_PT2_iSB_SB_
; %bb.0:
	s_get_pc_i64 s[2:3]
	s_add_nc_u64 s[2:3], s[2:3], __PRETTY_FUNCTION__._Z39paged_attention_ll4mi_QKV_mfma16_kernelIDF16_hLN4vllm18Fp8KVCacheDataTypeE1EhLi16ELi128ELi256ELb0ELi1EEvPKT_PKT0_S7_ifPKiS9_S9_iPKfiiiPfSC_PS2_PT2_iSB_SB_@rel64+4
	s_delay_alu instid0(SALU_CYCLE_1)
	v_dual_mov_b32 v0, 0xbb3 :: v_dual_mov_b32 v1, s2
	v_mov_b32_e32 v2, s3
	s_add_nc_u64 s[8:9], s[0:1], 0x90
	s_get_pc_i64 s[0:1]
	s_add_nc_u64 s[0:1], s[0:1], __assert_fail@rel64+4
	s_mov_b32 s32, 0
	s_swap_pc_i64 s[30:31], s[0:1]
	.section	.rodata,"a",@progbits
	.p2align	6, 0x0
	.amdhsa_kernel _Z39paged_attention_ll4mi_QKV_mfma16_kernelIDF16_hLN4vllm18Fp8KVCacheDataTypeE1EhLi16ELi128ELi256ELb0ELi1EEvPKT_PKT0_S7_ifPKiS9_S9_iPKfiiiPfSC_PS2_PT2_iSB_SB_
		.amdhsa_group_segment_fixed_size 0
		.amdhsa_private_segment_fixed_size 64
		.amdhsa_kernarg_size 400
		.amdhsa_user_sgpr_count 2
		.amdhsa_user_sgpr_dispatch_ptr 0
		.amdhsa_user_sgpr_queue_ptr 0
		.amdhsa_user_sgpr_kernarg_segment_ptr 1
		.amdhsa_user_sgpr_dispatch_id 0
		.amdhsa_user_sgpr_kernarg_preload_length 0
		.amdhsa_user_sgpr_kernarg_preload_offset 0
		.amdhsa_user_sgpr_private_segment_size 0
		.amdhsa_wavefront_size32 1
		.amdhsa_uses_dynamic_stack 0
		.amdhsa_enable_private_segment 1
		.amdhsa_system_sgpr_workgroup_id_x 1
		.amdhsa_system_sgpr_workgroup_id_y 0
		.amdhsa_system_sgpr_workgroup_id_z 0
		.amdhsa_system_sgpr_workgroup_info 0
		.amdhsa_system_vgpr_workitem_id 0
		.amdhsa_next_free_vgpr 51
		.amdhsa_next_free_sgpr 34
		.amdhsa_named_barrier_count 0
		.amdhsa_reserve_vcc 1
		.amdhsa_float_round_mode_32 0
		.amdhsa_float_round_mode_16_64 0
		.amdhsa_float_denorm_mode_32 3
		.amdhsa_float_denorm_mode_16_64 3
		.amdhsa_fp16_overflow 0
		.amdhsa_memory_ordered 1
		.amdhsa_forward_progress 1
		.amdhsa_inst_pref_size 1
		.amdhsa_round_robin_scheduling 0
		.amdhsa_exception_fp_ieee_invalid_op 0
		.amdhsa_exception_fp_denorm_src 0
		.amdhsa_exception_fp_ieee_div_zero 0
		.amdhsa_exception_fp_ieee_overflow 0
		.amdhsa_exception_fp_ieee_underflow 0
		.amdhsa_exception_fp_ieee_inexact 0
		.amdhsa_exception_int_div_zero 0
	.end_amdhsa_kernel
	.section	.text._Z39paged_attention_ll4mi_QKV_mfma16_kernelIDF16_hLN4vllm18Fp8KVCacheDataTypeE1EhLi16ELi128ELi256ELb0ELi1EEvPKT_PKT0_S7_ifPKiS9_S9_iPKfiiiPfSC_PS2_PT2_iSB_SB_,"axG",@progbits,_Z39paged_attention_ll4mi_QKV_mfma16_kernelIDF16_hLN4vllm18Fp8KVCacheDataTypeE1EhLi16ELi128ELi256ELb0ELi1EEvPKT_PKT0_S7_ifPKiS9_S9_iPKfiiiPfSC_PS2_PT2_iSB_SB_,comdat
.Lfunc_end966:
	.size	_Z39paged_attention_ll4mi_QKV_mfma16_kernelIDF16_hLN4vllm18Fp8KVCacheDataTypeE1EhLi16ELi128ELi256ELb0ELi1EEvPKT_PKT0_S7_ifPKiS9_S9_iPKfiiiPfSC_PS2_PT2_iSB_SB_, .Lfunc_end966-_Z39paged_attention_ll4mi_QKV_mfma16_kernelIDF16_hLN4vllm18Fp8KVCacheDataTypeE1EhLi16ELi128ELi256ELb0ELi1EEvPKT_PKT0_S7_ifPKiS9_S9_iPKfiiiPfSC_PS2_PT2_iSB_SB_
                                        ; -- End function
	.set _Z39paged_attention_ll4mi_QKV_mfma16_kernelIDF16_hLN4vllm18Fp8KVCacheDataTypeE1EhLi16ELi128ELi256ELb0ELi1EEvPKT_PKT0_S7_ifPKiS9_S9_iPKfiiiPfSC_PS2_PT2_iSB_SB_.num_vgpr, max(3, .L__assert_fail.num_vgpr)
	.set _Z39paged_attention_ll4mi_QKV_mfma16_kernelIDF16_hLN4vllm18Fp8KVCacheDataTypeE1EhLi16ELi128ELi256ELb0ELi1EEvPKT_PKT0_S7_ifPKiS9_S9_iPKfiiiPfSC_PS2_PT2_iSB_SB_.num_agpr, max(0, .L__assert_fail.num_agpr)
	.set _Z39paged_attention_ll4mi_QKV_mfma16_kernelIDF16_hLN4vllm18Fp8KVCacheDataTypeE1EhLi16ELi128ELi256ELb0ELi1EEvPKT_PKT0_S7_ifPKiS9_S9_iPKfiiiPfSC_PS2_PT2_iSB_SB_.numbered_sgpr, max(33, .L__assert_fail.numbered_sgpr)
	.set _Z39paged_attention_ll4mi_QKV_mfma16_kernelIDF16_hLN4vllm18Fp8KVCacheDataTypeE1EhLi16ELi128ELi256ELb0ELi1EEvPKT_PKT0_S7_ifPKiS9_S9_iPKfiiiPfSC_PS2_PT2_iSB_SB_.num_named_barrier, max(0, .L__assert_fail.num_named_barrier)
	.set _Z39paged_attention_ll4mi_QKV_mfma16_kernelIDF16_hLN4vllm18Fp8KVCacheDataTypeE1EhLi16ELi128ELi256ELb0ELi1EEvPKT_PKT0_S7_ifPKiS9_S9_iPKfiiiPfSC_PS2_PT2_iSB_SB_.private_seg_size, 0+max(.L__assert_fail.private_seg_size)
	.set _Z39paged_attention_ll4mi_QKV_mfma16_kernelIDF16_hLN4vllm18Fp8KVCacheDataTypeE1EhLi16ELi128ELi256ELb0ELi1EEvPKT_PKT0_S7_ifPKiS9_S9_iPKfiiiPfSC_PS2_PT2_iSB_SB_.uses_vcc, or(1, .L__assert_fail.uses_vcc)
	.set _Z39paged_attention_ll4mi_QKV_mfma16_kernelIDF16_hLN4vllm18Fp8KVCacheDataTypeE1EhLi16ELi128ELi256ELb0ELi1EEvPKT_PKT0_S7_ifPKiS9_S9_iPKfiiiPfSC_PS2_PT2_iSB_SB_.uses_flat_scratch, or(0, .L__assert_fail.uses_flat_scratch)
	.set _Z39paged_attention_ll4mi_QKV_mfma16_kernelIDF16_hLN4vllm18Fp8KVCacheDataTypeE1EhLi16ELi128ELi256ELb0ELi1EEvPKT_PKT0_S7_ifPKiS9_S9_iPKfiiiPfSC_PS2_PT2_iSB_SB_.has_dyn_sized_stack, or(0, .L__assert_fail.has_dyn_sized_stack)
	.set _Z39paged_attention_ll4mi_QKV_mfma16_kernelIDF16_hLN4vllm18Fp8KVCacheDataTypeE1EhLi16ELi128ELi256ELb0ELi1EEvPKT_PKT0_S7_ifPKiS9_S9_iPKfiiiPfSC_PS2_PT2_iSB_SB_.has_recursion, or(0, .L__assert_fail.has_recursion)
	.set _Z39paged_attention_ll4mi_QKV_mfma16_kernelIDF16_hLN4vllm18Fp8KVCacheDataTypeE1EhLi16ELi128ELi256ELb0ELi1EEvPKT_PKT0_S7_ifPKiS9_S9_iPKfiiiPfSC_PS2_PT2_iSB_SB_.has_indirect_call, or(0, .L__assert_fail.has_indirect_call)
	.section	.AMDGPU.csdata,"",@progbits
; Kernel info:
; codeLenInByte = 68
; TotalNumSgprs: 36
; NumVgprs: 51
; ScratchSize: 64
; MemoryBound: 0
; FloatMode: 240
; IeeeMode: 1
; LDSByteSize: 0 bytes/workgroup (compile time only)
; SGPRBlocks: 0
; VGPRBlocks: 3
; NumSGPRsForWavesPerEU: 36
; NumVGPRsForWavesPerEU: 51
; NamedBarCnt: 0
; Occupancy: 16
; WaveLimiterHint : 1
; COMPUTE_PGM_RSRC2:SCRATCH_EN: 1
; COMPUTE_PGM_RSRC2:USER_SGPR: 2
; COMPUTE_PGM_RSRC2:TRAP_HANDLER: 0
; COMPUTE_PGM_RSRC2:TGID_X_EN: 1
; COMPUTE_PGM_RSRC2:TGID_Y_EN: 0
; COMPUTE_PGM_RSRC2:TGID_Z_EN: 0
; COMPUTE_PGM_RSRC2:TIDIG_COMP_CNT: 0
	.section	.text._Z39paged_attention_ll4mi_QKV_mfma16_kernelIDF16_hLN4vllm18Fp8KVCacheDataTypeE1EhLi16ELi128ELi256ELb0ELi2EEvPKT_PKT0_S7_ifPKiS9_S9_iPKfiiiPfSC_PS2_PT2_iSB_SB_,"axG",@progbits,_Z39paged_attention_ll4mi_QKV_mfma16_kernelIDF16_hLN4vllm18Fp8KVCacheDataTypeE1EhLi16ELi128ELi256ELb0ELi2EEvPKT_PKT0_S7_ifPKiS9_S9_iPKfiiiPfSC_PS2_PT2_iSB_SB_,comdat
	.protected	_Z39paged_attention_ll4mi_QKV_mfma16_kernelIDF16_hLN4vllm18Fp8KVCacheDataTypeE1EhLi16ELi128ELi256ELb0ELi2EEvPKT_PKT0_S7_ifPKiS9_S9_iPKfiiiPfSC_PS2_PT2_iSB_SB_ ; -- Begin function _Z39paged_attention_ll4mi_QKV_mfma16_kernelIDF16_hLN4vllm18Fp8KVCacheDataTypeE1EhLi16ELi128ELi256ELb0ELi2EEvPKT_PKT0_S7_ifPKiS9_S9_iPKfiiiPfSC_PS2_PT2_iSB_SB_
	.globl	_Z39paged_attention_ll4mi_QKV_mfma16_kernelIDF16_hLN4vllm18Fp8KVCacheDataTypeE1EhLi16ELi128ELi256ELb0ELi2EEvPKT_PKT0_S7_ifPKiS9_S9_iPKfiiiPfSC_PS2_PT2_iSB_SB_
	.p2align	8
	.type	_Z39paged_attention_ll4mi_QKV_mfma16_kernelIDF16_hLN4vllm18Fp8KVCacheDataTypeE1EhLi16ELi128ELi256ELb0ELi2EEvPKT_PKT0_S7_ifPKiS9_S9_iPKfiiiPfSC_PS2_PT2_iSB_SB_,@function
_Z39paged_attention_ll4mi_QKV_mfma16_kernelIDF16_hLN4vllm18Fp8KVCacheDataTypeE1EhLi16ELi128ELi256ELb0ELi2EEvPKT_PKT0_S7_ifPKiS9_S9_iPKfiiiPfSC_PS2_PT2_iSB_SB_: ; @_Z39paged_attention_ll4mi_QKV_mfma16_kernelIDF16_hLN4vllm18Fp8KVCacheDataTypeE1EhLi16ELi128ELi256ELb0ELi2EEvPKT_PKT0_S7_ifPKiS9_S9_iPKfiiiPfSC_PS2_PT2_iSB_SB_
; %bb.0:
	s_get_pc_i64 s[2:3]
	s_add_nc_u64 s[2:3], s[2:3], __PRETTY_FUNCTION__._Z39paged_attention_ll4mi_QKV_mfma16_kernelIDF16_hLN4vllm18Fp8KVCacheDataTypeE1EhLi16ELi128ELi256ELb0ELi2EEvPKT_PKT0_S7_ifPKiS9_S9_iPKfiiiPfSC_PS2_PT2_iSB_SB_@rel64+4
	s_delay_alu instid0(SALU_CYCLE_1)
	v_dual_mov_b32 v0, 0xbb3 :: v_dual_mov_b32 v1, s2
	v_mov_b32_e32 v2, s3
	s_add_nc_u64 s[8:9], s[0:1], 0x90
	s_get_pc_i64 s[0:1]
	s_add_nc_u64 s[0:1], s[0:1], __assert_fail@rel64+4
	s_mov_b32 s32, 0
	s_swap_pc_i64 s[30:31], s[0:1]
	.section	.rodata,"a",@progbits
	.p2align	6, 0x0
	.amdhsa_kernel _Z39paged_attention_ll4mi_QKV_mfma16_kernelIDF16_hLN4vllm18Fp8KVCacheDataTypeE1EhLi16ELi128ELi256ELb0ELi2EEvPKT_PKT0_S7_ifPKiS9_S9_iPKfiiiPfSC_PS2_PT2_iSB_SB_
		.amdhsa_group_segment_fixed_size 0
		.amdhsa_private_segment_fixed_size 64
		.amdhsa_kernarg_size 400
		.amdhsa_user_sgpr_count 2
		.amdhsa_user_sgpr_dispatch_ptr 0
		.amdhsa_user_sgpr_queue_ptr 0
		.amdhsa_user_sgpr_kernarg_segment_ptr 1
		.amdhsa_user_sgpr_dispatch_id 0
		.amdhsa_user_sgpr_kernarg_preload_length 0
		.amdhsa_user_sgpr_kernarg_preload_offset 0
		.amdhsa_user_sgpr_private_segment_size 0
		.amdhsa_wavefront_size32 1
		.amdhsa_uses_dynamic_stack 0
		.amdhsa_enable_private_segment 1
		.amdhsa_system_sgpr_workgroup_id_x 1
		.amdhsa_system_sgpr_workgroup_id_y 0
		.amdhsa_system_sgpr_workgroup_id_z 0
		.amdhsa_system_sgpr_workgroup_info 0
		.amdhsa_system_vgpr_workitem_id 0
		.amdhsa_next_free_vgpr 51
		.amdhsa_next_free_sgpr 34
		.amdhsa_named_barrier_count 0
		.amdhsa_reserve_vcc 1
		.amdhsa_float_round_mode_32 0
		.amdhsa_float_round_mode_16_64 0
		.amdhsa_float_denorm_mode_32 3
		.amdhsa_float_denorm_mode_16_64 3
		.amdhsa_fp16_overflow 0
		.amdhsa_memory_ordered 1
		.amdhsa_forward_progress 1
		.amdhsa_inst_pref_size 1
		.amdhsa_round_robin_scheduling 0
		.amdhsa_exception_fp_ieee_invalid_op 0
		.amdhsa_exception_fp_denorm_src 0
		.amdhsa_exception_fp_ieee_div_zero 0
		.amdhsa_exception_fp_ieee_overflow 0
		.amdhsa_exception_fp_ieee_underflow 0
		.amdhsa_exception_fp_ieee_inexact 0
		.amdhsa_exception_int_div_zero 0
	.end_amdhsa_kernel
	.section	.text._Z39paged_attention_ll4mi_QKV_mfma16_kernelIDF16_hLN4vllm18Fp8KVCacheDataTypeE1EhLi16ELi128ELi256ELb0ELi2EEvPKT_PKT0_S7_ifPKiS9_S9_iPKfiiiPfSC_PS2_PT2_iSB_SB_,"axG",@progbits,_Z39paged_attention_ll4mi_QKV_mfma16_kernelIDF16_hLN4vllm18Fp8KVCacheDataTypeE1EhLi16ELi128ELi256ELb0ELi2EEvPKT_PKT0_S7_ifPKiS9_S9_iPKfiiiPfSC_PS2_PT2_iSB_SB_,comdat
.Lfunc_end967:
	.size	_Z39paged_attention_ll4mi_QKV_mfma16_kernelIDF16_hLN4vllm18Fp8KVCacheDataTypeE1EhLi16ELi128ELi256ELb0ELi2EEvPKT_PKT0_S7_ifPKiS9_S9_iPKfiiiPfSC_PS2_PT2_iSB_SB_, .Lfunc_end967-_Z39paged_attention_ll4mi_QKV_mfma16_kernelIDF16_hLN4vllm18Fp8KVCacheDataTypeE1EhLi16ELi128ELi256ELb0ELi2EEvPKT_PKT0_S7_ifPKiS9_S9_iPKfiiiPfSC_PS2_PT2_iSB_SB_
                                        ; -- End function
	.set _Z39paged_attention_ll4mi_QKV_mfma16_kernelIDF16_hLN4vllm18Fp8KVCacheDataTypeE1EhLi16ELi128ELi256ELb0ELi2EEvPKT_PKT0_S7_ifPKiS9_S9_iPKfiiiPfSC_PS2_PT2_iSB_SB_.num_vgpr, max(3, .L__assert_fail.num_vgpr)
	.set _Z39paged_attention_ll4mi_QKV_mfma16_kernelIDF16_hLN4vllm18Fp8KVCacheDataTypeE1EhLi16ELi128ELi256ELb0ELi2EEvPKT_PKT0_S7_ifPKiS9_S9_iPKfiiiPfSC_PS2_PT2_iSB_SB_.num_agpr, max(0, .L__assert_fail.num_agpr)
	.set _Z39paged_attention_ll4mi_QKV_mfma16_kernelIDF16_hLN4vllm18Fp8KVCacheDataTypeE1EhLi16ELi128ELi256ELb0ELi2EEvPKT_PKT0_S7_ifPKiS9_S9_iPKfiiiPfSC_PS2_PT2_iSB_SB_.numbered_sgpr, max(33, .L__assert_fail.numbered_sgpr)
	.set _Z39paged_attention_ll4mi_QKV_mfma16_kernelIDF16_hLN4vllm18Fp8KVCacheDataTypeE1EhLi16ELi128ELi256ELb0ELi2EEvPKT_PKT0_S7_ifPKiS9_S9_iPKfiiiPfSC_PS2_PT2_iSB_SB_.num_named_barrier, max(0, .L__assert_fail.num_named_barrier)
	.set _Z39paged_attention_ll4mi_QKV_mfma16_kernelIDF16_hLN4vllm18Fp8KVCacheDataTypeE1EhLi16ELi128ELi256ELb0ELi2EEvPKT_PKT0_S7_ifPKiS9_S9_iPKfiiiPfSC_PS2_PT2_iSB_SB_.private_seg_size, 0+max(.L__assert_fail.private_seg_size)
	.set _Z39paged_attention_ll4mi_QKV_mfma16_kernelIDF16_hLN4vllm18Fp8KVCacheDataTypeE1EhLi16ELi128ELi256ELb0ELi2EEvPKT_PKT0_S7_ifPKiS9_S9_iPKfiiiPfSC_PS2_PT2_iSB_SB_.uses_vcc, or(1, .L__assert_fail.uses_vcc)
	.set _Z39paged_attention_ll4mi_QKV_mfma16_kernelIDF16_hLN4vllm18Fp8KVCacheDataTypeE1EhLi16ELi128ELi256ELb0ELi2EEvPKT_PKT0_S7_ifPKiS9_S9_iPKfiiiPfSC_PS2_PT2_iSB_SB_.uses_flat_scratch, or(0, .L__assert_fail.uses_flat_scratch)
	.set _Z39paged_attention_ll4mi_QKV_mfma16_kernelIDF16_hLN4vllm18Fp8KVCacheDataTypeE1EhLi16ELi128ELi256ELb0ELi2EEvPKT_PKT0_S7_ifPKiS9_S9_iPKfiiiPfSC_PS2_PT2_iSB_SB_.has_dyn_sized_stack, or(0, .L__assert_fail.has_dyn_sized_stack)
	.set _Z39paged_attention_ll4mi_QKV_mfma16_kernelIDF16_hLN4vllm18Fp8KVCacheDataTypeE1EhLi16ELi128ELi256ELb0ELi2EEvPKT_PKT0_S7_ifPKiS9_S9_iPKfiiiPfSC_PS2_PT2_iSB_SB_.has_recursion, or(0, .L__assert_fail.has_recursion)
	.set _Z39paged_attention_ll4mi_QKV_mfma16_kernelIDF16_hLN4vllm18Fp8KVCacheDataTypeE1EhLi16ELi128ELi256ELb0ELi2EEvPKT_PKT0_S7_ifPKiS9_S9_iPKfiiiPfSC_PS2_PT2_iSB_SB_.has_indirect_call, or(0, .L__assert_fail.has_indirect_call)
	.section	.AMDGPU.csdata,"",@progbits
; Kernel info:
; codeLenInByte = 68
; TotalNumSgprs: 36
; NumVgprs: 51
; ScratchSize: 64
; MemoryBound: 0
; FloatMode: 240
; IeeeMode: 1
; LDSByteSize: 0 bytes/workgroup (compile time only)
; SGPRBlocks: 0
; VGPRBlocks: 3
; NumSGPRsForWavesPerEU: 36
; NumVGPRsForWavesPerEU: 51
; NamedBarCnt: 0
; Occupancy: 16
; WaveLimiterHint : 1
; COMPUTE_PGM_RSRC2:SCRATCH_EN: 1
; COMPUTE_PGM_RSRC2:USER_SGPR: 2
; COMPUTE_PGM_RSRC2:TRAP_HANDLER: 0
; COMPUTE_PGM_RSRC2:TGID_X_EN: 1
; COMPUTE_PGM_RSRC2:TGID_Y_EN: 0
; COMPUTE_PGM_RSRC2:TGID_Z_EN: 0
; COMPUTE_PGM_RSRC2:TIDIG_COMP_CNT: 0
	.section	.text._Z39paged_attention_ll4mi_QKV_mfma16_kernelIDF16_hLN4vllm18Fp8KVCacheDataTypeE1EhLi16ELi128ELi256ELb0ELi3EEvPKT_PKT0_S7_ifPKiS9_S9_iPKfiiiPfSC_PS2_PT2_iSB_SB_,"axG",@progbits,_Z39paged_attention_ll4mi_QKV_mfma16_kernelIDF16_hLN4vllm18Fp8KVCacheDataTypeE1EhLi16ELi128ELi256ELb0ELi3EEvPKT_PKT0_S7_ifPKiS9_S9_iPKfiiiPfSC_PS2_PT2_iSB_SB_,comdat
	.protected	_Z39paged_attention_ll4mi_QKV_mfma16_kernelIDF16_hLN4vllm18Fp8KVCacheDataTypeE1EhLi16ELi128ELi256ELb0ELi3EEvPKT_PKT0_S7_ifPKiS9_S9_iPKfiiiPfSC_PS2_PT2_iSB_SB_ ; -- Begin function _Z39paged_attention_ll4mi_QKV_mfma16_kernelIDF16_hLN4vllm18Fp8KVCacheDataTypeE1EhLi16ELi128ELi256ELb0ELi3EEvPKT_PKT0_S7_ifPKiS9_S9_iPKfiiiPfSC_PS2_PT2_iSB_SB_
	.globl	_Z39paged_attention_ll4mi_QKV_mfma16_kernelIDF16_hLN4vllm18Fp8KVCacheDataTypeE1EhLi16ELi128ELi256ELb0ELi3EEvPKT_PKT0_S7_ifPKiS9_S9_iPKfiiiPfSC_PS2_PT2_iSB_SB_
	.p2align	8
	.type	_Z39paged_attention_ll4mi_QKV_mfma16_kernelIDF16_hLN4vllm18Fp8KVCacheDataTypeE1EhLi16ELi128ELi256ELb0ELi3EEvPKT_PKT0_S7_ifPKiS9_S9_iPKfiiiPfSC_PS2_PT2_iSB_SB_,@function
_Z39paged_attention_ll4mi_QKV_mfma16_kernelIDF16_hLN4vllm18Fp8KVCacheDataTypeE1EhLi16ELi128ELi256ELb0ELi3EEvPKT_PKT0_S7_ifPKiS9_S9_iPKfiiiPfSC_PS2_PT2_iSB_SB_: ; @_Z39paged_attention_ll4mi_QKV_mfma16_kernelIDF16_hLN4vllm18Fp8KVCacheDataTypeE1EhLi16ELi128ELi256ELb0ELi3EEvPKT_PKT0_S7_ifPKiS9_S9_iPKfiiiPfSC_PS2_PT2_iSB_SB_
; %bb.0:
	s_get_pc_i64 s[2:3]
	s_add_nc_u64 s[2:3], s[2:3], __PRETTY_FUNCTION__._Z39paged_attention_ll4mi_QKV_mfma16_kernelIDF16_hLN4vllm18Fp8KVCacheDataTypeE1EhLi16ELi128ELi256ELb0ELi3EEvPKT_PKT0_S7_ifPKiS9_S9_iPKfiiiPfSC_PS2_PT2_iSB_SB_@rel64+4
	s_delay_alu instid0(SALU_CYCLE_1)
	v_dual_mov_b32 v0, 0xbb3 :: v_dual_mov_b32 v1, s2
	v_mov_b32_e32 v2, s3
	s_add_nc_u64 s[8:9], s[0:1], 0x90
	s_get_pc_i64 s[0:1]
	s_add_nc_u64 s[0:1], s[0:1], __assert_fail@rel64+4
	s_mov_b32 s32, 0
	s_swap_pc_i64 s[30:31], s[0:1]
	.section	.rodata,"a",@progbits
	.p2align	6, 0x0
	.amdhsa_kernel _Z39paged_attention_ll4mi_QKV_mfma16_kernelIDF16_hLN4vllm18Fp8KVCacheDataTypeE1EhLi16ELi128ELi256ELb0ELi3EEvPKT_PKT0_S7_ifPKiS9_S9_iPKfiiiPfSC_PS2_PT2_iSB_SB_
		.amdhsa_group_segment_fixed_size 0
		.amdhsa_private_segment_fixed_size 64
		.amdhsa_kernarg_size 400
		.amdhsa_user_sgpr_count 2
		.amdhsa_user_sgpr_dispatch_ptr 0
		.amdhsa_user_sgpr_queue_ptr 0
		.amdhsa_user_sgpr_kernarg_segment_ptr 1
		.amdhsa_user_sgpr_dispatch_id 0
		.amdhsa_user_sgpr_kernarg_preload_length 0
		.amdhsa_user_sgpr_kernarg_preload_offset 0
		.amdhsa_user_sgpr_private_segment_size 0
		.amdhsa_wavefront_size32 1
		.amdhsa_uses_dynamic_stack 0
		.amdhsa_enable_private_segment 1
		.amdhsa_system_sgpr_workgroup_id_x 1
		.amdhsa_system_sgpr_workgroup_id_y 0
		.amdhsa_system_sgpr_workgroup_id_z 0
		.amdhsa_system_sgpr_workgroup_info 0
		.amdhsa_system_vgpr_workitem_id 0
		.amdhsa_next_free_vgpr 51
		.amdhsa_next_free_sgpr 34
		.amdhsa_named_barrier_count 0
		.amdhsa_reserve_vcc 1
		.amdhsa_float_round_mode_32 0
		.amdhsa_float_round_mode_16_64 0
		.amdhsa_float_denorm_mode_32 3
		.amdhsa_float_denorm_mode_16_64 3
		.amdhsa_fp16_overflow 0
		.amdhsa_memory_ordered 1
		.amdhsa_forward_progress 1
		.amdhsa_inst_pref_size 1
		.amdhsa_round_robin_scheduling 0
		.amdhsa_exception_fp_ieee_invalid_op 0
		.amdhsa_exception_fp_denorm_src 0
		.amdhsa_exception_fp_ieee_div_zero 0
		.amdhsa_exception_fp_ieee_overflow 0
		.amdhsa_exception_fp_ieee_underflow 0
		.amdhsa_exception_fp_ieee_inexact 0
		.amdhsa_exception_int_div_zero 0
	.end_amdhsa_kernel
	.section	.text._Z39paged_attention_ll4mi_QKV_mfma16_kernelIDF16_hLN4vllm18Fp8KVCacheDataTypeE1EhLi16ELi128ELi256ELb0ELi3EEvPKT_PKT0_S7_ifPKiS9_S9_iPKfiiiPfSC_PS2_PT2_iSB_SB_,"axG",@progbits,_Z39paged_attention_ll4mi_QKV_mfma16_kernelIDF16_hLN4vllm18Fp8KVCacheDataTypeE1EhLi16ELi128ELi256ELb0ELi3EEvPKT_PKT0_S7_ifPKiS9_S9_iPKfiiiPfSC_PS2_PT2_iSB_SB_,comdat
.Lfunc_end968:
	.size	_Z39paged_attention_ll4mi_QKV_mfma16_kernelIDF16_hLN4vllm18Fp8KVCacheDataTypeE1EhLi16ELi128ELi256ELb0ELi3EEvPKT_PKT0_S7_ifPKiS9_S9_iPKfiiiPfSC_PS2_PT2_iSB_SB_, .Lfunc_end968-_Z39paged_attention_ll4mi_QKV_mfma16_kernelIDF16_hLN4vllm18Fp8KVCacheDataTypeE1EhLi16ELi128ELi256ELb0ELi3EEvPKT_PKT0_S7_ifPKiS9_S9_iPKfiiiPfSC_PS2_PT2_iSB_SB_
                                        ; -- End function
	.set _Z39paged_attention_ll4mi_QKV_mfma16_kernelIDF16_hLN4vllm18Fp8KVCacheDataTypeE1EhLi16ELi128ELi256ELb0ELi3EEvPKT_PKT0_S7_ifPKiS9_S9_iPKfiiiPfSC_PS2_PT2_iSB_SB_.num_vgpr, max(3, .L__assert_fail.num_vgpr)
	.set _Z39paged_attention_ll4mi_QKV_mfma16_kernelIDF16_hLN4vllm18Fp8KVCacheDataTypeE1EhLi16ELi128ELi256ELb0ELi3EEvPKT_PKT0_S7_ifPKiS9_S9_iPKfiiiPfSC_PS2_PT2_iSB_SB_.num_agpr, max(0, .L__assert_fail.num_agpr)
	.set _Z39paged_attention_ll4mi_QKV_mfma16_kernelIDF16_hLN4vllm18Fp8KVCacheDataTypeE1EhLi16ELi128ELi256ELb0ELi3EEvPKT_PKT0_S7_ifPKiS9_S9_iPKfiiiPfSC_PS2_PT2_iSB_SB_.numbered_sgpr, max(33, .L__assert_fail.numbered_sgpr)
	.set _Z39paged_attention_ll4mi_QKV_mfma16_kernelIDF16_hLN4vllm18Fp8KVCacheDataTypeE1EhLi16ELi128ELi256ELb0ELi3EEvPKT_PKT0_S7_ifPKiS9_S9_iPKfiiiPfSC_PS2_PT2_iSB_SB_.num_named_barrier, max(0, .L__assert_fail.num_named_barrier)
	.set _Z39paged_attention_ll4mi_QKV_mfma16_kernelIDF16_hLN4vllm18Fp8KVCacheDataTypeE1EhLi16ELi128ELi256ELb0ELi3EEvPKT_PKT0_S7_ifPKiS9_S9_iPKfiiiPfSC_PS2_PT2_iSB_SB_.private_seg_size, 0+max(.L__assert_fail.private_seg_size)
	.set _Z39paged_attention_ll4mi_QKV_mfma16_kernelIDF16_hLN4vllm18Fp8KVCacheDataTypeE1EhLi16ELi128ELi256ELb0ELi3EEvPKT_PKT0_S7_ifPKiS9_S9_iPKfiiiPfSC_PS2_PT2_iSB_SB_.uses_vcc, or(1, .L__assert_fail.uses_vcc)
	.set _Z39paged_attention_ll4mi_QKV_mfma16_kernelIDF16_hLN4vllm18Fp8KVCacheDataTypeE1EhLi16ELi128ELi256ELb0ELi3EEvPKT_PKT0_S7_ifPKiS9_S9_iPKfiiiPfSC_PS2_PT2_iSB_SB_.uses_flat_scratch, or(0, .L__assert_fail.uses_flat_scratch)
	.set _Z39paged_attention_ll4mi_QKV_mfma16_kernelIDF16_hLN4vllm18Fp8KVCacheDataTypeE1EhLi16ELi128ELi256ELb0ELi3EEvPKT_PKT0_S7_ifPKiS9_S9_iPKfiiiPfSC_PS2_PT2_iSB_SB_.has_dyn_sized_stack, or(0, .L__assert_fail.has_dyn_sized_stack)
	.set _Z39paged_attention_ll4mi_QKV_mfma16_kernelIDF16_hLN4vllm18Fp8KVCacheDataTypeE1EhLi16ELi128ELi256ELb0ELi3EEvPKT_PKT0_S7_ifPKiS9_S9_iPKfiiiPfSC_PS2_PT2_iSB_SB_.has_recursion, or(0, .L__assert_fail.has_recursion)
	.set _Z39paged_attention_ll4mi_QKV_mfma16_kernelIDF16_hLN4vllm18Fp8KVCacheDataTypeE1EhLi16ELi128ELi256ELb0ELi3EEvPKT_PKT0_S7_ifPKiS9_S9_iPKfiiiPfSC_PS2_PT2_iSB_SB_.has_indirect_call, or(0, .L__assert_fail.has_indirect_call)
	.section	.AMDGPU.csdata,"",@progbits
; Kernel info:
; codeLenInByte = 68
; TotalNumSgprs: 36
; NumVgprs: 51
; ScratchSize: 64
; MemoryBound: 0
; FloatMode: 240
; IeeeMode: 1
; LDSByteSize: 0 bytes/workgroup (compile time only)
; SGPRBlocks: 0
; VGPRBlocks: 3
; NumSGPRsForWavesPerEU: 36
; NumVGPRsForWavesPerEU: 51
; NamedBarCnt: 0
; Occupancy: 16
; WaveLimiterHint : 1
; COMPUTE_PGM_RSRC2:SCRATCH_EN: 1
; COMPUTE_PGM_RSRC2:USER_SGPR: 2
; COMPUTE_PGM_RSRC2:TRAP_HANDLER: 0
; COMPUTE_PGM_RSRC2:TGID_X_EN: 1
; COMPUTE_PGM_RSRC2:TGID_Y_EN: 0
; COMPUTE_PGM_RSRC2:TGID_Z_EN: 0
; COMPUTE_PGM_RSRC2:TIDIG_COMP_CNT: 0
	.section	.text._Z39paged_attention_ll4mi_QKV_mfma16_kernelIDF16_hLN4vllm18Fp8KVCacheDataTypeE1EhLi16ELi128ELi256ELb0ELi4EEvPKT_PKT0_S7_ifPKiS9_S9_iPKfiiiPfSC_PS2_PT2_iSB_SB_,"axG",@progbits,_Z39paged_attention_ll4mi_QKV_mfma16_kernelIDF16_hLN4vllm18Fp8KVCacheDataTypeE1EhLi16ELi128ELi256ELb0ELi4EEvPKT_PKT0_S7_ifPKiS9_S9_iPKfiiiPfSC_PS2_PT2_iSB_SB_,comdat
	.protected	_Z39paged_attention_ll4mi_QKV_mfma16_kernelIDF16_hLN4vllm18Fp8KVCacheDataTypeE1EhLi16ELi128ELi256ELb0ELi4EEvPKT_PKT0_S7_ifPKiS9_S9_iPKfiiiPfSC_PS2_PT2_iSB_SB_ ; -- Begin function _Z39paged_attention_ll4mi_QKV_mfma16_kernelIDF16_hLN4vllm18Fp8KVCacheDataTypeE1EhLi16ELi128ELi256ELb0ELi4EEvPKT_PKT0_S7_ifPKiS9_S9_iPKfiiiPfSC_PS2_PT2_iSB_SB_
	.globl	_Z39paged_attention_ll4mi_QKV_mfma16_kernelIDF16_hLN4vllm18Fp8KVCacheDataTypeE1EhLi16ELi128ELi256ELb0ELi4EEvPKT_PKT0_S7_ifPKiS9_S9_iPKfiiiPfSC_PS2_PT2_iSB_SB_
	.p2align	8
	.type	_Z39paged_attention_ll4mi_QKV_mfma16_kernelIDF16_hLN4vllm18Fp8KVCacheDataTypeE1EhLi16ELi128ELi256ELb0ELi4EEvPKT_PKT0_S7_ifPKiS9_S9_iPKfiiiPfSC_PS2_PT2_iSB_SB_,@function
_Z39paged_attention_ll4mi_QKV_mfma16_kernelIDF16_hLN4vllm18Fp8KVCacheDataTypeE1EhLi16ELi128ELi256ELb0ELi4EEvPKT_PKT0_S7_ifPKiS9_S9_iPKfiiiPfSC_PS2_PT2_iSB_SB_: ; @_Z39paged_attention_ll4mi_QKV_mfma16_kernelIDF16_hLN4vllm18Fp8KVCacheDataTypeE1EhLi16ELi128ELi256ELb0ELi4EEvPKT_PKT0_S7_ifPKiS9_S9_iPKfiiiPfSC_PS2_PT2_iSB_SB_
; %bb.0:
	s_get_pc_i64 s[2:3]
	s_add_nc_u64 s[2:3], s[2:3], __PRETTY_FUNCTION__._Z39paged_attention_ll4mi_QKV_mfma16_kernelIDF16_hLN4vllm18Fp8KVCacheDataTypeE1EhLi16ELi128ELi256ELb0ELi4EEvPKT_PKT0_S7_ifPKiS9_S9_iPKfiiiPfSC_PS2_PT2_iSB_SB_@rel64+4
	s_delay_alu instid0(SALU_CYCLE_1)
	v_dual_mov_b32 v0, 0xbb3 :: v_dual_mov_b32 v1, s2
	v_mov_b32_e32 v2, s3
	s_add_nc_u64 s[8:9], s[0:1], 0x90
	s_get_pc_i64 s[0:1]
	s_add_nc_u64 s[0:1], s[0:1], __assert_fail@rel64+4
	s_mov_b32 s32, 0
	s_swap_pc_i64 s[30:31], s[0:1]
	.section	.rodata,"a",@progbits
	.p2align	6, 0x0
	.amdhsa_kernel _Z39paged_attention_ll4mi_QKV_mfma16_kernelIDF16_hLN4vllm18Fp8KVCacheDataTypeE1EhLi16ELi128ELi256ELb0ELi4EEvPKT_PKT0_S7_ifPKiS9_S9_iPKfiiiPfSC_PS2_PT2_iSB_SB_
		.amdhsa_group_segment_fixed_size 0
		.amdhsa_private_segment_fixed_size 64
		.amdhsa_kernarg_size 400
		.amdhsa_user_sgpr_count 2
		.amdhsa_user_sgpr_dispatch_ptr 0
		.amdhsa_user_sgpr_queue_ptr 0
		.amdhsa_user_sgpr_kernarg_segment_ptr 1
		.amdhsa_user_sgpr_dispatch_id 0
		.amdhsa_user_sgpr_kernarg_preload_length 0
		.amdhsa_user_sgpr_kernarg_preload_offset 0
		.amdhsa_user_sgpr_private_segment_size 0
		.amdhsa_wavefront_size32 1
		.amdhsa_uses_dynamic_stack 0
		.amdhsa_enable_private_segment 1
		.amdhsa_system_sgpr_workgroup_id_x 1
		.amdhsa_system_sgpr_workgroup_id_y 0
		.amdhsa_system_sgpr_workgroup_id_z 0
		.amdhsa_system_sgpr_workgroup_info 0
		.amdhsa_system_vgpr_workitem_id 0
		.amdhsa_next_free_vgpr 51
		.amdhsa_next_free_sgpr 34
		.amdhsa_named_barrier_count 0
		.amdhsa_reserve_vcc 1
		.amdhsa_float_round_mode_32 0
		.amdhsa_float_round_mode_16_64 0
		.amdhsa_float_denorm_mode_32 3
		.amdhsa_float_denorm_mode_16_64 3
		.amdhsa_fp16_overflow 0
		.amdhsa_memory_ordered 1
		.amdhsa_forward_progress 1
		.amdhsa_inst_pref_size 1
		.amdhsa_round_robin_scheduling 0
		.amdhsa_exception_fp_ieee_invalid_op 0
		.amdhsa_exception_fp_denorm_src 0
		.amdhsa_exception_fp_ieee_div_zero 0
		.amdhsa_exception_fp_ieee_overflow 0
		.amdhsa_exception_fp_ieee_underflow 0
		.amdhsa_exception_fp_ieee_inexact 0
		.amdhsa_exception_int_div_zero 0
	.end_amdhsa_kernel
	.section	.text._Z39paged_attention_ll4mi_QKV_mfma16_kernelIDF16_hLN4vllm18Fp8KVCacheDataTypeE1EhLi16ELi128ELi256ELb0ELi4EEvPKT_PKT0_S7_ifPKiS9_S9_iPKfiiiPfSC_PS2_PT2_iSB_SB_,"axG",@progbits,_Z39paged_attention_ll4mi_QKV_mfma16_kernelIDF16_hLN4vllm18Fp8KVCacheDataTypeE1EhLi16ELi128ELi256ELb0ELi4EEvPKT_PKT0_S7_ifPKiS9_S9_iPKfiiiPfSC_PS2_PT2_iSB_SB_,comdat
.Lfunc_end969:
	.size	_Z39paged_attention_ll4mi_QKV_mfma16_kernelIDF16_hLN4vllm18Fp8KVCacheDataTypeE1EhLi16ELi128ELi256ELb0ELi4EEvPKT_PKT0_S7_ifPKiS9_S9_iPKfiiiPfSC_PS2_PT2_iSB_SB_, .Lfunc_end969-_Z39paged_attention_ll4mi_QKV_mfma16_kernelIDF16_hLN4vllm18Fp8KVCacheDataTypeE1EhLi16ELi128ELi256ELb0ELi4EEvPKT_PKT0_S7_ifPKiS9_S9_iPKfiiiPfSC_PS2_PT2_iSB_SB_
                                        ; -- End function
	.set _Z39paged_attention_ll4mi_QKV_mfma16_kernelIDF16_hLN4vllm18Fp8KVCacheDataTypeE1EhLi16ELi128ELi256ELb0ELi4EEvPKT_PKT0_S7_ifPKiS9_S9_iPKfiiiPfSC_PS2_PT2_iSB_SB_.num_vgpr, max(3, .L__assert_fail.num_vgpr)
	.set _Z39paged_attention_ll4mi_QKV_mfma16_kernelIDF16_hLN4vllm18Fp8KVCacheDataTypeE1EhLi16ELi128ELi256ELb0ELi4EEvPKT_PKT0_S7_ifPKiS9_S9_iPKfiiiPfSC_PS2_PT2_iSB_SB_.num_agpr, max(0, .L__assert_fail.num_agpr)
	.set _Z39paged_attention_ll4mi_QKV_mfma16_kernelIDF16_hLN4vllm18Fp8KVCacheDataTypeE1EhLi16ELi128ELi256ELb0ELi4EEvPKT_PKT0_S7_ifPKiS9_S9_iPKfiiiPfSC_PS2_PT2_iSB_SB_.numbered_sgpr, max(33, .L__assert_fail.numbered_sgpr)
	.set _Z39paged_attention_ll4mi_QKV_mfma16_kernelIDF16_hLN4vllm18Fp8KVCacheDataTypeE1EhLi16ELi128ELi256ELb0ELi4EEvPKT_PKT0_S7_ifPKiS9_S9_iPKfiiiPfSC_PS2_PT2_iSB_SB_.num_named_barrier, max(0, .L__assert_fail.num_named_barrier)
	.set _Z39paged_attention_ll4mi_QKV_mfma16_kernelIDF16_hLN4vllm18Fp8KVCacheDataTypeE1EhLi16ELi128ELi256ELb0ELi4EEvPKT_PKT0_S7_ifPKiS9_S9_iPKfiiiPfSC_PS2_PT2_iSB_SB_.private_seg_size, 0+max(.L__assert_fail.private_seg_size)
	.set _Z39paged_attention_ll4mi_QKV_mfma16_kernelIDF16_hLN4vllm18Fp8KVCacheDataTypeE1EhLi16ELi128ELi256ELb0ELi4EEvPKT_PKT0_S7_ifPKiS9_S9_iPKfiiiPfSC_PS2_PT2_iSB_SB_.uses_vcc, or(1, .L__assert_fail.uses_vcc)
	.set _Z39paged_attention_ll4mi_QKV_mfma16_kernelIDF16_hLN4vllm18Fp8KVCacheDataTypeE1EhLi16ELi128ELi256ELb0ELi4EEvPKT_PKT0_S7_ifPKiS9_S9_iPKfiiiPfSC_PS2_PT2_iSB_SB_.uses_flat_scratch, or(0, .L__assert_fail.uses_flat_scratch)
	.set _Z39paged_attention_ll4mi_QKV_mfma16_kernelIDF16_hLN4vllm18Fp8KVCacheDataTypeE1EhLi16ELi128ELi256ELb0ELi4EEvPKT_PKT0_S7_ifPKiS9_S9_iPKfiiiPfSC_PS2_PT2_iSB_SB_.has_dyn_sized_stack, or(0, .L__assert_fail.has_dyn_sized_stack)
	.set _Z39paged_attention_ll4mi_QKV_mfma16_kernelIDF16_hLN4vllm18Fp8KVCacheDataTypeE1EhLi16ELi128ELi256ELb0ELi4EEvPKT_PKT0_S7_ifPKiS9_S9_iPKfiiiPfSC_PS2_PT2_iSB_SB_.has_recursion, or(0, .L__assert_fail.has_recursion)
	.set _Z39paged_attention_ll4mi_QKV_mfma16_kernelIDF16_hLN4vllm18Fp8KVCacheDataTypeE1EhLi16ELi128ELi256ELb0ELi4EEvPKT_PKT0_S7_ifPKiS9_S9_iPKfiiiPfSC_PS2_PT2_iSB_SB_.has_indirect_call, or(0, .L__assert_fail.has_indirect_call)
	.section	.AMDGPU.csdata,"",@progbits
; Kernel info:
; codeLenInByte = 68
; TotalNumSgprs: 36
; NumVgprs: 51
; ScratchSize: 64
; MemoryBound: 0
; FloatMode: 240
; IeeeMode: 1
; LDSByteSize: 0 bytes/workgroup (compile time only)
; SGPRBlocks: 0
; VGPRBlocks: 3
; NumSGPRsForWavesPerEU: 36
; NumVGPRsForWavesPerEU: 51
; NamedBarCnt: 0
; Occupancy: 16
; WaveLimiterHint : 1
; COMPUTE_PGM_RSRC2:SCRATCH_EN: 1
; COMPUTE_PGM_RSRC2:USER_SGPR: 2
; COMPUTE_PGM_RSRC2:TRAP_HANDLER: 0
; COMPUTE_PGM_RSRC2:TGID_X_EN: 1
; COMPUTE_PGM_RSRC2:TGID_Y_EN: 0
; COMPUTE_PGM_RSRC2:TGID_Z_EN: 0
; COMPUTE_PGM_RSRC2:TIDIG_COMP_CNT: 0
	.section	.text._Z38paged_attention_ll4mi_QKV_mfma4_kernelIDF16_hLN4vllm18Fp8KVCacheDataTypeE1EDF16_Li16ELi128ELi256ELb1ELi1EEvPKT_PKT0_S7_ifPKiS9_S9_iPKfiiiPfSC_PS2_PT2_iSB_SB_,"axG",@progbits,_Z38paged_attention_ll4mi_QKV_mfma4_kernelIDF16_hLN4vllm18Fp8KVCacheDataTypeE1EDF16_Li16ELi128ELi256ELb1ELi1EEvPKT_PKT0_S7_ifPKiS9_S9_iPKfiiiPfSC_PS2_PT2_iSB_SB_,comdat
	.protected	_Z38paged_attention_ll4mi_QKV_mfma4_kernelIDF16_hLN4vllm18Fp8KVCacheDataTypeE1EDF16_Li16ELi128ELi256ELb1ELi1EEvPKT_PKT0_S7_ifPKiS9_S9_iPKfiiiPfSC_PS2_PT2_iSB_SB_ ; -- Begin function _Z38paged_attention_ll4mi_QKV_mfma4_kernelIDF16_hLN4vllm18Fp8KVCacheDataTypeE1EDF16_Li16ELi128ELi256ELb1ELi1EEvPKT_PKT0_S7_ifPKiS9_S9_iPKfiiiPfSC_PS2_PT2_iSB_SB_
	.globl	_Z38paged_attention_ll4mi_QKV_mfma4_kernelIDF16_hLN4vllm18Fp8KVCacheDataTypeE1EDF16_Li16ELi128ELi256ELb1ELi1EEvPKT_PKT0_S7_ifPKiS9_S9_iPKfiiiPfSC_PS2_PT2_iSB_SB_
	.p2align	8
	.type	_Z38paged_attention_ll4mi_QKV_mfma4_kernelIDF16_hLN4vllm18Fp8KVCacheDataTypeE1EDF16_Li16ELi128ELi256ELb1ELi1EEvPKT_PKT0_S7_ifPKiS9_S9_iPKfiiiPfSC_PS2_PT2_iSB_SB_,@function
_Z38paged_attention_ll4mi_QKV_mfma4_kernelIDF16_hLN4vllm18Fp8KVCacheDataTypeE1EDF16_Li16ELi128ELi256ELb1ELi1EEvPKT_PKT0_S7_ifPKiS9_S9_iPKfiiiPfSC_PS2_PT2_iSB_SB_: ; @_Z38paged_attention_ll4mi_QKV_mfma4_kernelIDF16_hLN4vllm18Fp8KVCacheDataTypeE1EDF16_Li16ELi128ELi256ELb1ELi1EEvPKT_PKT0_S7_ifPKiS9_S9_iPKfiiiPfSC_PS2_PT2_iSB_SB_
; %bb.0:
	s_get_pc_i64 s[2:3]
	s_add_nc_u64 s[2:3], s[2:3], __PRETTY_FUNCTION__._Z38paged_attention_ll4mi_QKV_mfma4_kernelIDF16_hLN4vllm18Fp8KVCacheDataTypeE1EDF16_Li16ELi128ELi256ELb1ELi1EEvPKT_PKT0_S7_ifPKiS9_S9_iPKfiiiPfSC_PS2_PT2_iSB_SB_@rel64+4
	s_delay_alu instid0(SALU_CYCLE_1)
	v_dual_mov_b32 v0, 0xbce :: v_dual_mov_b32 v1, s2
	v_mov_b32_e32 v2, s3
	s_add_nc_u64 s[8:9], s[0:1], 0x90
	s_get_pc_i64 s[0:1]
	s_add_nc_u64 s[0:1], s[0:1], __assert_fail@rel64+4
	s_mov_b32 s32, 0
	s_swap_pc_i64 s[30:31], s[0:1]
	.section	.rodata,"a",@progbits
	.p2align	6, 0x0
	.amdhsa_kernel _Z38paged_attention_ll4mi_QKV_mfma4_kernelIDF16_hLN4vllm18Fp8KVCacheDataTypeE1EDF16_Li16ELi128ELi256ELb1ELi1EEvPKT_PKT0_S7_ifPKiS9_S9_iPKfiiiPfSC_PS2_PT2_iSB_SB_
		.amdhsa_group_segment_fixed_size 0
		.amdhsa_private_segment_fixed_size 64
		.amdhsa_kernarg_size 400
		.amdhsa_user_sgpr_count 2
		.amdhsa_user_sgpr_dispatch_ptr 0
		.amdhsa_user_sgpr_queue_ptr 0
		.amdhsa_user_sgpr_kernarg_segment_ptr 1
		.amdhsa_user_sgpr_dispatch_id 0
		.amdhsa_user_sgpr_kernarg_preload_length 0
		.amdhsa_user_sgpr_kernarg_preload_offset 0
		.amdhsa_user_sgpr_private_segment_size 0
		.amdhsa_wavefront_size32 1
		.amdhsa_uses_dynamic_stack 0
		.amdhsa_enable_private_segment 1
		.amdhsa_system_sgpr_workgroup_id_x 1
		.amdhsa_system_sgpr_workgroup_id_y 0
		.amdhsa_system_sgpr_workgroup_id_z 0
		.amdhsa_system_sgpr_workgroup_info 0
		.amdhsa_system_vgpr_workitem_id 0
		.amdhsa_next_free_vgpr 51
		.amdhsa_next_free_sgpr 34
		.amdhsa_named_barrier_count 0
		.amdhsa_reserve_vcc 1
		.amdhsa_float_round_mode_32 0
		.amdhsa_float_round_mode_16_64 0
		.amdhsa_float_denorm_mode_32 3
		.amdhsa_float_denorm_mode_16_64 3
		.amdhsa_fp16_overflow 0
		.amdhsa_memory_ordered 1
		.amdhsa_forward_progress 1
		.amdhsa_inst_pref_size 1
		.amdhsa_round_robin_scheduling 0
		.amdhsa_exception_fp_ieee_invalid_op 0
		.amdhsa_exception_fp_denorm_src 0
		.amdhsa_exception_fp_ieee_div_zero 0
		.amdhsa_exception_fp_ieee_overflow 0
		.amdhsa_exception_fp_ieee_underflow 0
		.amdhsa_exception_fp_ieee_inexact 0
		.amdhsa_exception_int_div_zero 0
	.end_amdhsa_kernel
	.section	.text._Z38paged_attention_ll4mi_QKV_mfma4_kernelIDF16_hLN4vllm18Fp8KVCacheDataTypeE1EDF16_Li16ELi128ELi256ELb1ELi1EEvPKT_PKT0_S7_ifPKiS9_S9_iPKfiiiPfSC_PS2_PT2_iSB_SB_,"axG",@progbits,_Z38paged_attention_ll4mi_QKV_mfma4_kernelIDF16_hLN4vllm18Fp8KVCacheDataTypeE1EDF16_Li16ELi128ELi256ELb1ELi1EEvPKT_PKT0_S7_ifPKiS9_S9_iPKfiiiPfSC_PS2_PT2_iSB_SB_,comdat
.Lfunc_end970:
	.size	_Z38paged_attention_ll4mi_QKV_mfma4_kernelIDF16_hLN4vllm18Fp8KVCacheDataTypeE1EDF16_Li16ELi128ELi256ELb1ELi1EEvPKT_PKT0_S7_ifPKiS9_S9_iPKfiiiPfSC_PS2_PT2_iSB_SB_, .Lfunc_end970-_Z38paged_attention_ll4mi_QKV_mfma4_kernelIDF16_hLN4vllm18Fp8KVCacheDataTypeE1EDF16_Li16ELi128ELi256ELb1ELi1EEvPKT_PKT0_S7_ifPKiS9_S9_iPKfiiiPfSC_PS2_PT2_iSB_SB_
                                        ; -- End function
	.set _Z38paged_attention_ll4mi_QKV_mfma4_kernelIDF16_hLN4vllm18Fp8KVCacheDataTypeE1EDF16_Li16ELi128ELi256ELb1ELi1EEvPKT_PKT0_S7_ifPKiS9_S9_iPKfiiiPfSC_PS2_PT2_iSB_SB_.num_vgpr, max(3, .L__assert_fail.num_vgpr)
	.set _Z38paged_attention_ll4mi_QKV_mfma4_kernelIDF16_hLN4vllm18Fp8KVCacheDataTypeE1EDF16_Li16ELi128ELi256ELb1ELi1EEvPKT_PKT0_S7_ifPKiS9_S9_iPKfiiiPfSC_PS2_PT2_iSB_SB_.num_agpr, max(0, .L__assert_fail.num_agpr)
	.set _Z38paged_attention_ll4mi_QKV_mfma4_kernelIDF16_hLN4vllm18Fp8KVCacheDataTypeE1EDF16_Li16ELi128ELi256ELb1ELi1EEvPKT_PKT0_S7_ifPKiS9_S9_iPKfiiiPfSC_PS2_PT2_iSB_SB_.numbered_sgpr, max(33, .L__assert_fail.numbered_sgpr)
	.set _Z38paged_attention_ll4mi_QKV_mfma4_kernelIDF16_hLN4vllm18Fp8KVCacheDataTypeE1EDF16_Li16ELi128ELi256ELb1ELi1EEvPKT_PKT0_S7_ifPKiS9_S9_iPKfiiiPfSC_PS2_PT2_iSB_SB_.num_named_barrier, max(0, .L__assert_fail.num_named_barrier)
	.set _Z38paged_attention_ll4mi_QKV_mfma4_kernelIDF16_hLN4vllm18Fp8KVCacheDataTypeE1EDF16_Li16ELi128ELi256ELb1ELi1EEvPKT_PKT0_S7_ifPKiS9_S9_iPKfiiiPfSC_PS2_PT2_iSB_SB_.private_seg_size, 0+max(.L__assert_fail.private_seg_size)
	.set _Z38paged_attention_ll4mi_QKV_mfma4_kernelIDF16_hLN4vllm18Fp8KVCacheDataTypeE1EDF16_Li16ELi128ELi256ELb1ELi1EEvPKT_PKT0_S7_ifPKiS9_S9_iPKfiiiPfSC_PS2_PT2_iSB_SB_.uses_vcc, or(1, .L__assert_fail.uses_vcc)
	.set _Z38paged_attention_ll4mi_QKV_mfma4_kernelIDF16_hLN4vllm18Fp8KVCacheDataTypeE1EDF16_Li16ELi128ELi256ELb1ELi1EEvPKT_PKT0_S7_ifPKiS9_S9_iPKfiiiPfSC_PS2_PT2_iSB_SB_.uses_flat_scratch, or(0, .L__assert_fail.uses_flat_scratch)
	.set _Z38paged_attention_ll4mi_QKV_mfma4_kernelIDF16_hLN4vllm18Fp8KVCacheDataTypeE1EDF16_Li16ELi128ELi256ELb1ELi1EEvPKT_PKT0_S7_ifPKiS9_S9_iPKfiiiPfSC_PS2_PT2_iSB_SB_.has_dyn_sized_stack, or(0, .L__assert_fail.has_dyn_sized_stack)
	.set _Z38paged_attention_ll4mi_QKV_mfma4_kernelIDF16_hLN4vllm18Fp8KVCacheDataTypeE1EDF16_Li16ELi128ELi256ELb1ELi1EEvPKT_PKT0_S7_ifPKiS9_S9_iPKfiiiPfSC_PS2_PT2_iSB_SB_.has_recursion, or(0, .L__assert_fail.has_recursion)
	.set _Z38paged_attention_ll4mi_QKV_mfma4_kernelIDF16_hLN4vllm18Fp8KVCacheDataTypeE1EDF16_Li16ELi128ELi256ELb1ELi1EEvPKT_PKT0_S7_ifPKiS9_S9_iPKfiiiPfSC_PS2_PT2_iSB_SB_.has_indirect_call, or(0, .L__assert_fail.has_indirect_call)
	.section	.AMDGPU.csdata,"",@progbits
; Kernel info:
; codeLenInByte = 68
; TotalNumSgprs: 36
; NumVgprs: 51
; ScratchSize: 64
; MemoryBound: 0
; FloatMode: 240
; IeeeMode: 1
; LDSByteSize: 0 bytes/workgroup (compile time only)
; SGPRBlocks: 0
; VGPRBlocks: 3
; NumSGPRsForWavesPerEU: 36
; NumVGPRsForWavesPerEU: 51
; NamedBarCnt: 0
; Occupancy: 16
; WaveLimiterHint : 1
; COMPUTE_PGM_RSRC2:SCRATCH_EN: 1
; COMPUTE_PGM_RSRC2:USER_SGPR: 2
; COMPUTE_PGM_RSRC2:TRAP_HANDLER: 0
; COMPUTE_PGM_RSRC2:TGID_X_EN: 1
; COMPUTE_PGM_RSRC2:TGID_Y_EN: 0
; COMPUTE_PGM_RSRC2:TGID_Z_EN: 0
; COMPUTE_PGM_RSRC2:TIDIG_COMP_CNT: 0
	.section	.text._Z38paged_attention_ll4mi_QKV_mfma4_kernelIDF16_hLN4vllm18Fp8KVCacheDataTypeE1EDF16_Li16ELi128ELi256ELb1ELi2EEvPKT_PKT0_S7_ifPKiS9_S9_iPKfiiiPfSC_PS2_PT2_iSB_SB_,"axG",@progbits,_Z38paged_attention_ll4mi_QKV_mfma4_kernelIDF16_hLN4vllm18Fp8KVCacheDataTypeE1EDF16_Li16ELi128ELi256ELb1ELi2EEvPKT_PKT0_S7_ifPKiS9_S9_iPKfiiiPfSC_PS2_PT2_iSB_SB_,comdat
	.protected	_Z38paged_attention_ll4mi_QKV_mfma4_kernelIDF16_hLN4vllm18Fp8KVCacheDataTypeE1EDF16_Li16ELi128ELi256ELb1ELi2EEvPKT_PKT0_S7_ifPKiS9_S9_iPKfiiiPfSC_PS2_PT2_iSB_SB_ ; -- Begin function _Z38paged_attention_ll4mi_QKV_mfma4_kernelIDF16_hLN4vllm18Fp8KVCacheDataTypeE1EDF16_Li16ELi128ELi256ELb1ELi2EEvPKT_PKT0_S7_ifPKiS9_S9_iPKfiiiPfSC_PS2_PT2_iSB_SB_
	.globl	_Z38paged_attention_ll4mi_QKV_mfma4_kernelIDF16_hLN4vllm18Fp8KVCacheDataTypeE1EDF16_Li16ELi128ELi256ELb1ELi2EEvPKT_PKT0_S7_ifPKiS9_S9_iPKfiiiPfSC_PS2_PT2_iSB_SB_
	.p2align	8
	.type	_Z38paged_attention_ll4mi_QKV_mfma4_kernelIDF16_hLN4vllm18Fp8KVCacheDataTypeE1EDF16_Li16ELi128ELi256ELb1ELi2EEvPKT_PKT0_S7_ifPKiS9_S9_iPKfiiiPfSC_PS2_PT2_iSB_SB_,@function
_Z38paged_attention_ll4mi_QKV_mfma4_kernelIDF16_hLN4vllm18Fp8KVCacheDataTypeE1EDF16_Li16ELi128ELi256ELb1ELi2EEvPKT_PKT0_S7_ifPKiS9_S9_iPKfiiiPfSC_PS2_PT2_iSB_SB_: ; @_Z38paged_attention_ll4mi_QKV_mfma4_kernelIDF16_hLN4vllm18Fp8KVCacheDataTypeE1EDF16_Li16ELi128ELi256ELb1ELi2EEvPKT_PKT0_S7_ifPKiS9_S9_iPKfiiiPfSC_PS2_PT2_iSB_SB_
; %bb.0:
	s_get_pc_i64 s[2:3]
	s_add_nc_u64 s[2:3], s[2:3], __PRETTY_FUNCTION__._Z38paged_attention_ll4mi_QKV_mfma4_kernelIDF16_hLN4vllm18Fp8KVCacheDataTypeE1EDF16_Li16ELi128ELi256ELb1ELi2EEvPKT_PKT0_S7_ifPKiS9_S9_iPKfiiiPfSC_PS2_PT2_iSB_SB_@rel64+4
	s_delay_alu instid0(SALU_CYCLE_1)
	v_dual_mov_b32 v0, 0xbce :: v_dual_mov_b32 v1, s2
	v_mov_b32_e32 v2, s3
	s_add_nc_u64 s[8:9], s[0:1], 0x90
	s_get_pc_i64 s[0:1]
	s_add_nc_u64 s[0:1], s[0:1], __assert_fail@rel64+4
	s_mov_b32 s32, 0
	s_swap_pc_i64 s[30:31], s[0:1]
	.section	.rodata,"a",@progbits
	.p2align	6, 0x0
	.amdhsa_kernel _Z38paged_attention_ll4mi_QKV_mfma4_kernelIDF16_hLN4vllm18Fp8KVCacheDataTypeE1EDF16_Li16ELi128ELi256ELb1ELi2EEvPKT_PKT0_S7_ifPKiS9_S9_iPKfiiiPfSC_PS2_PT2_iSB_SB_
		.amdhsa_group_segment_fixed_size 0
		.amdhsa_private_segment_fixed_size 64
		.amdhsa_kernarg_size 400
		.amdhsa_user_sgpr_count 2
		.amdhsa_user_sgpr_dispatch_ptr 0
		.amdhsa_user_sgpr_queue_ptr 0
		.amdhsa_user_sgpr_kernarg_segment_ptr 1
		.amdhsa_user_sgpr_dispatch_id 0
		.amdhsa_user_sgpr_kernarg_preload_length 0
		.amdhsa_user_sgpr_kernarg_preload_offset 0
		.amdhsa_user_sgpr_private_segment_size 0
		.amdhsa_wavefront_size32 1
		.amdhsa_uses_dynamic_stack 0
		.amdhsa_enable_private_segment 1
		.amdhsa_system_sgpr_workgroup_id_x 1
		.amdhsa_system_sgpr_workgroup_id_y 0
		.amdhsa_system_sgpr_workgroup_id_z 0
		.amdhsa_system_sgpr_workgroup_info 0
		.amdhsa_system_vgpr_workitem_id 0
		.amdhsa_next_free_vgpr 51
		.amdhsa_next_free_sgpr 34
		.amdhsa_named_barrier_count 0
		.amdhsa_reserve_vcc 1
		.amdhsa_float_round_mode_32 0
		.amdhsa_float_round_mode_16_64 0
		.amdhsa_float_denorm_mode_32 3
		.amdhsa_float_denorm_mode_16_64 3
		.amdhsa_fp16_overflow 0
		.amdhsa_memory_ordered 1
		.amdhsa_forward_progress 1
		.amdhsa_inst_pref_size 1
		.amdhsa_round_robin_scheduling 0
		.amdhsa_exception_fp_ieee_invalid_op 0
		.amdhsa_exception_fp_denorm_src 0
		.amdhsa_exception_fp_ieee_div_zero 0
		.amdhsa_exception_fp_ieee_overflow 0
		.amdhsa_exception_fp_ieee_underflow 0
		.amdhsa_exception_fp_ieee_inexact 0
		.amdhsa_exception_int_div_zero 0
	.end_amdhsa_kernel
	.section	.text._Z38paged_attention_ll4mi_QKV_mfma4_kernelIDF16_hLN4vllm18Fp8KVCacheDataTypeE1EDF16_Li16ELi128ELi256ELb1ELi2EEvPKT_PKT0_S7_ifPKiS9_S9_iPKfiiiPfSC_PS2_PT2_iSB_SB_,"axG",@progbits,_Z38paged_attention_ll4mi_QKV_mfma4_kernelIDF16_hLN4vllm18Fp8KVCacheDataTypeE1EDF16_Li16ELi128ELi256ELb1ELi2EEvPKT_PKT0_S7_ifPKiS9_S9_iPKfiiiPfSC_PS2_PT2_iSB_SB_,comdat
.Lfunc_end971:
	.size	_Z38paged_attention_ll4mi_QKV_mfma4_kernelIDF16_hLN4vllm18Fp8KVCacheDataTypeE1EDF16_Li16ELi128ELi256ELb1ELi2EEvPKT_PKT0_S7_ifPKiS9_S9_iPKfiiiPfSC_PS2_PT2_iSB_SB_, .Lfunc_end971-_Z38paged_attention_ll4mi_QKV_mfma4_kernelIDF16_hLN4vllm18Fp8KVCacheDataTypeE1EDF16_Li16ELi128ELi256ELb1ELi2EEvPKT_PKT0_S7_ifPKiS9_S9_iPKfiiiPfSC_PS2_PT2_iSB_SB_
                                        ; -- End function
	.set _Z38paged_attention_ll4mi_QKV_mfma4_kernelIDF16_hLN4vllm18Fp8KVCacheDataTypeE1EDF16_Li16ELi128ELi256ELb1ELi2EEvPKT_PKT0_S7_ifPKiS9_S9_iPKfiiiPfSC_PS2_PT2_iSB_SB_.num_vgpr, max(3, .L__assert_fail.num_vgpr)
	.set _Z38paged_attention_ll4mi_QKV_mfma4_kernelIDF16_hLN4vllm18Fp8KVCacheDataTypeE1EDF16_Li16ELi128ELi256ELb1ELi2EEvPKT_PKT0_S7_ifPKiS9_S9_iPKfiiiPfSC_PS2_PT2_iSB_SB_.num_agpr, max(0, .L__assert_fail.num_agpr)
	.set _Z38paged_attention_ll4mi_QKV_mfma4_kernelIDF16_hLN4vllm18Fp8KVCacheDataTypeE1EDF16_Li16ELi128ELi256ELb1ELi2EEvPKT_PKT0_S7_ifPKiS9_S9_iPKfiiiPfSC_PS2_PT2_iSB_SB_.numbered_sgpr, max(33, .L__assert_fail.numbered_sgpr)
	.set _Z38paged_attention_ll4mi_QKV_mfma4_kernelIDF16_hLN4vllm18Fp8KVCacheDataTypeE1EDF16_Li16ELi128ELi256ELb1ELi2EEvPKT_PKT0_S7_ifPKiS9_S9_iPKfiiiPfSC_PS2_PT2_iSB_SB_.num_named_barrier, max(0, .L__assert_fail.num_named_barrier)
	.set _Z38paged_attention_ll4mi_QKV_mfma4_kernelIDF16_hLN4vllm18Fp8KVCacheDataTypeE1EDF16_Li16ELi128ELi256ELb1ELi2EEvPKT_PKT0_S7_ifPKiS9_S9_iPKfiiiPfSC_PS2_PT2_iSB_SB_.private_seg_size, 0+max(.L__assert_fail.private_seg_size)
	.set _Z38paged_attention_ll4mi_QKV_mfma4_kernelIDF16_hLN4vllm18Fp8KVCacheDataTypeE1EDF16_Li16ELi128ELi256ELb1ELi2EEvPKT_PKT0_S7_ifPKiS9_S9_iPKfiiiPfSC_PS2_PT2_iSB_SB_.uses_vcc, or(1, .L__assert_fail.uses_vcc)
	.set _Z38paged_attention_ll4mi_QKV_mfma4_kernelIDF16_hLN4vllm18Fp8KVCacheDataTypeE1EDF16_Li16ELi128ELi256ELb1ELi2EEvPKT_PKT0_S7_ifPKiS9_S9_iPKfiiiPfSC_PS2_PT2_iSB_SB_.uses_flat_scratch, or(0, .L__assert_fail.uses_flat_scratch)
	.set _Z38paged_attention_ll4mi_QKV_mfma4_kernelIDF16_hLN4vllm18Fp8KVCacheDataTypeE1EDF16_Li16ELi128ELi256ELb1ELi2EEvPKT_PKT0_S7_ifPKiS9_S9_iPKfiiiPfSC_PS2_PT2_iSB_SB_.has_dyn_sized_stack, or(0, .L__assert_fail.has_dyn_sized_stack)
	.set _Z38paged_attention_ll4mi_QKV_mfma4_kernelIDF16_hLN4vllm18Fp8KVCacheDataTypeE1EDF16_Li16ELi128ELi256ELb1ELi2EEvPKT_PKT0_S7_ifPKiS9_S9_iPKfiiiPfSC_PS2_PT2_iSB_SB_.has_recursion, or(0, .L__assert_fail.has_recursion)
	.set _Z38paged_attention_ll4mi_QKV_mfma4_kernelIDF16_hLN4vllm18Fp8KVCacheDataTypeE1EDF16_Li16ELi128ELi256ELb1ELi2EEvPKT_PKT0_S7_ifPKiS9_S9_iPKfiiiPfSC_PS2_PT2_iSB_SB_.has_indirect_call, or(0, .L__assert_fail.has_indirect_call)
	.section	.AMDGPU.csdata,"",@progbits
; Kernel info:
; codeLenInByte = 68
; TotalNumSgprs: 36
; NumVgprs: 51
; ScratchSize: 64
; MemoryBound: 0
; FloatMode: 240
; IeeeMode: 1
; LDSByteSize: 0 bytes/workgroup (compile time only)
; SGPRBlocks: 0
; VGPRBlocks: 3
; NumSGPRsForWavesPerEU: 36
; NumVGPRsForWavesPerEU: 51
; NamedBarCnt: 0
; Occupancy: 16
; WaveLimiterHint : 1
; COMPUTE_PGM_RSRC2:SCRATCH_EN: 1
; COMPUTE_PGM_RSRC2:USER_SGPR: 2
; COMPUTE_PGM_RSRC2:TRAP_HANDLER: 0
; COMPUTE_PGM_RSRC2:TGID_X_EN: 1
; COMPUTE_PGM_RSRC2:TGID_Y_EN: 0
; COMPUTE_PGM_RSRC2:TGID_Z_EN: 0
; COMPUTE_PGM_RSRC2:TIDIG_COMP_CNT: 0
	.section	.text._Z38paged_attention_ll4mi_QKV_mfma4_kernelIDF16_hLN4vllm18Fp8KVCacheDataTypeE1EDF16_Li16ELi128ELi256ELb1ELi3EEvPKT_PKT0_S7_ifPKiS9_S9_iPKfiiiPfSC_PS2_PT2_iSB_SB_,"axG",@progbits,_Z38paged_attention_ll4mi_QKV_mfma4_kernelIDF16_hLN4vllm18Fp8KVCacheDataTypeE1EDF16_Li16ELi128ELi256ELb1ELi3EEvPKT_PKT0_S7_ifPKiS9_S9_iPKfiiiPfSC_PS2_PT2_iSB_SB_,comdat
	.protected	_Z38paged_attention_ll4mi_QKV_mfma4_kernelIDF16_hLN4vllm18Fp8KVCacheDataTypeE1EDF16_Li16ELi128ELi256ELb1ELi3EEvPKT_PKT0_S7_ifPKiS9_S9_iPKfiiiPfSC_PS2_PT2_iSB_SB_ ; -- Begin function _Z38paged_attention_ll4mi_QKV_mfma4_kernelIDF16_hLN4vllm18Fp8KVCacheDataTypeE1EDF16_Li16ELi128ELi256ELb1ELi3EEvPKT_PKT0_S7_ifPKiS9_S9_iPKfiiiPfSC_PS2_PT2_iSB_SB_
	.globl	_Z38paged_attention_ll4mi_QKV_mfma4_kernelIDF16_hLN4vllm18Fp8KVCacheDataTypeE1EDF16_Li16ELi128ELi256ELb1ELi3EEvPKT_PKT0_S7_ifPKiS9_S9_iPKfiiiPfSC_PS2_PT2_iSB_SB_
	.p2align	8
	.type	_Z38paged_attention_ll4mi_QKV_mfma4_kernelIDF16_hLN4vllm18Fp8KVCacheDataTypeE1EDF16_Li16ELi128ELi256ELb1ELi3EEvPKT_PKT0_S7_ifPKiS9_S9_iPKfiiiPfSC_PS2_PT2_iSB_SB_,@function
_Z38paged_attention_ll4mi_QKV_mfma4_kernelIDF16_hLN4vllm18Fp8KVCacheDataTypeE1EDF16_Li16ELi128ELi256ELb1ELi3EEvPKT_PKT0_S7_ifPKiS9_S9_iPKfiiiPfSC_PS2_PT2_iSB_SB_: ; @_Z38paged_attention_ll4mi_QKV_mfma4_kernelIDF16_hLN4vllm18Fp8KVCacheDataTypeE1EDF16_Li16ELi128ELi256ELb1ELi3EEvPKT_PKT0_S7_ifPKiS9_S9_iPKfiiiPfSC_PS2_PT2_iSB_SB_
; %bb.0:
	s_get_pc_i64 s[2:3]
	s_add_nc_u64 s[2:3], s[2:3], __PRETTY_FUNCTION__._Z38paged_attention_ll4mi_QKV_mfma4_kernelIDF16_hLN4vllm18Fp8KVCacheDataTypeE1EDF16_Li16ELi128ELi256ELb1ELi3EEvPKT_PKT0_S7_ifPKiS9_S9_iPKfiiiPfSC_PS2_PT2_iSB_SB_@rel64+4
	s_delay_alu instid0(SALU_CYCLE_1)
	v_dual_mov_b32 v0, 0xbce :: v_dual_mov_b32 v1, s2
	v_mov_b32_e32 v2, s3
	s_add_nc_u64 s[8:9], s[0:1], 0x90
	s_get_pc_i64 s[0:1]
	s_add_nc_u64 s[0:1], s[0:1], __assert_fail@rel64+4
	s_mov_b32 s32, 0
	s_swap_pc_i64 s[30:31], s[0:1]
	.section	.rodata,"a",@progbits
	.p2align	6, 0x0
	.amdhsa_kernel _Z38paged_attention_ll4mi_QKV_mfma4_kernelIDF16_hLN4vllm18Fp8KVCacheDataTypeE1EDF16_Li16ELi128ELi256ELb1ELi3EEvPKT_PKT0_S7_ifPKiS9_S9_iPKfiiiPfSC_PS2_PT2_iSB_SB_
		.amdhsa_group_segment_fixed_size 0
		.amdhsa_private_segment_fixed_size 64
		.amdhsa_kernarg_size 400
		.amdhsa_user_sgpr_count 2
		.amdhsa_user_sgpr_dispatch_ptr 0
		.amdhsa_user_sgpr_queue_ptr 0
		.amdhsa_user_sgpr_kernarg_segment_ptr 1
		.amdhsa_user_sgpr_dispatch_id 0
		.amdhsa_user_sgpr_kernarg_preload_length 0
		.amdhsa_user_sgpr_kernarg_preload_offset 0
		.amdhsa_user_sgpr_private_segment_size 0
		.amdhsa_wavefront_size32 1
		.amdhsa_uses_dynamic_stack 0
		.amdhsa_enable_private_segment 1
		.amdhsa_system_sgpr_workgroup_id_x 1
		.amdhsa_system_sgpr_workgroup_id_y 0
		.amdhsa_system_sgpr_workgroup_id_z 0
		.amdhsa_system_sgpr_workgroup_info 0
		.amdhsa_system_vgpr_workitem_id 0
		.amdhsa_next_free_vgpr 51
		.amdhsa_next_free_sgpr 34
		.amdhsa_named_barrier_count 0
		.amdhsa_reserve_vcc 1
		.amdhsa_float_round_mode_32 0
		.amdhsa_float_round_mode_16_64 0
		.amdhsa_float_denorm_mode_32 3
		.amdhsa_float_denorm_mode_16_64 3
		.amdhsa_fp16_overflow 0
		.amdhsa_memory_ordered 1
		.amdhsa_forward_progress 1
		.amdhsa_inst_pref_size 1
		.amdhsa_round_robin_scheduling 0
		.amdhsa_exception_fp_ieee_invalid_op 0
		.amdhsa_exception_fp_denorm_src 0
		.amdhsa_exception_fp_ieee_div_zero 0
		.amdhsa_exception_fp_ieee_overflow 0
		.amdhsa_exception_fp_ieee_underflow 0
		.amdhsa_exception_fp_ieee_inexact 0
		.amdhsa_exception_int_div_zero 0
	.end_amdhsa_kernel
	.section	.text._Z38paged_attention_ll4mi_QKV_mfma4_kernelIDF16_hLN4vllm18Fp8KVCacheDataTypeE1EDF16_Li16ELi128ELi256ELb1ELi3EEvPKT_PKT0_S7_ifPKiS9_S9_iPKfiiiPfSC_PS2_PT2_iSB_SB_,"axG",@progbits,_Z38paged_attention_ll4mi_QKV_mfma4_kernelIDF16_hLN4vllm18Fp8KVCacheDataTypeE1EDF16_Li16ELi128ELi256ELb1ELi3EEvPKT_PKT0_S7_ifPKiS9_S9_iPKfiiiPfSC_PS2_PT2_iSB_SB_,comdat
.Lfunc_end972:
	.size	_Z38paged_attention_ll4mi_QKV_mfma4_kernelIDF16_hLN4vllm18Fp8KVCacheDataTypeE1EDF16_Li16ELi128ELi256ELb1ELi3EEvPKT_PKT0_S7_ifPKiS9_S9_iPKfiiiPfSC_PS2_PT2_iSB_SB_, .Lfunc_end972-_Z38paged_attention_ll4mi_QKV_mfma4_kernelIDF16_hLN4vllm18Fp8KVCacheDataTypeE1EDF16_Li16ELi128ELi256ELb1ELi3EEvPKT_PKT0_S7_ifPKiS9_S9_iPKfiiiPfSC_PS2_PT2_iSB_SB_
                                        ; -- End function
	.set _Z38paged_attention_ll4mi_QKV_mfma4_kernelIDF16_hLN4vllm18Fp8KVCacheDataTypeE1EDF16_Li16ELi128ELi256ELb1ELi3EEvPKT_PKT0_S7_ifPKiS9_S9_iPKfiiiPfSC_PS2_PT2_iSB_SB_.num_vgpr, max(3, .L__assert_fail.num_vgpr)
	.set _Z38paged_attention_ll4mi_QKV_mfma4_kernelIDF16_hLN4vllm18Fp8KVCacheDataTypeE1EDF16_Li16ELi128ELi256ELb1ELi3EEvPKT_PKT0_S7_ifPKiS9_S9_iPKfiiiPfSC_PS2_PT2_iSB_SB_.num_agpr, max(0, .L__assert_fail.num_agpr)
	.set _Z38paged_attention_ll4mi_QKV_mfma4_kernelIDF16_hLN4vllm18Fp8KVCacheDataTypeE1EDF16_Li16ELi128ELi256ELb1ELi3EEvPKT_PKT0_S7_ifPKiS9_S9_iPKfiiiPfSC_PS2_PT2_iSB_SB_.numbered_sgpr, max(33, .L__assert_fail.numbered_sgpr)
	.set _Z38paged_attention_ll4mi_QKV_mfma4_kernelIDF16_hLN4vllm18Fp8KVCacheDataTypeE1EDF16_Li16ELi128ELi256ELb1ELi3EEvPKT_PKT0_S7_ifPKiS9_S9_iPKfiiiPfSC_PS2_PT2_iSB_SB_.num_named_barrier, max(0, .L__assert_fail.num_named_barrier)
	.set _Z38paged_attention_ll4mi_QKV_mfma4_kernelIDF16_hLN4vllm18Fp8KVCacheDataTypeE1EDF16_Li16ELi128ELi256ELb1ELi3EEvPKT_PKT0_S7_ifPKiS9_S9_iPKfiiiPfSC_PS2_PT2_iSB_SB_.private_seg_size, 0+max(.L__assert_fail.private_seg_size)
	.set _Z38paged_attention_ll4mi_QKV_mfma4_kernelIDF16_hLN4vllm18Fp8KVCacheDataTypeE1EDF16_Li16ELi128ELi256ELb1ELi3EEvPKT_PKT0_S7_ifPKiS9_S9_iPKfiiiPfSC_PS2_PT2_iSB_SB_.uses_vcc, or(1, .L__assert_fail.uses_vcc)
	.set _Z38paged_attention_ll4mi_QKV_mfma4_kernelIDF16_hLN4vllm18Fp8KVCacheDataTypeE1EDF16_Li16ELi128ELi256ELb1ELi3EEvPKT_PKT0_S7_ifPKiS9_S9_iPKfiiiPfSC_PS2_PT2_iSB_SB_.uses_flat_scratch, or(0, .L__assert_fail.uses_flat_scratch)
	.set _Z38paged_attention_ll4mi_QKV_mfma4_kernelIDF16_hLN4vllm18Fp8KVCacheDataTypeE1EDF16_Li16ELi128ELi256ELb1ELi3EEvPKT_PKT0_S7_ifPKiS9_S9_iPKfiiiPfSC_PS2_PT2_iSB_SB_.has_dyn_sized_stack, or(0, .L__assert_fail.has_dyn_sized_stack)
	.set _Z38paged_attention_ll4mi_QKV_mfma4_kernelIDF16_hLN4vllm18Fp8KVCacheDataTypeE1EDF16_Li16ELi128ELi256ELb1ELi3EEvPKT_PKT0_S7_ifPKiS9_S9_iPKfiiiPfSC_PS2_PT2_iSB_SB_.has_recursion, or(0, .L__assert_fail.has_recursion)
	.set _Z38paged_attention_ll4mi_QKV_mfma4_kernelIDF16_hLN4vllm18Fp8KVCacheDataTypeE1EDF16_Li16ELi128ELi256ELb1ELi3EEvPKT_PKT0_S7_ifPKiS9_S9_iPKfiiiPfSC_PS2_PT2_iSB_SB_.has_indirect_call, or(0, .L__assert_fail.has_indirect_call)
	.section	.AMDGPU.csdata,"",@progbits
; Kernel info:
; codeLenInByte = 68
; TotalNumSgprs: 36
; NumVgprs: 51
; ScratchSize: 64
; MemoryBound: 0
; FloatMode: 240
; IeeeMode: 1
; LDSByteSize: 0 bytes/workgroup (compile time only)
; SGPRBlocks: 0
; VGPRBlocks: 3
; NumSGPRsForWavesPerEU: 36
; NumVGPRsForWavesPerEU: 51
; NamedBarCnt: 0
; Occupancy: 16
; WaveLimiterHint : 1
; COMPUTE_PGM_RSRC2:SCRATCH_EN: 1
; COMPUTE_PGM_RSRC2:USER_SGPR: 2
; COMPUTE_PGM_RSRC2:TRAP_HANDLER: 0
; COMPUTE_PGM_RSRC2:TGID_X_EN: 1
; COMPUTE_PGM_RSRC2:TGID_Y_EN: 0
; COMPUTE_PGM_RSRC2:TGID_Z_EN: 0
; COMPUTE_PGM_RSRC2:TIDIG_COMP_CNT: 0
	.section	.text._Z38paged_attention_ll4mi_QKV_mfma4_kernelIDF16_hLN4vllm18Fp8KVCacheDataTypeE1EDF16_Li16ELi128ELi256ELb1ELi4EEvPKT_PKT0_S7_ifPKiS9_S9_iPKfiiiPfSC_PS2_PT2_iSB_SB_,"axG",@progbits,_Z38paged_attention_ll4mi_QKV_mfma4_kernelIDF16_hLN4vllm18Fp8KVCacheDataTypeE1EDF16_Li16ELi128ELi256ELb1ELi4EEvPKT_PKT0_S7_ifPKiS9_S9_iPKfiiiPfSC_PS2_PT2_iSB_SB_,comdat
	.protected	_Z38paged_attention_ll4mi_QKV_mfma4_kernelIDF16_hLN4vllm18Fp8KVCacheDataTypeE1EDF16_Li16ELi128ELi256ELb1ELi4EEvPKT_PKT0_S7_ifPKiS9_S9_iPKfiiiPfSC_PS2_PT2_iSB_SB_ ; -- Begin function _Z38paged_attention_ll4mi_QKV_mfma4_kernelIDF16_hLN4vllm18Fp8KVCacheDataTypeE1EDF16_Li16ELi128ELi256ELb1ELi4EEvPKT_PKT0_S7_ifPKiS9_S9_iPKfiiiPfSC_PS2_PT2_iSB_SB_
	.globl	_Z38paged_attention_ll4mi_QKV_mfma4_kernelIDF16_hLN4vllm18Fp8KVCacheDataTypeE1EDF16_Li16ELi128ELi256ELb1ELi4EEvPKT_PKT0_S7_ifPKiS9_S9_iPKfiiiPfSC_PS2_PT2_iSB_SB_
	.p2align	8
	.type	_Z38paged_attention_ll4mi_QKV_mfma4_kernelIDF16_hLN4vllm18Fp8KVCacheDataTypeE1EDF16_Li16ELi128ELi256ELb1ELi4EEvPKT_PKT0_S7_ifPKiS9_S9_iPKfiiiPfSC_PS2_PT2_iSB_SB_,@function
_Z38paged_attention_ll4mi_QKV_mfma4_kernelIDF16_hLN4vllm18Fp8KVCacheDataTypeE1EDF16_Li16ELi128ELi256ELb1ELi4EEvPKT_PKT0_S7_ifPKiS9_S9_iPKfiiiPfSC_PS2_PT2_iSB_SB_: ; @_Z38paged_attention_ll4mi_QKV_mfma4_kernelIDF16_hLN4vllm18Fp8KVCacheDataTypeE1EDF16_Li16ELi128ELi256ELb1ELi4EEvPKT_PKT0_S7_ifPKiS9_S9_iPKfiiiPfSC_PS2_PT2_iSB_SB_
; %bb.0:
	s_get_pc_i64 s[2:3]
	s_add_nc_u64 s[2:3], s[2:3], __PRETTY_FUNCTION__._Z38paged_attention_ll4mi_QKV_mfma4_kernelIDF16_hLN4vllm18Fp8KVCacheDataTypeE1EDF16_Li16ELi128ELi256ELb1ELi4EEvPKT_PKT0_S7_ifPKiS9_S9_iPKfiiiPfSC_PS2_PT2_iSB_SB_@rel64+4
	s_delay_alu instid0(SALU_CYCLE_1)
	v_dual_mov_b32 v0, 0xbce :: v_dual_mov_b32 v1, s2
	v_mov_b32_e32 v2, s3
	s_add_nc_u64 s[8:9], s[0:1], 0x90
	s_get_pc_i64 s[0:1]
	s_add_nc_u64 s[0:1], s[0:1], __assert_fail@rel64+4
	s_mov_b32 s32, 0
	s_swap_pc_i64 s[30:31], s[0:1]
	.section	.rodata,"a",@progbits
	.p2align	6, 0x0
	.amdhsa_kernel _Z38paged_attention_ll4mi_QKV_mfma4_kernelIDF16_hLN4vllm18Fp8KVCacheDataTypeE1EDF16_Li16ELi128ELi256ELb1ELi4EEvPKT_PKT0_S7_ifPKiS9_S9_iPKfiiiPfSC_PS2_PT2_iSB_SB_
		.amdhsa_group_segment_fixed_size 0
		.amdhsa_private_segment_fixed_size 64
		.amdhsa_kernarg_size 400
		.amdhsa_user_sgpr_count 2
		.amdhsa_user_sgpr_dispatch_ptr 0
		.amdhsa_user_sgpr_queue_ptr 0
		.amdhsa_user_sgpr_kernarg_segment_ptr 1
		.amdhsa_user_sgpr_dispatch_id 0
		.amdhsa_user_sgpr_kernarg_preload_length 0
		.amdhsa_user_sgpr_kernarg_preload_offset 0
		.amdhsa_user_sgpr_private_segment_size 0
		.amdhsa_wavefront_size32 1
		.amdhsa_uses_dynamic_stack 0
		.amdhsa_enable_private_segment 1
		.amdhsa_system_sgpr_workgroup_id_x 1
		.amdhsa_system_sgpr_workgroup_id_y 0
		.amdhsa_system_sgpr_workgroup_id_z 0
		.amdhsa_system_sgpr_workgroup_info 0
		.amdhsa_system_vgpr_workitem_id 0
		.amdhsa_next_free_vgpr 51
		.amdhsa_next_free_sgpr 34
		.amdhsa_named_barrier_count 0
		.amdhsa_reserve_vcc 1
		.amdhsa_float_round_mode_32 0
		.amdhsa_float_round_mode_16_64 0
		.amdhsa_float_denorm_mode_32 3
		.amdhsa_float_denorm_mode_16_64 3
		.amdhsa_fp16_overflow 0
		.amdhsa_memory_ordered 1
		.amdhsa_forward_progress 1
		.amdhsa_inst_pref_size 1
		.amdhsa_round_robin_scheduling 0
		.amdhsa_exception_fp_ieee_invalid_op 0
		.amdhsa_exception_fp_denorm_src 0
		.amdhsa_exception_fp_ieee_div_zero 0
		.amdhsa_exception_fp_ieee_overflow 0
		.amdhsa_exception_fp_ieee_underflow 0
		.amdhsa_exception_fp_ieee_inexact 0
		.amdhsa_exception_int_div_zero 0
	.end_amdhsa_kernel
	.section	.text._Z38paged_attention_ll4mi_QKV_mfma4_kernelIDF16_hLN4vllm18Fp8KVCacheDataTypeE1EDF16_Li16ELi128ELi256ELb1ELi4EEvPKT_PKT0_S7_ifPKiS9_S9_iPKfiiiPfSC_PS2_PT2_iSB_SB_,"axG",@progbits,_Z38paged_attention_ll4mi_QKV_mfma4_kernelIDF16_hLN4vllm18Fp8KVCacheDataTypeE1EDF16_Li16ELi128ELi256ELb1ELi4EEvPKT_PKT0_S7_ifPKiS9_S9_iPKfiiiPfSC_PS2_PT2_iSB_SB_,comdat
.Lfunc_end973:
	.size	_Z38paged_attention_ll4mi_QKV_mfma4_kernelIDF16_hLN4vllm18Fp8KVCacheDataTypeE1EDF16_Li16ELi128ELi256ELb1ELi4EEvPKT_PKT0_S7_ifPKiS9_S9_iPKfiiiPfSC_PS2_PT2_iSB_SB_, .Lfunc_end973-_Z38paged_attention_ll4mi_QKV_mfma4_kernelIDF16_hLN4vllm18Fp8KVCacheDataTypeE1EDF16_Li16ELi128ELi256ELb1ELi4EEvPKT_PKT0_S7_ifPKiS9_S9_iPKfiiiPfSC_PS2_PT2_iSB_SB_
                                        ; -- End function
	.set _Z38paged_attention_ll4mi_QKV_mfma4_kernelIDF16_hLN4vllm18Fp8KVCacheDataTypeE1EDF16_Li16ELi128ELi256ELb1ELi4EEvPKT_PKT0_S7_ifPKiS9_S9_iPKfiiiPfSC_PS2_PT2_iSB_SB_.num_vgpr, max(3, .L__assert_fail.num_vgpr)
	.set _Z38paged_attention_ll4mi_QKV_mfma4_kernelIDF16_hLN4vllm18Fp8KVCacheDataTypeE1EDF16_Li16ELi128ELi256ELb1ELi4EEvPKT_PKT0_S7_ifPKiS9_S9_iPKfiiiPfSC_PS2_PT2_iSB_SB_.num_agpr, max(0, .L__assert_fail.num_agpr)
	.set _Z38paged_attention_ll4mi_QKV_mfma4_kernelIDF16_hLN4vllm18Fp8KVCacheDataTypeE1EDF16_Li16ELi128ELi256ELb1ELi4EEvPKT_PKT0_S7_ifPKiS9_S9_iPKfiiiPfSC_PS2_PT2_iSB_SB_.numbered_sgpr, max(33, .L__assert_fail.numbered_sgpr)
	.set _Z38paged_attention_ll4mi_QKV_mfma4_kernelIDF16_hLN4vllm18Fp8KVCacheDataTypeE1EDF16_Li16ELi128ELi256ELb1ELi4EEvPKT_PKT0_S7_ifPKiS9_S9_iPKfiiiPfSC_PS2_PT2_iSB_SB_.num_named_barrier, max(0, .L__assert_fail.num_named_barrier)
	.set _Z38paged_attention_ll4mi_QKV_mfma4_kernelIDF16_hLN4vllm18Fp8KVCacheDataTypeE1EDF16_Li16ELi128ELi256ELb1ELi4EEvPKT_PKT0_S7_ifPKiS9_S9_iPKfiiiPfSC_PS2_PT2_iSB_SB_.private_seg_size, 0+max(.L__assert_fail.private_seg_size)
	.set _Z38paged_attention_ll4mi_QKV_mfma4_kernelIDF16_hLN4vllm18Fp8KVCacheDataTypeE1EDF16_Li16ELi128ELi256ELb1ELi4EEvPKT_PKT0_S7_ifPKiS9_S9_iPKfiiiPfSC_PS2_PT2_iSB_SB_.uses_vcc, or(1, .L__assert_fail.uses_vcc)
	.set _Z38paged_attention_ll4mi_QKV_mfma4_kernelIDF16_hLN4vllm18Fp8KVCacheDataTypeE1EDF16_Li16ELi128ELi256ELb1ELi4EEvPKT_PKT0_S7_ifPKiS9_S9_iPKfiiiPfSC_PS2_PT2_iSB_SB_.uses_flat_scratch, or(0, .L__assert_fail.uses_flat_scratch)
	.set _Z38paged_attention_ll4mi_QKV_mfma4_kernelIDF16_hLN4vllm18Fp8KVCacheDataTypeE1EDF16_Li16ELi128ELi256ELb1ELi4EEvPKT_PKT0_S7_ifPKiS9_S9_iPKfiiiPfSC_PS2_PT2_iSB_SB_.has_dyn_sized_stack, or(0, .L__assert_fail.has_dyn_sized_stack)
	.set _Z38paged_attention_ll4mi_QKV_mfma4_kernelIDF16_hLN4vllm18Fp8KVCacheDataTypeE1EDF16_Li16ELi128ELi256ELb1ELi4EEvPKT_PKT0_S7_ifPKiS9_S9_iPKfiiiPfSC_PS2_PT2_iSB_SB_.has_recursion, or(0, .L__assert_fail.has_recursion)
	.set _Z38paged_attention_ll4mi_QKV_mfma4_kernelIDF16_hLN4vllm18Fp8KVCacheDataTypeE1EDF16_Li16ELi128ELi256ELb1ELi4EEvPKT_PKT0_S7_ifPKiS9_S9_iPKfiiiPfSC_PS2_PT2_iSB_SB_.has_indirect_call, or(0, .L__assert_fail.has_indirect_call)
	.section	.AMDGPU.csdata,"",@progbits
; Kernel info:
; codeLenInByte = 68
; TotalNumSgprs: 36
; NumVgprs: 51
; ScratchSize: 64
; MemoryBound: 0
; FloatMode: 240
; IeeeMode: 1
; LDSByteSize: 0 bytes/workgroup (compile time only)
; SGPRBlocks: 0
; VGPRBlocks: 3
; NumSGPRsForWavesPerEU: 36
; NumVGPRsForWavesPerEU: 51
; NamedBarCnt: 0
; Occupancy: 16
; WaveLimiterHint : 1
; COMPUTE_PGM_RSRC2:SCRATCH_EN: 1
; COMPUTE_PGM_RSRC2:USER_SGPR: 2
; COMPUTE_PGM_RSRC2:TRAP_HANDLER: 0
; COMPUTE_PGM_RSRC2:TGID_X_EN: 1
; COMPUTE_PGM_RSRC2:TGID_Y_EN: 0
; COMPUTE_PGM_RSRC2:TGID_Z_EN: 0
; COMPUTE_PGM_RSRC2:TIDIG_COMP_CNT: 0
	.section	.text._Z39paged_attention_ll4mi_QKV_mfma16_kernelIDF16_hLN4vllm18Fp8KVCacheDataTypeE1EDF16_Li16ELi128ELi256ELb1ELi5EEvPKT_PKT0_S7_ifPKiS9_S9_iPKfiiiPfSC_PS2_PT2_iSB_SB_,"axG",@progbits,_Z39paged_attention_ll4mi_QKV_mfma16_kernelIDF16_hLN4vllm18Fp8KVCacheDataTypeE1EDF16_Li16ELi128ELi256ELb1ELi5EEvPKT_PKT0_S7_ifPKiS9_S9_iPKfiiiPfSC_PS2_PT2_iSB_SB_,comdat
	.protected	_Z39paged_attention_ll4mi_QKV_mfma16_kernelIDF16_hLN4vllm18Fp8KVCacheDataTypeE1EDF16_Li16ELi128ELi256ELb1ELi5EEvPKT_PKT0_S7_ifPKiS9_S9_iPKfiiiPfSC_PS2_PT2_iSB_SB_ ; -- Begin function _Z39paged_attention_ll4mi_QKV_mfma16_kernelIDF16_hLN4vllm18Fp8KVCacheDataTypeE1EDF16_Li16ELi128ELi256ELb1ELi5EEvPKT_PKT0_S7_ifPKiS9_S9_iPKfiiiPfSC_PS2_PT2_iSB_SB_
	.globl	_Z39paged_attention_ll4mi_QKV_mfma16_kernelIDF16_hLN4vllm18Fp8KVCacheDataTypeE1EDF16_Li16ELi128ELi256ELb1ELi5EEvPKT_PKT0_S7_ifPKiS9_S9_iPKfiiiPfSC_PS2_PT2_iSB_SB_
	.p2align	8
	.type	_Z39paged_attention_ll4mi_QKV_mfma16_kernelIDF16_hLN4vllm18Fp8KVCacheDataTypeE1EDF16_Li16ELi128ELi256ELb1ELi5EEvPKT_PKT0_S7_ifPKiS9_S9_iPKfiiiPfSC_PS2_PT2_iSB_SB_,@function
_Z39paged_attention_ll4mi_QKV_mfma16_kernelIDF16_hLN4vllm18Fp8KVCacheDataTypeE1EDF16_Li16ELi128ELi256ELb1ELi5EEvPKT_PKT0_S7_ifPKiS9_S9_iPKfiiiPfSC_PS2_PT2_iSB_SB_: ; @_Z39paged_attention_ll4mi_QKV_mfma16_kernelIDF16_hLN4vllm18Fp8KVCacheDataTypeE1EDF16_Li16ELi128ELi256ELb1ELi5EEvPKT_PKT0_S7_ifPKiS9_S9_iPKfiiiPfSC_PS2_PT2_iSB_SB_
; %bb.0:
	s_get_pc_i64 s[2:3]
	s_add_nc_u64 s[2:3], s[2:3], __PRETTY_FUNCTION__._Z39paged_attention_ll4mi_QKV_mfma16_kernelIDF16_hLN4vllm18Fp8KVCacheDataTypeE1EDF16_Li16ELi128ELi256ELb1ELi5EEvPKT_PKT0_S7_ifPKiS9_S9_iPKfiiiPfSC_PS2_PT2_iSB_SB_@rel64+4
	s_delay_alu instid0(SALU_CYCLE_1)
	v_dual_mov_b32 v0, 0xbb3 :: v_dual_mov_b32 v1, s2
	v_mov_b32_e32 v2, s3
	s_add_nc_u64 s[8:9], s[0:1], 0x90
	s_get_pc_i64 s[0:1]
	s_add_nc_u64 s[0:1], s[0:1], __assert_fail@rel64+4
	s_mov_b32 s32, 0
	s_swap_pc_i64 s[30:31], s[0:1]
	.section	.rodata,"a",@progbits
	.p2align	6, 0x0
	.amdhsa_kernel _Z39paged_attention_ll4mi_QKV_mfma16_kernelIDF16_hLN4vllm18Fp8KVCacheDataTypeE1EDF16_Li16ELi128ELi256ELb1ELi5EEvPKT_PKT0_S7_ifPKiS9_S9_iPKfiiiPfSC_PS2_PT2_iSB_SB_
		.amdhsa_group_segment_fixed_size 0
		.amdhsa_private_segment_fixed_size 64
		.amdhsa_kernarg_size 400
		.amdhsa_user_sgpr_count 2
		.amdhsa_user_sgpr_dispatch_ptr 0
		.amdhsa_user_sgpr_queue_ptr 0
		.amdhsa_user_sgpr_kernarg_segment_ptr 1
		.amdhsa_user_sgpr_dispatch_id 0
		.amdhsa_user_sgpr_kernarg_preload_length 0
		.amdhsa_user_sgpr_kernarg_preload_offset 0
		.amdhsa_user_sgpr_private_segment_size 0
		.amdhsa_wavefront_size32 1
		.amdhsa_uses_dynamic_stack 0
		.amdhsa_enable_private_segment 1
		.amdhsa_system_sgpr_workgroup_id_x 1
		.amdhsa_system_sgpr_workgroup_id_y 0
		.amdhsa_system_sgpr_workgroup_id_z 0
		.amdhsa_system_sgpr_workgroup_info 0
		.amdhsa_system_vgpr_workitem_id 0
		.amdhsa_next_free_vgpr 51
		.amdhsa_next_free_sgpr 34
		.amdhsa_named_barrier_count 0
		.amdhsa_reserve_vcc 1
		.amdhsa_float_round_mode_32 0
		.amdhsa_float_round_mode_16_64 0
		.amdhsa_float_denorm_mode_32 3
		.amdhsa_float_denorm_mode_16_64 3
		.amdhsa_fp16_overflow 0
		.amdhsa_memory_ordered 1
		.amdhsa_forward_progress 1
		.amdhsa_inst_pref_size 1
		.amdhsa_round_robin_scheduling 0
		.amdhsa_exception_fp_ieee_invalid_op 0
		.amdhsa_exception_fp_denorm_src 0
		.amdhsa_exception_fp_ieee_div_zero 0
		.amdhsa_exception_fp_ieee_overflow 0
		.amdhsa_exception_fp_ieee_underflow 0
		.amdhsa_exception_fp_ieee_inexact 0
		.amdhsa_exception_int_div_zero 0
	.end_amdhsa_kernel
	.section	.text._Z39paged_attention_ll4mi_QKV_mfma16_kernelIDF16_hLN4vllm18Fp8KVCacheDataTypeE1EDF16_Li16ELi128ELi256ELb1ELi5EEvPKT_PKT0_S7_ifPKiS9_S9_iPKfiiiPfSC_PS2_PT2_iSB_SB_,"axG",@progbits,_Z39paged_attention_ll4mi_QKV_mfma16_kernelIDF16_hLN4vllm18Fp8KVCacheDataTypeE1EDF16_Li16ELi128ELi256ELb1ELi5EEvPKT_PKT0_S7_ifPKiS9_S9_iPKfiiiPfSC_PS2_PT2_iSB_SB_,comdat
.Lfunc_end974:
	.size	_Z39paged_attention_ll4mi_QKV_mfma16_kernelIDF16_hLN4vllm18Fp8KVCacheDataTypeE1EDF16_Li16ELi128ELi256ELb1ELi5EEvPKT_PKT0_S7_ifPKiS9_S9_iPKfiiiPfSC_PS2_PT2_iSB_SB_, .Lfunc_end974-_Z39paged_attention_ll4mi_QKV_mfma16_kernelIDF16_hLN4vllm18Fp8KVCacheDataTypeE1EDF16_Li16ELi128ELi256ELb1ELi5EEvPKT_PKT0_S7_ifPKiS9_S9_iPKfiiiPfSC_PS2_PT2_iSB_SB_
                                        ; -- End function
	.set _Z39paged_attention_ll4mi_QKV_mfma16_kernelIDF16_hLN4vllm18Fp8KVCacheDataTypeE1EDF16_Li16ELi128ELi256ELb1ELi5EEvPKT_PKT0_S7_ifPKiS9_S9_iPKfiiiPfSC_PS2_PT2_iSB_SB_.num_vgpr, max(3, .L__assert_fail.num_vgpr)
	.set _Z39paged_attention_ll4mi_QKV_mfma16_kernelIDF16_hLN4vllm18Fp8KVCacheDataTypeE1EDF16_Li16ELi128ELi256ELb1ELi5EEvPKT_PKT0_S7_ifPKiS9_S9_iPKfiiiPfSC_PS2_PT2_iSB_SB_.num_agpr, max(0, .L__assert_fail.num_agpr)
	.set _Z39paged_attention_ll4mi_QKV_mfma16_kernelIDF16_hLN4vllm18Fp8KVCacheDataTypeE1EDF16_Li16ELi128ELi256ELb1ELi5EEvPKT_PKT0_S7_ifPKiS9_S9_iPKfiiiPfSC_PS2_PT2_iSB_SB_.numbered_sgpr, max(33, .L__assert_fail.numbered_sgpr)
	.set _Z39paged_attention_ll4mi_QKV_mfma16_kernelIDF16_hLN4vllm18Fp8KVCacheDataTypeE1EDF16_Li16ELi128ELi256ELb1ELi5EEvPKT_PKT0_S7_ifPKiS9_S9_iPKfiiiPfSC_PS2_PT2_iSB_SB_.num_named_barrier, max(0, .L__assert_fail.num_named_barrier)
	.set _Z39paged_attention_ll4mi_QKV_mfma16_kernelIDF16_hLN4vllm18Fp8KVCacheDataTypeE1EDF16_Li16ELi128ELi256ELb1ELi5EEvPKT_PKT0_S7_ifPKiS9_S9_iPKfiiiPfSC_PS2_PT2_iSB_SB_.private_seg_size, 0+max(.L__assert_fail.private_seg_size)
	.set _Z39paged_attention_ll4mi_QKV_mfma16_kernelIDF16_hLN4vllm18Fp8KVCacheDataTypeE1EDF16_Li16ELi128ELi256ELb1ELi5EEvPKT_PKT0_S7_ifPKiS9_S9_iPKfiiiPfSC_PS2_PT2_iSB_SB_.uses_vcc, or(1, .L__assert_fail.uses_vcc)
	.set _Z39paged_attention_ll4mi_QKV_mfma16_kernelIDF16_hLN4vllm18Fp8KVCacheDataTypeE1EDF16_Li16ELi128ELi256ELb1ELi5EEvPKT_PKT0_S7_ifPKiS9_S9_iPKfiiiPfSC_PS2_PT2_iSB_SB_.uses_flat_scratch, or(0, .L__assert_fail.uses_flat_scratch)
	.set _Z39paged_attention_ll4mi_QKV_mfma16_kernelIDF16_hLN4vllm18Fp8KVCacheDataTypeE1EDF16_Li16ELi128ELi256ELb1ELi5EEvPKT_PKT0_S7_ifPKiS9_S9_iPKfiiiPfSC_PS2_PT2_iSB_SB_.has_dyn_sized_stack, or(0, .L__assert_fail.has_dyn_sized_stack)
	.set _Z39paged_attention_ll4mi_QKV_mfma16_kernelIDF16_hLN4vllm18Fp8KVCacheDataTypeE1EDF16_Li16ELi128ELi256ELb1ELi5EEvPKT_PKT0_S7_ifPKiS9_S9_iPKfiiiPfSC_PS2_PT2_iSB_SB_.has_recursion, or(0, .L__assert_fail.has_recursion)
	.set _Z39paged_attention_ll4mi_QKV_mfma16_kernelIDF16_hLN4vllm18Fp8KVCacheDataTypeE1EDF16_Li16ELi128ELi256ELb1ELi5EEvPKT_PKT0_S7_ifPKiS9_S9_iPKfiiiPfSC_PS2_PT2_iSB_SB_.has_indirect_call, or(0, .L__assert_fail.has_indirect_call)
	.section	.AMDGPU.csdata,"",@progbits
; Kernel info:
; codeLenInByte = 68
; TotalNumSgprs: 36
; NumVgprs: 51
; ScratchSize: 64
; MemoryBound: 0
; FloatMode: 240
; IeeeMode: 1
; LDSByteSize: 0 bytes/workgroup (compile time only)
; SGPRBlocks: 0
; VGPRBlocks: 3
; NumSGPRsForWavesPerEU: 36
; NumVGPRsForWavesPerEU: 51
; NamedBarCnt: 0
; Occupancy: 16
; WaveLimiterHint : 1
; COMPUTE_PGM_RSRC2:SCRATCH_EN: 1
; COMPUTE_PGM_RSRC2:USER_SGPR: 2
; COMPUTE_PGM_RSRC2:TRAP_HANDLER: 0
; COMPUTE_PGM_RSRC2:TGID_X_EN: 1
; COMPUTE_PGM_RSRC2:TGID_Y_EN: 0
; COMPUTE_PGM_RSRC2:TGID_Z_EN: 0
; COMPUTE_PGM_RSRC2:TIDIG_COMP_CNT: 0
	.section	.text._Z39paged_attention_ll4mi_QKV_mfma16_kernelIDF16_hLN4vllm18Fp8KVCacheDataTypeE1EDF16_Li16ELi128ELi256ELb1ELi6EEvPKT_PKT0_S7_ifPKiS9_S9_iPKfiiiPfSC_PS2_PT2_iSB_SB_,"axG",@progbits,_Z39paged_attention_ll4mi_QKV_mfma16_kernelIDF16_hLN4vllm18Fp8KVCacheDataTypeE1EDF16_Li16ELi128ELi256ELb1ELi6EEvPKT_PKT0_S7_ifPKiS9_S9_iPKfiiiPfSC_PS2_PT2_iSB_SB_,comdat
	.protected	_Z39paged_attention_ll4mi_QKV_mfma16_kernelIDF16_hLN4vllm18Fp8KVCacheDataTypeE1EDF16_Li16ELi128ELi256ELb1ELi6EEvPKT_PKT0_S7_ifPKiS9_S9_iPKfiiiPfSC_PS2_PT2_iSB_SB_ ; -- Begin function _Z39paged_attention_ll4mi_QKV_mfma16_kernelIDF16_hLN4vllm18Fp8KVCacheDataTypeE1EDF16_Li16ELi128ELi256ELb1ELi6EEvPKT_PKT0_S7_ifPKiS9_S9_iPKfiiiPfSC_PS2_PT2_iSB_SB_
	.globl	_Z39paged_attention_ll4mi_QKV_mfma16_kernelIDF16_hLN4vllm18Fp8KVCacheDataTypeE1EDF16_Li16ELi128ELi256ELb1ELi6EEvPKT_PKT0_S7_ifPKiS9_S9_iPKfiiiPfSC_PS2_PT2_iSB_SB_
	.p2align	8
	.type	_Z39paged_attention_ll4mi_QKV_mfma16_kernelIDF16_hLN4vllm18Fp8KVCacheDataTypeE1EDF16_Li16ELi128ELi256ELb1ELi6EEvPKT_PKT0_S7_ifPKiS9_S9_iPKfiiiPfSC_PS2_PT2_iSB_SB_,@function
_Z39paged_attention_ll4mi_QKV_mfma16_kernelIDF16_hLN4vllm18Fp8KVCacheDataTypeE1EDF16_Li16ELi128ELi256ELb1ELi6EEvPKT_PKT0_S7_ifPKiS9_S9_iPKfiiiPfSC_PS2_PT2_iSB_SB_: ; @_Z39paged_attention_ll4mi_QKV_mfma16_kernelIDF16_hLN4vllm18Fp8KVCacheDataTypeE1EDF16_Li16ELi128ELi256ELb1ELi6EEvPKT_PKT0_S7_ifPKiS9_S9_iPKfiiiPfSC_PS2_PT2_iSB_SB_
; %bb.0:
	s_get_pc_i64 s[2:3]
	s_add_nc_u64 s[2:3], s[2:3], __PRETTY_FUNCTION__._Z39paged_attention_ll4mi_QKV_mfma16_kernelIDF16_hLN4vllm18Fp8KVCacheDataTypeE1EDF16_Li16ELi128ELi256ELb1ELi6EEvPKT_PKT0_S7_ifPKiS9_S9_iPKfiiiPfSC_PS2_PT2_iSB_SB_@rel64+4
	s_delay_alu instid0(SALU_CYCLE_1)
	v_dual_mov_b32 v0, 0xbb3 :: v_dual_mov_b32 v1, s2
	v_mov_b32_e32 v2, s3
	s_add_nc_u64 s[8:9], s[0:1], 0x90
	s_get_pc_i64 s[0:1]
	s_add_nc_u64 s[0:1], s[0:1], __assert_fail@rel64+4
	s_mov_b32 s32, 0
	s_swap_pc_i64 s[30:31], s[0:1]
	.section	.rodata,"a",@progbits
	.p2align	6, 0x0
	.amdhsa_kernel _Z39paged_attention_ll4mi_QKV_mfma16_kernelIDF16_hLN4vllm18Fp8KVCacheDataTypeE1EDF16_Li16ELi128ELi256ELb1ELi6EEvPKT_PKT0_S7_ifPKiS9_S9_iPKfiiiPfSC_PS2_PT2_iSB_SB_
		.amdhsa_group_segment_fixed_size 0
		.amdhsa_private_segment_fixed_size 64
		.amdhsa_kernarg_size 400
		.amdhsa_user_sgpr_count 2
		.amdhsa_user_sgpr_dispatch_ptr 0
		.amdhsa_user_sgpr_queue_ptr 0
		.amdhsa_user_sgpr_kernarg_segment_ptr 1
		.amdhsa_user_sgpr_dispatch_id 0
		.amdhsa_user_sgpr_kernarg_preload_length 0
		.amdhsa_user_sgpr_kernarg_preload_offset 0
		.amdhsa_user_sgpr_private_segment_size 0
		.amdhsa_wavefront_size32 1
		.amdhsa_uses_dynamic_stack 0
		.amdhsa_enable_private_segment 1
		.amdhsa_system_sgpr_workgroup_id_x 1
		.amdhsa_system_sgpr_workgroup_id_y 0
		.amdhsa_system_sgpr_workgroup_id_z 0
		.amdhsa_system_sgpr_workgroup_info 0
		.amdhsa_system_vgpr_workitem_id 0
		.amdhsa_next_free_vgpr 51
		.amdhsa_next_free_sgpr 34
		.amdhsa_named_barrier_count 0
		.amdhsa_reserve_vcc 1
		.amdhsa_float_round_mode_32 0
		.amdhsa_float_round_mode_16_64 0
		.amdhsa_float_denorm_mode_32 3
		.amdhsa_float_denorm_mode_16_64 3
		.amdhsa_fp16_overflow 0
		.amdhsa_memory_ordered 1
		.amdhsa_forward_progress 1
		.amdhsa_inst_pref_size 1
		.amdhsa_round_robin_scheduling 0
		.amdhsa_exception_fp_ieee_invalid_op 0
		.amdhsa_exception_fp_denorm_src 0
		.amdhsa_exception_fp_ieee_div_zero 0
		.amdhsa_exception_fp_ieee_overflow 0
		.amdhsa_exception_fp_ieee_underflow 0
		.amdhsa_exception_fp_ieee_inexact 0
		.amdhsa_exception_int_div_zero 0
	.end_amdhsa_kernel
	.section	.text._Z39paged_attention_ll4mi_QKV_mfma16_kernelIDF16_hLN4vllm18Fp8KVCacheDataTypeE1EDF16_Li16ELi128ELi256ELb1ELi6EEvPKT_PKT0_S7_ifPKiS9_S9_iPKfiiiPfSC_PS2_PT2_iSB_SB_,"axG",@progbits,_Z39paged_attention_ll4mi_QKV_mfma16_kernelIDF16_hLN4vllm18Fp8KVCacheDataTypeE1EDF16_Li16ELi128ELi256ELb1ELi6EEvPKT_PKT0_S7_ifPKiS9_S9_iPKfiiiPfSC_PS2_PT2_iSB_SB_,comdat
.Lfunc_end975:
	.size	_Z39paged_attention_ll4mi_QKV_mfma16_kernelIDF16_hLN4vllm18Fp8KVCacheDataTypeE1EDF16_Li16ELi128ELi256ELb1ELi6EEvPKT_PKT0_S7_ifPKiS9_S9_iPKfiiiPfSC_PS2_PT2_iSB_SB_, .Lfunc_end975-_Z39paged_attention_ll4mi_QKV_mfma16_kernelIDF16_hLN4vllm18Fp8KVCacheDataTypeE1EDF16_Li16ELi128ELi256ELb1ELi6EEvPKT_PKT0_S7_ifPKiS9_S9_iPKfiiiPfSC_PS2_PT2_iSB_SB_
                                        ; -- End function
	.set _Z39paged_attention_ll4mi_QKV_mfma16_kernelIDF16_hLN4vllm18Fp8KVCacheDataTypeE1EDF16_Li16ELi128ELi256ELb1ELi6EEvPKT_PKT0_S7_ifPKiS9_S9_iPKfiiiPfSC_PS2_PT2_iSB_SB_.num_vgpr, max(3, .L__assert_fail.num_vgpr)
	.set _Z39paged_attention_ll4mi_QKV_mfma16_kernelIDF16_hLN4vllm18Fp8KVCacheDataTypeE1EDF16_Li16ELi128ELi256ELb1ELi6EEvPKT_PKT0_S7_ifPKiS9_S9_iPKfiiiPfSC_PS2_PT2_iSB_SB_.num_agpr, max(0, .L__assert_fail.num_agpr)
	.set _Z39paged_attention_ll4mi_QKV_mfma16_kernelIDF16_hLN4vllm18Fp8KVCacheDataTypeE1EDF16_Li16ELi128ELi256ELb1ELi6EEvPKT_PKT0_S7_ifPKiS9_S9_iPKfiiiPfSC_PS2_PT2_iSB_SB_.numbered_sgpr, max(33, .L__assert_fail.numbered_sgpr)
	.set _Z39paged_attention_ll4mi_QKV_mfma16_kernelIDF16_hLN4vllm18Fp8KVCacheDataTypeE1EDF16_Li16ELi128ELi256ELb1ELi6EEvPKT_PKT0_S7_ifPKiS9_S9_iPKfiiiPfSC_PS2_PT2_iSB_SB_.num_named_barrier, max(0, .L__assert_fail.num_named_barrier)
	.set _Z39paged_attention_ll4mi_QKV_mfma16_kernelIDF16_hLN4vllm18Fp8KVCacheDataTypeE1EDF16_Li16ELi128ELi256ELb1ELi6EEvPKT_PKT0_S7_ifPKiS9_S9_iPKfiiiPfSC_PS2_PT2_iSB_SB_.private_seg_size, 0+max(.L__assert_fail.private_seg_size)
	.set _Z39paged_attention_ll4mi_QKV_mfma16_kernelIDF16_hLN4vllm18Fp8KVCacheDataTypeE1EDF16_Li16ELi128ELi256ELb1ELi6EEvPKT_PKT0_S7_ifPKiS9_S9_iPKfiiiPfSC_PS2_PT2_iSB_SB_.uses_vcc, or(1, .L__assert_fail.uses_vcc)
	.set _Z39paged_attention_ll4mi_QKV_mfma16_kernelIDF16_hLN4vllm18Fp8KVCacheDataTypeE1EDF16_Li16ELi128ELi256ELb1ELi6EEvPKT_PKT0_S7_ifPKiS9_S9_iPKfiiiPfSC_PS2_PT2_iSB_SB_.uses_flat_scratch, or(0, .L__assert_fail.uses_flat_scratch)
	.set _Z39paged_attention_ll4mi_QKV_mfma16_kernelIDF16_hLN4vllm18Fp8KVCacheDataTypeE1EDF16_Li16ELi128ELi256ELb1ELi6EEvPKT_PKT0_S7_ifPKiS9_S9_iPKfiiiPfSC_PS2_PT2_iSB_SB_.has_dyn_sized_stack, or(0, .L__assert_fail.has_dyn_sized_stack)
	.set _Z39paged_attention_ll4mi_QKV_mfma16_kernelIDF16_hLN4vllm18Fp8KVCacheDataTypeE1EDF16_Li16ELi128ELi256ELb1ELi6EEvPKT_PKT0_S7_ifPKiS9_S9_iPKfiiiPfSC_PS2_PT2_iSB_SB_.has_recursion, or(0, .L__assert_fail.has_recursion)
	.set _Z39paged_attention_ll4mi_QKV_mfma16_kernelIDF16_hLN4vllm18Fp8KVCacheDataTypeE1EDF16_Li16ELi128ELi256ELb1ELi6EEvPKT_PKT0_S7_ifPKiS9_S9_iPKfiiiPfSC_PS2_PT2_iSB_SB_.has_indirect_call, or(0, .L__assert_fail.has_indirect_call)
	.section	.AMDGPU.csdata,"",@progbits
; Kernel info:
; codeLenInByte = 68
; TotalNumSgprs: 36
; NumVgprs: 51
; ScratchSize: 64
; MemoryBound: 0
; FloatMode: 240
; IeeeMode: 1
; LDSByteSize: 0 bytes/workgroup (compile time only)
; SGPRBlocks: 0
; VGPRBlocks: 3
; NumSGPRsForWavesPerEU: 36
; NumVGPRsForWavesPerEU: 51
; NamedBarCnt: 0
; Occupancy: 16
; WaveLimiterHint : 1
; COMPUTE_PGM_RSRC2:SCRATCH_EN: 1
; COMPUTE_PGM_RSRC2:USER_SGPR: 2
; COMPUTE_PGM_RSRC2:TRAP_HANDLER: 0
; COMPUTE_PGM_RSRC2:TGID_X_EN: 1
; COMPUTE_PGM_RSRC2:TGID_Y_EN: 0
; COMPUTE_PGM_RSRC2:TGID_Z_EN: 0
; COMPUTE_PGM_RSRC2:TIDIG_COMP_CNT: 0
	.section	.text._Z39paged_attention_ll4mi_QKV_mfma16_kernelIDF16_hLN4vllm18Fp8KVCacheDataTypeE1EDF16_Li16ELi128ELi256ELb1ELi7EEvPKT_PKT0_S7_ifPKiS9_S9_iPKfiiiPfSC_PS2_PT2_iSB_SB_,"axG",@progbits,_Z39paged_attention_ll4mi_QKV_mfma16_kernelIDF16_hLN4vllm18Fp8KVCacheDataTypeE1EDF16_Li16ELi128ELi256ELb1ELi7EEvPKT_PKT0_S7_ifPKiS9_S9_iPKfiiiPfSC_PS2_PT2_iSB_SB_,comdat
	.protected	_Z39paged_attention_ll4mi_QKV_mfma16_kernelIDF16_hLN4vllm18Fp8KVCacheDataTypeE1EDF16_Li16ELi128ELi256ELb1ELi7EEvPKT_PKT0_S7_ifPKiS9_S9_iPKfiiiPfSC_PS2_PT2_iSB_SB_ ; -- Begin function _Z39paged_attention_ll4mi_QKV_mfma16_kernelIDF16_hLN4vllm18Fp8KVCacheDataTypeE1EDF16_Li16ELi128ELi256ELb1ELi7EEvPKT_PKT0_S7_ifPKiS9_S9_iPKfiiiPfSC_PS2_PT2_iSB_SB_
	.globl	_Z39paged_attention_ll4mi_QKV_mfma16_kernelIDF16_hLN4vllm18Fp8KVCacheDataTypeE1EDF16_Li16ELi128ELi256ELb1ELi7EEvPKT_PKT0_S7_ifPKiS9_S9_iPKfiiiPfSC_PS2_PT2_iSB_SB_
	.p2align	8
	.type	_Z39paged_attention_ll4mi_QKV_mfma16_kernelIDF16_hLN4vllm18Fp8KVCacheDataTypeE1EDF16_Li16ELi128ELi256ELb1ELi7EEvPKT_PKT0_S7_ifPKiS9_S9_iPKfiiiPfSC_PS2_PT2_iSB_SB_,@function
_Z39paged_attention_ll4mi_QKV_mfma16_kernelIDF16_hLN4vllm18Fp8KVCacheDataTypeE1EDF16_Li16ELi128ELi256ELb1ELi7EEvPKT_PKT0_S7_ifPKiS9_S9_iPKfiiiPfSC_PS2_PT2_iSB_SB_: ; @_Z39paged_attention_ll4mi_QKV_mfma16_kernelIDF16_hLN4vllm18Fp8KVCacheDataTypeE1EDF16_Li16ELi128ELi256ELb1ELi7EEvPKT_PKT0_S7_ifPKiS9_S9_iPKfiiiPfSC_PS2_PT2_iSB_SB_
; %bb.0:
	s_get_pc_i64 s[2:3]
	s_add_nc_u64 s[2:3], s[2:3], __PRETTY_FUNCTION__._Z39paged_attention_ll4mi_QKV_mfma16_kernelIDF16_hLN4vllm18Fp8KVCacheDataTypeE1EDF16_Li16ELi128ELi256ELb1ELi7EEvPKT_PKT0_S7_ifPKiS9_S9_iPKfiiiPfSC_PS2_PT2_iSB_SB_@rel64+4
	s_delay_alu instid0(SALU_CYCLE_1)
	v_dual_mov_b32 v0, 0xbb3 :: v_dual_mov_b32 v1, s2
	v_mov_b32_e32 v2, s3
	s_add_nc_u64 s[8:9], s[0:1], 0x90
	s_get_pc_i64 s[0:1]
	s_add_nc_u64 s[0:1], s[0:1], __assert_fail@rel64+4
	s_mov_b32 s32, 0
	s_swap_pc_i64 s[30:31], s[0:1]
	.section	.rodata,"a",@progbits
	.p2align	6, 0x0
	.amdhsa_kernel _Z39paged_attention_ll4mi_QKV_mfma16_kernelIDF16_hLN4vllm18Fp8KVCacheDataTypeE1EDF16_Li16ELi128ELi256ELb1ELi7EEvPKT_PKT0_S7_ifPKiS9_S9_iPKfiiiPfSC_PS2_PT2_iSB_SB_
		.amdhsa_group_segment_fixed_size 0
		.amdhsa_private_segment_fixed_size 64
		.amdhsa_kernarg_size 400
		.amdhsa_user_sgpr_count 2
		.amdhsa_user_sgpr_dispatch_ptr 0
		.amdhsa_user_sgpr_queue_ptr 0
		.amdhsa_user_sgpr_kernarg_segment_ptr 1
		.amdhsa_user_sgpr_dispatch_id 0
		.amdhsa_user_sgpr_kernarg_preload_length 0
		.amdhsa_user_sgpr_kernarg_preload_offset 0
		.amdhsa_user_sgpr_private_segment_size 0
		.amdhsa_wavefront_size32 1
		.amdhsa_uses_dynamic_stack 0
		.amdhsa_enable_private_segment 1
		.amdhsa_system_sgpr_workgroup_id_x 1
		.amdhsa_system_sgpr_workgroup_id_y 0
		.amdhsa_system_sgpr_workgroup_id_z 0
		.amdhsa_system_sgpr_workgroup_info 0
		.amdhsa_system_vgpr_workitem_id 0
		.amdhsa_next_free_vgpr 51
		.amdhsa_next_free_sgpr 34
		.amdhsa_named_barrier_count 0
		.amdhsa_reserve_vcc 1
		.amdhsa_float_round_mode_32 0
		.amdhsa_float_round_mode_16_64 0
		.amdhsa_float_denorm_mode_32 3
		.amdhsa_float_denorm_mode_16_64 3
		.amdhsa_fp16_overflow 0
		.amdhsa_memory_ordered 1
		.amdhsa_forward_progress 1
		.amdhsa_inst_pref_size 1
		.amdhsa_round_robin_scheduling 0
		.amdhsa_exception_fp_ieee_invalid_op 0
		.amdhsa_exception_fp_denorm_src 0
		.amdhsa_exception_fp_ieee_div_zero 0
		.amdhsa_exception_fp_ieee_overflow 0
		.amdhsa_exception_fp_ieee_underflow 0
		.amdhsa_exception_fp_ieee_inexact 0
		.amdhsa_exception_int_div_zero 0
	.end_amdhsa_kernel
	.section	.text._Z39paged_attention_ll4mi_QKV_mfma16_kernelIDF16_hLN4vllm18Fp8KVCacheDataTypeE1EDF16_Li16ELi128ELi256ELb1ELi7EEvPKT_PKT0_S7_ifPKiS9_S9_iPKfiiiPfSC_PS2_PT2_iSB_SB_,"axG",@progbits,_Z39paged_attention_ll4mi_QKV_mfma16_kernelIDF16_hLN4vllm18Fp8KVCacheDataTypeE1EDF16_Li16ELi128ELi256ELb1ELi7EEvPKT_PKT0_S7_ifPKiS9_S9_iPKfiiiPfSC_PS2_PT2_iSB_SB_,comdat
.Lfunc_end976:
	.size	_Z39paged_attention_ll4mi_QKV_mfma16_kernelIDF16_hLN4vllm18Fp8KVCacheDataTypeE1EDF16_Li16ELi128ELi256ELb1ELi7EEvPKT_PKT0_S7_ifPKiS9_S9_iPKfiiiPfSC_PS2_PT2_iSB_SB_, .Lfunc_end976-_Z39paged_attention_ll4mi_QKV_mfma16_kernelIDF16_hLN4vllm18Fp8KVCacheDataTypeE1EDF16_Li16ELi128ELi256ELb1ELi7EEvPKT_PKT0_S7_ifPKiS9_S9_iPKfiiiPfSC_PS2_PT2_iSB_SB_
                                        ; -- End function
	.set _Z39paged_attention_ll4mi_QKV_mfma16_kernelIDF16_hLN4vllm18Fp8KVCacheDataTypeE1EDF16_Li16ELi128ELi256ELb1ELi7EEvPKT_PKT0_S7_ifPKiS9_S9_iPKfiiiPfSC_PS2_PT2_iSB_SB_.num_vgpr, max(3, .L__assert_fail.num_vgpr)
	.set _Z39paged_attention_ll4mi_QKV_mfma16_kernelIDF16_hLN4vllm18Fp8KVCacheDataTypeE1EDF16_Li16ELi128ELi256ELb1ELi7EEvPKT_PKT0_S7_ifPKiS9_S9_iPKfiiiPfSC_PS2_PT2_iSB_SB_.num_agpr, max(0, .L__assert_fail.num_agpr)
	.set _Z39paged_attention_ll4mi_QKV_mfma16_kernelIDF16_hLN4vllm18Fp8KVCacheDataTypeE1EDF16_Li16ELi128ELi256ELb1ELi7EEvPKT_PKT0_S7_ifPKiS9_S9_iPKfiiiPfSC_PS2_PT2_iSB_SB_.numbered_sgpr, max(33, .L__assert_fail.numbered_sgpr)
	.set _Z39paged_attention_ll4mi_QKV_mfma16_kernelIDF16_hLN4vllm18Fp8KVCacheDataTypeE1EDF16_Li16ELi128ELi256ELb1ELi7EEvPKT_PKT0_S7_ifPKiS9_S9_iPKfiiiPfSC_PS2_PT2_iSB_SB_.num_named_barrier, max(0, .L__assert_fail.num_named_barrier)
	.set _Z39paged_attention_ll4mi_QKV_mfma16_kernelIDF16_hLN4vllm18Fp8KVCacheDataTypeE1EDF16_Li16ELi128ELi256ELb1ELi7EEvPKT_PKT0_S7_ifPKiS9_S9_iPKfiiiPfSC_PS2_PT2_iSB_SB_.private_seg_size, 0+max(.L__assert_fail.private_seg_size)
	.set _Z39paged_attention_ll4mi_QKV_mfma16_kernelIDF16_hLN4vllm18Fp8KVCacheDataTypeE1EDF16_Li16ELi128ELi256ELb1ELi7EEvPKT_PKT0_S7_ifPKiS9_S9_iPKfiiiPfSC_PS2_PT2_iSB_SB_.uses_vcc, or(1, .L__assert_fail.uses_vcc)
	.set _Z39paged_attention_ll4mi_QKV_mfma16_kernelIDF16_hLN4vllm18Fp8KVCacheDataTypeE1EDF16_Li16ELi128ELi256ELb1ELi7EEvPKT_PKT0_S7_ifPKiS9_S9_iPKfiiiPfSC_PS2_PT2_iSB_SB_.uses_flat_scratch, or(0, .L__assert_fail.uses_flat_scratch)
	.set _Z39paged_attention_ll4mi_QKV_mfma16_kernelIDF16_hLN4vllm18Fp8KVCacheDataTypeE1EDF16_Li16ELi128ELi256ELb1ELi7EEvPKT_PKT0_S7_ifPKiS9_S9_iPKfiiiPfSC_PS2_PT2_iSB_SB_.has_dyn_sized_stack, or(0, .L__assert_fail.has_dyn_sized_stack)
	.set _Z39paged_attention_ll4mi_QKV_mfma16_kernelIDF16_hLN4vllm18Fp8KVCacheDataTypeE1EDF16_Li16ELi128ELi256ELb1ELi7EEvPKT_PKT0_S7_ifPKiS9_S9_iPKfiiiPfSC_PS2_PT2_iSB_SB_.has_recursion, or(0, .L__assert_fail.has_recursion)
	.set _Z39paged_attention_ll4mi_QKV_mfma16_kernelIDF16_hLN4vllm18Fp8KVCacheDataTypeE1EDF16_Li16ELi128ELi256ELb1ELi7EEvPKT_PKT0_S7_ifPKiS9_S9_iPKfiiiPfSC_PS2_PT2_iSB_SB_.has_indirect_call, or(0, .L__assert_fail.has_indirect_call)
	.section	.AMDGPU.csdata,"",@progbits
; Kernel info:
; codeLenInByte = 68
; TotalNumSgprs: 36
; NumVgprs: 51
; ScratchSize: 64
; MemoryBound: 0
; FloatMode: 240
; IeeeMode: 1
; LDSByteSize: 0 bytes/workgroup (compile time only)
; SGPRBlocks: 0
; VGPRBlocks: 3
; NumSGPRsForWavesPerEU: 36
; NumVGPRsForWavesPerEU: 51
; NamedBarCnt: 0
; Occupancy: 16
; WaveLimiterHint : 1
; COMPUTE_PGM_RSRC2:SCRATCH_EN: 1
; COMPUTE_PGM_RSRC2:USER_SGPR: 2
; COMPUTE_PGM_RSRC2:TRAP_HANDLER: 0
; COMPUTE_PGM_RSRC2:TGID_X_EN: 1
; COMPUTE_PGM_RSRC2:TGID_Y_EN: 0
; COMPUTE_PGM_RSRC2:TGID_Z_EN: 0
; COMPUTE_PGM_RSRC2:TIDIG_COMP_CNT: 0
	.section	.text._Z39paged_attention_ll4mi_QKV_mfma16_kernelIDF16_hLN4vllm18Fp8KVCacheDataTypeE1EDF16_Li16ELi128ELi256ELb1ELi8EEvPKT_PKT0_S7_ifPKiS9_S9_iPKfiiiPfSC_PS2_PT2_iSB_SB_,"axG",@progbits,_Z39paged_attention_ll4mi_QKV_mfma16_kernelIDF16_hLN4vllm18Fp8KVCacheDataTypeE1EDF16_Li16ELi128ELi256ELb1ELi8EEvPKT_PKT0_S7_ifPKiS9_S9_iPKfiiiPfSC_PS2_PT2_iSB_SB_,comdat
	.protected	_Z39paged_attention_ll4mi_QKV_mfma16_kernelIDF16_hLN4vllm18Fp8KVCacheDataTypeE1EDF16_Li16ELi128ELi256ELb1ELi8EEvPKT_PKT0_S7_ifPKiS9_S9_iPKfiiiPfSC_PS2_PT2_iSB_SB_ ; -- Begin function _Z39paged_attention_ll4mi_QKV_mfma16_kernelIDF16_hLN4vllm18Fp8KVCacheDataTypeE1EDF16_Li16ELi128ELi256ELb1ELi8EEvPKT_PKT0_S7_ifPKiS9_S9_iPKfiiiPfSC_PS2_PT2_iSB_SB_
	.globl	_Z39paged_attention_ll4mi_QKV_mfma16_kernelIDF16_hLN4vllm18Fp8KVCacheDataTypeE1EDF16_Li16ELi128ELi256ELb1ELi8EEvPKT_PKT0_S7_ifPKiS9_S9_iPKfiiiPfSC_PS2_PT2_iSB_SB_
	.p2align	8
	.type	_Z39paged_attention_ll4mi_QKV_mfma16_kernelIDF16_hLN4vllm18Fp8KVCacheDataTypeE1EDF16_Li16ELi128ELi256ELb1ELi8EEvPKT_PKT0_S7_ifPKiS9_S9_iPKfiiiPfSC_PS2_PT2_iSB_SB_,@function
_Z39paged_attention_ll4mi_QKV_mfma16_kernelIDF16_hLN4vllm18Fp8KVCacheDataTypeE1EDF16_Li16ELi128ELi256ELb1ELi8EEvPKT_PKT0_S7_ifPKiS9_S9_iPKfiiiPfSC_PS2_PT2_iSB_SB_: ; @_Z39paged_attention_ll4mi_QKV_mfma16_kernelIDF16_hLN4vllm18Fp8KVCacheDataTypeE1EDF16_Li16ELi128ELi256ELb1ELi8EEvPKT_PKT0_S7_ifPKiS9_S9_iPKfiiiPfSC_PS2_PT2_iSB_SB_
; %bb.0:
	s_get_pc_i64 s[2:3]
	s_add_nc_u64 s[2:3], s[2:3], __PRETTY_FUNCTION__._Z39paged_attention_ll4mi_QKV_mfma16_kernelIDF16_hLN4vllm18Fp8KVCacheDataTypeE1EDF16_Li16ELi128ELi256ELb1ELi8EEvPKT_PKT0_S7_ifPKiS9_S9_iPKfiiiPfSC_PS2_PT2_iSB_SB_@rel64+4
	s_delay_alu instid0(SALU_CYCLE_1)
	v_dual_mov_b32 v0, 0xbb3 :: v_dual_mov_b32 v1, s2
	v_mov_b32_e32 v2, s3
	s_add_nc_u64 s[8:9], s[0:1], 0x90
	s_get_pc_i64 s[0:1]
	s_add_nc_u64 s[0:1], s[0:1], __assert_fail@rel64+4
	s_mov_b32 s32, 0
	s_swap_pc_i64 s[30:31], s[0:1]
	.section	.rodata,"a",@progbits
	.p2align	6, 0x0
	.amdhsa_kernel _Z39paged_attention_ll4mi_QKV_mfma16_kernelIDF16_hLN4vllm18Fp8KVCacheDataTypeE1EDF16_Li16ELi128ELi256ELb1ELi8EEvPKT_PKT0_S7_ifPKiS9_S9_iPKfiiiPfSC_PS2_PT2_iSB_SB_
		.amdhsa_group_segment_fixed_size 0
		.amdhsa_private_segment_fixed_size 64
		.amdhsa_kernarg_size 400
		.amdhsa_user_sgpr_count 2
		.amdhsa_user_sgpr_dispatch_ptr 0
		.amdhsa_user_sgpr_queue_ptr 0
		.amdhsa_user_sgpr_kernarg_segment_ptr 1
		.amdhsa_user_sgpr_dispatch_id 0
		.amdhsa_user_sgpr_kernarg_preload_length 0
		.amdhsa_user_sgpr_kernarg_preload_offset 0
		.amdhsa_user_sgpr_private_segment_size 0
		.amdhsa_wavefront_size32 1
		.amdhsa_uses_dynamic_stack 0
		.amdhsa_enable_private_segment 1
		.amdhsa_system_sgpr_workgroup_id_x 1
		.amdhsa_system_sgpr_workgroup_id_y 0
		.amdhsa_system_sgpr_workgroup_id_z 0
		.amdhsa_system_sgpr_workgroup_info 0
		.amdhsa_system_vgpr_workitem_id 0
		.amdhsa_next_free_vgpr 51
		.amdhsa_next_free_sgpr 34
		.amdhsa_named_barrier_count 0
		.amdhsa_reserve_vcc 1
		.amdhsa_float_round_mode_32 0
		.amdhsa_float_round_mode_16_64 0
		.amdhsa_float_denorm_mode_32 3
		.amdhsa_float_denorm_mode_16_64 3
		.amdhsa_fp16_overflow 0
		.amdhsa_memory_ordered 1
		.amdhsa_forward_progress 1
		.amdhsa_inst_pref_size 1
		.amdhsa_round_robin_scheduling 0
		.amdhsa_exception_fp_ieee_invalid_op 0
		.amdhsa_exception_fp_denorm_src 0
		.amdhsa_exception_fp_ieee_div_zero 0
		.amdhsa_exception_fp_ieee_overflow 0
		.amdhsa_exception_fp_ieee_underflow 0
		.amdhsa_exception_fp_ieee_inexact 0
		.amdhsa_exception_int_div_zero 0
	.end_amdhsa_kernel
	.section	.text._Z39paged_attention_ll4mi_QKV_mfma16_kernelIDF16_hLN4vllm18Fp8KVCacheDataTypeE1EDF16_Li16ELi128ELi256ELb1ELi8EEvPKT_PKT0_S7_ifPKiS9_S9_iPKfiiiPfSC_PS2_PT2_iSB_SB_,"axG",@progbits,_Z39paged_attention_ll4mi_QKV_mfma16_kernelIDF16_hLN4vllm18Fp8KVCacheDataTypeE1EDF16_Li16ELi128ELi256ELb1ELi8EEvPKT_PKT0_S7_ifPKiS9_S9_iPKfiiiPfSC_PS2_PT2_iSB_SB_,comdat
.Lfunc_end977:
	.size	_Z39paged_attention_ll4mi_QKV_mfma16_kernelIDF16_hLN4vllm18Fp8KVCacheDataTypeE1EDF16_Li16ELi128ELi256ELb1ELi8EEvPKT_PKT0_S7_ifPKiS9_S9_iPKfiiiPfSC_PS2_PT2_iSB_SB_, .Lfunc_end977-_Z39paged_attention_ll4mi_QKV_mfma16_kernelIDF16_hLN4vllm18Fp8KVCacheDataTypeE1EDF16_Li16ELi128ELi256ELb1ELi8EEvPKT_PKT0_S7_ifPKiS9_S9_iPKfiiiPfSC_PS2_PT2_iSB_SB_
                                        ; -- End function
	.set _Z39paged_attention_ll4mi_QKV_mfma16_kernelIDF16_hLN4vllm18Fp8KVCacheDataTypeE1EDF16_Li16ELi128ELi256ELb1ELi8EEvPKT_PKT0_S7_ifPKiS9_S9_iPKfiiiPfSC_PS2_PT2_iSB_SB_.num_vgpr, max(3, .L__assert_fail.num_vgpr)
	.set _Z39paged_attention_ll4mi_QKV_mfma16_kernelIDF16_hLN4vllm18Fp8KVCacheDataTypeE1EDF16_Li16ELi128ELi256ELb1ELi8EEvPKT_PKT0_S7_ifPKiS9_S9_iPKfiiiPfSC_PS2_PT2_iSB_SB_.num_agpr, max(0, .L__assert_fail.num_agpr)
	.set _Z39paged_attention_ll4mi_QKV_mfma16_kernelIDF16_hLN4vllm18Fp8KVCacheDataTypeE1EDF16_Li16ELi128ELi256ELb1ELi8EEvPKT_PKT0_S7_ifPKiS9_S9_iPKfiiiPfSC_PS2_PT2_iSB_SB_.numbered_sgpr, max(33, .L__assert_fail.numbered_sgpr)
	.set _Z39paged_attention_ll4mi_QKV_mfma16_kernelIDF16_hLN4vllm18Fp8KVCacheDataTypeE1EDF16_Li16ELi128ELi256ELb1ELi8EEvPKT_PKT0_S7_ifPKiS9_S9_iPKfiiiPfSC_PS2_PT2_iSB_SB_.num_named_barrier, max(0, .L__assert_fail.num_named_barrier)
	.set _Z39paged_attention_ll4mi_QKV_mfma16_kernelIDF16_hLN4vllm18Fp8KVCacheDataTypeE1EDF16_Li16ELi128ELi256ELb1ELi8EEvPKT_PKT0_S7_ifPKiS9_S9_iPKfiiiPfSC_PS2_PT2_iSB_SB_.private_seg_size, 0+max(.L__assert_fail.private_seg_size)
	.set _Z39paged_attention_ll4mi_QKV_mfma16_kernelIDF16_hLN4vllm18Fp8KVCacheDataTypeE1EDF16_Li16ELi128ELi256ELb1ELi8EEvPKT_PKT0_S7_ifPKiS9_S9_iPKfiiiPfSC_PS2_PT2_iSB_SB_.uses_vcc, or(1, .L__assert_fail.uses_vcc)
	.set _Z39paged_attention_ll4mi_QKV_mfma16_kernelIDF16_hLN4vllm18Fp8KVCacheDataTypeE1EDF16_Li16ELi128ELi256ELb1ELi8EEvPKT_PKT0_S7_ifPKiS9_S9_iPKfiiiPfSC_PS2_PT2_iSB_SB_.uses_flat_scratch, or(0, .L__assert_fail.uses_flat_scratch)
	.set _Z39paged_attention_ll4mi_QKV_mfma16_kernelIDF16_hLN4vllm18Fp8KVCacheDataTypeE1EDF16_Li16ELi128ELi256ELb1ELi8EEvPKT_PKT0_S7_ifPKiS9_S9_iPKfiiiPfSC_PS2_PT2_iSB_SB_.has_dyn_sized_stack, or(0, .L__assert_fail.has_dyn_sized_stack)
	.set _Z39paged_attention_ll4mi_QKV_mfma16_kernelIDF16_hLN4vllm18Fp8KVCacheDataTypeE1EDF16_Li16ELi128ELi256ELb1ELi8EEvPKT_PKT0_S7_ifPKiS9_S9_iPKfiiiPfSC_PS2_PT2_iSB_SB_.has_recursion, or(0, .L__assert_fail.has_recursion)
	.set _Z39paged_attention_ll4mi_QKV_mfma16_kernelIDF16_hLN4vllm18Fp8KVCacheDataTypeE1EDF16_Li16ELi128ELi256ELb1ELi8EEvPKT_PKT0_S7_ifPKiS9_S9_iPKfiiiPfSC_PS2_PT2_iSB_SB_.has_indirect_call, or(0, .L__assert_fail.has_indirect_call)
	.section	.AMDGPU.csdata,"",@progbits
; Kernel info:
; codeLenInByte = 68
; TotalNumSgprs: 36
; NumVgprs: 51
; ScratchSize: 64
; MemoryBound: 0
; FloatMode: 240
; IeeeMode: 1
; LDSByteSize: 0 bytes/workgroup (compile time only)
; SGPRBlocks: 0
; VGPRBlocks: 3
; NumSGPRsForWavesPerEU: 36
; NumVGPRsForWavesPerEU: 51
; NamedBarCnt: 0
; Occupancy: 16
; WaveLimiterHint : 1
; COMPUTE_PGM_RSRC2:SCRATCH_EN: 1
; COMPUTE_PGM_RSRC2:USER_SGPR: 2
; COMPUTE_PGM_RSRC2:TRAP_HANDLER: 0
; COMPUTE_PGM_RSRC2:TGID_X_EN: 1
; COMPUTE_PGM_RSRC2:TGID_Y_EN: 0
; COMPUTE_PGM_RSRC2:TGID_Z_EN: 0
; COMPUTE_PGM_RSRC2:TIDIG_COMP_CNT: 0
	.section	.text._Z39paged_attention_ll4mi_QKV_mfma16_kernelIDF16_hLN4vllm18Fp8KVCacheDataTypeE1EDF16_Li16ELi128ELi256ELb1ELi9EEvPKT_PKT0_S7_ifPKiS9_S9_iPKfiiiPfSC_PS2_PT2_iSB_SB_,"axG",@progbits,_Z39paged_attention_ll4mi_QKV_mfma16_kernelIDF16_hLN4vllm18Fp8KVCacheDataTypeE1EDF16_Li16ELi128ELi256ELb1ELi9EEvPKT_PKT0_S7_ifPKiS9_S9_iPKfiiiPfSC_PS2_PT2_iSB_SB_,comdat
	.protected	_Z39paged_attention_ll4mi_QKV_mfma16_kernelIDF16_hLN4vllm18Fp8KVCacheDataTypeE1EDF16_Li16ELi128ELi256ELb1ELi9EEvPKT_PKT0_S7_ifPKiS9_S9_iPKfiiiPfSC_PS2_PT2_iSB_SB_ ; -- Begin function _Z39paged_attention_ll4mi_QKV_mfma16_kernelIDF16_hLN4vllm18Fp8KVCacheDataTypeE1EDF16_Li16ELi128ELi256ELb1ELi9EEvPKT_PKT0_S7_ifPKiS9_S9_iPKfiiiPfSC_PS2_PT2_iSB_SB_
	.globl	_Z39paged_attention_ll4mi_QKV_mfma16_kernelIDF16_hLN4vllm18Fp8KVCacheDataTypeE1EDF16_Li16ELi128ELi256ELb1ELi9EEvPKT_PKT0_S7_ifPKiS9_S9_iPKfiiiPfSC_PS2_PT2_iSB_SB_
	.p2align	8
	.type	_Z39paged_attention_ll4mi_QKV_mfma16_kernelIDF16_hLN4vllm18Fp8KVCacheDataTypeE1EDF16_Li16ELi128ELi256ELb1ELi9EEvPKT_PKT0_S7_ifPKiS9_S9_iPKfiiiPfSC_PS2_PT2_iSB_SB_,@function
_Z39paged_attention_ll4mi_QKV_mfma16_kernelIDF16_hLN4vllm18Fp8KVCacheDataTypeE1EDF16_Li16ELi128ELi256ELb1ELi9EEvPKT_PKT0_S7_ifPKiS9_S9_iPKfiiiPfSC_PS2_PT2_iSB_SB_: ; @_Z39paged_attention_ll4mi_QKV_mfma16_kernelIDF16_hLN4vllm18Fp8KVCacheDataTypeE1EDF16_Li16ELi128ELi256ELb1ELi9EEvPKT_PKT0_S7_ifPKiS9_S9_iPKfiiiPfSC_PS2_PT2_iSB_SB_
; %bb.0:
	s_get_pc_i64 s[2:3]
	s_add_nc_u64 s[2:3], s[2:3], __PRETTY_FUNCTION__._Z39paged_attention_ll4mi_QKV_mfma16_kernelIDF16_hLN4vllm18Fp8KVCacheDataTypeE1EDF16_Li16ELi128ELi256ELb1ELi9EEvPKT_PKT0_S7_ifPKiS9_S9_iPKfiiiPfSC_PS2_PT2_iSB_SB_@rel64+4
	s_delay_alu instid0(SALU_CYCLE_1)
	v_dual_mov_b32 v0, 0xbb3 :: v_dual_mov_b32 v1, s2
	v_mov_b32_e32 v2, s3
	s_add_nc_u64 s[8:9], s[0:1], 0x90
	s_get_pc_i64 s[0:1]
	s_add_nc_u64 s[0:1], s[0:1], __assert_fail@rel64+4
	s_mov_b32 s32, 0
	s_swap_pc_i64 s[30:31], s[0:1]
	.section	.rodata,"a",@progbits
	.p2align	6, 0x0
	.amdhsa_kernel _Z39paged_attention_ll4mi_QKV_mfma16_kernelIDF16_hLN4vllm18Fp8KVCacheDataTypeE1EDF16_Li16ELi128ELi256ELb1ELi9EEvPKT_PKT0_S7_ifPKiS9_S9_iPKfiiiPfSC_PS2_PT2_iSB_SB_
		.amdhsa_group_segment_fixed_size 0
		.amdhsa_private_segment_fixed_size 64
		.amdhsa_kernarg_size 400
		.amdhsa_user_sgpr_count 2
		.amdhsa_user_sgpr_dispatch_ptr 0
		.amdhsa_user_sgpr_queue_ptr 0
		.amdhsa_user_sgpr_kernarg_segment_ptr 1
		.amdhsa_user_sgpr_dispatch_id 0
		.amdhsa_user_sgpr_kernarg_preload_length 0
		.amdhsa_user_sgpr_kernarg_preload_offset 0
		.amdhsa_user_sgpr_private_segment_size 0
		.amdhsa_wavefront_size32 1
		.amdhsa_uses_dynamic_stack 0
		.amdhsa_enable_private_segment 1
		.amdhsa_system_sgpr_workgroup_id_x 1
		.amdhsa_system_sgpr_workgroup_id_y 0
		.amdhsa_system_sgpr_workgroup_id_z 0
		.amdhsa_system_sgpr_workgroup_info 0
		.amdhsa_system_vgpr_workitem_id 0
		.amdhsa_next_free_vgpr 51
		.amdhsa_next_free_sgpr 34
		.amdhsa_named_barrier_count 0
		.amdhsa_reserve_vcc 1
		.amdhsa_float_round_mode_32 0
		.amdhsa_float_round_mode_16_64 0
		.amdhsa_float_denorm_mode_32 3
		.amdhsa_float_denorm_mode_16_64 3
		.amdhsa_fp16_overflow 0
		.amdhsa_memory_ordered 1
		.amdhsa_forward_progress 1
		.amdhsa_inst_pref_size 1
		.amdhsa_round_robin_scheduling 0
		.amdhsa_exception_fp_ieee_invalid_op 0
		.amdhsa_exception_fp_denorm_src 0
		.amdhsa_exception_fp_ieee_div_zero 0
		.amdhsa_exception_fp_ieee_overflow 0
		.amdhsa_exception_fp_ieee_underflow 0
		.amdhsa_exception_fp_ieee_inexact 0
		.amdhsa_exception_int_div_zero 0
	.end_amdhsa_kernel
	.section	.text._Z39paged_attention_ll4mi_QKV_mfma16_kernelIDF16_hLN4vllm18Fp8KVCacheDataTypeE1EDF16_Li16ELi128ELi256ELb1ELi9EEvPKT_PKT0_S7_ifPKiS9_S9_iPKfiiiPfSC_PS2_PT2_iSB_SB_,"axG",@progbits,_Z39paged_attention_ll4mi_QKV_mfma16_kernelIDF16_hLN4vllm18Fp8KVCacheDataTypeE1EDF16_Li16ELi128ELi256ELb1ELi9EEvPKT_PKT0_S7_ifPKiS9_S9_iPKfiiiPfSC_PS2_PT2_iSB_SB_,comdat
.Lfunc_end978:
	.size	_Z39paged_attention_ll4mi_QKV_mfma16_kernelIDF16_hLN4vllm18Fp8KVCacheDataTypeE1EDF16_Li16ELi128ELi256ELb1ELi9EEvPKT_PKT0_S7_ifPKiS9_S9_iPKfiiiPfSC_PS2_PT2_iSB_SB_, .Lfunc_end978-_Z39paged_attention_ll4mi_QKV_mfma16_kernelIDF16_hLN4vllm18Fp8KVCacheDataTypeE1EDF16_Li16ELi128ELi256ELb1ELi9EEvPKT_PKT0_S7_ifPKiS9_S9_iPKfiiiPfSC_PS2_PT2_iSB_SB_
                                        ; -- End function
	.set _Z39paged_attention_ll4mi_QKV_mfma16_kernelIDF16_hLN4vllm18Fp8KVCacheDataTypeE1EDF16_Li16ELi128ELi256ELb1ELi9EEvPKT_PKT0_S7_ifPKiS9_S9_iPKfiiiPfSC_PS2_PT2_iSB_SB_.num_vgpr, max(3, .L__assert_fail.num_vgpr)
	.set _Z39paged_attention_ll4mi_QKV_mfma16_kernelIDF16_hLN4vllm18Fp8KVCacheDataTypeE1EDF16_Li16ELi128ELi256ELb1ELi9EEvPKT_PKT0_S7_ifPKiS9_S9_iPKfiiiPfSC_PS2_PT2_iSB_SB_.num_agpr, max(0, .L__assert_fail.num_agpr)
	.set _Z39paged_attention_ll4mi_QKV_mfma16_kernelIDF16_hLN4vllm18Fp8KVCacheDataTypeE1EDF16_Li16ELi128ELi256ELb1ELi9EEvPKT_PKT0_S7_ifPKiS9_S9_iPKfiiiPfSC_PS2_PT2_iSB_SB_.numbered_sgpr, max(33, .L__assert_fail.numbered_sgpr)
	.set _Z39paged_attention_ll4mi_QKV_mfma16_kernelIDF16_hLN4vllm18Fp8KVCacheDataTypeE1EDF16_Li16ELi128ELi256ELb1ELi9EEvPKT_PKT0_S7_ifPKiS9_S9_iPKfiiiPfSC_PS2_PT2_iSB_SB_.num_named_barrier, max(0, .L__assert_fail.num_named_barrier)
	.set _Z39paged_attention_ll4mi_QKV_mfma16_kernelIDF16_hLN4vllm18Fp8KVCacheDataTypeE1EDF16_Li16ELi128ELi256ELb1ELi9EEvPKT_PKT0_S7_ifPKiS9_S9_iPKfiiiPfSC_PS2_PT2_iSB_SB_.private_seg_size, 0+max(.L__assert_fail.private_seg_size)
	.set _Z39paged_attention_ll4mi_QKV_mfma16_kernelIDF16_hLN4vllm18Fp8KVCacheDataTypeE1EDF16_Li16ELi128ELi256ELb1ELi9EEvPKT_PKT0_S7_ifPKiS9_S9_iPKfiiiPfSC_PS2_PT2_iSB_SB_.uses_vcc, or(1, .L__assert_fail.uses_vcc)
	.set _Z39paged_attention_ll4mi_QKV_mfma16_kernelIDF16_hLN4vllm18Fp8KVCacheDataTypeE1EDF16_Li16ELi128ELi256ELb1ELi9EEvPKT_PKT0_S7_ifPKiS9_S9_iPKfiiiPfSC_PS2_PT2_iSB_SB_.uses_flat_scratch, or(0, .L__assert_fail.uses_flat_scratch)
	.set _Z39paged_attention_ll4mi_QKV_mfma16_kernelIDF16_hLN4vllm18Fp8KVCacheDataTypeE1EDF16_Li16ELi128ELi256ELb1ELi9EEvPKT_PKT0_S7_ifPKiS9_S9_iPKfiiiPfSC_PS2_PT2_iSB_SB_.has_dyn_sized_stack, or(0, .L__assert_fail.has_dyn_sized_stack)
	.set _Z39paged_attention_ll4mi_QKV_mfma16_kernelIDF16_hLN4vllm18Fp8KVCacheDataTypeE1EDF16_Li16ELi128ELi256ELb1ELi9EEvPKT_PKT0_S7_ifPKiS9_S9_iPKfiiiPfSC_PS2_PT2_iSB_SB_.has_recursion, or(0, .L__assert_fail.has_recursion)
	.set _Z39paged_attention_ll4mi_QKV_mfma16_kernelIDF16_hLN4vllm18Fp8KVCacheDataTypeE1EDF16_Li16ELi128ELi256ELb1ELi9EEvPKT_PKT0_S7_ifPKiS9_S9_iPKfiiiPfSC_PS2_PT2_iSB_SB_.has_indirect_call, or(0, .L__assert_fail.has_indirect_call)
	.section	.AMDGPU.csdata,"",@progbits
; Kernel info:
; codeLenInByte = 68
; TotalNumSgprs: 36
; NumVgprs: 51
; ScratchSize: 64
; MemoryBound: 0
; FloatMode: 240
; IeeeMode: 1
; LDSByteSize: 0 bytes/workgroup (compile time only)
; SGPRBlocks: 0
; VGPRBlocks: 3
; NumSGPRsForWavesPerEU: 36
; NumVGPRsForWavesPerEU: 51
; NamedBarCnt: 0
; Occupancy: 16
; WaveLimiterHint : 1
; COMPUTE_PGM_RSRC2:SCRATCH_EN: 1
; COMPUTE_PGM_RSRC2:USER_SGPR: 2
; COMPUTE_PGM_RSRC2:TRAP_HANDLER: 0
; COMPUTE_PGM_RSRC2:TGID_X_EN: 1
; COMPUTE_PGM_RSRC2:TGID_Y_EN: 0
; COMPUTE_PGM_RSRC2:TGID_Z_EN: 0
; COMPUTE_PGM_RSRC2:TIDIG_COMP_CNT: 0
	.section	.text._Z39paged_attention_ll4mi_QKV_mfma16_kernelIDF16_hLN4vllm18Fp8KVCacheDataTypeE1EDF16_Li16ELi128ELi256ELb1ELi10EEvPKT_PKT0_S7_ifPKiS9_S9_iPKfiiiPfSC_PS2_PT2_iSB_SB_,"axG",@progbits,_Z39paged_attention_ll4mi_QKV_mfma16_kernelIDF16_hLN4vllm18Fp8KVCacheDataTypeE1EDF16_Li16ELi128ELi256ELb1ELi10EEvPKT_PKT0_S7_ifPKiS9_S9_iPKfiiiPfSC_PS2_PT2_iSB_SB_,comdat
	.protected	_Z39paged_attention_ll4mi_QKV_mfma16_kernelIDF16_hLN4vllm18Fp8KVCacheDataTypeE1EDF16_Li16ELi128ELi256ELb1ELi10EEvPKT_PKT0_S7_ifPKiS9_S9_iPKfiiiPfSC_PS2_PT2_iSB_SB_ ; -- Begin function _Z39paged_attention_ll4mi_QKV_mfma16_kernelIDF16_hLN4vllm18Fp8KVCacheDataTypeE1EDF16_Li16ELi128ELi256ELb1ELi10EEvPKT_PKT0_S7_ifPKiS9_S9_iPKfiiiPfSC_PS2_PT2_iSB_SB_
	.globl	_Z39paged_attention_ll4mi_QKV_mfma16_kernelIDF16_hLN4vllm18Fp8KVCacheDataTypeE1EDF16_Li16ELi128ELi256ELb1ELi10EEvPKT_PKT0_S7_ifPKiS9_S9_iPKfiiiPfSC_PS2_PT2_iSB_SB_
	.p2align	8
	.type	_Z39paged_attention_ll4mi_QKV_mfma16_kernelIDF16_hLN4vllm18Fp8KVCacheDataTypeE1EDF16_Li16ELi128ELi256ELb1ELi10EEvPKT_PKT0_S7_ifPKiS9_S9_iPKfiiiPfSC_PS2_PT2_iSB_SB_,@function
_Z39paged_attention_ll4mi_QKV_mfma16_kernelIDF16_hLN4vllm18Fp8KVCacheDataTypeE1EDF16_Li16ELi128ELi256ELb1ELi10EEvPKT_PKT0_S7_ifPKiS9_S9_iPKfiiiPfSC_PS2_PT2_iSB_SB_: ; @_Z39paged_attention_ll4mi_QKV_mfma16_kernelIDF16_hLN4vllm18Fp8KVCacheDataTypeE1EDF16_Li16ELi128ELi256ELb1ELi10EEvPKT_PKT0_S7_ifPKiS9_S9_iPKfiiiPfSC_PS2_PT2_iSB_SB_
; %bb.0:
	s_get_pc_i64 s[2:3]
	s_add_nc_u64 s[2:3], s[2:3], __PRETTY_FUNCTION__._Z39paged_attention_ll4mi_QKV_mfma16_kernelIDF16_hLN4vllm18Fp8KVCacheDataTypeE1EDF16_Li16ELi128ELi256ELb1ELi10EEvPKT_PKT0_S7_ifPKiS9_S9_iPKfiiiPfSC_PS2_PT2_iSB_SB_@rel64+4
	s_delay_alu instid0(SALU_CYCLE_1)
	v_dual_mov_b32 v0, 0xbb3 :: v_dual_mov_b32 v1, s2
	v_mov_b32_e32 v2, s3
	s_add_nc_u64 s[8:9], s[0:1], 0x90
	s_get_pc_i64 s[0:1]
	s_add_nc_u64 s[0:1], s[0:1], __assert_fail@rel64+4
	s_mov_b32 s32, 0
	s_swap_pc_i64 s[30:31], s[0:1]
	.section	.rodata,"a",@progbits
	.p2align	6, 0x0
	.amdhsa_kernel _Z39paged_attention_ll4mi_QKV_mfma16_kernelIDF16_hLN4vllm18Fp8KVCacheDataTypeE1EDF16_Li16ELi128ELi256ELb1ELi10EEvPKT_PKT0_S7_ifPKiS9_S9_iPKfiiiPfSC_PS2_PT2_iSB_SB_
		.amdhsa_group_segment_fixed_size 0
		.amdhsa_private_segment_fixed_size 64
		.amdhsa_kernarg_size 400
		.amdhsa_user_sgpr_count 2
		.amdhsa_user_sgpr_dispatch_ptr 0
		.amdhsa_user_sgpr_queue_ptr 0
		.amdhsa_user_sgpr_kernarg_segment_ptr 1
		.amdhsa_user_sgpr_dispatch_id 0
		.amdhsa_user_sgpr_kernarg_preload_length 0
		.amdhsa_user_sgpr_kernarg_preload_offset 0
		.amdhsa_user_sgpr_private_segment_size 0
		.amdhsa_wavefront_size32 1
		.amdhsa_uses_dynamic_stack 0
		.amdhsa_enable_private_segment 1
		.amdhsa_system_sgpr_workgroup_id_x 1
		.amdhsa_system_sgpr_workgroup_id_y 0
		.amdhsa_system_sgpr_workgroup_id_z 0
		.amdhsa_system_sgpr_workgroup_info 0
		.amdhsa_system_vgpr_workitem_id 0
		.amdhsa_next_free_vgpr 51
		.amdhsa_next_free_sgpr 34
		.amdhsa_named_barrier_count 0
		.amdhsa_reserve_vcc 1
		.amdhsa_float_round_mode_32 0
		.amdhsa_float_round_mode_16_64 0
		.amdhsa_float_denorm_mode_32 3
		.amdhsa_float_denorm_mode_16_64 3
		.amdhsa_fp16_overflow 0
		.amdhsa_memory_ordered 1
		.amdhsa_forward_progress 1
		.amdhsa_inst_pref_size 1
		.amdhsa_round_robin_scheduling 0
		.amdhsa_exception_fp_ieee_invalid_op 0
		.amdhsa_exception_fp_denorm_src 0
		.amdhsa_exception_fp_ieee_div_zero 0
		.amdhsa_exception_fp_ieee_overflow 0
		.amdhsa_exception_fp_ieee_underflow 0
		.amdhsa_exception_fp_ieee_inexact 0
		.amdhsa_exception_int_div_zero 0
	.end_amdhsa_kernel
	.section	.text._Z39paged_attention_ll4mi_QKV_mfma16_kernelIDF16_hLN4vllm18Fp8KVCacheDataTypeE1EDF16_Li16ELi128ELi256ELb1ELi10EEvPKT_PKT0_S7_ifPKiS9_S9_iPKfiiiPfSC_PS2_PT2_iSB_SB_,"axG",@progbits,_Z39paged_attention_ll4mi_QKV_mfma16_kernelIDF16_hLN4vllm18Fp8KVCacheDataTypeE1EDF16_Li16ELi128ELi256ELb1ELi10EEvPKT_PKT0_S7_ifPKiS9_S9_iPKfiiiPfSC_PS2_PT2_iSB_SB_,comdat
.Lfunc_end979:
	.size	_Z39paged_attention_ll4mi_QKV_mfma16_kernelIDF16_hLN4vllm18Fp8KVCacheDataTypeE1EDF16_Li16ELi128ELi256ELb1ELi10EEvPKT_PKT0_S7_ifPKiS9_S9_iPKfiiiPfSC_PS2_PT2_iSB_SB_, .Lfunc_end979-_Z39paged_attention_ll4mi_QKV_mfma16_kernelIDF16_hLN4vllm18Fp8KVCacheDataTypeE1EDF16_Li16ELi128ELi256ELb1ELi10EEvPKT_PKT0_S7_ifPKiS9_S9_iPKfiiiPfSC_PS2_PT2_iSB_SB_
                                        ; -- End function
	.set _Z39paged_attention_ll4mi_QKV_mfma16_kernelIDF16_hLN4vllm18Fp8KVCacheDataTypeE1EDF16_Li16ELi128ELi256ELb1ELi10EEvPKT_PKT0_S7_ifPKiS9_S9_iPKfiiiPfSC_PS2_PT2_iSB_SB_.num_vgpr, max(3, .L__assert_fail.num_vgpr)
	.set _Z39paged_attention_ll4mi_QKV_mfma16_kernelIDF16_hLN4vllm18Fp8KVCacheDataTypeE1EDF16_Li16ELi128ELi256ELb1ELi10EEvPKT_PKT0_S7_ifPKiS9_S9_iPKfiiiPfSC_PS2_PT2_iSB_SB_.num_agpr, max(0, .L__assert_fail.num_agpr)
	.set _Z39paged_attention_ll4mi_QKV_mfma16_kernelIDF16_hLN4vllm18Fp8KVCacheDataTypeE1EDF16_Li16ELi128ELi256ELb1ELi10EEvPKT_PKT0_S7_ifPKiS9_S9_iPKfiiiPfSC_PS2_PT2_iSB_SB_.numbered_sgpr, max(33, .L__assert_fail.numbered_sgpr)
	.set _Z39paged_attention_ll4mi_QKV_mfma16_kernelIDF16_hLN4vllm18Fp8KVCacheDataTypeE1EDF16_Li16ELi128ELi256ELb1ELi10EEvPKT_PKT0_S7_ifPKiS9_S9_iPKfiiiPfSC_PS2_PT2_iSB_SB_.num_named_barrier, max(0, .L__assert_fail.num_named_barrier)
	.set _Z39paged_attention_ll4mi_QKV_mfma16_kernelIDF16_hLN4vllm18Fp8KVCacheDataTypeE1EDF16_Li16ELi128ELi256ELb1ELi10EEvPKT_PKT0_S7_ifPKiS9_S9_iPKfiiiPfSC_PS2_PT2_iSB_SB_.private_seg_size, 0+max(.L__assert_fail.private_seg_size)
	.set _Z39paged_attention_ll4mi_QKV_mfma16_kernelIDF16_hLN4vllm18Fp8KVCacheDataTypeE1EDF16_Li16ELi128ELi256ELb1ELi10EEvPKT_PKT0_S7_ifPKiS9_S9_iPKfiiiPfSC_PS2_PT2_iSB_SB_.uses_vcc, or(1, .L__assert_fail.uses_vcc)
	.set _Z39paged_attention_ll4mi_QKV_mfma16_kernelIDF16_hLN4vllm18Fp8KVCacheDataTypeE1EDF16_Li16ELi128ELi256ELb1ELi10EEvPKT_PKT0_S7_ifPKiS9_S9_iPKfiiiPfSC_PS2_PT2_iSB_SB_.uses_flat_scratch, or(0, .L__assert_fail.uses_flat_scratch)
	.set _Z39paged_attention_ll4mi_QKV_mfma16_kernelIDF16_hLN4vllm18Fp8KVCacheDataTypeE1EDF16_Li16ELi128ELi256ELb1ELi10EEvPKT_PKT0_S7_ifPKiS9_S9_iPKfiiiPfSC_PS2_PT2_iSB_SB_.has_dyn_sized_stack, or(0, .L__assert_fail.has_dyn_sized_stack)
	.set _Z39paged_attention_ll4mi_QKV_mfma16_kernelIDF16_hLN4vllm18Fp8KVCacheDataTypeE1EDF16_Li16ELi128ELi256ELb1ELi10EEvPKT_PKT0_S7_ifPKiS9_S9_iPKfiiiPfSC_PS2_PT2_iSB_SB_.has_recursion, or(0, .L__assert_fail.has_recursion)
	.set _Z39paged_attention_ll4mi_QKV_mfma16_kernelIDF16_hLN4vllm18Fp8KVCacheDataTypeE1EDF16_Li16ELi128ELi256ELb1ELi10EEvPKT_PKT0_S7_ifPKiS9_S9_iPKfiiiPfSC_PS2_PT2_iSB_SB_.has_indirect_call, or(0, .L__assert_fail.has_indirect_call)
	.section	.AMDGPU.csdata,"",@progbits
; Kernel info:
; codeLenInByte = 68
; TotalNumSgprs: 36
; NumVgprs: 51
; ScratchSize: 64
; MemoryBound: 0
; FloatMode: 240
; IeeeMode: 1
; LDSByteSize: 0 bytes/workgroup (compile time only)
; SGPRBlocks: 0
; VGPRBlocks: 3
; NumSGPRsForWavesPerEU: 36
; NumVGPRsForWavesPerEU: 51
; NamedBarCnt: 0
; Occupancy: 16
; WaveLimiterHint : 1
; COMPUTE_PGM_RSRC2:SCRATCH_EN: 1
; COMPUTE_PGM_RSRC2:USER_SGPR: 2
; COMPUTE_PGM_RSRC2:TRAP_HANDLER: 0
; COMPUTE_PGM_RSRC2:TGID_X_EN: 1
; COMPUTE_PGM_RSRC2:TGID_Y_EN: 0
; COMPUTE_PGM_RSRC2:TGID_Z_EN: 0
; COMPUTE_PGM_RSRC2:TIDIG_COMP_CNT: 0
	.section	.text._Z39paged_attention_ll4mi_QKV_mfma16_kernelIDF16_hLN4vllm18Fp8KVCacheDataTypeE1EDF16_Li16ELi128ELi256ELb1ELi11EEvPKT_PKT0_S7_ifPKiS9_S9_iPKfiiiPfSC_PS2_PT2_iSB_SB_,"axG",@progbits,_Z39paged_attention_ll4mi_QKV_mfma16_kernelIDF16_hLN4vllm18Fp8KVCacheDataTypeE1EDF16_Li16ELi128ELi256ELb1ELi11EEvPKT_PKT0_S7_ifPKiS9_S9_iPKfiiiPfSC_PS2_PT2_iSB_SB_,comdat
	.protected	_Z39paged_attention_ll4mi_QKV_mfma16_kernelIDF16_hLN4vllm18Fp8KVCacheDataTypeE1EDF16_Li16ELi128ELi256ELb1ELi11EEvPKT_PKT0_S7_ifPKiS9_S9_iPKfiiiPfSC_PS2_PT2_iSB_SB_ ; -- Begin function _Z39paged_attention_ll4mi_QKV_mfma16_kernelIDF16_hLN4vllm18Fp8KVCacheDataTypeE1EDF16_Li16ELi128ELi256ELb1ELi11EEvPKT_PKT0_S7_ifPKiS9_S9_iPKfiiiPfSC_PS2_PT2_iSB_SB_
	.globl	_Z39paged_attention_ll4mi_QKV_mfma16_kernelIDF16_hLN4vllm18Fp8KVCacheDataTypeE1EDF16_Li16ELi128ELi256ELb1ELi11EEvPKT_PKT0_S7_ifPKiS9_S9_iPKfiiiPfSC_PS2_PT2_iSB_SB_
	.p2align	8
	.type	_Z39paged_attention_ll4mi_QKV_mfma16_kernelIDF16_hLN4vllm18Fp8KVCacheDataTypeE1EDF16_Li16ELi128ELi256ELb1ELi11EEvPKT_PKT0_S7_ifPKiS9_S9_iPKfiiiPfSC_PS2_PT2_iSB_SB_,@function
_Z39paged_attention_ll4mi_QKV_mfma16_kernelIDF16_hLN4vllm18Fp8KVCacheDataTypeE1EDF16_Li16ELi128ELi256ELb1ELi11EEvPKT_PKT0_S7_ifPKiS9_S9_iPKfiiiPfSC_PS2_PT2_iSB_SB_: ; @_Z39paged_attention_ll4mi_QKV_mfma16_kernelIDF16_hLN4vllm18Fp8KVCacheDataTypeE1EDF16_Li16ELi128ELi256ELb1ELi11EEvPKT_PKT0_S7_ifPKiS9_S9_iPKfiiiPfSC_PS2_PT2_iSB_SB_
; %bb.0:
	s_get_pc_i64 s[2:3]
	s_add_nc_u64 s[2:3], s[2:3], __PRETTY_FUNCTION__._Z39paged_attention_ll4mi_QKV_mfma16_kernelIDF16_hLN4vllm18Fp8KVCacheDataTypeE1EDF16_Li16ELi128ELi256ELb1ELi11EEvPKT_PKT0_S7_ifPKiS9_S9_iPKfiiiPfSC_PS2_PT2_iSB_SB_@rel64+4
	s_delay_alu instid0(SALU_CYCLE_1)
	v_dual_mov_b32 v0, 0xbb3 :: v_dual_mov_b32 v1, s2
	v_mov_b32_e32 v2, s3
	s_add_nc_u64 s[8:9], s[0:1], 0x90
	s_get_pc_i64 s[0:1]
	s_add_nc_u64 s[0:1], s[0:1], __assert_fail@rel64+4
	s_mov_b32 s32, 0
	s_swap_pc_i64 s[30:31], s[0:1]
	.section	.rodata,"a",@progbits
	.p2align	6, 0x0
	.amdhsa_kernel _Z39paged_attention_ll4mi_QKV_mfma16_kernelIDF16_hLN4vllm18Fp8KVCacheDataTypeE1EDF16_Li16ELi128ELi256ELb1ELi11EEvPKT_PKT0_S7_ifPKiS9_S9_iPKfiiiPfSC_PS2_PT2_iSB_SB_
		.amdhsa_group_segment_fixed_size 0
		.amdhsa_private_segment_fixed_size 64
		.amdhsa_kernarg_size 400
		.amdhsa_user_sgpr_count 2
		.amdhsa_user_sgpr_dispatch_ptr 0
		.amdhsa_user_sgpr_queue_ptr 0
		.amdhsa_user_sgpr_kernarg_segment_ptr 1
		.amdhsa_user_sgpr_dispatch_id 0
		.amdhsa_user_sgpr_kernarg_preload_length 0
		.amdhsa_user_sgpr_kernarg_preload_offset 0
		.amdhsa_user_sgpr_private_segment_size 0
		.amdhsa_wavefront_size32 1
		.amdhsa_uses_dynamic_stack 0
		.amdhsa_enable_private_segment 1
		.amdhsa_system_sgpr_workgroup_id_x 1
		.amdhsa_system_sgpr_workgroup_id_y 0
		.amdhsa_system_sgpr_workgroup_id_z 0
		.amdhsa_system_sgpr_workgroup_info 0
		.amdhsa_system_vgpr_workitem_id 0
		.amdhsa_next_free_vgpr 51
		.amdhsa_next_free_sgpr 34
		.amdhsa_named_barrier_count 0
		.amdhsa_reserve_vcc 1
		.amdhsa_float_round_mode_32 0
		.amdhsa_float_round_mode_16_64 0
		.amdhsa_float_denorm_mode_32 3
		.amdhsa_float_denorm_mode_16_64 3
		.amdhsa_fp16_overflow 0
		.amdhsa_memory_ordered 1
		.amdhsa_forward_progress 1
		.amdhsa_inst_pref_size 1
		.amdhsa_round_robin_scheduling 0
		.amdhsa_exception_fp_ieee_invalid_op 0
		.amdhsa_exception_fp_denorm_src 0
		.amdhsa_exception_fp_ieee_div_zero 0
		.amdhsa_exception_fp_ieee_overflow 0
		.amdhsa_exception_fp_ieee_underflow 0
		.amdhsa_exception_fp_ieee_inexact 0
		.amdhsa_exception_int_div_zero 0
	.end_amdhsa_kernel
	.section	.text._Z39paged_attention_ll4mi_QKV_mfma16_kernelIDF16_hLN4vllm18Fp8KVCacheDataTypeE1EDF16_Li16ELi128ELi256ELb1ELi11EEvPKT_PKT0_S7_ifPKiS9_S9_iPKfiiiPfSC_PS2_PT2_iSB_SB_,"axG",@progbits,_Z39paged_attention_ll4mi_QKV_mfma16_kernelIDF16_hLN4vllm18Fp8KVCacheDataTypeE1EDF16_Li16ELi128ELi256ELb1ELi11EEvPKT_PKT0_S7_ifPKiS9_S9_iPKfiiiPfSC_PS2_PT2_iSB_SB_,comdat
.Lfunc_end980:
	.size	_Z39paged_attention_ll4mi_QKV_mfma16_kernelIDF16_hLN4vllm18Fp8KVCacheDataTypeE1EDF16_Li16ELi128ELi256ELb1ELi11EEvPKT_PKT0_S7_ifPKiS9_S9_iPKfiiiPfSC_PS2_PT2_iSB_SB_, .Lfunc_end980-_Z39paged_attention_ll4mi_QKV_mfma16_kernelIDF16_hLN4vllm18Fp8KVCacheDataTypeE1EDF16_Li16ELi128ELi256ELb1ELi11EEvPKT_PKT0_S7_ifPKiS9_S9_iPKfiiiPfSC_PS2_PT2_iSB_SB_
                                        ; -- End function
	.set _Z39paged_attention_ll4mi_QKV_mfma16_kernelIDF16_hLN4vllm18Fp8KVCacheDataTypeE1EDF16_Li16ELi128ELi256ELb1ELi11EEvPKT_PKT0_S7_ifPKiS9_S9_iPKfiiiPfSC_PS2_PT2_iSB_SB_.num_vgpr, max(3, .L__assert_fail.num_vgpr)
	.set _Z39paged_attention_ll4mi_QKV_mfma16_kernelIDF16_hLN4vllm18Fp8KVCacheDataTypeE1EDF16_Li16ELi128ELi256ELb1ELi11EEvPKT_PKT0_S7_ifPKiS9_S9_iPKfiiiPfSC_PS2_PT2_iSB_SB_.num_agpr, max(0, .L__assert_fail.num_agpr)
	.set _Z39paged_attention_ll4mi_QKV_mfma16_kernelIDF16_hLN4vllm18Fp8KVCacheDataTypeE1EDF16_Li16ELi128ELi256ELb1ELi11EEvPKT_PKT0_S7_ifPKiS9_S9_iPKfiiiPfSC_PS2_PT2_iSB_SB_.numbered_sgpr, max(33, .L__assert_fail.numbered_sgpr)
	.set _Z39paged_attention_ll4mi_QKV_mfma16_kernelIDF16_hLN4vllm18Fp8KVCacheDataTypeE1EDF16_Li16ELi128ELi256ELb1ELi11EEvPKT_PKT0_S7_ifPKiS9_S9_iPKfiiiPfSC_PS2_PT2_iSB_SB_.num_named_barrier, max(0, .L__assert_fail.num_named_barrier)
	.set _Z39paged_attention_ll4mi_QKV_mfma16_kernelIDF16_hLN4vllm18Fp8KVCacheDataTypeE1EDF16_Li16ELi128ELi256ELb1ELi11EEvPKT_PKT0_S7_ifPKiS9_S9_iPKfiiiPfSC_PS2_PT2_iSB_SB_.private_seg_size, 0+max(.L__assert_fail.private_seg_size)
	.set _Z39paged_attention_ll4mi_QKV_mfma16_kernelIDF16_hLN4vllm18Fp8KVCacheDataTypeE1EDF16_Li16ELi128ELi256ELb1ELi11EEvPKT_PKT0_S7_ifPKiS9_S9_iPKfiiiPfSC_PS2_PT2_iSB_SB_.uses_vcc, or(1, .L__assert_fail.uses_vcc)
	.set _Z39paged_attention_ll4mi_QKV_mfma16_kernelIDF16_hLN4vllm18Fp8KVCacheDataTypeE1EDF16_Li16ELi128ELi256ELb1ELi11EEvPKT_PKT0_S7_ifPKiS9_S9_iPKfiiiPfSC_PS2_PT2_iSB_SB_.uses_flat_scratch, or(0, .L__assert_fail.uses_flat_scratch)
	.set _Z39paged_attention_ll4mi_QKV_mfma16_kernelIDF16_hLN4vllm18Fp8KVCacheDataTypeE1EDF16_Li16ELi128ELi256ELb1ELi11EEvPKT_PKT0_S7_ifPKiS9_S9_iPKfiiiPfSC_PS2_PT2_iSB_SB_.has_dyn_sized_stack, or(0, .L__assert_fail.has_dyn_sized_stack)
	.set _Z39paged_attention_ll4mi_QKV_mfma16_kernelIDF16_hLN4vllm18Fp8KVCacheDataTypeE1EDF16_Li16ELi128ELi256ELb1ELi11EEvPKT_PKT0_S7_ifPKiS9_S9_iPKfiiiPfSC_PS2_PT2_iSB_SB_.has_recursion, or(0, .L__assert_fail.has_recursion)
	.set _Z39paged_attention_ll4mi_QKV_mfma16_kernelIDF16_hLN4vllm18Fp8KVCacheDataTypeE1EDF16_Li16ELi128ELi256ELb1ELi11EEvPKT_PKT0_S7_ifPKiS9_S9_iPKfiiiPfSC_PS2_PT2_iSB_SB_.has_indirect_call, or(0, .L__assert_fail.has_indirect_call)
	.section	.AMDGPU.csdata,"",@progbits
; Kernel info:
; codeLenInByte = 68
; TotalNumSgprs: 36
; NumVgprs: 51
; ScratchSize: 64
; MemoryBound: 0
; FloatMode: 240
; IeeeMode: 1
; LDSByteSize: 0 bytes/workgroup (compile time only)
; SGPRBlocks: 0
; VGPRBlocks: 3
; NumSGPRsForWavesPerEU: 36
; NumVGPRsForWavesPerEU: 51
; NamedBarCnt: 0
; Occupancy: 16
; WaveLimiterHint : 1
; COMPUTE_PGM_RSRC2:SCRATCH_EN: 1
; COMPUTE_PGM_RSRC2:USER_SGPR: 2
; COMPUTE_PGM_RSRC2:TRAP_HANDLER: 0
; COMPUTE_PGM_RSRC2:TGID_X_EN: 1
; COMPUTE_PGM_RSRC2:TGID_Y_EN: 0
; COMPUTE_PGM_RSRC2:TGID_Z_EN: 0
; COMPUTE_PGM_RSRC2:TIDIG_COMP_CNT: 0
	.section	.text._Z39paged_attention_ll4mi_QKV_mfma16_kernelIDF16_hLN4vllm18Fp8KVCacheDataTypeE1EDF16_Li16ELi128ELi256ELb1ELi12EEvPKT_PKT0_S7_ifPKiS9_S9_iPKfiiiPfSC_PS2_PT2_iSB_SB_,"axG",@progbits,_Z39paged_attention_ll4mi_QKV_mfma16_kernelIDF16_hLN4vllm18Fp8KVCacheDataTypeE1EDF16_Li16ELi128ELi256ELb1ELi12EEvPKT_PKT0_S7_ifPKiS9_S9_iPKfiiiPfSC_PS2_PT2_iSB_SB_,comdat
	.protected	_Z39paged_attention_ll4mi_QKV_mfma16_kernelIDF16_hLN4vllm18Fp8KVCacheDataTypeE1EDF16_Li16ELi128ELi256ELb1ELi12EEvPKT_PKT0_S7_ifPKiS9_S9_iPKfiiiPfSC_PS2_PT2_iSB_SB_ ; -- Begin function _Z39paged_attention_ll4mi_QKV_mfma16_kernelIDF16_hLN4vllm18Fp8KVCacheDataTypeE1EDF16_Li16ELi128ELi256ELb1ELi12EEvPKT_PKT0_S7_ifPKiS9_S9_iPKfiiiPfSC_PS2_PT2_iSB_SB_
	.globl	_Z39paged_attention_ll4mi_QKV_mfma16_kernelIDF16_hLN4vllm18Fp8KVCacheDataTypeE1EDF16_Li16ELi128ELi256ELb1ELi12EEvPKT_PKT0_S7_ifPKiS9_S9_iPKfiiiPfSC_PS2_PT2_iSB_SB_
	.p2align	8
	.type	_Z39paged_attention_ll4mi_QKV_mfma16_kernelIDF16_hLN4vllm18Fp8KVCacheDataTypeE1EDF16_Li16ELi128ELi256ELb1ELi12EEvPKT_PKT0_S7_ifPKiS9_S9_iPKfiiiPfSC_PS2_PT2_iSB_SB_,@function
_Z39paged_attention_ll4mi_QKV_mfma16_kernelIDF16_hLN4vllm18Fp8KVCacheDataTypeE1EDF16_Li16ELi128ELi256ELb1ELi12EEvPKT_PKT0_S7_ifPKiS9_S9_iPKfiiiPfSC_PS2_PT2_iSB_SB_: ; @_Z39paged_attention_ll4mi_QKV_mfma16_kernelIDF16_hLN4vllm18Fp8KVCacheDataTypeE1EDF16_Li16ELi128ELi256ELb1ELi12EEvPKT_PKT0_S7_ifPKiS9_S9_iPKfiiiPfSC_PS2_PT2_iSB_SB_
; %bb.0:
	s_get_pc_i64 s[2:3]
	s_add_nc_u64 s[2:3], s[2:3], __PRETTY_FUNCTION__._Z39paged_attention_ll4mi_QKV_mfma16_kernelIDF16_hLN4vllm18Fp8KVCacheDataTypeE1EDF16_Li16ELi128ELi256ELb1ELi12EEvPKT_PKT0_S7_ifPKiS9_S9_iPKfiiiPfSC_PS2_PT2_iSB_SB_@rel64+4
	s_delay_alu instid0(SALU_CYCLE_1)
	v_dual_mov_b32 v0, 0xbb3 :: v_dual_mov_b32 v1, s2
	v_mov_b32_e32 v2, s3
	s_add_nc_u64 s[8:9], s[0:1], 0x90
	s_get_pc_i64 s[0:1]
	s_add_nc_u64 s[0:1], s[0:1], __assert_fail@rel64+4
	s_mov_b32 s32, 0
	s_swap_pc_i64 s[30:31], s[0:1]
	.section	.rodata,"a",@progbits
	.p2align	6, 0x0
	.amdhsa_kernel _Z39paged_attention_ll4mi_QKV_mfma16_kernelIDF16_hLN4vllm18Fp8KVCacheDataTypeE1EDF16_Li16ELi128ELi256ELb1ELi12EEvPKT_PKT0_S7_ifPKiS9_S9_iPKfiiiPfSC_PS2_PT2_iSB_SB_
		.amdhsa_group_segment_fixed_size 0
		.amdhsa_private_segment_fixed_size 64
		.amdhsa_kernarg_size 400
		.amdhsa_user_sgpr_count 2
		.amdhsa_user_sgpr_dispatch_ptr 0
		.amdhsa_user_sgpr_queue_ptr 0
		.amdhsa_user_sgpr_kernarg_segment_ptr 1
		.amdhsa_user_sgpr_dispatch_id 0
		.amdhsa_user_sgpr_kernarg_preload_length 0
		.amdhsa_user_sgpr_kernarg_preload_offset 0
		.amdhsa_user_sgpr_private_segment_size 0
		.amdhsa_wavefront_size32 1
		.amdhsa_uses_dynamic_stack 0
		.amdhsa_enable_private_segment 1
		.amdhsa_system_sgpr_workgroup_id_x 1
		.amdhsa_system_sgpr_workgroup_id_y 0
		.amdhsa_system_sgpr_workgroup_id_z 0
		.amdhsa_system_sgpr_workgroup_info 0
		.amdhsa_system_vgpr_workitem_id 0
		.amdhsa_next_free_vgpr 51
		.amdhsa_next_free_sgpr 34
		.amdhsa_named_barrier_count 0
		.amdhsa_reserve_vcc 1
		.amdhsa_float_round_mode_32 0
		.amdhsa_float_round_mode_16_64 0
		.amdhsa_float_denorm_mode_32 3
		.amdhsa_float_denorm_mode_16_64 3
		.amdhsa_fp16_overflow 0
		.amdhsa_memory_ordered 1
		.amdhsa_forward_progress 1
		.amdhsa_inst_pref_size 1
		.amdhsa_round_robin_scheduling 0
		.amdhsa_exception_fp_ieee_invalid_op 0
		.amdhsa_exception_fp_denorm_src 0
		.amdhsa_exception_fp_ieee_div_zero 0
		.amdhsa_exception_fp_ieee_overflow 0
		.amdhsa_exception_fp_ieee_underflow 0
		.amdhsa_exception_fp_ieee_inexact 0
		.amdhsa_exception_int_div_zero 0
	.end_amdhsa_kernel
	.section	.text._Z39paged_attention_ll4mi_QKV_mfma16_kernelIDF16_hLN4vllm18Fp8KVCacheDataTypeE1EDF16_Li16ELi128ELi256ELb1ELi12EEvPKT_PKT0_S7_ifPKiS9_S9_iPKfiiiPfSC_PS2_PT2_iSB_SB_,"axG",@progbits,_Z39paged_attention_ll4mi_QKV_mfma16_kernelIDF16_hLN4vllm18Fp8KVCacheDataTypeE1EDF16_Li16ELi128ELi256ELb1ELi12EEvPKT_PKT0_S7_ifPKiS9_S9_iPKfiiiPfSC_PS2_PT2_iSB_SB_,comdat
.Lfunc_end981:
	.size	_Z39paged_attention_ll4mi_QKV_mfma16_kernelIDF16_hLN4vllm18Fp8KVCacheDataTypeE1EDF16_Li16ELi128ELi256ELb1ELi12EEvPKT_PKT0_S7_ifPKiS9_S9_iPKfiiiPfSC_PS2_PT2_iSB_SB_, .Lfunc_end981-_Z39paged_attention_ll4mi_QKV_mfma16_kernelIDF16_hLN4vllm18Fp8KVCacheDataTypeE1EDF16_Li16ELi128ELi256ELb1ELi12EEvPKT_PKT0_S7_ifPKiS9_S9_iPKfiiiPfSC_PS2_PT2_iSB_SB_
                                        ; -- End function
	.set _Z39paged_attention_ll4mi_QKV_mfma16_kernelIDF16_hLN4vllm18Fp8KVCacheDataTypeE1EDF16_Li16ELi128ELi256ELb1ELi12EEvPKT_PKT0_S7_ifPKiS9_S9_iPKfiiiPfSC_PS2_PT2_iSB_SB_.num_vgpr, max(3, .L__assert_fail.num_vgpr)
	.set _Z39paged_attention_ll4mi_QKV_mfma16_kernelIDF16_hLN4vllm18Fp8KVCacheDataTypeE1EDF16_Li16ELi128ELi256ELb1ELi12EEvPKT_PKT0_S7_ifPKiS9_S9_iPKfiiiPfSC_PS2_PT2_iSB_SB_.num_agpr, max(0, .L__assert_fail.num_agpr)
	.set _Z39paged_attention_ll4mi_QKV_mfma16_kernelIDF16_hLN4vllm18Fp8KVCacheDataTypeE1EDF16_Li16ELi128ELi256ELb1ELi12EEvPKT_PKT0_S7_ifPKiS9_S9_iPKfiiiPfSC_PS2_PT2_iSB_SB_.numbered_sgpr, max(33, .L__assert_fail.numbered_sgpr)
	.set _Z39paged_attention_ll4mi_QKV_mfma16_kernelIDF16_hLN4vllm18Fp8KVCacheDataTypeE1EDF16_Li16ELi128ELi256ELb1ELi12EEvPKT_PKT0_S7_ifPKiS9_S9_iPKfiiiPfSC_PS2_PT2_iSB_SB_.num_named_barrier, max(0, .L__assert_fail.num_named_barrier)
	.set _Z39paged_attention_ll4mi_QKV_mfma16_kernelIDF16_hLN4vllm18Fp8KVCacheDataTypeE1EDF16_Li16ELi128ELi256ELb1ELi12EEvPKT_PKT0_S7_ifPKiS9_S9_iPKfiiiPfSC_PS2_PT2_iSB_SB_.private_seg_size, 0+max(.L__assert_fail.private_seg_size)
	.set _Z39paged_attention_ll4mi_QKV_mfma16_kernelIDF16_hLN4vllm18Fp8KVCacheDataTypeE1EDF16_Li16ELi128ELi256ELb1ELi12EEvPKT_PKT0_S7_ifPKiS9_S9_iPKfiiiPfSC_PS2_PT2_iSB_SB_.uses_vcc, or(1, .L__assert_fail.uses_vcc)
	.set _Z39paged_attention_ll4mi_QKV_mfma16_kernelIDF16_hLN4vllm18Fp8KVCacheDataTypeE1EDF16_Li16ELi128ELi256ELb1ELi12EEvPKT_PKT0_S7_ifPKiS9_S9_iPKfiiiPfSC_PS2_PT2_iSB_SB_.uses_flat_scratch, or(0, .L__assert_fail.uses_flat_scratch)
	.set _Z39paged_attention_ll4mi_QKV_mfma16_kernelIDF16_hLN4vllm18Fp8KVCacheDataTypeE1EDF16_Li16ELi128ELi256ELb1ELi12EEvPKT_PKT0_S7_ifPKiS9_S9_iPKfiiiPfSC_PS2_PT2_iSB_SB_.has_dyn_sized_stack, or(0, .L__assert_fail.has_dyn_sized_stack)
	.set _Z39paged_attention_ll4mi_QKV_mfma16_kernelIDF16_hLN4vllm18Fp8KVCacheDataTypeE1EDF16_Li16ELi128ELi256ELb1ELi12EEvPKT_PKT0_S7_ifPKiS9_S9_iPKfiiiPfSC_PS2_PT2_iSB_SB_.has_recursion, or(0, .L__assert_fail.has_recursion)
	.set _Z39paged_attention_ll4mi_QKV_mfma16_kernelIDF16_hLN4vllm18Fp8KVCacheDataTypeE1EDF16_Li16ELi128ELi256ELb1ELi12EEvPKT_PKT0_S7_ifPKiS9_S9_iPKfiiiPfSC_PS2_PT2_iSB_SB_.has_indirect_call, or(0, .L__assert_fail.has_indirect_call)
	.section	.AMDGPU.csdata,"",@progbits
; Kernel info:
; codeLenInByte = 68
; TotalNumSgprs: 36
; NumVgprs: 51
; ScratchSize: 64
; MemoryBound: 0
; FloatMode: 240
; IeeeMode: 1
; LDSByteSize: 0 bytes/workgroup (compile time only)
; SGPRBlocks: 0
; VGPRBlocks: 3
; NumSGPRsForWavesPerEU: 36
; NumVGPRsForWavesPerEU: 51
; NamedBarCnt: 0
; Occupancy: 16
; WaveLimiterHint : 1
; COMPUTE_PGM_RSRC2:SCRATCH_EN: 1
; COMPUTE_PGM_RSRC2:USER_SGPR: 2
; COMPUTE_PGM_RSRC2:TRAP_HANDLER: 0
; COMPUTE_PGM_RSRC2:TGID_X_EN: 1
; COMPUTE_PGM_RSRC2:TGID_Y_EN: 0
; COMPUTE_PGM_RSRC2:TGID_Z_EN: 0
; COMPUTE_PGM_RSRC2:TIDIG_COMP_CNT: 0
	.section	.text._Z39paged_attention_ll4mi_QKV_mfma16_kernelIDF16_hLN4vllm18Fp8KVCacheDataTypeE1EDF16_Li16ELi128ELi256ELb1ELi13EEvPKT_PKT0_S7_ifPKiS9_S9_iPKfiiiPfSC_PS2_PT2_iSB_SB_,"axG",@progbits,_Z39paged_attention_ll4mi_QKV_mfma16_kernelIDF16_hLN4vllm18Fp8KVCacheDataTypeE1EDF16_Li16ELi128ELi256ELb1ELi13EEvPKT_PKT0_S7_ifPKiS9_S9_iPKfiiiPfSC_PS2_PT2_iSB_SB_,comdat
	.protected	_Z39paged_attention_ll4mi_QKV_mfma16_kernelIDF16_hLN4vllm18Fp8KVCacheDataTypeE1EDF16_Li16ELi128ELi256ELb1ELi13EEvPKT_PKT0_S7_ifPKiS9_S9_iPKfiiiPfSC_PS2_PT2_iSB_SB_ ; -- Begin function _Z39paged_attention_ll4mi_QKV_mfma16_kernelIDF16_hLN4vllm18Fp8KVCacheDataTypeE1EDF16_Li16ELi128ELi256ELb1ELi13EEvPKT_PKT0_S7_ifPKiS9_S9_iPKfiiiPfSC_PS2_PT2_iSB_SB_
	.globl	_Z39paged_attention_ll4mi_QKV_mfma16_kernelIDF16_hLN4vllm18Fp8KVCacheDataTypeE1EDF16_Li16ELi128ELi256ELb1ELi13EEvPKT_PKT0_S7_ifPKiS9_S9_iPKfiiiPfSC_PS2_PT2_iSB_SB_
	.p2align	8
	.type	_Z39paged_attention_ll4mi_QKV_mfma16_kernelIDF16_hLN4vllm18Fp8KVCacheDataTypeE1EDF16_Li16ELi128ELi256ELb1ELi13EEvPKT_PKT0_S7_ifPKiS9_S9_iPKfiiiPfSC_PS2_PT2_iSB_SB_,@function
_Z39paged_attention_ll4mi_QKV_mfma16_kernelIDF16_hLN4vllm18Fp8KVCacheDataTypeE1EDF16_Li16ELi128ELi256ELb1ELi13EEvPKT_PKT0_S7_ifPKiS9_S9_iPKfiiiPfSC_PS2_PT2_iSB_SB_: ; @_Z39paged_attention_ll4mi_QKV_mfma16_kernelIDF16_hLN4vllm18Fp8KVCacheDataTypeE1EDF16_Li16ELi128ELi256ELb1ELi13EEvPKT_PKT0_S7_ifPKiS9_S9_iPKfiiiPfSC_PS2_PT2_iSB_SB_
; %bb.0:
	s_get_pc_i64 s[2:3]
	s_add_nc_u64 s[2:3], s[2:3], __PRETTY_FUNCTION__._Z39paged_attention_ll4mi_QKV_mfma16_kernelIDF16_hLN4vllm18Fp8KVCacheDataTypeE1EDF16_Li16ELi128ELi256ELb1ELi13EEvPKT_PKT0_S7_ifPKiS9_S9_iPKfiiiPfSC_PS2_PT2_iSB_SB_@rel64+4
	s_delay_alu instid0(SALU_CYCLE_1)
	v_dual_mov_b32 v0, 0xbb3 :: v_dual_mov_b32 v1, s2
	v_mov_b32_e32 v2, s3
	s_add_nc_u64 s[8:9], s[0:1], 0x90
	s_get_pc_i64 s[0:1]
	s_add_nc_u64 s[0:1], s[0:1], __assert_fail@rel64+4
	s_mov_b32 s32, 0
	s_swap_pc_i64 s[30:31], s[0:1]
	.section	.rodata,"a",@progbits
	.p2align	6, 0x0
	.amdhsa_kernel _Z39paged_attention_ll4mi_QKV_mfma16_kernelIDF16_hLN4vllm18Fp8KVCacheDataTypeE1EDF16_Li16ELi128ELi256ELb1ELi13EEvPKT_PKT0_S7_ifPKiS9_S9_iPKfiiiPfSC_PS2_PT2_iSB_SB_
		.amdhsa_group_segment_fixed_size 0
		.amdhsa_private_segment_fixed_size 64
		.amdhsa_kernarg_size 400
		.amdhsa_user_sgpr_count 2
		.amdhsa_user_sgpr_dispatch_ptr 0
		.amdhsa_user_sgpr_queue_ptr 0
		.amdhsa_user_sgpr_kernarg_segment_ptr 1
		.amdhsa_user_sgpr_dispatch_id 0
		.amdhsa_user_sgpr_kernarg_preload_length 0
		.amdhsa_user_sgpr_kernarg_preload_offset 0
		.amdhsa_user_sgpr_private_segment_size 0
		.amdhsa_wavefront_size32 1
		.amdhsa_uses_dynamic_stack 0
		.amdhsa_enable_private_segment 1
		.amdhsa_system_sgpr_workgroup_id_x 1
		.amdhsa_system_sgpr_workgroup_id_y 0
		.amdhsa_system_sgpr_workgroup_id_z 0
		.amdhsa_system_sgpr_workgroup_info 0
		.amdhsa_system_vgpr_workitem_id 0
		.amdhsa_next_free_vgpr 51
		.amdhsa_next_free_sgpr 34
		.amdhsa_named_barrier_count 0
		.amdhsa_reserve_vcc 1
		.amdhsa_float_round_mode_32 0
		.amdhsa_float_round_mode_16_64 0
		.amdhsa_float_denorm_mode_32 3
		.amdhsa_float_denorm_mode_16_64 3
		.amdhsa_fp16_overflow 0
		.amdhsa_memory_ordered 1
		.amdhsa_forward_progress 1
		.amdhsa_inst_pref_size 1
		.amdhsa_round_robin_scheduling 0
		.amdhsa_exception_fp_ieee_invalid_op 0
		.amdhsa_exception_fp_denorm_src 0
		.amdhsa_exception_fp_ieee_div_zero 0
		.amdhsa_exception_fp_ieee_overflow 0
		.amdhsa_exception_fp_ieee_underflow 0
		.amdhsa_exception_fp_ieee_inexact 0
		.amdhsa_exception_int_div_zero 0
	.end_amdhsa_kernel
	.section	.text._Z39paged_attention_ll4mi_QKV_mfma16_kernelIDF16_hLN4vllm18Fp8KVCacheDataTypeE1EDF16_Li16ELi128ELi256ELb1ELi13EEvPKT_PKT0_S7_ifPKiS9_S9_iPKfiiiPfSC_PS2_PT2_iSB_SB_,"axG",@progbits,_Z39paged_attention_ll4mi_QKV_mfma16_kernelIDF16_hLN4vllm18Fp8KVCacheDataTypeE1EDF16_Li16ELi128ELi256ELb1ELi13EEvPKT_PKT0_S7_ifPKiS9_S9_iPKfiiiPfSC_PS2_PT2_iSB_SB_,comdat
.Lfunc_end982:
	.size	_Z39paged_attention_ll4mi_QKV_mfma16_kernelIDF16_hLN4vllm18Fp8KVCacheDataTypeE1EDF16_Li16ELi128ELi256ELb1ELi13EEvPKT_PKT0_S7_ifPKiS9_S9_iPKfiiiPfSC_PS2_PT2_iSB_SB_, .Lfunc_end982-_Z39paged_attention_ll4mi_QKV_mfma16_kernelIDF16_hLN4vllm18Fp8KVCacheDataTypeE1EDF16_Li16ELi128ELi256ELb1ELi13EEvPKT_PKT0_S7_ifPKiS9_S9_iPKfiiiPfSC_PS2_PT2_iSB_SB_
                                        ; -- End function
	.set _Z39paged_attention_ll4mi_QKV_mfma16_kernelIDF16_hLN4vllm18Fp8KVCacheDataTypeE1EDF16_Li16ELi128ELi256ELb1ELi13EEvPKT_PKT0_S7_ifPKiS9_S9_iPKfiiiPfSC_PS2_PT2_iSB_SB_.num_vgpr, max(3, .L__assert_fail.num_vgpr)
	.set _Z39paged_attention_ll4mi_QKV_mfma16_kernelIDF16_hLN4vllm18Fp8KVCacheDataTypeE1EDF16_Li16ELi128ELi256ELb1ELi13EEvPKT_PKT0_S7_ifPKiS9_S9_iPKfiiiPfSC_PS2_PT2_iSB_SB_.num_agpr, max(0, .L__assert_fail.num_agpr)
	.set _Z39paged_attention_ll4mi_QKV_mfma16_kernelIDF16_hLN4vllm18Fp8KVCacheDataTypeE1EDF16_Li16ELi128ELi256ELb1ELi13EEvPKT_PKT0_S7_ifPKiS9_S9_iPKfiiiPfSC_PS2_PT2_iSB_SB_.numbered_sgpr, max(33, .L__assert_fail.numbered_sgpr)
	.set _Z39paged_attention_ll4mi_QKV_mfma16_kernelIDF16_hLN4vllm18Fp8KVCacheDataTypeE1EDF16_Li16ELi128ELi256ELb1ELi13EEvPKT_PKT0_S7_ifPKiS9_S9_iPKfiiiPfSC_PS2_PT2_iSB_SB_.num_named_barrier, max(0, .L__assert_fail.num_named_barrier)
	.set _Z39paged_attention_ll4mi_QKV_mfma16_kernelIDF16_hLN4vllm18Fp8KVCacheDataTypeE1EDF16_Li16ELi128ELi256ELb1ELi13EEvPKT_PKT0_S7_ifPKiS9_S9_iPKfiiiPfSC_PS2_PT2_iSB_SB_.private_seg_size, 0+max(.L__assert_fail.private_seg_size)
	.set _Z39paged_attention_ll4mi_QKV_mfma16_kernelIDF16_hLN4vllm18Fp8KVCacheDataTypeE1EDF16_Li16ELi128ELi256ELb1ELi13EEvPKT_PKT0_S7_ifPKiS9_S9_iPKfiiiPfSC_PS2_PT2_iSB_SB_.uses_vcc, or(1, .L__assert_fail.uses_vcc)
	.set _Z39paged_attention_ll4mi_QKV_mfma16_kernelIDF16_hLN4vllm18Fp8KVCacheDataTypeE1EDF16_Li16ELi128ELi256ELb1ELi13EEvPKT_PKT0_S7_ifPKiS9_S9_iPKfiiiPfSC_PS2_PT2_iSB_SB_.uses_flat_scratch, or(0, .L__assert_fail.uses_flat_scratch)
	.set _Z39paged_attention_ll4mi_QKV_mfma16_kernelIDF16_hLN4vllm18Fp8KVCacheDataTypeE1EDF16_Li16ELi128ELi256ELb1ELi13EEvPKT_PKT0_S7_ifPKiS9_S9_iPKfiiiPfSC_PS2_PT2_iSB_SB_.has_dyn_sized_stack, or(0, .L__assert_fail.has_dyn_sized_stack)
	.set _Z39paged_attention_ll4mi_QKV_mfma16_kernelIDF16_hLN4vllm18Fp8KVCacheDataTypeE1EDF16_Li16ELi128ELi256ELb1ELi13EEvPKT_PKT0_S7_ifPKiS9_S9_iPKfiiiPfSC_PS2_PT2_iSB_SB_.has_recursion, or(0, .L__assert_fail.has_recursion)
	.set _Z39paged_attention_ll4mi_QKV_mfma16_kernelIDF16_hLN4vllm18Fp8KVCacheDataTypeE1EDF16_Li16ELi128ELi256ELb1ELi13EEvPKT_PKT0_S7_ifPKiS9_S9_iPKfiiiPfSC_PS2_PT2_iSB_SB_.has_indirect_call, or(0, .L__assert_fail.has_indirect_call)
	.section	.AMDGPU.csdata,"",@progbits
; Kernel info:
; codeLenInByte = 68
; TotalNumSgprs: 36
; NumVgprs: 51
; ScratchSize: 64
; MemoryBound: 0
; FloatMode: 240
; IeeeMode: 1
; LDSByteSize: 0 bytes/workgroup (compile time only)
; SGPRBlocks: 0
; VGPRBlocks: 3
; NumSGPRsForWavesPerEU: 36
; NumVGPRsForWavesPerEU: 51
; NamedBarCnt: 0
; Occupancy: 16
; WaveLimiterHint : 1
; COMPUTE_PGM_RSRC2:SCRATCH_EN: 1
; COMPUTE_PGM_RSRC2:USER_SGPR: 2
; COMPUTE_PGM_RSRC2:TRAP_HANDLER: 0
; COMPUTE_PGM_RSRC2:TGID_X_EN: 1
; COMPUTE_PGM_RSRC2:TGID_Y_EN: 0
; COMPUTE_PGM_RSRC2:TGID_Z_EN: 0
; COMPUTE_PGM_RSRC2:TIDIG_COMP_CNT: 0
	.section	.text._Z39paged_attention_ll4mi_QKV_mfma16_kernelIDF16_hLN4vllm18Fp8KVCacheDataTypeE1EDF16_Li16ELi128ELi256ELb1ELi14EEvPKT_PKT0_S7_ifPKiS9_S9_iPKfiiiPfSC_PS2_PT2_iSB_SB_,"axG",@progbits,_Z39paged_attention_ll4mi_QKV_mfma16_kernelIDF16_hLN4vllm18Fp8KVCacheDataTypeE1EDF16_Li16ELi128ELi256ELb1ELi14EEvPKT_PKT0_S7_ifPKiS9_S9_iPKfiiiPfSC_PS2_PT2_iSB_SB_,comdat
	.protected	_Z39paged_attention_ll4mi_QKV_mfma16_kernelIDF16_hLN4vllm18Fp8KVCacheDataTypeE1EDF16_Li16ELi128ELi256ELb1ELi14EEvPKT_PKT0_S7_ifPKiS9_S9_iPKfiiiPfSC_PS2_PT2_iSB_SB_ ; -- Begin function _Z39paged_attention_ll4mi_QKV_mfma16_kernelIDF16_hLN4vllm18Fp8KVCacheDataTypeE1EDF16_Li16ELi128ELi256ELb1ELi14EEvPKT_PKT0_S7_ifPKiS9_S9_iPKfiiiPfSC_PS2_PT2_iSB_SB_
	.globl	_Z39paged_attention_ll4mi_QKV_mfma16_kernelIDF16_hLN4vllm18Fp8KVCacheDataTypeE1EDF16_Li16ELi128ELi256ELb1ELi14EEvPKT_PKT0_S7_ifPKiS9_S9_iPKfiiiPfSC_PS2_PT2_iSB_SB_
	.p2align	8
	.type	_Z39paged_attention_ll4mi_QKV_mfma16_kernelIDF16_hLN4vllm18Fp8KVCacheDataTypeE1EDF16_Li16ELi128ELi256ELb1ELi14EEvPKT_PKT0_S7_ifPKiS9_S9_iPKfiiiPfSC_PS2_PT2_iSB_SB_,@function
_Z39paged_attention_ll4mi_QKV_mfma16_kernelIDF16_hLN4vllm18Fp8KVCacheDataTypeE1EDF16_Li16ELi128ELi256ELb1ELi14EEvPKT_PKT0_S7_ifPKiS9_S9_iPKfiiiPfSC_PS2_PT2_iSB_SB_: ; @_Z39paged_attention_ll4mi_QKV_mfma16_kernelIDF16_hLN4vllm18Fp8KVCacheDataTypeE1EDF16_Li16ELi128ELi256ELb1ELi14EEvPKT_PKT0_S7_ifPKiS9_S9_iPKfiiiPfSC_PS2_PT2_iSB_SB_
; %bb.0:
	s_get_pc_i64 s[2:3]
	s_add_nc_u64 s[2:3], s[2:3], __PRETTY_FUNCTION__._Z39paged_attention_ll4mi_QKV_mfma16_kernelIDF16_hLN4vllm18Fp8KVCacheDataTypeE1EDF16_Li16ELi128ELi256ELb1ELi14EEvPKT_PKT0_S7_ifPKiS9_S9_iPKfiiiPfSC_PS2_PT2_iSB_SB_@rel64+4
	s_delay_alu instid0(SALU_CYCLE_1)
	v_dual_mov_b32 v0, 0xbb3 :: v_dual_mov_b32 v1, s2
	v_mov_b32_e32 v2, s3
	s_add_nc_u64 s[8:9], s[0:1], 0x90
	s_get_pc_i64 s[0:1]
	s_add_nc_u64 s[0:1], s[0:1], __assert_fail@rel64+4
	s_mov_b32 s32, 0
	s_swap_pc_i64 s[30:31], s[0:1]
	.section	.rodata,"a",@progbits
	.p2align	6, 0x0
	.amdhsa_kernel _Z39paged_attention_ll4mi_QKV_mfma16_kernelIDF16_hLN4vllm18Fp8KVCacheDataTypeE1EDF16_Li16ELi128ELi256ELb1ELi14EEvPKT_PKT0_S7_ifPKiS9_S9_iPKfiiiPfSC_PS2_PT2_iSB_SB_
		.amdhsa_group_segment_fixed_size 0
		.amdhsa_private_segment_fixed_size 64
		.amdhsa_kernarg_size 400
		.amdhsa_user_sgpr_count 2
		.amdhsa_user_sgpr_dispatch_ptr 0
		.amdhsa_user_sgpr_queue_ptr 0
		.amdhsa_user_sgpr_kernarg_segment_ptr 1
		.amdhsa_user_sgpr_dispatch_id 0
		.amdhsa_user_sgpr_kernarg_preload_length 0
		.amdhsa_user_sgpr_kernarg_preload_offset 0
		.amdhsa_user_sgpr_private_segment_size 0
		.amdhsa_wavefront_size32 1
		.amdhsa_uses_dynamic_stack 0
		.amdhsa_enable_private_segment 1
		.amdhsa_system_sgpr_workgroup_id_x 1
		.amdhsa_system_sgpr_workgroup_id_y 0
		.amdhsa_system_sgpr_workgroup_id_z 0
		.amdhsa_system_sgpr_workgroup_info 0
		.amdhsa_system_vgpr_workitem_id 0
		.amdhsa_next_free_vgpr 51
		.amdhsa_next_free_sgpr 34
		.amdhsa_named_barrier_count 0
		.amdhsa_reserve_vcc 1
		.amdhsa_float_round_mode_32 0
		.amdhsa_float_round_mode_16_64 0
		.amdhsa_float_denorm_mode_32 3
		.amdhsa_float_denorm_mode_16_64 3
		.amdhsa_fp16_overflow 0
		.amdhsa_memory_ordered 1
		.amdhsa_forward_progress 1
		.amdhsa_inst_pref_size 1
		.amdhsa_round_robin_scheduling 0
		.amdhsa_exception_fp_ieee_invalid_op 0
		.amdhsa_exception_fp_denorm_src 0
		.amdhsa_exception_fp_ieee_div_zero 0
		.amdhsa_exception_fp_ieee_overflow 0
		.amdhsa_exception_fp_ieee_underflow 0
		.amdhsa_exception_fp_ieee_inexact 0
		.amdhsa_exception_int_div_zero 0
	.end_amdhsa_kernel
	.section	.text._Z39paged_attention_ll4mi_QKV_mfma16_kernelIDF16_hLN4vllm18Fp8KVCacheDataTypeE1EDF16_Li16ELi128ELi256ELb1ELi14EEvPKT_PKT0_S7_ifPKiS9_S9_iPKfiiiPfSC_PS2_PT2_iSB_SB_,"axG",@progbits,_Z39paged_attention_ll4mi_QKV_mfma16_kernelIDF16_hLN4vllm18Fp8KVCacheDataTypeE1EDF16_Li16ELi128ELi256ELb1ELi14EEvPKT_PKT0_S7_ifPKiS9_S9_iPKfiiiPfSC_PS2_PT2_iSB_SB_,comdat
.Lfunc_end983:
	.size	_Z39paged_attention_ll4mi_QKV_mfma16_kernelIDF16_hLN4vllm18Fp8KVCacheDataTypeE1EDF16_Li16ELi128ELi256ELb1ELi14EEvPKT_PKT0_S7_ifPKiS9_S9_iPKfiiiPfSC_PS2_PT2_iSB_SB_, .Lfunc_end983-_Z39paged_attention_ll4mi_QKV_mfma16_kernelIDF16_hLN4vllm18Fp8KVCacheDataTypeE1EDF16_Li16ELi128ELi256ELb1ELi14EEvPKT_PKT0_S7_ifPKiS9_S9_iPKfiiiPfSC_PS2_PT2_iSB_SB_
                                        ; -- End function
	.set _Z39paged_attention_ll4mi_QKV_mfma16_kernelIDF16_hLN4vllm18Fp8KVCacheDataTypeE1EDF16_Li16ELi128ELi256ELb1ELi14EEvPKT_PKT0_S7_ifPKiS9_S9_iPKfiiiPfSC_PS2_PT2_iSB_SB_.num_vgpr, max(3, .L__assert_fail.num_vgpr)
	.set _Z39paged_attention_ll4mi_QKV_mfma16_kernelIDF16_hLN4vllm18Fp8KVCacheDataTypeE1EDF16_Li16ELi128ELi256ELb1ELi14EEvPKT_PKT0_S7_ifPKiS9_S9_iPKfiiiPfSC_PS2_PT2_iSB_SB_.num_agpr, max(0, .L__assert_fail.num_agpr)
	.set _Z39paged_attention_ll4mi_QKV_mfma16_kernelIDF16_hLN4vllm18Fp8KVCacheDataTypeE1EDF16_Li16ELi128ELi256ELb1ELi14EEvPKT_PKT0_S7_ifPKiS9_S9_iPKfiiiPfSC_PS2_PT2_iSB_SB_.numbered_sgpr, max(33, .L__assert_fail.numbered_sgpr)
	.set _Z39paged_attention_ll4mi_QKV_mfma16_kernelIDF16_hLN4vllm18Fp8KVCacheDataTypeE1EDF16_Li16ELi128ELi256ELb1ELi14EEvPKT_PKT0_S7_ifPKiS9_S9_iPKfiiiPfSC_PS2_PT2_iSB_SB_.num_named_barrier, max(0, .L__assert_fail.num_named_barrier)
	.set _Z39paged_attention_ll4mi_QKV_mfma16_kernelIDF16_hLN4vllm18Fp8KVCacheDataTypeE1EDF16_Li16ELi128ELi256ELb1ELi14EEvPKT_PKT0_S7_ifPKiS9_S9_iPKfiiiPfSC_PS2_PT2_iSB_SB_.private_seg_size, 0+max(.L__assert_fail.private_seg_size)
	.set _Z39paged_attention_ll4mi_QKV_mfma16_kernelIDF16_hLN4vllm18Fp8KVCacheDataTypeE1EDF16_Li16ELi128ELi256ELb1ELi14EEvPKT_PKT0_S7_ifPKiS9_S9_iPKfiiiPfSC_PS2_PT2_iSB_SB_.uses_vcc, or(1, .L__assert_fail.uses_vcc)
	.set _Z39paged_attention_ll4mi_QKV_mfma16_kernelIDF16_hLN4vllm18Fp8KVCacheDataTypeE1EDF16_Li16ELi128ELi256ELb1ELi14EEvPKT_PKT0_S7_ifPKiS9_S9_iPKfiiiPfSC_PS2_PT2_iSB_SB_.uses_flat_scratch, or(0, .L__assert_fail.uses_flat_scratch)
	.set _Z39paged_attention_ll4mi_QKV_mfma16_kernelIDF16_hLN4vllm18Fp8KVCacheDataTypeE1EDF16_Li16ELi128ELi256ELb1ELi14EEvPKT_PKT0_S7_ifPKiS9_S9_iPKfiiiPfSC_PS2_PT2_iSB_SB_.has_dyn_sized_stack, or(0, .L__assert_fail.has_dyn_sized_stack)
	.set _Z39paged_attention_ll4mi_QKV_mfma16_kernelIDF16_hLN4vllm18Fp8KVCacheDataTypeE1EDF16_Li16ELi128ELi256ELb1ELi14EEvPKT_PKT0_S7_ifPKiS9_S9_iPKfiiiPfSC_PS2_PT2_iSB_SB_.has_recursion, or(0, .L__assert_fail.has_recursion)
	.set _Z39paged_attention_ll4mi_QKV_mfma16_kernelIDF16_hLN4vllm18Fp8KVCacheDataTypeE1EDF16_Li16ELi128ELi256ELb1ELi14EEvPKT_PKT0_S7_ifPKiS9_S9_iPKfiiiPfSC_PS2_PT2_iSB_SB_.has_indirect_call, or(0, .L__assert_fail.has_indirect_call)
	.section	.AMDGPU.csdata,"",@progbits
; Kernel info:
; codeLenInByte = 68
; TotalNumSgprs: 36
; NumVgprs: 51
; ScratchSize: 64
; MemoryBound: 0
; FloatMode: 240
; IeeeMode: 1
; LDSByteSize: 0 bytes/workgroup (compile time only)
; SGPRBlocks: 0
; VGPRBlocks: 3
; NumSGPRsForWavesPerEU: 36
; NumVGPRsForWavesPerEU: 51
; NamedBarCnt: 0
; Occupancy: 16
; WaveLimiterHint : 1
; COMPUTE_PGM_RSRC2:SCRATCH_EN: 1
; COMPUTE_PGM_RSRC2:USER_SGPR: 2
; COMPUTE_PGM_RSRC2:TRAP_HANDLER: 0
; COMPUTE_PGM_RSRC2:TGID_X_EN: 1
; COMPUTE_PGM_RSRC2:TGID_Y_EN: 0
; COMPUTE_PGM_RSRC2:TGID_Z_EN: 0
; COMPUTE_PGM_RSRC2:TIDIG_COMP_CNT: 0
	.section	.text._Z39paged_attention_ll4mi_QKV_mfma16_kernelIDF16_hLN4vllm18Fp8KVCacheDataTypeE1EDF16_Li16ELi128ELi256ELb1ELi15EEvPKT_PKT0_S7_ifPKiS9_S9_iPKfiiiPfSC_PS2_PT2_iSB_SB_,"axG",@progbits,_Z39paged_attention_ll4mi_QKV_mfma16_kernelIDF16_hLN4vllm18Fp8KVCacheDataTypeE1EDF16_Li16ELi128ELi256ELb1ELi15EEvPKT_PKT0_S7_ifPKiS9_S9_iPKfiiiPfSC_PS2_PT2_iSB_SB_,comdat
	.protected	_Z39paged_attention_ll4mi_QKV_mfma16_kernelIDF16_hLN4vllm18Fp8KVCacheDataTypeE1EDF16_Li16ELi128ELi256ELb1ELi15EEvPKT_PKT0_S7_ifPKiS9_S9_iPKfiiiPfSC_PS2_PT2_iSB_SB_ ; -- Begin function _Z39paged_attention_ll4mi_QKV_mfma16_kernelIDF16_hLN4vllm18Fp8KVCacheDataTypeE1EDF16_Li16ELi128ELi256ELb1ELi15EEvPKT_PKT0_S7_ifPKiS9_S9_iPKfiiiPfSC_PS2_PT2_iSB_SB_
	.globl	_Z39paged_attention_ll4mi_QKV_mfma16_kernelIDF16_hLN4vllm18Fp8KVCacheDataTypeE1EDF16_Li16ELi128ELi256ELb1ELi15EEvPKT_PKT0_S7_ifPKiS9_S9_iPKfiiiPfSC_PS2_PT2_iSB_SB_
	.p2align	8
	.type	_Z39paged_attention_ll4mi_QKV_mfma16_kernelIDF16_hLN4vllm18Fp8KVCacheDataTypeE1EDF16_Li16ELi128ELi256ELb1ELi15EEvPKT_PKT0_S7_ifPKiS9_S9_iPKfiiiPfSC_PS2_PT2_iSB_SB_,@function
_Z39paged_attention_ll4mi_QKV_mfma16_kernelIDF16_hLN4vllm18Fp8KVCacheDataTypeE1EDF16_Li16ELi128ELi256ELb1ELi15EEvPKT_PKT0_S7_ifPKiS9_S9_iPKfiiiPfSC_PS2_PT2_iSB_SB_: ; @_Z39paged_attention_ll4mi_QKV_mfma16_kernelIDF16_hLN4vllm18Fp8KVCacheDataTypeE1EDF16_Li16ELi128ELi256ELb1ELi15EEvPKT_PKT0_S7_ifPKiS9_S9_iPKfiiiPfSC_PS2_PT2_iSB_SB_
; %bb.0:
	s_get_pc_i64 s[2:3]
	s_add_nc_u64 s[2:3], s[2:3], __PRETTY_FUNCTION__._Z39paged_attention_ll4mi_QKV_mfma16_kernelIDF16_hLN4vllm18Fp8KVCacheDataTypeE1EDF16_Li16ELi128ELi256ELb1ELi15EEvPKT_PKT0_S7_ifPKiS9_S9_iPKfiiiPfSC_PS2_PT2_iSB_SB_@rel64+4
	s_delay_alu instid0(SALU_CYCLE_1)
	v_dual_mov_b32 v0, 0xbb3 :: v_dual_mov_b32 v1, s2
	v_mov_b32_e32 v2, s3
	s_add_nc_u64 s[8:9], s[0:1], 0x90
	s_get_pc_i64 s[0:1]
	s_add_nc_u64 s[0:1], s[0:1], __assert_fail@rel64+4
	s_mov_b32 s32, 0
	s_swap_pc_i64 s[30:31], s[0:1]
	.section	.rodata,"a",@progbits
	.p2align	6, 0x0
	.amdhsa_kernel _Z39paged_attention_ll4mi_QKV_mfma16_kernelIDF16_hLN4vllm18Fp8KVCacheDataTypeE1EDF16_Li16ELi128ELi256ELb1ELi15EEvPKT_PKT0_S7_ifPKiS9_S9_iPKfiiiPfSC_PS2_PT2_iSB_SB_
		.amdhsa_group_segment_fixed_size 0
		.amdhsa_private_segment_fixed_size 64
		.amdhsa_kernarg_size 400
		.amdhsa_user_sgpr_count 2
		.amdhsa_user_sgpr_dispatch_ptr 0
		.amdhsa_user_sgpr_queue_ptr 0
		.amdhsa_user_sgpr_kernarg_segment_ptr 1
		.amdhsa_user_sgpr_dispatch_id 0
		.amdhsa_user_sgpr_kernarg_preload_length 0
		.amdhsa_user_sgpr_kernarg_preload_offset 0
		.amdhsa_user_sgpr_private_segment_size 0
		.amdhsa_wavefront_size32 1
		.amdhsa_uses_dynamic_stack 0
		.amdhsa_enable_private_segment 1
		.amdhsa_system_sgpr_workgroup_id_x 1
		.amdhsa_system_sgpr_workgroup_id_y 0
		.amdhsa_system_sgpr_workgroup_id_z 0
		.amdhsa_system_sgpr_workgroup_info 0
		.amdhsa_system_vgpr_workitem_id 0
		.amdhsa_next_free_vgpr 51
		.amdhsa_next_free_sgpr 34
		.amdhsa_named_barrier_count 0
		.amdhsa_reserve_vcc 1
		.amdhsa_float_round_mode_32 0
		.amdhsa_float_round_mode_16_64 0
		.amdhsa_float_denorm_mode_32 3
		.amdhsa_float_denorm_mode_16_64 3
		.amdhsa_fp16_overflow 0
		.amdhsa_memory_ordered 1
		.amdhsa_forward_progress 1
		.amdhsa_inst_pref_size 1
		.amdhsa_round_robin_scheduling 0
		.amdhsa_exception_fp_ieee_invalid_op 0
		.amdhsa_exception_fp_denorm_src 0
		.amdhsa_exception_fp_ieee_div_zero 0
		.amdhsa_exception_fp_ieee_overflow 0
		.amdhsa_exception_fp_ieee_underflow 0
		.amdhsa_exception_fp_ieee_inexact 0
		.amdhsa_exception_int_div_zero 0
	.end_amdhsa_kernel
	.section	.text._Z39paged_attention_ll4mi_QKV_mfma16_kernelIDF16_hLN4vllm18Fp8KVCacheDataTypeE1EDF16_Li16ELi128ELi256ELb1ELi15EEvPKT_PKT0_S7_ifPKiS9_S9_iPKfiiiPfSC_PS2_PT2_iSB_SB_,"axG",@progbits,_Z39paged_attention_ll4mi_QKV_mfma16_kernelIDF16_hLN4vllm18Fp8KVCacheDataTypeE1EDF16_Li16ELi128ELi256ELb1ELi15EEvPKT_PKT0_S7_ifPKiS9_S9_iPKfiiiPfSC_PS2_PT2_iSB_SB_,comdat
.Lfunc_end984:
	.size	_Z39paged_attention_ll4mi_QKV_mfma16_kernelIDF16_hLN4vllm18Fp8KVCacheDataTypeE1EDF16_Li16ELi128ELi256ELb1ELi15EEvPKT_PKT0_S7_ifPKiS9_S9_iPKfiiiPfSC_PS2_PT2_iSB_SB_, .Lfunc_end984-_Z39paged_attention_ll4mi_QKV_mfma16_kernelIDF16_hLN4vllm18Fp8KVCacheDataTypeE1EDF16_Li16ELi128ELi256ELb1ELi15EEvPKT_PKT0_S7_ifPKiS9_S9_iPKfiiiPfSC_PS2_PT2_iSB_SB_
                                        ; -- End function
	.set _Z39paged_attention_ll4mi_QKV_mfma16_kernelIDF16_hLN4vllm18Fp8KVCacheDataTypeE1EDF16_Li16ELi128ELi256ELb1ELi15EEvPKT_PKT0_S7_ifPKiS9_S9_iPKfiiiPfSC_PS2_PT2_iSB_SB_.num_vgpr, max(3, .L__assert_fail.num_vgpr)
	.set _Z39paged_attention_ll4mi_QKV_mfma16_kernelIDF16_hLN4vllm18Fp8KVCacheDataTypeE1EDF16_Li16ELi128ELi256ELb1ELi15EEvPKT_PKT0_S7_ifPKiS9_S9_iPKfiiiPfSC_PS2_PT2_iSB_SB_.num_agpr, max(0, .L__assert_fail.num_agpr)
	.set _Z39paged_attention_ll4mi_QKV_mfma16_kernelIDF16_hLN4vllm18Fp8KVCacheDataTypeE1EDF16_Li16ELi128ELi256ELb1ELi15EEvPKT_PKT0_S7_ifPKiS9_S9_iPKfiiiPfSC_PS2_PT2_iSB_SB_.numbered_sgpr, max(33, .L__assert_fail.numbered_sgpr)
	.set _Z39paged_attention_ll4mi_QKV_mfma16_kernelIDF16_hLN4vllm18Fp8KVCacheDataTypeE1EDF16_Li16ELi128ELi256ELb1ELi15EEvPKT_PKT0_S7_ifPKiS9_S9_iPKfiiiPfSC_PS2_PT2_iSB_SB_.num_named_barrier, max(0, .L__assert_fail.num_named_barrier)
	.set _Z39paged_attention_ll4mi_QKV_mfma16_kernelIDF16_hLN4vllm18Fp8KVCacheDataTypeE1EDF16_Li16ELi128ELi256ELb1ELi15EEvPKT_PKT0_S7_ifPKiS9_S9_iPKfiiiPfSC_PS2_PT2_iSB_SB_.private_seg_size, 0+max(.L__assert_fail.private_seg_size)
	.set _Z39paged_attention_ll4mi_QKV_mfma16_kernelIDF16_hLN4vllm18Fp8KVCacheDataTypeE1EDF16_Li16ELi128ELi256ELb1ELi15EEvPKT_PKT0_S7_ifPKiS9_S9_iPKfiiiPfSC_PS2_PT2_iSB_SB_.uses_vcc, or(1, .L__assert_fail.uses_vcc)
	.set _Z39paged_attention_ll4mi_QKV_mfma16_kernelIDF16_hLN4vllm18Fp8KVCacheDataTypeE1EDF16_Li16ELi128ELi256ELb1ELi15EEvPKT_PKT0_S7_ifPKiS9_S9_iPKfiiiPfSC_PS2_PT2_iSB_SB_.uses_flat_scratch, or(0, .L__assert_fail.uses_flat_scratch)
	.set _Z39paged_attention_ll4mi_QKV_mfma16_kernelIDF16_hLN4vllm18Fp8KVCacheDataTypeE1EDF16_Li16ELi128ELi256ELb1ELi15EEvPKT_PKT0_S7_ifPKiS9_S9_iPKfiiiPfSC_PS2_PT2_iSB_SB_.has_dyn_sized_stack, or(0, .L__assert_fail.has_dyn_sized_stack)
	.set _Z39paged_attention_ll4mi_QKV_mfma16_kernelIDF16_hLN4vllm18Fp8KVCacheDataTypeE1EDF16_Li16ELi128ELi256ELb1ELi15EEvPKT_PKT0_S7_ifPKiS9_S9_iPKfiiiPfSC_PS2_PT2_iSB_SB_.has_recursion, or(0, .L__assert_fail.has_recursion)
	.set _Z39paged_attention_ll4mi_QKV_mfma16_kernelIDF16_hLN4vllm18Fp8KVCacheDataTypeE1EDF16_Li16ELi128ELi256ELb1ELi15EEvPKT_PKT0_S7_ifPKiS9_S9_iPKfiiiPfSC_PS2_PT2_iSB_SB_.has_indirect_call, or(0, .L__assert_fail.has_indirect_call)
	.section	.AMDGPU.csdata,"",@progbits
; Kernel info:
; codeLenInByte = 68
; TotalNumSgprs: 36
; NumVgprs: 51
; ScratchSize: 64
; MemoryBound: 0
; FloatMode: 240
; IeeeMode: 1
; LDSByteSize: 0 bytes/workgroup (compile time only)
; SGPRBlocks: 0
; VGPRBlocks: 3
; NumSGPRsForWavesPerEU: 36
; NumVGPRsForWavesPerEU: 51
; NamedBarCnt: 0
; Occupancy: 16
; WaveLimiterHint : 1
; COMPUTE_PGM_RSRC2:SCRATCH_EN: 1
; COMPUTE_PGM_RSRC2:USER_SGPR: 2
; COMPUTE_PGM_RSRC2:TRAP_HANDLER: 0
; COMPUTE_PGM_RSRC2:TGID_X_EN: 1
; COMPUTE_PGM_RSRC2:TGID_Y_EN: 0
; COMPUTE_PGM_RSRC2:TGID_Z_EN: 0
; COMPUTE_PGM_RSRC2:TIDIG_COMP_CNT: 0
	.section	.text._Z39paged_attention_ll4mi_QKV_mfma16_kernelIDF16_hLN4vllm18Fp8KVCacheDataTypeE1EDF16_Li16ELi128ELi256ELb1ELi16EEvPKT_PKT0_S7_ifPKiS9_S9_iPKfiiiPfSC_PS2_PT2_iSB_SB_,"axG",@progbits,_Z39paged_attention_ll4mi_QKV_mfma16_kernelIDF16_hLN4vllm18Fp8KVCacheDataTypeE1EDF16_Li16ELi128ELi256ELb1ELi16EEvPKT_PKT0_S7_ifPKiS9_S9_iPKfiiiPfSC_PS2_PT2_iSB_SB_,comdat
	.protected	_Z39paged_attention_ll4mi_QKV_mfma16_kernelIDF16_hLN4vllm18Fp8KVCacheDataTypeE1EDF16_Li16ELi128ELi256ELb1ELi16EEvPKT_PKT0_S7_ifPKiS9_S9_iPKfiiiPfSC_PS2_PT2_iSB_SB_ ; -- Begin function _Z39paged_attention_ll4mi_QKV_mfma16_kernelIDF16_hLN4vllm18Fp8KVCacheDataTypeE1EDF16_Li16ELi128ELi256ELb1ELi16EEvPKT_PKT0_S7_ifPKiS9_S9_iPKfiiiPfSC_PS2_PT2_iSB_SB_
	.globl	_Z39paged_attention_ll4mi_QKV_mfma16_kernelIDF16_hLN4vllm18Fp8KVCacheDataTypeE1EDF16_Li16ELi128ELi256ELb1ELi16EEvPKT_PKT0_S7_ifPKiS9_S9_iPKfiiiPfSC_PS2_PT2_iSB_SB_
	.p2align	8
	.type	_Z39paged_attention_ll4mi_QKV_mfma16_kernelIDF16_hLN4vllm18Fp8KVCacheDataTypeE1EDF16_Li16ELi128ELi256ELb1ELi16EEvPKT_PKT0_S7_ifPKiS9_S9_iPKfiiiPfSC_PS2_PT2_iSB_SB_,@function
_Z39paged_attention_ll4mi_QKV_mfma16_kernelIDF16_hLN4vllm18Fp8KVCacheDataTypeE1EDF16_Li16ELi128ELi256ELb1ELi16EEvPKT_PKT0_S7_ifPKiS9_S9_iPKfiiiPfSC_PS2_PT2_iSB_SB_: ; @_Z39paged_attention_ll4mi_QKV_mfma16_kernelIDF16_hLN4vllm18Fp8KVCacheDataTypeE1EDF16_Li16ELi128ELi256ELb1ELi16EEvPKT_PKT0_S7_ifPKiS9_S9_iPKfiiiPfSC_PS2_PT2_iSB_SB_
; %bb.0:
	s_get_pc_i64 s[2:3]
	s_add_nc_u64 s[2:3], s[2:3], __PRETTY_FUNCTION__._Z39paged_attention_ll4mi_QKV_mfma16_kernelIDF16_hLN4vllm18Fp8KVCacheDataTypeE1EDF16_Li16ELi128ELi256ELb1ELi16EEvPKT_PKT0_S7_ifPKiS9_S9_iPKfiiiPfSC_PS2_PT2_iSB_SB_@rel64+4
	s_delay_alu instid0(SALU_CYCLE_1)
	v_dual_mov_b32 v0, 0xbb3 :: v_dual_mov_b32 v1, s2
	v_mov_b32_e32 v2, s3
	s_add_nc_u64 s[8:9], s[0:1], 0x90
	s_get_pc_i64 s[0:1]
	s_add_nc_u64 s[0:1], s[0:1], __assert_fail@rel64+4
	s_mov_b32 s32, 0
	s_swap_pc_i64 s[30:31], s[0:1]
	.section	.rodata,"a",@progbits
	.p2align	6, 0x0
	.amdhsa_kernel _Z39paged_attention_ll4mi_QKV_mfma16_kernelIDF16_hLN4vllm18Fp8KVCacheDataTypeE1EDF16_Li16ELi128ELi256ELb1ELi16EEvPKT_PKT0_S7_ifPKiS9_S9_iPKfiiiPfSC_PS2_PT2_iSB_SB_
		.amdhsa_group_segment_fixed_size 0
		.amdhsa_private_segment_fixed_size 64
		.amdhsa_kernarg_size 400
		.amdhsa_user_sgpr_count 2
		.amdhsa_user_sgpr_dispatch_ptr 0
		.amdhsa_user_sgpr_queue_ptr 0
		.amdhsa_user_sgpr_kernarg_segment_ptr 1
		.amdhsa_user_sgpr_dispatch_id 0
		.amdhsa_user_sgpr_kernarg_preload_length 0
		.amdhsa_user_sgpr_kernarg_preload_offset 0
		.amdhsa_user_sgpr_private_segment_size 0
		.amdhsa_wavefront_size32 1
		.amdhsa_uses_dynamic_stack 0
		.amdhsa_enable_private_segment 1
		.amdhsa_system_sgpr_workgroup_id_x 1
		.amdhsa_system_sgpr_workgroup_id_y 0
		.amdhsa_system_sgpr_workgroup_id_z 0
		.amdhsa_system_sgpr_workgroup_info 0
		.amdhsa_system_vgpr_workitem_id 0
		.amdhsa_next_free_vgpr 51
		.amdhsa_next_free_sgpr 34
		.amdhsa_named_barrier_count 0
		.amdhsa_reserve_vcc 1
		.amdhsa_float_round_mode_32 0
		.amdhsa_float_round_mode_16_64 0
		.amdhsa_float_denorm_mode_32 3
		.amdhsa_float_denorm_mode_16_64 3
		.amdhsa_fp16_overflow 0
		.amdhsa_memory_ordered 1
		.amdhsa_forward_progress 1
		.amdhsa_inst_pref_size 1
		.amdhsa_round_robin_scheduling 0
		.amdhsa_exception_fp_ieee_invalid_op 0
		.amdhsa_exception_fp_denorm_src 0
		.amdhsa_exception_fp_ieee_div_zero 0
		.amdhsa_exception_fp_ieee_overflow 0
		.amdhsa_exception_fp_ieee_underflow 0
		.amdhsa_exception_fp_ieee_inexact 0
		.amdhsa_exception_int_div_zero 0
	.end_amdhsa_kernel
	.section	.text._Z39paged_attention_ll4mi_QKV_mfma16_kernelIDF16_hLN4vllm18Fp8KVCacheDataTypeE1EDF16_Li16ELi128ELi256ELb1ELi16EEvPKT_PKT0_S7_ifPKiS9_S9_iPKfiiiPfSC_PS2_PT2_iSB_SB_,"axG",@progbits,_Z39paged_attention_ll4mi_QKV_mfma16_kernelIDF16_hLN4vllm18Fp8KVCacheDataTypeE1EDF16_Li16ELi128ELi256ELb1ELi16EEvPKT_PKT0_S7_ifPKiS9_S9_iPKfiiiPfSC_PS2_PT2_iSB_SB_,comdat
.Lfunc_end985:
	.size	_Z39paged_attention_ll4mi_QKV_mfma16_kernelIDF16_hLN4vllm18Fp8KVCacheDataTypeE1EDF16_Li16ELi128ELi256ELb1ELi16EEvPKT_PKT0_S7_ifPKiS9_S9_iPKfiiiPfSC_PS2_PT2_iSB_SB_, .Lfunc_end985-_Z39paged_attention_ll4mi_QKV_mfma16_kernelIDF16_hLN4vllm18Fp8KVCacheDataTypeE1EDF16_Li16ELi128ELi256ELb1ELi16EEvPKT_PKT0_S7_ifPKiS9_S9_iPKfiiiPfSC_PS2_PT2_iSB_SB_
                                        ; -- End function
	.set _Z39paged_attention_ll4mi_QKV_mfma16_kernelIDF16_hLN4vllm18Fp8KVCacheDataTypeE1EDF16_Li16ELi128ELi256ELb1ELi16EEvPKT_PKT0_S7_ifPKiS9_S9_iPKfiiiPfSC_PS2_PT2_iSB_SB_.num_vgpr, max(3, .L__assert_fail.num_vgpr)
	.set _Z39paged_attention_ll4mi_QKV_mfma16_kernelIDF16_hLN4vllm18Fp8KVCacheDataTypeE1EDF16_Li16ELi128ELi256ELb1ELi16EEvPKT_PKT0_S7_ifPKiS9_S9_iPKfiiiPfSC_PS2_PT2_iSB_SB_.num_agpr, max(0, .L__assert_fail.num_agpr)
	.set _Z39paged_attention_ll4mi_QKV_mfma16_kernelIDF16_hLN4vllm18Fp8KVCacheDataTypeE1EDF16_Li16ELi128ELi256ELb1ELi16EEvPKT_PKT0_S7_ifPKiS9_S9_iPKfiiiPfSC_PS2_PT2_iSB_SB_.numbered_sgpr, max(33, .L__assert_fail.numbered_sgpr)
	.set _Z39paged_attention_ll4mi_QKV_mfma16_kernelIDF16_hLN4vllm18Fp8KVCacheDataTypeE1EDF16_Li16ELi128ELi256ELb1ELi16EEvPKT_PKT0_S7_ifPKiS9_S9_iPKfiiiPfSC_PS2_PT2_iSB_SB_.num_named_barrier, max(0, .L__assert_fail.num_named_barrier)
	.set _Z39paged_attention_ll4mi_QKV_mfma16_kernelIDF16_hLN4vllm18Fp8KVCacheDataTypeE1EDF16_Li16ELi128ELi256ELb1ELi16EEvPKT_PKT0_S7_ifPKiS9_S9_iPKfiiiPfSC_PS2_PT2_iSB_SB_.private_seg_size, 0+max(.L__assert_fail.private_seg_size)
	.set _Z39paged_attention_ll4mi_QKV_mfma16_kernelIDF16_hLN4vllm18Fp8KVCacheDataTypeE1EDF16_Li16ELi128ELi256ELb1ELi16EEvPKT_PKT0_S7_ifPKiS9_S9_iPKfiiiPfSC_PS2_PT2_iSB_SB_.uses_vcc, or(1, .L__assert_fail.uses_vcc)
	.set _Z39paged_attention_ll4mi_QKV_mfma16_kernelIDF16_hLN4vllm18Fp8KVCacheDataTypeE1EDF16_Li16ELi128ELi256ELb1ELi16EEvPKT_PKT0_S7_ifPKiS9_S9_iPKfiiiPfSC_PS2_PT2_iSB_SB_.uses_flat_scratch, or(0, .L__assert_fail.uses_flat_scratch)
	.set _Z39paged_attention_ll4mi_QKV_mfma16_kernelIDF16_hLN4vllm18Fp8KVCacheDataTypeE1EDF16_Li16ELi128ELi256ELb1ELi16EEvPKT_PKT0_S7_ifPKiS9_S9_iPKfiiiPfSC_PS2_PT2_iSB_SB_.has_dyn_sized_stack, or(0, .L__assert_fail.has_dyn_sized_stack)
	.set _Z39paged_attention_ll4mi_QKV_mfma16_kernelIDF16_hLN4vllm18Fp8KVCacheDataTypeE1EDF16_Li16ELi128ELi256ELb1ELi16EEvPKT_PKT0_S7_ifPKiS9_S9_iPKfiiiPfSC_PS2_PT2_iSB_SB_.has_recursion, or(0, .L__assert_fail.has_recursion)
	.set _Z39paged_attention_ll4mi_QKV_mfma16_kernelIDF16_hLN4vllm18Fp8KVCacheDataTypeE1EDF16_Li16ELi128ELi256ELb1ELi16EEvPKT_PKT0_S7_ifPKiS9_S9_iPKfiiiPfSC_PS2_PT2_iSB_SB_.has_indirect_call, or(0, .L__assert_fail.has_indirect_call)
	.section	.AMDGPU.csdata,"",@progbits
; Kernel info:
; codeLenInByte = 68
; TotalNumSgprs: 36
; NumVgprs: 51
; ScratchSize: 64
; MemoryBound: 0
; FloatMode: 240
; IeeeMode: 1
; LDSByteSize: 0 bytes/workgroup (compile time only)
; SGPRBlocks: 0
; VGPRBlocks: 3
; NumSGPRsForWavesPerEU: 36
; NumVGPRsForWavesPerEU: 51
; NamedBarCnt: 0
; Occupancy: 16
; WaveLimiterHint : 1
; COMPUTE_PGM_RSRC2:SCRATCH_EN: 1
; COMPUTE_PGM_RSRC2:USER_SGPR: 2
; COMPUTE_PGM_RSRC2:TRAP_HANDLER: 0
; COMPUTE_PGM_RSRC2:TGID_X_EN: 1
; COMPUTE_PGM_RSRC2:TGID_Y_EN: 0
; COMPUTE_PGM_RSRC2:TGID_Z_EN: 0
; COMPUTE_PGM_RSRC2:TIDIG_COMP_CNT: 0
	.section	.text._Z39paged_attention_ll4mi_QKV_mfma16_kernelIDF16_hLN4vllm18Fp8KVCacheDataTypeE1EDF16_Li16ELi128ELi256ELb1ELi1EEvPKT_PKT0_S7_ifPKiS9_S9_iPKfiiiPfSC_PS2_PT2_iSB_SB_,"axG",@progbits,_Z39paged_attention_ll4mi_QKV_mfma16_kernelIDF16_hLN4vllm18Fp8KVCacheDataTypeE1EDF16_Li16ELi128ELi256ELb1ELi1EEvPKT_PKT0_S7_ifPKiS9_S9_iPKfiiiPfSC_PS2_PT2_iSB_SB_,comdat
	.protected	_Z39paged_attention_ll4mi_QKV_mfma16_kernelIDF16_hLN4vllm18Fp8KVCacheDataTypeE1EDF16_Li16ELi128ELi256ELb1ELi1EEvPKT_PKT0_S7_ifPKiS9_S9_iPKfiiiPfSC_PS2_PT2_iSB_SB_ ; -- Begin function _Z39paged_attention_ll4mi_QKV_mfma16_kernelIDF16_hLN4vllm18Fp8KVCacheDataTypeE1EDF16_Li16ELi128ELi256ELb1ELi1EEvPKT_PKT0_S7_ifPKiS9_S9_iPKfiiiPfSC_PS2_PT2_iSB_SB_
	.globl	_Z39paged_attention_ll4mi_QKV_mfma16_kernelIDF16_hLN4vllm18Fp8KVCacheDataTypeE1EDF16_Li16ELi128ELi256ELb1ELi1EEvPKT_PKT0_S7_ifPKiS9_S9_iPKfiiiPfSC_PS2_PT2_iSB_SB_
	.p2align	8
	.type	_Z39paged_attention_ll4mi_QKV_mfma16_kernelIDF16_hLN4vllm18Fp8KVCacheDataTypeE1EDF16_Li16ELi128ELi256ELb1ELi1EEvPKT_PKT0_S7_ifPKiS9_S9_iPKfiiiPfSC_PS2_PT2_iSB_SB_,@function
_Z39paged_attention_ll4mi_QKV_mfma16_kernelIDF16_hLN4vllm18Fp8KVCacheDataTypeE1EDF16_Li16ELi128ELi256ELb1ELi1EEvPKT_PKT0_S7_ifPKiS9_S9_iPKfiiiPfSC_PS2_PT2_iSB_SB_: ; @_Z39paged_attention_ll4mi_QKV_mfma16_kernelIDF16_hLN4vllm18Fp8KVCacheDataTypeE1EDF16_Li16ELi128ELi256ELb1ELi1EEvPKT_PKT0_S7_ifPKiS9_S9_iPKfiiiPfSC_PS2_PT2_iSB_SB_
; %bb.0:
	s_get_pc_i64 s[2:3]
	s_add_nc_u64 s[2:3], s[2:3], __PRETTY_FUNCTION__._Z39paged_attention_ll4mi_QKV_mfma16_kernelIDF16_hLN4vllm18Fp8KVCacheDataTypeE1EDF16_Li16ELi128ELi256ELb1ELi1EEvPKT_PKT0_S7_ifPKiS9_S9_iPKfiiiPfSC_PS2_PT2_iSB_SB_@rel64+4
	s_delay_alu instid0(SALU_CYCLE_1)
	v_dual_mov_b32 v0, 0xbb3 :: v_dual_mov_b32 v1, s2
	v_mov_b32_e32 v2, s3
	s_add_nc_u64 s[8:9], s[0:1], 0x90
	s_get_pc_i64 s[0:1]
	s_add_nc_u64 s[0:1], s[0:1], __assert_fail@rel64+4
	s_mov_b32 s32, 0
	s_swap_pc_i64 s[30:31], s[0:1]
	.section	.rodata,"a",@progbits
	.p2align	6, 0x0
	.amdhsa_kernel _Z39paged_attention_ll4mi_QKV_mfma16_kernelIDF16_hLN4vllm18Fp8KVCacheDataTypeE1EDF16_Li16ELi128ELi256ELb1ELi1EEvPKT_PKT0_S7_ifPKiS9_S9_iPKfiiiPfSC_PS2_PT2_iSB_SB_
		.amdhsa_group_segment_fixed_size 0
		.amdhsa_private_segment_fixed_size 64
		.amdhsa_kernarg_size 400
		.amdhsa_user_sgpr_count 2
		.amdhsa_user_sgpr_dispatch_ptr 0
		.amdhsa_user_sgpr_queue_ptr 0
		.amdhsa_user_sgpr_kernarg_segment_ptr 1
		.amdhsa_user_sgpr_dispatch_id 0
		.amdhsa_user_sgpr_kernarg_preload_length 0
		.amdhsa_user_sgpr_kernarg_preload_offset 0
		.amdhsa_user_sgpr_private_segment_size 0
		.amdhsa_wavefront_size32 1
		.amdhsa_uses_dynamic_stack 0
		.amdhsa_enable_private_segment 1
		.amdhsa_system_sgpr_workgroup_id_x 1
		.amdhsa_system_sgpr_workgroup_id_y 0
		.amdhsa_system_sgpr_workgroup_id_z 0
		.amdhsa_system_sgpr_workgroup_info 0
		.amdhsa_system_vgpr_workitem_id 0
		.amdhsa_next_free_vgpr 51
		.amdhsa_next_free_sgpr 34
		.amdhsa_named_barrier_count 0
		.amdhsa_reserve_vcc 1
		.amdhsa_float_round_mode_32 0
		.amdhsa_float_round_mode_16_64 0
		.amdhsa_float_denorm_mode_32 3
		.amdhsa_float_denorm_mode_16_64 3
		.amdhsa_fp16_overflow 0
		.amdhsa_memory_ordered 1
		.amdhsa_forward_progress 1
		.amdhsa_inst_pref_size 1
		.amdhsa_round_robin_scheduling 0
		.amdhsa_exception_fp_ieee_invalid_op 0
		.amdhsa_exception_fp_denorm_src 0
		.amdhsa_exception_fp_ieee_div_zero 0
		.amdhsa_exception_fp_ieee_overflow 0
		.amdhsa_exception_fp_ieee_underflow 0
		.amdhsa_exception_fp_ieee_inexact 0
		.amdhsa_exception_int_div_zero 0
	.end_amdhsa_kernel
	.section	.text._Z39paged_attention_ll4mi_QKV_mfma16_kernelIDF16_hLN4vllm18Fp8KVCacheDataTypeE1EDF16_Li16ELi128ELi256ELb1ELi1EEvPKT_PKT0_S7_ifPKiS9_S9_iPKfiiiPfSC_PS2_PT2_iSB_SB_,"axG",@progbits,_Z39paged_attention_ll4mi_QKV_mfma16_kernelIDF16_hLN4vllm18Fp8KVCacheDataTypeE1EDF16_Li16ELi128ELi256ELb1ELi1EEvPKT_PKT0_S7_ifPKiS9_S9_iPKfiiiPfSC_PS2_PT2_iSB_SB_,comdat
.Lfunc_end986:
	.size	_Z39paged_attention_ll4mi_QKV_mfma16_kernelIDF16_hLN4vllm18Fp8KVCacheDataTypeE1EDF16_Li16ELi128ELi256ELb1ELi1EEvPKT_PKT0_S7_ifPKiS9_S9_iPKfiiiPfSC_PS2_PT2_iSB_SB_, .Lfunc_end986-_Z39paged_attention_ll4mi_QKV_mfma16_kernelIDF16_hLN4vllm18Fp8KVCacheDataTypeE1EDF16_Li16ELi128ELi256ELb1ELi1EEvPKT_PKT0_S7_ifPKiS9_S9_iPKfiiiPfSC_PS2_PT2_iSB_SB_
                                        ; -- End function
	.set _Z39paged_attention_ll4mi_QKV_mfma16_kernelIDF16_hLN4vllm18Fp8KVCacheDataTypeE1EDF16_Li16ELi128ELi256ELb1ELi1EEvPKT_PKT0_S7_ifPKiS9_S9_iPKfiiiPfSC_PS2_PT2_iSB_SB_.num_vgpr, max(3, .L__assert_fail.num_vgpr)
	.set _Z39paged_attention_ll4mi_QKV_mfma16_kernelIDF16_hLN4vllm18Fp8KVCacheDataTypeE1EDF16_Li16ELi128ELi256ELb1ELi1EEvPKT_PKT0_S7_ifPKiS9_S9_iPKfiiiPfSC_PS2_PT2_iSB_SB_.num_agpr, max(0, .L__assert_fail.num_agpr)
	.set _Z39paged_attention_ll4mi_QKV_mfma16_kernelIDF16_hLN4vllm18Fp8KVCacheDataTypeE1EDF16_Li16ELi128ELi256ELb1ELi1EEvPKT_PKT0_S7_ifPKiS9_S9_iPKfiiiPfSC_PS2_PT2_iSB_SB_.numbered_sgpr, max(33, .L__assert_fail.numbered_sgpr)
	.set _Z39paged_attention_ll4mi_QKV_mfma16_kernelIDF16_hLN4vllm18Fp8KVCacheDataTypeE1EDF16_Li16ELi128ELi256ELb1ELi1EEvPKT_PKT0_S7_ifPKiS9_S9_iPKfiiiPfSC_PS2_PT2_iSB_SB_.num_named_barrier, max(0, .L__assert_fail.num_named_barrier)
	.set _Z39paged_attention_ll4mi_QKV_mfma16_kernelIDF16_hLN4vllm18Fp8KVCacheDataTypeE1EDF16_Li16ELi128ELi256ELb1ELi1EEvPKT_PKT0_S7_ifPKiS9_S9_iPKfiiiPfSC_PS2_PT2_iSB_SB_.private_seg_size, 0+max(.L__assert_fail.private_seg_size)
	.set _Z39paged_attention_ll4mi_QKV_mfma16_kernelIDF16_hLN4vllm18Fp8KVCacheDataTypeE1EDF16_Li16ELi128ELi256ELb1ELi1EEvPKT_PKT0_S7_ifPKiS9_S9_iPKfiiiPfSC_PS2_PT2_iSB_SB_.uses_vcc, or(1, .L__assert_fail.uses_vcc)
	.set _Z39paged_attention_ll4mi_QKV_mfma16_kernelIDF16_hLN4vllm18Fp8KVCacheDataTypeE1EDF16_Li16ELi128ELi256ELb1ELi1EEvPKT_PKT0_S7_ifPKiS9_S9_iPKfiiiPfSC_PS2_PT2_iSB_SB_.uses_flat_scratch, or(0, .L__assert_fail.uses_flat_scratch)
	.set _Z39paged_attention_ll4mi_QKV_mfma16_kernelIDF16_hLN4vllm18Fp8KVCacheDataTypeE1EDF16_Li16ELi128ELi256ELb1ELi1EEvPKT_PKT0_S7_ifPKiS9_S9_iPKfiiiPfSC_PS2_PT2_iSB_SB_.has_dyn_sized_stack, or(0, .L__assert_fail.has_dyn_sized_stack)
	.set _Z39paged_attention_ll4mi_QKV_mfma16_kernelIDF16_hLN4vllm18Fp8KVCacheDataTypeE1EDF16_Li16ELi128ELi256ELb1ELi1EEvPKT_PKT0_S7_ifPKiS9_S9_iPKfiiiPfSC_PS2_PT2_iSB_SB_.has_recursion, or(0, .L__assert_fail.has_recursion)
	.set _Z39paged_attention_ll4mi_QKV_mfma16_kernelIDF16_hLN4vllm18Fp8KVCacheDataTypeE1EDF16_Li16ELi128ELi256ELb1ELi1EEvPKT_PKT0_S7_ifPKiS9_S9_iPKfiiiPfSC_PS2_PT2_iSB_SB_.has_indirect_call, or(0, .L__assert_fail.has_indirect_call)
	.section	.AMDGPU.csdata,"",@progbits
; Kernel info:
; codeLenInByte = 68
; TotalNumSgprs: 36
; NumVgprs: 51
; ScratchSize: 64
; MemoryBound: 0
; FloatMode: 240
; IeeeMode: 1
; LDSByteSize: 0 bytes/workgroup (compile time only)
; SGPRBlocks: 0
; VGPRBlocks: 3
; NumSGPRsForWavesPerEU: 36
; NumVGPRsForWavesPerEU: 51
; NamedBarCnt: 0
; Occupancy: 16
; WaveLimiterHint : 1
; COMPUTE_PGM_RSRC2:SCRATCH_EN: 1
; COMPUTE_PGM_RSRC2:USER_SGPR: 2
; COMPUTE_PGM_RSRC2:TRAP_HANDLER: 0
; COMPUTE_PGM_RSRC2:TGID_X_EN: 1
; COMPUTE_PGM_RSRC2:TGID_Y_EN: 0
; COMPUTE_PGM_RSRC2:TGID_Z_EN: 0
; COMPUTE_PGM_RSRC2:TIDIG_COMP_CNT: 0
	.section	.text._Z39paged_attention_ll4mi_QKV_mfma16_kernelIDF16_hLN4vllm18Fp8KVCacheDataTypeE1EDF16_Li16ELi128ELi256ELb1ELi2EEvPKT_PKT0_S7_ifPKiS9_S9_iPKfiiiPfSC_PS2_PT2_iSB_SB_,"axG",@progbits,_Z39paged_attention_ll4mi_QKV_mfma16_kernelIDF16_hLN4vllm18Fp8KVCacheDataTypeE1EDF16_Li16ELi128ELi256ELb1ELi2EEvPKT_PKT0_S7_ifPKiS9_S9_iPKfiiiPfSC_PS2_PT2_iSB_SB_,comdat
	.protected	_Z39paged_attention_ll4mi_QKV_mfma16_kernelIDF16_hLN4vllm18Fp8KVCacheDataTypeE1EDF16_Li16ELi128ELi256ELb1ELi2EEvPKT_PKT0_S7_ifPKiS9_S9_iPKfiiiPfSC_PS2_PT2_iSB_SB_ ; -- Begin function _Z39paged_attention_ll4mi_QKV_mfma16_kernelIDF16_hLN4vllm18Fp8KVCacheDataTypeE1EDF16_Li16ELi128ELi256ELb1ELi2EEvPKT_PKT0_S7_ifPKiS9_S9_iPKfiiiPfSC_PS2_PT2_iSB_SB_
	.globl	_Z39paged_attention_ll4mi_QKV_mfma16_kernelIDF16_hLN4vllm18Fp8KVCacheDataTypeE1EDF16_Li16ELi128ELi256ELb1ELi2EEvPKT_PKT0_S7_ifPKiS9_S9_iPKfiiiPfSC_PS2_PT2_iSB_SB_
	.p2align	8
	.type	_Z39paged_attention_ll4mi_QKV_mfma16_kernelIDF16_hLN4vllm18Fp8KVCacheDataTypeE1EDF16_Li16ELi128ELi256ELb1ELi2EEvPKT_PKT0_S7_ifPKiS9_S9_iPKfiiiPfSC_PS2_PT2_iSB_SB_,@function
_Z39paged_attention_ll4mi_QKV_mfma16_kernelIDF16_hLN4vllm18Fp8KVCacheDataTypeE1EDF16_Li16ELi128ELi256ELb1ELi2EEvPKT_PKT0_S7_ifPKiS9_S9_iPKfiiiPfSC_PS2_PT2_iSB_SB_: ; @_Z39paged_attention_ll4mi_QKV_mfma16_kernelIDF16_hLN4vllm18Fp8KVCacheDataTypeE1EDF16_Li16ELi128ELi256ELb1ELi2EEvPKT_PKT0_S7_ifPKiS9_S9_iPKfiiiPfSC_PS2_PT2_iSB_SB_
; %bb.0:
	s_get_pc_i64 s[2:3]
	s_add_nc_u64 s[2:3], s[2:3], __PRETTY_FUNCTION__._Z39paged_attention_ll4mi_QKV_mfma16_kernelIDF16_hLN4vllm18Fp8KVCacheDataTypeE1EDF16_Li16ELi128ELi256ELb1ELi2EEvPKT_PKT0_S7_ifPKiS9_S9_iPKfiiiPfSC_PS2_PT2_iSB_SB_@rel64+4
	s_delay_alu instid0(SALU_CYCLE_1)
	v_dual_mov_b32 v0, 0xbb3 :: v_dual_mov_b32 v1, s2
	v_mov_b32_e32 v2, s3
	s_add_nc_u64 s[8:9], s[0:1], 0x90
	s_get_pc_i64 s[0:1]
	s_add_nc_u64 s[0:1], s[0:1], __assert_fail@rel64+4
	s_mov_b32 s32, 0
	s_swap_pc_i64 s[30:31], s[0:1]
	.section	.rodata,"a",@progbits
	.p2align	6, 0x0
	.amdhsa_kernel _Z39paged_attention_ll4mi_QKV_mfma16_kernelIDF16_hLN4vllm18Fp8KVCacheDataTypeE1EDF16_Li16ELi128ELi256ELb1ELi2EEvPKT_PKT0_S7_ifPKiS9_S9_iPKfiiiPfSC_PS2_PT2_iSB_SB_
		.amdhsa_group_segment_fixed_size 0
		.amdhsa_private_segment_fixed_size 64
		.amdhsa_kernarg_size 400
		.amdhsa_user_sgpr_count 2
		.amdhsa_user_sgpr_dispatch_ptr 0
		.amdhsa_user_sgpr_queue_ptr 0
		.amdhsa_user_sgpr_kernarg_segment_ptr 1
		.amdhsa_user_sgpr_dispatch_id 0
		.amdhsa_user_sgpr_kernarg_preload_length 0
		.amdhsa_user_sgpr_kernarg_preload_offset 0
		.amdhsa_user_sgpr_private_segment_size 0
		.amdhsa_wavefront_size32 1
		.amdhsa_uses_dynamic_stack 0
		.amdhsa_enable_private_segment 1
		.amdhsa_system_sgpr_workgroup_id_x 1
		.amdhsa_system_sgpr_workgroup_id_y 0
		.amdhsa_system_sgpr_workgroup_id_z 0
		.amdhsa_system_sgpr_workgroup_info 0
		.amdhsa_system_vgpr_workitem_id 0
		.amdhsa_next_free_vgpr 51
		.amdhsa_next_free_sgpr 34
		.amdhsa_named_barrier_count 0
		.amdhsa_reserve_vcc 1
		.amdhsa_float_round_mode_32 0
		.amdhsa_float_round_mode_16_64 0
		.amdhsa_float_denorm_mode_32 3
		.amdhsa_float_denorm_mode_16_64 3
		.amdhsa_fp16_overflow 0
		.amdhsa_memory_ordered 1
		.amdhsa_forward_progress 1
		.amdhsa_inst_pref_size 1
		.amdhsa_round_robin_scheduling 0
		.amdhsa_exception_fp_ieee_invalid_op 0
		.amdhsa_exception_fp_denorm_src 0
		.amdhsa_exception_fp_ieee_div_zero 0
		.amdhsa_exception_fp_ieee_overflow 0
		.amdhsa_exception_fp_ieee_underflow 0
		.amdhsa_exception_fp_ieee_inexact 0
		.amdhsa_exception_int_div_zero 0
	.end_amdhsa_kernel
	.section	.text._Z39paged_attention_ll4mi_QKV_mfma16_kernelIDF16_hLN4vllm18Fp8KVCacheDataTypeE1EDF16_Li16ELi128ELi256ELb1ELi2EEvPKT_PKT0_S7_ifPKiS9_S9_iPKfiiiPfSC_PS2_PT2_iSB_SB_,"axG",@progbits,_Z39paged_attention_ll4mi_QKV_mfma16_kernelIDF16_hLN4vllm18Fp8KVCacheDataTypeE1EDF16_Li16ELi128ELi256ELb1ELi2EEvPKT_PKT0_S7_ifPKiS9_S9_iPKfiiiPfSC_PS2_PT2_iSB_SB_,comdat
.Lfunc_end987:
	.size	_Z39paged_attention_ll4mi_QKV_mfma16_kernelIDF16_hLN4vllm18Fp8KVCacheDataTypeE1EDF16_Li16ELi128ELi256ELb1ELi2EEvPKT_PKT0_S7_ifPKiS9_S9_iPKfiiiPfSC_PS2_PT2_iSB_SB_, .Lfunc_end987-_Z39paged_attention_ll4mi_QKV_mfma16_kernelIDF16_hLN4vllm18Fp8KVCacheDataTypeE1EDF16_Li16ELi128ELi256ELb1ELi2EEvPKT_PKT0_S7_ifPKiS9_S9_iPKfiiiPfSC_PS2_PT2_iSB_SB_
                                        ; -- End function
	.set _Z39paged_attention_ll4mi_QKV_mfma16_kernelIDF16_hLN4vllm18Fp8KVCacheDataTypeE1EDF16_Li16ELi128ELi256ELb1ELi2EEvPKT_PKT0_S7_ifPKiS9_S9_iPKfiiiPfSC_PS2_PT2_iSB_SB_.num_vgpr, max(3, .L__assert_fail.num_vgpr)
	.set _Z39paged_attention_ll4mi_QKV_mfma16_kernelIDF16_hLN4vllm18Fp8KVCacheDataTypeE1EDF16_Li16ELi128ELi256ELb1ELi2EEvPKT_PKT0_S7_ifPKiS9_S9_iPKfiiiPfSC_PS2_PT2_iSB_SB_.num_agpr, max(0, .L__assert_fail.num_agpr)
	.set _Z39paged_attention_ll4mi_QKV_mfma16_kernelIDF16_hLN4vllm18Fp8KVCacheDataTypeE1EDF16_Li16ELi128ELi256ELb1ELi2EEvPKT_PKT0_S7_ifPKiS9_S9_iPKfiiiPfSC_PS2_PT2_iSB_SB_.numbered_sgpr, max(33, .L__assert_fail.numbered_sgpr)
	.set _Z39paged_attention_ll4mi_QKV_mfma16_kernelIDF16_hLN4vllm18Fp8KVCacheDataTypeE1EDF16_Li16ELi128ELi256ELb1ELi2EEvPKT_PKT0_S7_ifPKiS9_S9_iPKfiiiPfSC_PS2_PT2_iSB_SB_.num_named_barrier, max(0, .L__assert_fail.num_named_barrier)
	.set _Z39paged_attention_ll4mi_QKV_mfma16_kernelIDF16_hLN4vllm18Fp8KVCacheDataTypeE1EDF16_Li16ELi128ELi256ELb1ELi2EEvPKT_PKT0_S7_ifPKiS9_S9_iPKfiiiPfSC_PS2_PT2_iSB_SB_.private_seg_size, 0+max(.L__assert_fail.private_seg_size)
	.set _Z39paged_attention_ll4mi_QKV_mfma16_kernelIDF16_hLN4vllm18Fp8KVCacheDataTypeE1EDF16_Li16ELi128ELi256ELb1ELi2EEvPKT_PKT0_S7_ifPKiS9_S9_iPKfiiiPfSC_PS2_PT2_iSB_SB_.uses_vcc, or(1, .L__assert_fail.uses_vcc)
	.set _Z39paged_attention_ll4mi_QKV_mfma16_kernelIDF16_hLN4vllm18Fp8KVCacheDataTypeE1EDF16_Li16ELi128ELi256ELb1ELi2EEvPKT_PKT0_S7_ifPKiS9_S9_iPKfiiiPfSC_PS2_PT2_iSB_SB_.uses_flat_scratch, or(0, .L__assert_fail.uses_flat_scratch)
	.set _Z39paged_attention_ll4mi_QKV_mfma16_kernelIDF16_hLN4vllm18Fp8KVCacheDataTypeE1EDF16_Li16ELi128ELi256ELb1ELi2EEvPKT_PKT0_S7_ifPKiS9_S9_iPKfiiiPfSC_PS2_PT2_iSB_SB_.has_dyn_sized_stack, or(0, .L__assert_fail.has_dyn_sized_stack)
	.set _Z39paged_attention_ll4mi_QKV_mfma16_kernelIDF16_hLN4vllm18Fp8KVCacheDataTypeE1EDF16_Li16ELi128ELi256ELb1ELi2EEvPKT_PKT0_S7_ifPKiS9_S9_iPKfiiiPfSC_PS2_PT2_iSB_SB_.has_recursion, or(0, .L__assert_fail.has_recursion)
	.set _Z39paged_attention_ll4mi_QKV_mfma16_kernelIDF16_hLN4vllm18Fp8KVCacheDataTypeE1EDF16_Li16ELi128ELi256ELb1ELi2EEvPKT_PKT0_S7_ifPKiS9_S9_iPKfiiiPfSC_PS2_PT2_iSB_SB_.has_indirect_call, or(0, .L__assert_fail.has_indirect_call)
	.section	.AMDGPU.csdata,"",@progbits
; Kernel info:
; codeLenInByte = 68
; TotalNumSgprs: 36
; NumVgprs: 51
; ScratchSize: 64
; MemoryBound: 0
; FloatMode: 240
; IeeeMode: 1
; LDSByteSize: 0 bytes/workgroup (compile time only)
; SGPRBlocks: 0
; VGPRBlocks: 3
; NumSGPRsForWavesPerEU: 36
; NumVGPRsForWavesPerEU: 51
; NamedBarCnt: 0
; Occupancy: 16
; WaveLimiterHint : 1
; COMPUTE_PGM_RSRC2:SCRATCH_EN: 1
; COMPUTE_PGM_RSRC2:USER_SGPR: 2
; COMPUTE_PGM_RSRC2:TRAP_HANDLER: 0
; COMPUTE_PGM_RSRC2:TGID_X_EN: 1
; COMPUTE_PGM_RSRC2:TGID_Y_EN: 0
; COMPUTE_PGM_RSRC2:TGID_Z_EN: 0
; COMPUTE_PGM_RSRC2:TIDIG_COMP_CNT: 0
	.section	.text._Z39paged_attention_ll4mi_QKV_mfma16_kernelIDF16_hLN4vllm18Fp8KVCacheDataTypeE1EDF16_Li16ELi128ELi256ELb1ELi3EEvPKT_PKT0_S7_ifPKiS9_S9_iPKfiiiPfSC_PS2_PT2_iSB_SB_,"axG",@progbits,_Z39paged_attention_ll4mi_QKV_mfma16_kernelIDF16_hLN4vllm18Fp8KVCacheDataTypeE1EDF16_Li16ELi128ELi256ELb1ELi3EEvPKT_PKT0_S7_ifPKiS9_S9_iPKfiiiPfSC_PS2_PT2_iSB_SB_,comdat
	.protected	_Z39paged_attention_ll4mi_QKV_mfma16_kernelIDF16_hLN4vllm18Fp8KVCacheDataTypeE1EDF16_Li16ELi128ELi256ELb1ELi3EEvPKT_PKT0_S7_ifPKiS9_S9_iPKfiiiPfSC_PS2_PT2_iSB_SB_ ; -- Begin function _Z39paged_attention_ll4mi_QKV_mfma16_kernelIDF16_hLN4vllm18Fp8KVCacheDataTypeE1EDF16_Li16ELi128ELi256ELb1ELi3EEvPKT_PKT0_S7_ifPKiS9_S9_iPKfiiiPfSC_PS2_PT2_iSB_SB_
	.globl	_Z39paged_attention_ll4mi_QKV_mfma16_kernelIDF16_hLN4vllm18Fp8KVCacheDataTypeE1EDF16_Li16ELi128ELi256ELb1ELi3EEvPKT_PKT0_S7_ifPKiS9_S9_iPKfiiiPfSC_PS2_PT2_iSB_SB_
	.p2align	8
	.type	_Z39paged_attention_ll4mi_QKV_mfma16_kernelIDF16_hLN4vllm18Fp8KVCacheDataTypeE1EDF16_Li16ELi128ELi256ELb1ELi3EEvPKT_PKT0_S7_ifPKiS9_S9_iPKfiiiPfSC_PS2_PT2_iSB_SB_,@function
_Z39paged_attention_ll4mi_QKV_mfma16_kernelIDF16_hLN4vllm18Fp8KVCacheDataTypeE1EDF16_Li16ELi128ELi256ELb1ELi3EEvPKT_PKT0_S7_ifPKiS9_S9_iPKfiiiPfSC_PS2_PT2_iSB_SB_: ; @_Z39paged_attention_ll4mi_QKV_mfma16_kernelIDF16_hLN4vllm18Fp8KVCacheDataTypeE1EDF16_Li16ELi128ELi256ELb1ELi3EEvPKT_PKT0_S7_ifPKiS9_S9_iPKfiiiPfSC_PS2_PT2_iSB_SB_
; %bb.0:
	s_get_pc_i64 s[2:3]
	s_add_nc_u64 s[2:3], s[2:3], __PRETTY_FUNCTION__._Z39paged_attention_ll4mi_QKV_mfma16_kernelIDF16_hLN4vllm18Fp8KVCacheDataTypeE1EDF16_Li16ELi128ELi256ELb1ELi3EEvPKT_PKT0_S7_ifPKiS9_S9_iPKfiiiPfSC_PS2_PT2_iSB_SB_@rel64+4
	s_delay_alu instid0(SALU_CYCLE_1)
	v_dual_mov_b32 v0, 0xbb3 :: v_dual_mov_b32 v1, s2
	v_mov_b32_e32 v2, s3
	s_add_nc_u64 s[8:9], s[0:1], 0x90
	s_get_pc_i64 s[0:1]
	s_add_nc_u64 s[0:1], s[0:1], __assert_fail@rel64+4
	s_mov_b32 s32, 0
	s_swap_pc_i64 s[30:31], s[0:1]
	.section	.rodata,"a",@progbits
	.p2align	6, 0x0
	.amdhsa_kernel _Z39paged_attention_ll4mi_QKV_mfma16_kernelIDF16_hLN4vllm18Fp8KVCacheDataTypeE1EDF16_Li16ELi128ELi256ELb1ELi3EEvPKT_PKT0_S7_ifPKiS9_S9_iPKfiiiPfSC_PS2_PT2_iSB_SB_
		.amdhsa_group_segment_fixed_size 0
		.amdhsa_private_segment_fixed_size 64
		.amdhsa_kernarg_size 400
		.amdhsa_user_sgpr_count 2
		.amdhsa_user_sgpr_dispatch_ptr 0
		.amdhsa_user_sgpr_queue_ptr 0
		.amdhsa_user_sgpr_kernarg_segment_ptr 1
		.amdhsa_user_sgpr_dispatch_id 0
		.amdhsa_user_sgpr_kernarg_preload_length 0
		.amdhsa_user_sgpr_kernarg_preload_offset 0
		.amdhsa_user_sgpr_private_segment_size 0
		.amdhsa_wavefront_size32 1
		.amdhsa_uses_dynamic_stack 0
		.amdhsa_enable_private_segment 1
		.amdhsa_system_sgpr_workgroup_id_x 1
		.amdhsa_system_sgpr_workgroup_id_y 0
		.amdhsa_system_sgpr_workgroup_id_z 0
		.amdhsa_system_sgpr_workgroup_info 0
		.amdhsa_system_vgpr_workitem_id 0
		.amdhsa_next_free_vgpr 51
		.amdhsa_next_free_sgpr 34
		.amdhsa_named_barrier_count 0
		.amdhsa_reserve_vcc 1
		.amdhsa_float_round_mode_32 0
		.amdhsa_float_round_mode_16_64 0
		.amdhsa_float_denorm_mode_32 3
		.amdhsa_float_denorm_mode_16_64 3
		.amdhsa_fp16_overflow 0
		.amdhsa_memory_ordered 1
		.amdhsa_forward_progress 1
		.amdhsa_inst_pref_size 1
		.amdhsa_round_robin_scheduling 0
		.amdhsa_exception_fp_ieee_invalid_op 0
		.amdhsa_exception_fp_denorm_src 0
		.amdhsa_exception_fp_ieee_div_zero 0
		.amdhsa_exception_fp_ieee_overflow 0
		.amdhsa_exception_fp_ieee_underflow 0
		.amdhsa_exception_fp_ieee_inexact 0
		.amdhsa_exception_int_div_zero 0
	.end_amdhsa_kernel
	.section	.text._Z39paged_attention_ll4mi_QKV_mfma16_kernelIDF16_hLN4vllm18Fp8KVCacheDataTypeE1EDF16_Li16ELi128ELi256ELb1ELi3EEvPKT_PKT0_S7_ifPKiS9_S9_iPKfiiiPfSC_PS2_PT2_iSB_SB_,"axG",@progbits,_Z39paged_attention_ll4mi_QKV_mfma16_kernelIDF16_hLN4vllm18Fp8KVCacheDataTypeE1EDF16_Li16ELi128ELi256ELb1ELi3EEvPKT_PKT0_S7_ifPKiS9_S9_iPKfiiiPfSC_PS2_PT2_iSB_SB_,comdat
.Lfunc_end988:
	.size	_Z39paged_attention_ll4mi_QKV_mfma16_kernelIDF16_hLN4vllm18Fp8KVCacheDataTypeE1EDF16_Li16ELi128ELi256ELb1ELi3EEvPKT_PKT0_S7_ifPKiS9_S9_iPKfiiiPfSC_PS2_PT2_iSB_SB_, .Lfunc_end988-_Z39paged_attention_ll4mi_QKV_mfma16_kernelIDF16_hLN4vllm18Fp8KVCacheDataTypeE1EDF16_Li16ELi128ELi256ELb1ELi3EEvPKT_PKT0_S7_ifPKiS9_S9_iPKfiiiPfSC_PS2_PT2_iSB_SB_
                                        ; -- End function
	.set _Z39paged_attention_ll4mi_QKV_mfma16_kernelIDF16_hLN4vllm18Fp8KVCacheDataTypeE1EDF16_Li16ELi128ELi256ELb1ELi3EEvPKT_PKT0_S7_ifPKiS9_S9_iPKfiiiPfSC_PS2_PT2_iSB_SB_.num_vgpr, max(3, .L__assert_fail.num_vgpr)
	.set _Z39paged_attention_ll4mi_QKV_mfma16_kernelIDF16_hLN4vllm18Fp8KVCacheDataTypeE1EDF16_Li16ELi128ELi256ELb1ELi3EEvPKT_PKT0_S7_ifPKiS9_S9_iPKfiiiPfSC_PS2_PT2_iSB_SB_.num_agpr, max(0, .L__assert_fail.num_agpr)
	.set _Z39paged_attention_ll4mi_QKV_mfma16_kernelIDF16_hLN4vllm18Fp8KVCacheDataTypeE1EDF16_Li16ELi128ELi256ELb1ELi3EEvPKT_PKT0_S7_ifPKiS9_S9_iPKfiiiPfSC_PS2_PT2_iSB_SB_.numbered_sgpr, max(33, .L__assert_fail.numbered_sgpr)
	.set _Z39paged_attention_ll4mi_QKV_mfma16_kernelIDF16_hLN4vllm18Fp8KVCacheDataTypeE1EDF16_Li16ELi128ELi256ELb1ELi3EEvPKT_PKT0_S7_ifPKiS9_S9_iPKfiiiPfSC_PS2_PT2_iSB_SB_.num_named_barrier, max(0, .L__assert_fail.num_named_barrier)
	.set _Z39paged_attention_ll4mi_QKV_mfma16_kernelIDF16_hLN4vllm18Fp8KVCacheDataTypeE1EDF16_Li16ELi128ELi256ELb1ELi3EEvPKT_PKT0_S7_ifPKiS9_S9_iPKfiiiPfSC_PS2_PT2_iSB_SB_.private_seg_size, 0+max(.L__assert_fail.private_seg_size)
	.set _Z39paged_attention_ll4mi_QKV_mfma16_kernelIDF16_hLN4vllm18Fp8KVCacheDataTypeE1EDF16_Li16ELi128ELi256ELb1ELi3EEvPKT_PKT0_S7_ifPKiS9_S9_iPKfiiiPfSC_PS2_PT2_iSB_SB_.uses_vcc, or(1, .L__assert_fail.uses_vcc)
	.set _Z39paged_attention_ll4mi_QKV_mfma16_kernelIDF16_hLN4vllm18Fp8KVCacheDataTypeE1EDF16_Li16ELi128ELi256ELb1ELi3EEvPKT_PKT0_S7_ifPKiS9_S9_iPKfiiiPfSC_PS2_PT2_iSB_SB_.uses_flat_scratch, or(0, .L__assert_fail.uses_flat_scratch)
	.set _Z39paged_attention_ll4mi_QKV_mfma16_kernelIDF16_hLN4vllm18Fp8KVCacheDataTypeE1EDF16_Li16ELi128ELi256ELb1ELi3EEvPKT_PKT0_S7_ifPKiS9_S9_iPKfiiiPfSC_PS2_PT2_iSB_SB_.has_dyn_sized_stack, or(0, .L__assert_fail.has_dyn_sized_stack)
	.set _Z39paged_attention_ll4mi_QKV_mfma16_kernelIDF16_hLN4vllm18Fp8KVCacheDataTypeE1EDF16_Li16ELi128ELi256ELb1ELi3EEvPKT_PKT0_S7_ifPKiS9_S9_iPKfiiiPfSC_PS2_PT2_iSB_SB_.has_recursion, or(0, .L__assert_fail.has_recursion)
	.set _Z39paged_attention_ll4mi_QKV_mfma16_kernelIDF16_hLN4vllm18Fp8KVCacheDataTypeE1EDF16_Li16ELi128ELi256ELb1ELi3EEvPKT_PKT0_S7_ifPKiS9_S9_iPKfiiiPfSC_PS2_PT2_iSB_SB_.has_indirect_call, or(0, .L__assert_fail.has_indirect_call)
	.section	.AMDGPU.csdata,"",@progbits
; Kernel info:
; codeLenInByte = 68
; TotalNumSgprs: 36
; NumVgprs: 51
; ScratchSize: 64
; MemoryBound: 0
; FloatMode: 240
; IeeeMode: 1
; LDSByteSize: 0 bytes/workgroup (compile time only)
; SGPRBlocks: 0
; VGPRBlocks: 3
; NumSGPRsForWavesPerEU: 36
; NumVGPRsForWavesPerEU: 51
; NamedBarCnt: 0
; Occupancy: 16
; WaveLimiterHint : 1
; COMPUTE_PGM_RSRC2:SCRATCH_EN: 1
; COMPUTE_PGM_RSRC2:USER_SGPR: 2
; COMPUTE_PGM_RSRC2:TRAP_HANDLER: 0
; COMPUTE_PGM_RSRC2:TGID_X_EN: 1
; COMPUTE_PGM_RSRC2:TGID_Y_EN: 0
; COMPUTE_PGM_RSRC2:TGID_Z_EN: 0
; COMPUTE_PGM_RSRC2:TIDIG_COMP_CNT: 0
	.section	.text._Z39paged_attention_ll4mi_QKV_mfma16_kernelIDF16_hLN4vllm18Fp8KVCacheDataTypeE1EDF16_Li16ELi128ELi256ELb1ELi4EEvPKT_PKT0_S7_ifPKiS9_S9_iPKfiiiPfSC_PS2_PT2_iSB_SB_,"axG",@progbits,_Z39paged_attention_ll4mi_QKV_mfma16_kernelIDF16_hLN4vllm18Fp8KVCacheDataTypeE1EDF16_Li16ELi128ELi256ELb1ELi4EEvPKT_PKT0_S7_ifPKiS9_S9_iPKfiiiPfSC_PS2_PT2_iSB_SB_,comdat
	.protected	_Z39paged_attention_ll4mi_QKV_mfma16_kernelIDF16_hLN4vllm18Fp8KVCacheDataTypeE1EDF16_Li16ELi128ELi256ELb1ELi4EEvPKT_PKT0_S7_ifPKiS9_S9_iPKfiiiPfSC_PS2_PT2_iSB_SB_ ; -- Begin function _Z39paged_attention_ll4mi_QKV_mfma16_kernelIDF16_hLN4vllm18Fp8KVCacheDataTypeE1EDF16_Li16ELi128ELi256ELb1ELi4EEvPKT_PKT0_S7_ifPKiS9_S9_iPKfiiiPfSC_PS2_PT2_iSB_SB_
	.globl	_Z39paged_attention_ll4mi_QKV_mfma16_kernelIDF16_hLN4vllm18Fp8KVCacheDataTypeE1EDF16_Li16ELi128ELi256ELb1ELi4EEvPKT_PKT0_S7_ifPKiS9_S9_iPKfiiiPfSC_PS2_PT2_iSB_SB_
	.p2align	8
	.type	_Z39paged_attention_ll4mi_QKV_mfma16_kernelIDF16_hLN4vllm18Fp8KVCacheDataTypeE1EDF16_Li16ELi128ELi256ELb1ELi4EEvPKT_PKT0_S7_ifPKiS9_S9_iPKfiiiPfSC_PS2_PT2_iSB_SB_,@function
_Z39paged_attention_ll4mi_QKV_mfma16_kernelIDF16_hLN4vllm18Fp8KVCacheDataTypeE1EDF16_Li16ELi128ELi256ELb1ELi4EEvPKT_PKT0_S7_ifPKiS9_S9_iPKfiiiPfSC_PS2_PT2_iSB_SB_: ; @_Z39paged_attention_ll4mi_QKV_mfma16_kernelIDF16_hLN4vllm18Fp8KVCacheDataTypeE1EDF16_Li16ELi128ELi256ELb1ELi4EEvPKT_PKT0_S7_ifPKiS9_S9_iPKfiiiPfSC_PS2_PT2_iSB_SB_
; %bb.0:
	s_get_pc_i64 s[2:3]
	s_add_nc_u64 s[2:3], s[2:3], __PRETTY_FUNCTION__._Z39paged_attention_ll4mi_QKV_mfma16_kernelIDF16_hLN4vllm18Fp8KVCacheDataTypeE1EDF16_Li16ELi128ELi256ELb1ELi4EEvPKT_PKT0_S7_ifPKiS9_S9_iPKfiiiPfSC_PS2_PT2_iSB_SB_@rel64+4
	s_delay_alu instid0(SALU_CYCLE_1)
	v_dual_mov_b32 v0, 0xbb3 :: v_dual_mov_b32 v1, s2
	v_mov_b32_e32 v2, s3
	s_add_nc_u64 s[8:9], s[0:1], 0x90
	s_get_pc_i64 s[0:1]
	s_add_nc_u64 s[0:1], s[0:1], __assert_fail@rel64+4
	s_mov_b32 s32, 0
	s_swap_pc_i64 s[30:31], s[0:1]
	.section	.rodata,"a",@progbits
	.p2align	6, 0x0
	.amdhsa_kernel _Z39paged_attention_ll4mi_QKV_mfma16_kernelIDF16_hLN4vllm18Fp8KVCacheDataTypeE1EDF16_Li16ELi128ELi256ELb1ELi4EEvPKT_PKT0_S7_ifPKiS9_S9_iPKfiiiPfSC_PS2_PT2_iSB_SB_
		.amdhsa_group_segment_fixed_size 0
		.amdhsa_private_segment_fixed_size 64
		.amdhsa_kernarg_size 400
		.amdhsa_user_sgpr_count 2
		.amdhsa_user_sgpr_dispatch_ptr 0
		.amdhsa_user_sgpr_queue_ptr 0
		.amdhsa_user_sgpr_kernarg_segment_ptr 1
		.amdhsa_user_sgpr_dispatch_id 0
		.amdhsa_user_sgpr_kernarg_preload_length 0
		.amdhsa_user_sgpr_kernarg_preload_offset 0
		.amdhsa_user_sgpr_private_segment_size 0
		.amdhsa_wavefront_size32 1
		.amdhsa_uses_dynamic_stack 0
		.amdhsa_enable_private_segment 1
		.amdhsa_system_sgpr_workgroup_id_x 1
		.amdhsa_system_sgpr_workgroup_id_y 0
		.amdhsa_system_sgpr_workgroup_id_z 0
		.amdhsa_system_sgpr_workgroup_info 0
		.amdhsa_system_vgpr_workitem_id 0
		.amdhsa_next_free_vgpr 51
		.amdhsa_next_free_sgpr 34
		.amdhsa_named_barrier_count 0
		.amdhsa_reserve_vcc 1
		.amdhsa_float_round_mode_32 0
		.amdhsa_float_round_mode_16_64 0
		.amdhsa_float_denorm_mode_32 3
		.amdhsa_float_denorm_mode_16_64 3
		.amdhsa_fp16_overflow 0
		.amdhsa_memory_ordered 1
		.amdhsa_forward_progress 1
		.amdhsa_inst_pref_size 1
		.amdhsa_round_robin_scheduling 0
		.amdhsa_exception_fp_ieee_invalid_op 0
		.amdhsa_exception_fp_denorm_src 0
		.amdhsa_exception_fp_ieee_div_zero 0
		.amdhsa_exception_fp_ieee_overflow 0
		.amdhsa_exception_fp_ieee_underflow 0
		.amdhsa_exception_fp_ieee_inexact 0
		.amdhsa_exception_int_div_zero 0
	.end_amdhsa_kernel
	.section	.text._Z39paged_attention_ll4mi_QKV_mfma16_kernelIDF16_hLN4vllm18Fp8KVCacheDataTypeE1EDF16_Li16ELi128ELi256ELb1ELi4EEvPKT_PKT0_S7_ifPKiS9_S9_iPKfiiiPfSC_PS2_PT2_iSB_SB_,"axG",@progbits,_Z39paged_attention_ll4mi_QKV_mfma16_kernelIDF16_hLN4vllm18Fp8KVCacheDataTypeE1EDF16_Li16ELi128ELi256ELb1ELi4EEvPKT_PKT0_S7_ifPKiS9_S9_iPKfiiiPfSC_PS2_PT2_iSB_SB_,comdat
.Lfunc_end989:
	.size	_Z39paged_attention_ll4mi_QKV_mfma16_kernelIDF16_hLN4vllm18Fp8KVCacheDataTypeE1EDF16_Li16ELi128ELi256ELb1ELi4EEvPKT_PKT0_S7_ifPKiS9_S9_iPKfiiiPfSC_PS2_PT2_iSB_SB_, .Lfunc_end989-_Z39paged_attention_ll4mi_QKV_mfma16_kernelIDF16_hLN4vllm18Fp8KVCacheDataTypeE1EDF16_Li16ELi128ELi256ELb1ELi4EEvPKT_PKT0_S7_ifPKiS9_S9_iPKfiiiPfSC_PS2_PT2_iSB_SB_
                                        ; -- End function
	.set _Z39paged_attention_ll4mi_QKV_mfma16_kernelIDF16_hLN4vllm18Fp8KVCacheDataTypeE1EDF16_Li16ELi128ELi256ELb1ELi4EEvPKT_PKT0_S7_ifPKiS9_S9_iPKfiiiPfSC_PS2_PT2_iSB_SB_.num_vgpr, max(3, .L__assert_fail.num_vgpr)
	.set _Z39paged_attention_ll4mi_QKV_mfma16_kernelIDF16_hLN4vllm18Fp8KVCacheDataTypeE1EDF16_Li16ELi128ELi256ELb1ELi4EEvPKT_PKT0_S7_ifPKiS9_S9_iPKfiiiPfSC_PS2_PT2_iSB_SB_.num_agpr, max(0, .L__assert_fail.num_agpr)
	.set _Z39paged_attention_ll4mi_QKV_mfma16_kernelIDF16_hLN4vllm18Fp8KVCacheDataTypeE1EDF16_Li16ELi128ELi256ELb1ELi4EEvPKT_PKT0_S7_ifPKiS9_S9_iPKfiiiPfSC_PS2_PT2_iSB_SB_.numbered_sgpr, max(33, .L__assert_fail.numbered_sgpr)
	.set _Z39paged_attention_ll4mi_QKV_mfma16_kernelIDF16_hLN4vllm18Fp8KVCacheDataTypeE1EDF16_Li16ELi128ELi256ELb1ELi4EEvPKT_PKT0_S7_ifPKiS9_S9_iPKfiiiPfSC_PS2_PT2_iSB_SB_.num_named_barrier, max(0, .L__assert_fail.num_named_barrier)
	.set _Z39paged_attention_ll4mi_QKV_mfma16_kernelIDF16_hLN4vllm18Fp8KVCacheDataTypeE1EDF16_Li16ELi128ELi256ELb1ELi4EEvPKT_PKT0_S7_ifPKiS9_S9_iPKfiiiPfSC_PS2_PT2_iSB_SB_.private_seg_size, 0+max(.L__assert_fail.private_seg_size)
	.set _Z39paged_attention_ll4mi_QKV_mfma16_kernelIDF16_hLN4vllm18Fp8KVCacheDataTypeE1EDF16_Li16ELi128ELi256ELb1ELi4EEvPKT_PKT0_S7_ifPKiS9_S9_iPKfiiiPfSC_PS2_PT2_iSB_SB_.uses_vcc, or(1, .L__assert_fail.uses_vcc)
	.set _Z39paged_attention_ll4mi_QKV_mfma16_kernelIDF16_hLN4vllm18Fp8KVCacheDataTypeE1EDF16_Li16ELi128ELi256ELb1ELi4EEvPKT_PKT0_S7_ifPKiS9_S9_iPKfiiiPfSC_PS2_PT2_iSB_SB_.uses_flat_scratch, or(0, .L__assert_fail.uses_flat_scratch)
	.set _Z39paged_attention_ll4mi_QKV_mfma16_kernelIDF16_hLN4vllm18Fp8KVCacheDataTypeE1EDF16_Li16ELi128ELi256ELb1ELi4EEvPKT_PKT0_S7_ifPKiS9_S9_iPKfiiiPfSC_PS2_PT2_iSB_SB_.has_dyn_sized_stack, or(0, .L__assert_fail.has_dyn_sized_stack)
	.set _Z39paged_attention_ll4mi_QKV_mfma16_kernelIDF16_hLN4vllm18Fp8KVCacheDataTypeE1EDF16_Li16ELi128ELi256ELb1ELi4EEvPKT_PKT0_S7_ifPKiS9_S9_iPKfiiiPfSC_PS2_PT2_iSB_SB_.has_recursion, or(0, .L__assert_fail.has_recursion)
	.set _Z39paged_attention_ll4mi_QKV_mfma16_kernelIDF16_hLN4vllm18Fp8KVCacheDataTypeE1EDF16_Li16ELi128ELi256ELb1ELi4EEvPKT_PKT0_S7_ifPKiS9_S9_iPKfiiiPfSC_PS2_PT2_iSB_SB_.has_indirect_call, or(0, .L__assert_fail.has_indirect_call)
	.section	.AMDGPU.csdata,"",@progbits
; Kernel info:
; codeLenInByte = 68
; TotalNumSgprs: 36
; NumVgprs: 51
; ScratchSize: 64
; MemoryBound: 0
; FloatMode: 240
; IeeeMode: 1
; LDSByteSize: 0 bytes/workgroup (compile time only)
; SGPRBlocks: 0
; VGPRBlocks: 3
; NumSGPRsForWavesPerEU: 36
; NumVGPRsForWavesPerEU: 51
; NamedBarCnt: 0
; Occupancy: 16
; WaveLimiterHint : 1
; COMPUTE_PGM_RSRC2:SCRATCH_EN: 1
; COMPUTE_PGM_RSRC2:USER_SGPR: 2
; COMPUTE_PGM_RSRC2:TRAP_HANDLER: 0
; COMPUTE_PGM_RSRC2:TGID_X_EN: 1
; COMPUTE_PGM_RSRC2:TGID_Y_EN: 0
; COMPUTE_PGM_RSRC2:TGID_Z_EN: 0
; COMPUTE_PGM_RSRC2:TIDIG_COMP_CNT: 0
	.section	.text._Z38paged_attention_ll4mi_QKV_mfma4_kernelIDF16_hLN4vllm18Fp8KVCacheDataTypeE1EDF16_Li16ELi128ELi256ELb0ELi1EEvPKT_PKT0_S7_ifPKiS9_S9_iPKfiiiPfSC_PS2_PT2_iSB_SB_,"axG",@progbits,_Z38paged_attention_ll4mi_QKV_mfma4_kernelIDF16_hLN4vllm18Fp8KVCacheDataTypeE1EDF16_Li16ELi128ELi256ELb0ELi1EEvPKT_PKT0_S7_ifPKiS9_S9_iPKfiiiPfSC_PS2_PT2_iSB_SB_,comdat
	.protected	_Z38paged_attention_ll4mi_QKV_mfma4_kernelIDF16_hLN4vllm18Fp8KVCacheDataTypeE1EDF16_Li16ELi128ELi256ELb0ELi1EEvPKT_PKT0_S7_ifPKiS9_S9_iPKfiiiPfSC_PS2_PT2_iSB_SB_ ; -- Begin function _Z38paged_attention_ll4mi_QKV_mfma4_kernelIDF16_hLN4vllm18Fp8KVCacheDataTypeE1EDF16_Li16ELi128ELi256ELb0ELi1EEvPKT_PKT0_S7_ifPKiS9_S9_iPKfiiiPfSC_PS2_PT2_iSB_SB_
	.globl	_Z38paged_attention_ll4mi_QKV_mfma4_kernelIDF16_hLN4vllm18Fp8KVCacheDataTypeE1EDF16_Li16ELi128ELi256ELb0ELi1EEvPKT_PKT0_S7_ifPKiS9_S9_iPKfiiiPfSC_PS2_PT2_iSB_SB_
	.p2align	8
	.type	_Z38paged_attention_ll4mi_QKV_mfma4_kernelIDF16_hLN4vllm18Fp8KVCacheDataTypeE1EDF16_Li16ELi128ELi256ELb0ELi1EEvPKT_PKT0_S7_ifPKiS9_S9_iPKfiiiPfSC_PS2_PT2_iSB_SB_,@function
_Z38paged_attention_ll4mi_QKV_mfma4_kernelIDF16_hLN4vllm18Fp8KVCacheDataTypeE1EDF16_Li16ELi128ELi256ELb0ELi1EEvPKT_PKT0_S7_ifPKiS9_S9_iPKfiiiPfSC_PS2_PT2_iSB_SB_: ; @_Z38paged_attention_ll4mi_QKV_mfma4_kernelIDF16_hLN4vllm18Fp8KVCacheDataTypeE1EDF16_Li16ELi128ELi256ELb0ELi1EEvPKT_PKT0_S7_ifPKiS9_S9_iPKfiiiPfSC_PS2_PT2_iSB_SB_
; %bb.0:
	s_get_pc_i64 s[2:3]
	s_add_nc_u64 s[2:3], s[2:3], __PRETTY_FUNCTION__._Z38paged_attention_ll4mi_QKV_mfma4_kernelIDF16_hLN4vllm18Fp8KVCacheDataTypeE1EDF16_Li16ELi128ELi256ELb0ELi1EEvPKT_PKT0_S7_ifPKiS9_S9_iPKfiiiPfSC_PS2_PT2_iSB_SB_@rel64+4
	s_delay_alu instid0(SALU_CYCLE_1)
	v_dual_mov_b32 v0, 0xbce :: v_dual_mov_b32 v1, s2
	v_mov_b32_e32 v2, s3
	s_add_nc_u64 s[8:9], s[0:1], 0x90
	s_get_pc_i64 s[0:1]
	s_add_nc_u64 s[0:1], s[0:1], __assert_fail@rel64+4
	s_mov_b32 s32, 0
	s_swap_pc_i64 s[30:31], s[0:1]
	.section	.rodata,"a",@progbits
	.p2align	6, 0x0
	.amdhsa_kernel _Z38paged_attention_ll4mi_QKV_mfma4_kernelIDF16_hLN4vllm18Fp8KVCacheDataTypeE1EDF16_Li16ELi128ELi256ELb0ELi1EEvPKT_PKT0_S7_ifPKiS9_S9_iPKfiiiPfSC_PS2_PT2_iSB_SB_
		.amdhsa_group_segment_fixed_size 0
		.amdhsa_private_segment_fixed_size 64
		.amdhsa_kernarg_size 400
		.amdhsa_user_sgpr_count 2
		.amdhsa_user_sgpr_dispatch_ptr 0
		.amdhsa_user_sgpr_queue_ptr 0
		.amdhsa_user_sgpr_kernarg_segment_ptr 1
		.amdhsa_user_sgpr_dispatch_id 0
		.amdhsa_user_sgpr_kernarg_preload_length 0
		.amdhsa_user_sgpr_kernarg_preload_offset 0
		.amdhsa_user_sgpr_private_segment_size 0
		.amdhsa_wavefront_size32 1
		.amdhsa_uses_dynamic_stack 0
		.amdhsa_enable_private_segment 1
		.amdhsa_system_sgpr_workgroup_id_x 1
		.amdhsa_system_sgpr_workgroup_id_y 0
		.amdhsa_system_sgpr_workgroup_id_z 0
		.amdhsa_system_sgpr_workgroup_info 0
		.amdhsa_system_vgpr_workitem_id 0
		.amdhsa_next_free_vgpr 51
		.amdhsa_next_free_sgpr 34
		.amdhsa_named_barrier_count 0
		.amdhsa_reserve_vcc 1
		.amdhsa_float_round_mode_32 0
		.amdhsa_float_round_mode_16_64 0
		.amdhsa_float_denorm_mode_32 3
		.amdhsa_float_denorm_mode_16_64 3
		.amdhsa_fp16_overflow 0
		.amdhsa_memory_ordered 1
		.amdhsa_forward_progress 1
		.amdhsa_inst_pref_size 1
		.amdhsa_round_robin_scheduling 0
		.amdhsa_exception_fp_ieee_invalid_op 0
		.amdhsa_exception_fp_denorm_src 0
		.amdhsa_exception_fp_ieee_div_zero 0
		.amdhsa_exception_fp_ieee_overflow 0
		.amdhsa_exception_fp_ieee_underflow 0
		.amdhsa_exception_fp_ieee_inexact 0
		.amdhsa_exception_int_div_zero 0
	.end_amdhsa_kernel
	.section	.text._Z38paged_attention_ll4mi_QKV_mfma4_kernelIDF16_hLN4vllm18Fp8KVCacheDataTypeE1EDF16_Li16ELi128ELi256ELb0ELi1EEvPKT_PKT0_S7_ifPKiS9_S9_iPKfiiiPfSC_PS2_PT2_iSB_SB_,"axG",@progbits,_Z38paged_attention_ll4mi_QKV_mfma4_kernelIDF16_hLN4vllm18Fp8KVCacheDataTypeE1EDF16_Li16ELi128ELi256ELb0ELi1EEvPKT_PKT0_S7_ifPKiS9_S9_iPKfiiiPfSC_PS2_PT2_iSB_SB_,comdat
.Lfunc_end990:
	.size	_Z38paged_attention_ll4mi_QKV_mfma4_kernelIDF16_hLN4vllm18Fp8KVCacheDataTypeE1EDF16_Li16ELi128ELi256ELb0ELi1EEvPKT_PKT0_S7_ifPKiS9_S9_iPKfiiiPfSC_PS2_PT2_iSB_SB_, .Lfunc_end990-_Z38paged_attention_ll4mi_QKV_mfma4_kernelIDF16_hLN4vllm18Fp8KVCacheDataTypeE1EDF16_Li16ELi128ELi256ELb0ELi1EEvPKT_PKT0_S7_ifPKiS9_S9_iPKfiiiPfSC_PS2_PT2_iSB_SB_
                                        ; -- End function
	.set _Z38paged_attention_ll4mi_QKV_mfma4_kernelIDF16_hLN4vllm18Fp8KVCacheDataTypeE1EDF16_Li16ELi128ELi256ELb0ELi1EEvPKT_PKT0_S7_ifPKiS9_S9_iPKfiiiPfSC_PS2_PT2_iSB_SB_.num_vgpr, max(3, .L__assert_fail.num_vgpr)
	.set _Z38paged_attention_ll4mi_QKV_mfma4_kernelIDF16_hLN4vllm18Fp8KVCacheDataTypeE1EDF16_Li16ELi128ELi256ELb0ELi1EEvPKT_PKT0_S7_ifPKiS9_S9_iPKfiiiPfSC_PS2_PT2_iSB_SB_.num_agpr, max(0, .L__assert_fail.num_agpr)
	.set _Z38paged_attention_ll4mi_QKV_mfma4_kernelIDF16_hLN4vllm18Fp8KVCacheDataTypeE1EDF16_Li16ELi128ELi256ELb0ELi1EEvPKT_PKT0_S7_ifPKiS9_S9_iPKfiiiPfSC_PS2_PT2_iSB_SB_.numbered_sgpr, max(33, .L__assert_fail.numbered_sgpr)
	.set _Z38paged_attention_ll4mi_QKV_mfma4_kernelIDF16_hLN4vllm18Fp8KVCacheDataTypeE1EDF16_Li16ELi128ELi256ELb0ELi1EEvPKT_PKT0_S7_ifPKiS9_S9_iPKfiiiPfSC_PS2_PT2_iSB_SB_.num_named_barrier, max(0, .L__assert_fail.num_named_barrier)
	.set _Z38paged_attention_ll4mi_QKV_mfma4_kernelIDF16_hLN4vllm18Fp8KVCacheDataTypeE1EDF16_Li16ELi128ELi256ELb0ELi1EEvPKT_PKT0_S7_ifPKiS9_S9_iPKfiiiPfSC_PS2_PT2_iSB_SB_.private_seg_size, 0+max(.L__assert_fail.private_seg_size)
	.set _Z38paged_attention_ll4mi_QKV_mfma4_kernelIDF16_hLN4vllm18Fp8KVCacheDataTypeE1EDF16_Li16ELi128ELi256ELb0ELi1EEvPKT_PKT0_S7_ifPKiS9_S9_iPKfiiiPfSC_PS2_PT2_iSB_SB_.uses_vcc, or(1, .L__assert_fail.uses_vcc)
	.set _Z38paged_attention_ll4mi_QKV_mfma4_kernelIDF16_hLN4vllm18Fp8KVCacheDataTypeE1EDF16_Li16ELi128ELi256ELb0ELi1EEvPKT_PKT0_S7_ifPKiS9_S9_iPKfiiiPfSC_PS2_PT2_iSB_SB_.uses_flat_scratch, or(0, .L__assert_fail.uses_flat_scratch)
	.set _Z38paged_attention_ll4mi_QKV_mfma4_kernelIDF16_hLN4vllm18Fp8KVCacheDataTypeE1EDF16_Li16ELi128ELi256ELb0ELi1EEvPKT_PKT0_S7_ifPKiS9_S9_iPKfiiiPfSC_PS2_PT2_iSB_SB_.has_dyn_sized_stack, or(0, .L__assert_fail.has_dyn_sized_stack)
	.set _Z38paged_attention_ll4mi_QKV_mfma4_kernelIDF16_hLN4vllm18Fp8KVCacheDataTypeE1EDF16_Li16ELi128ELi256ELb0ELi1EEvPKT_PKT0_S7_ifPKiS9_S9_iPKfiiiPfSC_PS2_PT2_iSB_SB_.has_recursion, or(0, .L__assert_fail.has_recursion)
	.set _Z38paged_attention_ll4mi_QKV_mfma4_kernelIDF16_hLN4vllm18Fp8KVCacheDataTypeE1EDF16_Li16ELi128ELi256ELb0ELi1EEvPKT_PKT0_S7_ifPKiS9_S9_iPKfiiiPfSC_PS2_PT2_iSB_SB_.has_indirect_call, or(0, .L__assert_fail.has_indirect_call)
	.section	.AMDGPU.csdata,"",@progbits
; Kernel info:
; codeLenInByte = 68
; TotalNumSgprs: 36
; NumVgprs: 51
; ScratchSize: 64
; MemoryBound: 0
; FloatMode: 240
; IeeeMode: 1
; LDSByteSize: 0 bytes/workgroup (compile time only)
; SGPRBlocks: 0
; VGPRBlocks: 3
; NumSGPRsForWavesPerEU: 36
; NumVGPRsForWavesPerEU: 51
; NamedBarCnt: 0
; Occupancy: 16
; WaveLimiterHint : 1
; COMPUTE_PGM_RSRC2:SCRATCH_EN: 1
; COMPUTE_PGM_RSRC2:USER_SGPR: 2
; COMPUTE_PGM_RSRC2:TRAP_HANDLER: 0
; COMPUTE_PGM_RSRC2:TGID_X_EN: 1
; COMPUTE_PGM_RSRC2:TGID_Y_EN: 0
; COMPUTE_PGM_RSRC2:TGID_Z_EN: 0
; COMPUTE_PGM_RSRC2:TIDIG_COMP_CNT: 0
	.section	.text._Z38paged_attention_ll4mi_QKV_mfma4_kernelIDF16_hLN4vllm18Fp8KVCacheDataTypeE1EDF16_Li16ELi128ELi256ELb0ELi2EEvPKT_PKT0_S7_ifPKiS9_S9_iPKfiiiPfSC_PS2_PT2_iSB_SB_,"axG",@progbits,_Z38paged_attention_ll4mi_QKV_mfma4_kernelIDF16_hLN4vllm18Fp8KVCacheDataTypeE1EDF16_Li16ELi128ELi256ELb0ELi2EEvPKT_PKT0_S7_ifPKiS9_S9_iPKfiiiPfSC_PS2_PT2_iSB_SB_,comdat
	.protected	_Z38paged_attention_ll4mi_QKV_mfma4_kernelIDF16_hLN4vllm18Fp8KVCacheDataTypeE1EDF16_Li16ELi128ELi256ELb0ELi2EEvPKT_PKT0_S7_ifPKiS9_S9_iPKfiiiPfSC_PS2_PT2_iSB_SB_ ; -- Begin function _Z38paged_attention_ll4mi_QKV_mfma4_kernelIDF16_hLN4vllm18Fp8KVCacheDataTypeE1EDF16_Li16ELi128ELi256ELb0ELi2EEvPKT_PKT0_S7_ifPKiS9_S9_iPKfiiiPfSC_PS2_PT2_iSB_SB_
	.globl	_Z38paged_attention_ll4mi_QKV_mfma4_kernelIDF16_hLN4vllm18Fp8KVCacheDataTypeE1EDF16_Li16ELi128ELi256ELb0ELi2EEvPKT_PKT0_S7_ifPKiS9_S9_iPKfiiiPfSC_PS2_PT2_iSB_SB_
	.p2align	8
	.type	_Z38paged_attention_ll4mi_QKV_mfma4_kernelIDF16_hLN4vllm18Fp8KVCacheDataTypeE1EDF16_Li16ELi128ELi256ELb0ELi2EEvPKT_PKT0_S7_ifPKiS9_S9_iPKfiiiPfSC_PS2_PT2_iSB_SB_,@function
_Z38paged_attention_ll4mi_QKV_mfma4_kernelIDF16_hLN4vllm18Fp8KVCacheDataTypeE1EDF16_Li16ELi128ELi256ELb0ELi2EEvPKT_PKT0_S7_ifPKiS9_S9_iPKfiiiPfSC_PS2_PT2_iSB_SB_: ; @_Z38paged_attention_ll4mi_QKV_mfma4_kernelIDF16_hLN4vllm18Fp8KVCacheDataTypeE1EDF16_Li16ELi128ELi256ELb0ELi2EEvPKT_PKT0_S7_ifPKiS9_S9_iPKfiiiPfSC_PS2_PT2_iSB_SB_
; %bb.0:
	s_get_pc_i64 s[2:3]
	s_add_nc_u64 s[2:3], s[2:3], __PRETTY_FUNCTION__._Z38paged_attention_ll4mi_QKV_mfma4_kernelIDF16_hLN4vllm18Fp8KVCacheDataTypeE1EDF16_Li16ELi128ELi256ELb0ELi2EEvPKT_PKT0_S7_ifPKiS9_S9_iPKfiiiPfSC_PS2_PT2_iSB_SB_@rel64+4
	s_delay_alu instid0(SALU_CYCLE_1)
	v_dual_mov_b32 v0, 0xbce :: v_dual_mov_b32 v1, s2
	v_mov_b32_e32 v2, s3
	s_add_nc_u64 s[8:9], s[0:1], 0x90
	s_get_pc_i64 s[0:1]
	s_add_nc_u64 s[0:1], s[0:1], __assert_fail@rel64+4
	s_mov_b32 s32, 0
	s_swap_pc_i64 s[30:31], s[0:1]
	.section	.rodata,"a",@progbits
	.p2align	6, 0x0
	.amdhsa_kernel _Z38paged_attention_ll4mi_QKV_mfma4_kernelIDF16_hLN4vllm18Fp8KVCacheDataTypeE1EDF16_Li16ELi128ELi256ELb0ELi2EEvPKT_PKT0_S7_ifPKiS9_S9_iPKfiiiPfSC_PS2_PT2_iSB_SB_
		.amdhsa_group_segment_fixed_size 0
		.amdhsa_private_segment_fixed_size 64
		.amdhsa_kernarg_size 400
		.amdhsa_user_sgpr_count 2
		.amdhsa_user_sgpr_dispatch_ptr 0
		.amdhsa_user_sgpr_queue_ptr 0
		.amdhsa_user_sgpr_kernarg_segment_ptr 1
		.amdhsa_user_sgpr_dispatch_id 0
		.amdhsa_user_sgpr_kernarg_preload_length 0
		.amdhsa_user_sgpr_kernarg_preload_offset 0
		.amdhsa_user_sgpr_private_segment_size 0
		.amdhsa_wavefront_size32 1
		.amdhsa_uses_dynamic_stack 0
		.amdhsa_enable_private_segment 1
		.amdhsa_system_sgpr_workgroup_id_x 1
		.amdhsa_system_sgpr_workgroup_id_y 0
		.amdhsa_system_sgpr_workgroup_id_z 0
		.amdhsa_system_sgpr_workgroup_info 0
		.amdhsa_system_vgpr_workitem_id 0
		.amdhsa_next_free_vgpr 51
		.amdhsa_next_free_sgpr 34
		.amdhsa_named_barrier_count 0
		.amdhsa_reserve_vcc 1
		.amdhsa_float_round_mode_32 0
		.amdhsa_float_round_mode_16_64 0
		.amdhsa_float_denorm_mode_32 3
		.amdhsa_float_denorm_mode_16_64 3
		.amdhsa_fp16_overflow 0
		.amdhsa_memory_ordered 1
		.amdhsa_forward_progress 1
		.amdhsa_inst_pref_size 1
		.amdhsa_round_robin_scheduling 0
		.amdhsa_exception_fp_ieee_invalid_op 0
		.amdhsa_exception_fp_denorm_src 0
		.amdhsa_exception_fp_ieee_div_zero 0
		.amdhsa_exception_fp_ieee_overflow 0
		.amdhsa_exception_fp_ieee_underflow 0
		.amdhsa_exception_fp_ieee_inexact 0
		.amdhsa_exception_int_div_zero 0
	.end_amdhsa_kernel
	.section	.text._Z38paged_attention_ll4mi_QKV_mfma4_kernelIDF16_hLN4vllm18Fp8KVCacheDataTypeE1EDF16_Li16ELi128ELi256ELb0ELi2EEvPKT_PKT0_S7_ifPKiS9_S9_iPKfiiiPfSC_PS2_PT2_iSB_SB_,"axG",@progbits,_Z38paged_attention_ll4mi_QKV_mfma4_kernelIDF16_hLN4vllm18Fp8KVCacheDataTypeE1EDF16_Li16ELi128ELi256ELb0ELi2EEvPKT_PKT0_S7_ifPKiS9_S9_iPKfiiiPfSC_PS2_PT2_iSB_SB_,comdat
.Lfunc_end991:
	.size	_Z38paged_attention_ll4mi_QKV_mfma4_kernelIDF16_hLN4vllm18Fp8KVCacheDataTypeE1EDF16_Li16ELi128ELi256ELb0ELi2EEvPKT_PKT0_S7_ifPKiS9_S9_iPKfiiiPfSC_PS2_PT2_iSB_SB_, .Lfunc_end991-_Z38paged_attention_ll4mi_QKV_mfma4_kernelIDF16_hLN4vllm18Fp8KVCacheDataTypeE1EDF16_Li16ELi128ELi256ELb0ELi2EEvPKT_PKT0_S7_ifPKiS9_S9_iPKfiiiPfSC_PS2_PT2_iSB_SB_
                                        ; -- End function
	.set _Z38paged_attention_ll4mi_QKV_mfma4_kernelIDF16_hLN4vllm18Fp8KVCacheDataTypeE1EDF16_Li16ELi128ELi256ELb0ELi2EEvPKT_PKT0_S7_ifPKiS9_S9_iPKfiiiPfSC_PS2_PT2_iSB_SB_.num_vgpr, max(3, .L__assert_fail.num_vgpr)
	.set _Z38paged_attention_ll4mi_QKV_mfma4_kernelIDF16_hLN4vllm18Fp8KVCacheDataTypeE1EDF16_Li16ELi128ELi256ELb0ELi2EEvPKT_PKT0_S7_ifPKiS9_S9_iPKfiiiPfSC_PS2_PT2_iSB_SB_.num_agpr, max(0, .L__assert_fail.num_agpr)
	.set _Z38paged_attention_ll4mi_QKV_mfma4_kernelIDF16_hLN4vllm18Fp8KVCacheDataTypeE1EDF16_Li16ELi128ELi256ELb0ELi2EEvPKT_PKT0_S7_ifPKiS9_S9_iPKfiiiPfSC_PS2_PT2_iSB_SB_.numbered_sgpr, max(33, .L__assert_fail.numbered_sgpr)
	.set _Z38paged_attention_ll4mi_QKV_mfma4_kernelIDF16_hLN4vllm18Fp8KVCacheDataTypeE1EDF16_Li16ELi128ELi256ELb0ELi2EEvPKT_PKT0_S7_ifPKiS9_S9_iPKfiiiPfSC_PS2_PT2_iSB_SB_.num_named_barrier, max(0, .L__assert_fail.num_named_barrier)
	.set _Z38paged_attention_ll4mi_QKV_mfma4_kernelIDF16_hLN4vllm18Fp8KVCacheDataTypeE1EDF16_Li16ELi128ELi256ELb0ELi2EEvPKT_PKT0_S7_ifPKiS9_S9_iPKfiiiPfSC_PS2_PT2_iSB_SB_.private_seg_size, 0+max(.L__assert_fail.private_seg_size)
	.set _Z38paged_attention_ll4mi_QKV_mfma4_kernelIDF16_hLN4vllm18Fp8KVCacheDataTypeE1EDF16_Li16ELi128ELi256ELb0ELi2EEvPKT_PKT0_S7_ifPKiS9_S9_iPKfiiiPfSC_PS2_PT2_iSB_SB_.uses_vcc, or(1, .L__assert_fail.uses_vcc)
	.set _Z38paged_attention_ll4mi_QKV_mfma4_kernelIDF16_hLN4vllm18Fp8KVCacheDataTypeE1EDF16_Li16ELi128ELi256ELb0ELi2EEvPKT_PKT0_S7_ifPKiS9_S9_iPKfiiiPfSC_PS2_PT2_iSB_SB_.uses_flat_scratch, or(0, .L__assert_fail.uses_flat_scratch)
	.set _Z38paged_attention_ll4mi_QKV_mfma4_kernelIDF16_hLN4vllm18Fp8KVCacheDataTypeE1EDF16_Li16ELi128ELi256ELb0ELi2EEvPKT_PKT0_S7_ifPKiS9_S9_iPKfiiiPfSC_PS2_PT2_iSB_SB_.has_dyn_sized_stack, or(0, .L__assert_fail.has_dyn_sized_stack)
	.set _Z38paged_attention_ll4mi_QKV_mfma4_kernelIDF16_hLN4vllm18Fp8KVCacheDataTypeE1EDF16_Li16ELi128ELi256ELb0ELi2EEvPKT_PKT0_S7_ifPKiS9_S9_iPKfiiiPfSC_PS2_PT2_iSB_SB_.has_recursion, or(0, .L__assert_fail.has_recursion)
	.set _Z38paged_attention_ll4mi_QKV_mfma4_kernelIDF16_hLN4vllm18Fp8KVCacheDataTypeE1EDF16_Li16ELi128ELi256ELb0ELi2EEvPKT_PKT0_S7_ifPKiS9_S9_iPKfiiiPfSC_PS2_PT2_iSB_SB_.has_indirect_call, or(0, .L__assert_fail.has_indirect_call)
	.section	.AMDGPU.csdata,"",@progbits
; Kernel info:
; codeLenInByte = 68
; TotalNumSgprs: 36
; NumVgprs: 51
; ScratchSize: 64
; MemoryBound: 0
; FloatMode: 240
; IeeeMode: 1
; LDSByteSize: 0 bytes/workgroup (compile time only)
; SGPRBlocks: 0
; VGPRBlocks: 3
; NumSGPRsForWavesPerEU: 36
; NumVGPRsForWavesPerEU: 51
; NamedBarCnt: 0
; Occupancy: 16
; WaveLimiterHint : 1
; COMPUTE_PGM_RSRC2:SCRATCH_EN: 1
; COMPUTE_PGM_RSRC2:USER_SGPR: 2
; COMPUTE_PGM_RSRC2:TRAP_HANDLER: 0
; COMPUTE_PGM_RSRC2:TGID_X_EN: 1
; COMPUTE_PGM_RSRC2:TGID_Y_EN: 0
; COMPUTE_PGM_RSRC2:TGID_Z_EN: 0
; COMPUTE_PGM_RSRC2:TIDIG_COMP_CNT: 0
	.section	.text._Z38paged_attention_ll4mi_QKV_mfma4_kernelIDF16_hLN4vllm18Fp8KVCacheDataTypeE1EDF16_Li16ELi128ELi256ELb0ELi3EEvPKT_PKT0_S7_ifPKiS9_S9_iPKfiiiPfSC_PS2_PT2_iSB_SB_,"axG",@progbits,_Z38paged_attention_ll4mi_QKV_mfma4_kernelIDF16_hLN4vllm18Fp8KVCacheDataTypeE1EDF16_Li16ELi128ELi256ELb0ELi3EEvPKT_PKT0_S7_ifPKiS9_S9_iPKfiiiPfSC_PS2_PT2_iSB_SB_,comdat
	.protected	_Z38paged_attention_ll4mi_QKV_mfma4_kernelIDF16_hLN4vllm18Fp8KVCacheDataTypeE1EDF16_Li16ELi128ELi256ELb0ELi3EEvPKT_PKT0_S7_ifPKiS9_S9_iPKfiiiPfSC_PS2_PT2_iSB_SB_ ; -- Begin function _Z38paged_attention_ll4mi_QKV_mfma4_kernelIDF16_hLN4vllm18Fp8KVCacheDataTypeE1EDF16_Li16ELi128ELi256ELb0ELi3EEvPKT_PKT0_S7_ifPKiS9_S9_iPKfiiiPfSC_PS2_PT2_iSB_SB_
	.globl	_Z38paged_attention_ll4mi_QKV_mfma4_kernelIDF16_hLN4vllm18Fp8KVCacheDataTypeE1EDF16_Li16ELi128ELi256ELb0ELi3EEvPKT_PKT0_S7_ifPKiS9_S9_iPKfiiiPfSC_PS2_PT2_iSB_SB_
	.p2align	8
	.type	_Z38paged_attention_ll4mi_QKV_mfma4_kernelIDF16_hLN4vllm18Fp8KVCacheDataTypeE1EDF16_Li16ELi128ELi256ELb0ELi3EEvPKT_PKT0_S7_ifPKiS9_S9_iPKfiiiPfSC_PS2_PT2_iSB_SB_,@function
_Z38paged_attention_ll4mi_QKV_mfma4_kernelIDF16_hLN4vllm18Fp8KVCacheDataTypeE1EDF16_Li16ELi128ELi256ELb0ELi3EEvPKT_PKT0_S7_ifPKiS9_S9_iPKfiiiPfSC_PS2_PT2_iSB_SB_: ; @_Z38paged_attention_ll4mi_QKV_mfma4_kernelIDF16_hLN4vllm18Fp8KVCacheDataTypeE1EDF16_Li16ELi128ELi256ELb0ELi3EEvPKT_PKT0_S7_ifPKiS9_S9_iPKfiiiPfSC_PS2_PT2_iSB_SB_
; %bb.0:
	s_get_pc_i64 s[2:3]
	s_add_nc_u64 s[2:3], s[2:3], __PRETTY_FUNCTION__._Z38paged_attention_ll4mi_QKV_mfma4_kernelIDF16_hLN4vllm18Fp8KVCacheDataTypeE1EDF16_Li16ELi128ELi256ELb0ELi3EEvPKT_PKT0_S7_ifPKiS9_S9_iPKfiiiPfSC_PS2_PT2_iSB_SB_@rel64+4
	s_delay_alu instid0(SALU_CYCLE_1)
	v_dual_mov_b32 v0, 0xbce :: v_dual_mov_b32 v1, s2
	v_mov_b32_e32 v2, s3
	s_add_nc_u64 s[8:9], s[0:1], 0x90
	s_get_pc_i64 s[0:1]
	s_add_nc_u64 s[0:1], s[0:1], __assert_fail@rel64+4
	s_mov_b32 s32, 0
	s_swap_pc_i64 s[30:31], s[0:1]
	.section	.rodata,"a",@progbits
	.p2align	6, 0x0
	.amdhsa_kernel _Z38paged_attention_ll4mi_QKV_mfma4_kernelIDF16_hLN4vllm18Fp8KVCacheDataTypeE1EDF16_Li16ELi128ELi256ELb0ELi3EEvPKT_PKT0_S7_ifPKiS9_S9_iPKfiiiPfSC_PS2_PT2_iSB_SB_
		.amdhsa_group_segment_fixed_size 0
		.amdhsa_private_segment_fixed_size 64
		.amdhsa_kernarg_size 400
		.amdhsa_user_sgpr_count 2
		.amdhsa_user_sgpr_dispatch_ptr 0
		.amdhsa_user_sgpr_queue_ptr 0
		.amdhsa_user_sgpr_kernarg_segment_ptr 1
		.amdhsa_user_sgpr_dispatch_id 0
		.amdhsa_user_sgpr_kernarg_preload_length 0
		.amdhsa_user_sgpr_kernarg_preload_offset 0
		.amdhsa_user_sgpr_private_segment_size 0
		.amdhsa_wavefront_size32 1
		.amdhsa_uses_dynamic_stack 0
		.amdhsa_enable_private_segment 1
		.amdhsa_system_sgpr_workgroup_id_x 1
		.amdhsa_system_sgpr_workgroup_id_y 0
		.amdhsa_system_sgpr_workgroup_id_z 0
		.amdhsa_system_sgpr_workgroup_info 0
		.amdhsa_system_vgpr_workitem_id 0
		.amdhsa_next_free_vgpr 51
		.amdhsa_next_free_sgpr 34
		.amdhsa_named_barrier_count 0
		.amdhsa_reserve_vcc 1
		.amdhsa_float_round_mode_32 0
		.amdhsa_float_round_mode_16_64 0
		.amdhsa_float_denorm_mode_32 3
		.amdhsa_float_denorm_mode_16_64 3
		.amdhsa_fp16_overflow 0
		.amdhsa_memory_ordered 1
		.amdhsa_forward_progress 1
		.amdhsa_inst_pref_size 1
		.amdhsa_round_robin_scheduling 0
		.amdhsa_exception_fp_ieee_invalid_op 0
		.amdhsa_exception_fp_denorm_src 0
		.amdhsa_exception_fp_ieee_div_zero 0
		.amdhsa_exception_fp_ieee_overflow 0
		.amdhsa_exception_fp_ieee_underflow 0
		.amdhsa_exception_fp_ieee_inexact 0
		.amdhsa_exception_int_div_zero 0
	.end_amdhsa_kernel
	.section	.text._Z38paged_attention_ll4mi_QKV_mfma4_kernelIDF16_hLN4vllm18Fp8KVCacheDataTypeE1EDF16_Li16ELi128ELi256ELb0ELi3EEvPKT_PKT0_S7_ifPKiS9_S9_iPKfiiiPfSC_PS2_PT2_iSB_SB_,"axG",@progbits,_Z38paged_attention_ll4mi_QKV_mfma4_kernelIDF16_hLN4vllm18Fp8KVCacheDataTypeE1EDF16_Li16ELi128ELi256ELb0ELi3EEvPKT_PKT0_S7_ifPKiS9_S9_iPKfiiiPfSC_PS2_PT2_iSB_SB_,comdat
.Lfunc_end992:
	.size	_Z38paged_attention_ll4mi_QKV_mfma4_kernelIDF16_hLN4vllm18Fp8KVCacheDataTypeE1EDF16_Li16ELi128ELi256ELb0ELi3EEvPKT_PKT0_S7_ifPKiS9_S9_iPKfiiiPfSC_PS2_PT2_iSB_SB_, .Lfunc_end992-_Z38paged_attention_ll4mi_QKV_mfma4_kernelIDF16_hLN4vllm18Fp8KVCacheDataTypeE1EDF16_Li16ELi128ELi256ELb0ELi3EEvPKT_PKT0_S7_ifPKiS9_S9_iPKfiiiPfSC_PS2_PT2_iSB_SB_
                                        ; -- End function
	.set _Z38paged_attention_ll4mi_QKV_mfma4_kernelIDF16_hLN4vllm18Fp8KVCacheDataTypeE1EDF16_Li16ELi128ELi256ELb0ELi3EEvPKT_PKT0_S7_ifPKiS9_S9_iPKfiiiPfSC_PS2_PT2_iSB_SB_.num_vgpr, max(3, .L__assert_fail.num_vgpr)
	.set _Z38paged_attention_ll4mi_QKV_mfma4_kernelIDF16_hLN4vllm18Fp8KVCacheDataTypeE1EDF16_Li16ELi128ELi256ELb0ELi3EEvPKT_PKT0_S7_ifPKiS9_S9_iPKfiiiPfSC_PS2_PT2_iSB_SB_.num_agpr, max(0, .L__assert_fail.num_agpr)
	.set _Z38paged_attention_ll4mi_QKV_mfma4_kernelIDF16_hLN4vllm18Fp8KVCacheDataTypeE1EDF16_Li16ELi128ELi256ELb0ELi3EEvPKT_PKT0_S7_ifPKiS9_S9_iPKfiiiPfSC_PS2_PT2_iSB_SB_.numbered_sgpr, max(33, .L__assert_fail.numbered_sgpr)
	.set _Z38paged_attention_ll4mi_QKV_mfma4_kernelIDF16_hLN4vllm18Fp8KVCacheDataTypeE1EDF16_Li16ELi128ELi256ELb0ELi3EEvPKT_PKT0_S7_ifPKiS9_S9_iPKfiiiPfSC_PS2_PT2_iSB_SB_.num_named_barrier, max(0, .L__assert_fail.num_named_barrier)
	.set _Z38paged_attention_ll4mi_QKV_mfma4_kernelIDF16_hLN4vllm18Fp8KVCacheDataTypeE1EDF16_Li16ELi128ELi256ELb0ELi3EEvPKT_PKT0_S7_ifPKiS9_S9_iPKfiiiPfSC_PS2_PT2_iSB_SB_.private_seg_size, 0+max(.L__assert_fail.private_seg_size)
	.set _Z38paged_attention_ll4mi_QKV_mfma4_kernelIDF16_hLN4vllm18Fp8KVCacheDataTypeE1EDF16_Li16ELi128ELi256ELb0ELi3EEvPKT_PKT0_S7_ifPKiS9_S9_iPKfiiiPfSC_PS2_PT2_iSB_SB_.uses_vcc, or(1, .L__assert_fail.uses_vcc)
	.set _Z38paged_attention_ll4mi_QKV_mfma4_kernelIDF16_hLN4vllm18Fp8KVCacheDataTypeE1EDF16_Li16ELi128ELi256ELb0ELi3EEvPKT_PKT0_S7_ifPKiS9_S9_iPKfiiiPfSC_PS2_PT2_iSB_SB_.uses_flat_scratch, or(0, .L__assert_fail.uses_flat_scratch)
	.set _Z38paged_attention_ll4mi_QKV_mfma4_kernelIDF16_hLN4vllm18Fp8KVCacheDataTypeE1EDF16_Li16ELi128ELi256ELb0ELi3EEvPKT_PKT0_S7_ifPKiS9_S9_iPKfiiiPfSC_PS2_PT2_iSB_SB_.has_dyn_sized_stack, or(0, .L__assert_fail.has_dyn_sized_stack)
	.set _Z38paged_attention_ll4mi_QKV_mfma4_kernelIDF16_hLN4vllm18Fp8KVCacheDataTypeE1EDF16_Li16ELi128ELi256ELb0ELi3EEvPKT_PKT0_S7_ifPKiS9_S9_iPKfiiiPfSC_PS2_PT2_iSB_SB_.has_recursion, or(0, .L__assert_fail.has_recursion)
	.set _Z38paged_attention_ll4mi_QKV_mfma4_kernelIDF16_hLN4vllm18Fp8KVCacheDataTypeE1EDF16_Li16ELi128ELi256ELb0ELi3EEvPKT_PKT0_S7_ifPKiS9_S9_iPKfiiiPfSC_PS2_PT2_iSB_SB_.has_indirect_call, or(0, .L__assert_fail.has_indirect_call)
	.section	.AMDGPU.csdata,"",@progbits
; Kernel info:
; codeLenInByte = 68
; TotalNumSgprs: 36
; NumVgprs: 51
; ScratchSize: 64
; MemoryBound: 0
; FloatMode: 240
; IeeeMode: 1
; LDSByteSize: 0 bytes/workgroup (compile time only)
; SGPRBlocks: 0
; VGPRBlocks: 3
; NumSGPRsForWavesPerEU: 36
; NumVGPRsForWavesPerEU: 51
; NamedBarCnt: 0
; Occupancy: 16
; WaveLimiterHint : 1
; COMPUTE_PGM_RSRC2:SCRATCH_EN: 1
; COMPUTE_PGM_RSRC2:USER_SGPR: 2
; COMPUTE_PGM_RSRC2:TRAP_HANDLER: 0
; COMPUTE_PGM_RSRC2:TGID_X_EN: 1
; COMPUTE_PGM_RSRC2:TGID_Y_EN: 0
; COMPUTE_PGM_RSRC2:TGID_Z_EN: 0
; COMPUTE_PGM_RSRC2:TIDIG_COMP_CNT: 0
	.section	.text._Z38paged_attention_ll4mi_QKV_mfma4_kernelIDF16_hLN4vllm18Fp8KVCacheDataTypeE1EDF16_Li16ELi128ELi256ELb0ELi4EEvPKT_PKT0_S7_ifPKiS9_S9_iPKfiiiPfSC_PS2_PT2_iSB_SB_,"axG",@progbits,_Z38paged_attention_ll4mi_QKV_mfma4_kernelIDF16_hLN4vllm18Fp8KVCacheDataTypeE1EDF16_Li16ELi128ELi256ELb0ELi4EEvPKT_PKT0_S7_ifPKiS9_S9_iPKfiiiPfSC_PS2_PT2_iSB_SB_,comdat
	.protected	_Z38paged_attention_ll4mi_QKV_mfma4_kernelIDF16_hLN4vllm18Fp8KVCacheDataTypeE1EDF16_Li16ELi128ELi256ELb0ELi4EEvPKT_PKT0_S7_ifPKiS9_S9_iPKfiiiPfSC_PS2_PT2_iSB_SB_ ; -- Begin function _Z38paged_attention_ll4mi_QKV_mfma4_kernelIDF16_hLN4vllm18Fp8KVCacheDataTypeE1EDF16_Li16ELi128ELi256ELb0ELi4EEvPKT_PKT0_S7_ifPKiS9_S9_iPKfiiiPfSC_PS2_PT2_iSB_SB_
	.globl	_Z38paged_attention_ll4mi_QKV_mfma4_kernelIDF16_hLN4vllm18Fp8KVCacheDataTypeE1EDF16_Li16ELi128ELi256ELb0ELi4EEvPKT_PKT0_S7_ifPKiS9_S9_iPKfiiiPfSC_PS2_PT2_iSB_SB_
	.p2align	8
	.type	_Z38paged_attention_ll4mi_QKV_mfma4_kernelIDF16_hLN4vllm18Fp8KVCacheDataTypeE1EDF16_Li16ELi128ELi256ELb0ELi4EEvPKT_PKT0_S7_ifPKiS9_S9_iPKfiiiPfSC_PS2_PT2_iSB_SB_,@function
_Z38paged_attention_ll4mi_QKV_mfma4_kernelIDF16_hLN4vllm18Fp8KVCacheDataTypeE1EDF16_Li16ELi128ELi256ELb0ELi4EEvPKT_PKT0_S7_ifPKiS9_S9_iPKfiiiPfSC_PS2_PT2_iSB_SB_: ; @_Z38paged_attention_ll4mi_QKV_mfma4_kernelIDF16_hLN4vllm18Fp8KVCacheDataTypeE1EDF16_Li16ELi128ELi256ELb0ELi4EEvPKT_PKT0_S7_ifPKiS9_S9_iPKfiiiPfSC_PS2_PT2_iSB_SB_
; %bb.0:
	s_get_pc_i64 s[2:3]
	s_add_nc_u64 s[2:3], s[2:3], __PRETTY_FUNCTION__._Z38paged_attention_ll4mi_QKV_mfma4_kernelIDF16_hLN4vllm18Fp8KVCacheDataTypeE1EDF16_Li16ELi128ELi256ELb0ELi4EEvPKT_PKT0_S7_ifPKiS9_S9_iPKfiiiPfSC_PS2_PT2_iSB_SB_@rel64+4
	s_delay_alu instid0(SALU_CYCLE_1)
	v_dual_mov_b32 v0, 0xbce :: v_dual_mov_b32 v1, s2
	v_mov_b32_e32 v2, s3
	s_add_nc_u64 s[8:9], s[0:1], 0x90
	s_get_pc_i64 s[0:1]
	s_add_nc_u64 s[0:1], s[0:1], __assert_fail@rel64+4
	s_mov_b32 s32, 0
	s_swap_pc_i64 s[30:31], s[0:1]
	.section	.rodata,"a",@progbits
	.p2align	6, 0x0
	.amdhsa_kernel _Z38paged_attention_ll4mi_QKV_mfma4_kernelIDF16_hLN4vllm18Fp8KVCacheDataTypeE1EDF16_Li16ELi128ELi256ELb0ELi4EEvPKT_PKT0_S7_ifPKiS9_S9_iPKfiiiPfSC_PS2_PT2_iSB_SB_
		.amdhsa_group_segment_fixed_size 0
		.amdhsa_private_segment_fixed_size 64
		.amdhsa_kernarg_size 400
		.amdhsa_user_sgpr_count 2
		.amdhsa_user_sgpr_dispatch_ptr 0
		.amdhsa_user_sgpr_queue_ptr 0
		.amdhsa_user_sgpr_kernarg_segment_ptr 1
		.amdhsa_user_sgpr_dispatch_id 0
		.amdhsa_user_sgpr_kernarg_preload_length 0
		.amdhsa_user_sgpr_kernarg_preload_offset 0
		.amdhsa_user_sgpr_private_segment_size 0
		.amdhsa_wavefront_size32 1
		.amdhsa_uses_dynamic_stack 0
		.amdhsa_enable_private_segment 1
		.amdhsa_system_sgpr_workgroup_id_x 1
		.amdhsa_system_sgpr_workgroup_id_y 0
		.amdhsa_system_sgpr_workgroup_id_z 0
		.amdhsa_system_sgpr_workgroup_info 0
		.amdhsa_system_vgpr_workitem_id 0
		.amdhsa_next_free_vgpr 51
		.amdhsa_next_free_sgpr 34
		.amdhsa_named_barrier_count 0
		.amdhsa_reserve_vcc 1
		.amdhsa_float_round_mode_32 0
		.amdhsa_float_round_mode_16_64 0
		.amdhsa_float_denorm_mode_32 3
		.amdhsa_float_denorm_mode_16_64 3
		.amdhsa_fp16_overflow 0
		.amdhsa_memory_ordered 1
		.amdhsa_forward_progress 1
		.amdhsa_inst_pref_size 1
		.amdhsa_round_robin_scheduling 0
		.amdhsa_exception_fp_ieee_invalid_op 0
		.amdhsa_exception_fp_denorm_src 0
		.amdhsa_exception_fp_ieee_div_zero 0
		.amdhsa_exception_fp_ieee_overflow 0
		.amdhsa_exception_fp_ieee_underflow 0
		.amdhsa_exception_fp_ieee_inexact 0
		.amdhsa_exception_int_div_zero 0
	.end_amdhsa_kernel
	.section	.text._Z38paged_attention_ll4mi_QKV_mfma4_kernelIDF16_hLN4vllm18Fp8KVCacheDataTypeE1EDF16_Li16ELi128ELi256ELb0ELi4EEvPKT_PKT0_S7_ifPKiS9_S9_iPKfiiiPfSC_PS2_PT2_iSB_SB_,"axG",@progbits,_Z38paged_attention_ll4mi_QKV_mfma4_kernelIDF16_hLN4vllm18Fp8KVCacheDataTypeE1EDF16_Li16ELi128ELi256ELb0ELi4EEvPKT_PKT0_S7_ifPKiS9_S9_iPKfiiiPfSC_PS2_PT2_iSB_SB_,comdat
.Lfunc_end993:
	.size	_Z38paged_attention_ll4mi_QKV_mfma4_kernelIDF16_hLN4vllm18Fp8KVCacheDataTypeE1EDF16_Li16ELi128ELi256ELb0ELi4EEvPKT_PKT0_S7_ifPKiS9_S9_iPKfiiiPfSC_PS2_PT2_iSB_SB_, .Lfunc_end993-_Z38paged_attention_ll4mi_QKV_mfma4_kernelIDF16_hLN4vllm18Fp8KVCacheDataTypeE1EDF16_Li16ELi128ELi256ELb0ELi4EEvPKT_PKT0_S7_ifPKiS9_S9_iPKfiiiPfSC_PS2_PT2_iSB_SB_
                                        ; -- End function
	.set _Z38paged_attention_ll4mi_QKV_mfma4_kernelIDF16_hLN4vllm18Fp8KVCacheDataTypeE1EDF16_Li16ELi128ELi256ELb0ELi4EEvPKT_PKT0_S7_ifPKiS9_S9_iPKfiiiPfSC_PS2_PT2_iSB_SB_.num_vgpr, max(3, .L__assert_fail.num_vgpr)
	.set _Z38paged_attention_ll4mi_QKV_mfma4_kernelIDF16_hLN4vllm18Fp8KVCacheDataTypeE1EDF16_Li16ELi128ELi256ELb0ELi4EEvPKT_PKT0_S7_ifPKiS9_S9_iPKfiiiPfSC_PS2_PT2_iSB_SB_.num_agpr, max(0, .L__assert_fail.num_agpr)
	.set _Z38paged_attention_ll4mi_QKV_mfma4_kernelIDF16_hLN4vllm18Fp8KVCacheDataTypeE1EDF16_Li16ELi128ELi256ELb0ELi4EEvPKT_PKT0_S7_ifPKiS9_S9_iPKfiiiPfSC_PS2_PT2_iSB_SB_.numbered_sgpr, max(33, .L__assert_fail.numbered_sgpr)
	.set _Z38paged_attention_ll4mi_QKV_mfma4_kernelIDF16_hLN4vllm18Fp8KVCacheDataTypeE1EDF16_Li16ELi128ELi256ELb0ELi4EEvPKT_PKT0_S7_ifPKiS9_S9_iPKfiiiPfSC_PS2_PT2_iSB_SB_.num_named_barrier, max(0, .L__assert_fail.num_named_barrier)
	.set _Z38paged_attention_ll4mi_QKV_mfma4_kernelIDF16_hLN4vllm18Fp8KVCacheDataTypeE1EDF16_Li16ELi128ELi256ELb0ELi4EEvPKT_PKT0_S7_ifPKiS9_S9_iPKfiiiPfSC_PS2_PT2_iSB_SB_.private_seg_size, 0+max(.L__assert_fail.private_seg_size)
	.set _Z38paged_attention_ll4mi_QKV_mfma4_kernelIDF16_hLN4vllm18Fp8KVCacheDataTypeE1EDF16_Li16ELi128ELi256ELb0ELi4EEvPKT_PKT0_S7_ifPKiS9_S9_iPKfiiiPfSC_PS2_PT2_iSB_SB_.uses_vcc, or(1, .L__assert_fail.uses_vcc)
	.set _Z38paged_attention_ll4mi_QKV_mfma4_kernelIDF16_hLN4vllm18Fp8KVCacheDataTypeE1EDF16_Li16ELi128ELi256ELb0ELi4EEvPKT_PKT0_S7_ifPKiS9_S9_iPKfiiiPfSC_PS2_PT2_iSB_SB_.uses_flat_scratch, or(0, .L__assert_fail.uses_flat_scratch)
	.set _Z38paged_attention_ll4mi_QKV_mfma4_kernelIDF16_hLN4vllm18Fp8KVCacheDataTypeE1EDF16_Li16ELi128ELi256ELb0ELi4EEvPKT_PKT0_S7_ifPKiS9_S9_iPKfiiiPfSC_PS2_PT2_iSB_SB_.has_dyn_sized_stack, or(0, .L__assert_fail.has_dyn_sized_stack)
	.set _Z38paged_attention_ll4mi_QKV_mfma4_kernelIDF16_hLN4vllm18Fp8KVCacheDataTypeE1EDF16_Li16ELi128ELi256ELb0ELi4EEvPKT_PKT0_S7_ifPKiS9_S9_iPKfiiiPfSC_PS2_PT2_iSB_SB_.has_recursion, or(0, .L__assert_fail.has_recursion)
	.set _Z38paged_attention_ll4mi_QKV_mfma4_kernelIDF16_hLN4vllm18Fp8KVCacheDataTypeE1EDF16_Li16ELi128ELi256ELb0ELi4EEvPKT_PKT0_S7_ifPKiS9_S9_iPKfiiiPfSC_PS2_PT2_iSB_SB_.has_indirect_call, or(0, .L__assert_fail.has_indirect_call)
	.section	.AMDGPU.csdata,"",@progbits
; Kernel info:
; codeLenInByte = 68
; TotalNumSgprs: 36
; NumVgprs: 51
; ScratchSize: 64
; MemoryBound: 0
; FloatMode: 240
; IeeeMode: 1
; LDSByteSize: 0 bytes/workgroup (compile time only)
; SGPRBlocks: 0
; VGPRBlocks: 3
; NumSGPRsForWavesPerEU: 36
; NumVGPRsForWavesPerEU: 51
; NamedBarCnt: 0
; Occupancy: 16
; WaveLimiterHint : 1
; COMPUTE_PGM_RSRC2:SCRATCH_EN: 1
; COMPUTE_PGM_RSRC2:USER_SGPR: 2
; COMPUTE_PGM_RSRC2:TRAP_HANDLER: 0
; COMPUTE_PGM_RSRC2:TGID_X_EN: 1
; COMPUTE_PGM_RSRC2:TGID_Y_EN: 0
; COMPUTE_PGM_RSRC2:TGID_Z_EN: 0
; COMPUTE_PGM_RSRC2:TIDIG_COMP_CNT: 0
	.section	.text._Z39paged_attention_ll4mi_QKV_mfma16_kernelIDF16_hLN4vllm18Fp8KVCacheDataTypeE1EDF16_Li16ELi128ELi256ELb0ELi5EEvPKT_PKT0_S7_ifPKiS9_S9_iPKfiiiPfSC_PS2_PT2_iSB_SB_,"axG",@progbits,_Z39paged_attention_ll4mi_QKV_mfma16_kernelIDF16_hLN4vllm18Fp8KVCacheDataTypeE1EDF16_Li16ELi128ELi256ELb0ELi5EEvPKT_PKT0_S7_ifPKiS9_S9_iPKfiiiPfSC_PS2_PT2_iSB_SB_,comdat
	.protected	_Z39paged_attention_ll4mi_QKV_mfma16_kernelIDF16_hLN4vllm18Fp8KVCacheDataTypeE1EDF16_Li16ELi128ELi256ELb0ELi5EEvPKT_PKT0_S7_ifPKiS9_S9_iPKfiiiPfSC_PS2_PT2_iSB_SB_ ; -- Begin function _Z39paged_attention_ll4mi_QKV_mfma16_kernelIDF16_hLN4vllm18Fp8KVCacheDataTypeE1EDF16_Li16ELi128ELi256ELb0ELi5EEvPKT_PKT0_S7_ifPKiS9_S9_iPKfiiiPfSC_PS2_PT2_iSB_SB_
	.globl	_Z39paged_attention_ll4mi_QKV_mfma16_kernelIDF16_hLN4vllm18Fp8KVCacheDataTypeE1EDF16_Li16ELi128ELi256ELb0ELi5EEvPKT_PKT0_S7_ifPKiS9_S9_iPKfiiiPfSC_PS2_PT2_iSB_SB_
	.p2align	8
	.type	_Z39paged_attention_ll4mi_QKV_mfma16_kernelIDF16_hLN4vllm18Fp8KVCacheDataTypeE1EDF16_Li16ELi128ELi256ELb0ELi5EEvPKT_PKT0_S7_ifPKiS9_S9_iPKfiiiPfSC_PS2_PT2_iSB_SB_,@function
_Z39paged_attention_ll4mi_QKV_mfma16_kernelIDF16_hLN4vllm18Fp8KVCacheDataTypeE1EDF16_Li16ELi128ELi256ELb0ELi5EEvPKT_PKT0_S7_ifPKiS9_S9_iPKfiiiPfSC_PS2_PT2_iSB_SB_: ; @_Z39paged_attention_ll4mi_QKV_mfma16_kernelIDF16_hLN4vllm18Fp8KVCacheDataTypeE1EDF16_Li16ELi128ELi256ELb0ELi5EEvPKT_PKT0_S7_ifPKiS9_S9_iPKfiiiPfSC_PS2_PT2_iSB_SB_
; %bb.0:
	s_get_pc_i64 s[2:3]
	s_add_nc_u64 s[2:3], s[2:3], __PRETTY_FUNCTION__._Z39paged_attention_ll4mi_QKV_mfma16_kernelIDF16_hLN4vllm18Fp8KVCacheDataTypeE1EDF16_Li16ELi128ELi256ELb0ELi5EEvPKT_PKT0_S7_ifPKiS9_S9_iPKfiiiPfSC_PS2_PT2_iSB_SB_@rel64+4
	s_delay_alu instid0(SALU_CYCLE_1)
	v_dual_mov_b32 v0, 0xbb3 :: v_dual_mov_b32 v1, s2
	v_mov_b32_e32 v2, s3
	s_add_nc_u64 s[8:9], s[0:1], 0x90
	s_get_pc_i64 s[0:1]
	s_add_nc_u64 s[0:1], s[0:1], __assert_fail@rel64+4
	s_mov_b32 s32, 0
	s_swap_pc_i64 s[30:31], s[0:1]
	.section	.rodata,"a",@progbits
	.p2align	6, 0x0
	.amdhsa_kernel _Z39paged_attention_ll4mi_QKV_mfma16_kernelIDF16_hLN4vllm18Fp8KVCacheDataTypeE1EDF16_Li16ELi128ELi256ELb0ELi5EEvPKT_PKT0_S7_ifPKiS9_S9_iPKfiiiPfSC_PS2_PT2_iSB_SB_
		.amdhsa_group_segment_fixed_size 0
		.amdhsa_private_segment_fixed_size 64
		.amdhsa_kernarg_size 400
		.amdhsa_user_sgpr_count 2
		.amdhsa_user_sgpr_dispatch_ptr 0
		.amdhsa_user_sgpr_queue_ptr 0
		.amdhsa_user_sgpr_kernarg_segment_ptr 1
		.amdhsa_user_sgpr_dispatch_id 0
		.amdhsa_user_sgpr_kernarg_preload_length 0
		.amdhsa_user_sgpr_kernarg_preload_offset 0
		.amdhsa_user_sgpr_private_segment_size 0
		.amdhsa_wavefront_size32 1
		.amdhsa_uses_dynamic_stack 0
		.amdhsa_enable_private_segment 1
		.amdhsa_system_sgpr_workgroup_id_x 1
		.amdhsa_system_sgpr_workgroup_id_y 0
		.amdhsa_system_sgpr_workgroup_id_z 0
		.amdhsa_system_sgpr_workgroup_info 0
		.amdhsa_system_vgpr_workitem_id 0
		.amdhsa_next_free_vgpr 51
		.amdhsa_next_free_sgpr 34
		.amdhsa_named_barrier_count 0
		.amdhsa_reserve_vcc 1
		.amdhsa_float_round_mode_32 0
		.amdhsa_float_round_mode_16_64 0
		.amdhsa_float_denorm_mode_32 3
		.amdhsa_float_denorm_mode_16_64 3
		.amdhsa_fp16_overflow 0
		.amdhsa_memory_ordered 1
		.amdhsa_forward_progress 1
		.amdhsa_inst_pref_size 1
		.amdhsa_round_robin_scheduling 0
		.amdhsa_exception_fp_ieee_invalid_op 0
		.amdhsa_exception_fp_denorm_src 0
		.amdhsa_exception_fp_ieee_div_zero 0
		.amdhsa_exception_fp_ieee_overflow 0
		.amdhsa_exception_fp_ieee_underflow 0
		.amdhsa_exception_fp_ieee_inexact 0
		.amdhsa_exception_int_div_zero 0
	.end_amdhsa_kernel
	.section	.text._Z39paged_attention_ll4mi_QKV_mfma16_kernelIDF16_hLN4vllm18Fp8KVCacheDataTypeE1EDF16_Li16ELi128ELi256ELb0ELi5EEvPKT_PKT0_S7_ifPKiS9_S9_iPKfiiiPfSC_PS2_PT2_iSB_SB_,"axG",@progbits,_Z39paged_attention_ll4mi_QKV_mfma16_kernelIDF16_hLN4vllm18Fp8KVCacheDataTypeE1EDF16_Li16ELi128ELi256ELb0ELi5EEvPKT_PKT0_S7_ifPKiS9_S9_iPKfiiiPfSC_PS2_PT2_iSB_SB_,comdat
.Lfunc_end994:
	.size	_Z39paged_attention_ll4mi_QKV_mfma16_kernelIDF16_hLN4vllm18Fp8KVCacheDataTypeE1EDF16_Li16ELi128ELi256ELb0ELi5EEvPKT_PKT0_S7_ifPKiS9_S9_iPKfiiiPfSC_PS2_PT2_iSB_SB_, .Lfunc_end994-_Z39paged_attention_ll4mi_QKV_mfma16_kernelIDF16_hLN4vllm18Fp8KVCacheDataTypeE1EDF16_Li16ELi128ELi256ELb0ELi5EEvPKT_PKT0_S7_ifPKiS9_S9_iPKfiiiPfSC_PS2_PT2_iSB_SB_
                                        ; -- End function
	.set _Z39paged_attention_ll4mi_QKV_mfma16_kernelIDF16_hLN4vllm18Fp8KVCacheDataTypeE1EDF16_Li16ELi128ELi256ELb0ELi5EEvPKT_PKT0_S7_ifPKiS9_S9_iPKfiiiPfSC_PS2_PT2_iSB_SB_.num_vgpr, max(3, .L__assert_fail.num_vgpr)
	.set _Z39paged_attention_ll4mi_QKV_mfma16_kernelIDF16_hLN4vllm18Fp8KVCacheDataTypeE1EDF16_Li16ELi128ELi256ELb0ELi5EEvPKT_PKT0_S7_ifPKiS9_S9_iPKfiiiPfSC_PS2_PT2_iSB_SB_.num_agpr, max(0, .L__assert_fail.num_agpr)
	.set _Z39paged_attention_ll4mi_QKV_mfma16_kernelIDF16_hLN4vllm18Fp8KVCacheDataTypeE1EDF16_Li16ELi128ELi256ELb0ELi5EEvPKT_PKT0_S7_ifPKiS9_S9_iPKfiiiPfSC_PS2_PT2_iSB_SB_.numbered_sgpr, max(33, .L__assert_fail.numbered_sgpr)
	.set _Z39paged_attention_ll4mi_QKV_mfma16_kernelIDF16_hLN4vllm18Fp8KVCacheDataTypeE1EDF16_Li16ELi128ELi256ELb0ELi5EEvPKT_PKT0_S7_ifPKiS9_S9_iPKfiiiPfSC_PS2_PT2_iSB_SB_.num_named_barrier, max(0, .L__assert_fail.num_named_barrier)
	.set _Z39paged_attention_ll4mi_QKV_mfma16_kernelIDF16_hLN4vllm18Fp8KVCacheDataTypeE1EDF16_Li16ELi128ELi256ELb0ELi5EEvPKT_PKT0_S7_ifPKiS9_S9_iPKfiiiPfSC_PS2_PT2_iSB_SB_.private_seg_size, 0+max(.L__assert_fail.private_seg_size)
	.set _Z39paged_attention_ll4mi_QKV_mfma16_kernelIDF16_hLN4vllm18Fp8KVCacheDataTypeE1EDF16_Li16ELi128ELi256ELb0ELi5EEvPKT_PKT0_S7_ifPKiS9_S9_iPKfiiiPfSC_PS2_PT2_iSB_SB_.uses_vcc, or(1, .L__assert_fail.uses_vcc)
	.set _Z39paged_attention_ll4mi_QKV_mfma16_kernelIDF16_hLN4vllm18Fp8KVCacheDataTypeE1EDF16_Li16ELi128ELi256ELb0ELi5EEvPKT_PKT0_S7_ifPKiS9_S9_iPKfiiiPfSC_PS2_PT2_iSB_SB_.uses_flat_scratch, or(0, .L__assert_fail.uses_flat_scratch)
	.set _Z39paged_attention_ll4mi_QKV_mfma16_kernelIDF16_hLN4vllm18Fp8KVCacheDataTypeE1EDF16_Li16ELi128ELi256ELb0ELi5EEvPKT_PKT0_S7_ifPKiS9_S9_iPKfiiiPfSC_PS2_PT2_iSB_SB_.has_dyn_sized_stack, or(0, .L__assert_fail.has_dyn_sized_stack)
	.set _Z39paged_attention_ll4mi_QKV_mfma16_kernelIDF16_hLN4vllm18Fp8KVCacheDataTypeE1EDF16_Li16ELi128ELi256ELb0ELi5EEvPKT_PKT0_S7_ifPKiS9_S9_iPKfiiiPfSC_PS2_PT2_iSB_SB_.has_recursion, or(0, .L__assert_fail.has_recursion)
	.set _Z39paged_attention_ll4mi_QKV_mfma16_kernelIDF16_hLN4vllm18Fp8KVCacheDataTypeE1EDF16_Li16ELi128ELi256ELb0ELi5EEvPKT_PKT0_S7_ifPKiS9_S9_iPKfiiiPfSC_PS2_PT2_iSB_SB_.has_indirect_call, or(0, .L__assert_fail.has_indirect_call)
	.section	.AMDGPU.csdata,"",@progbits
; Kernel info:
; codeLenInByte = 68
; TotalNumSgprs: 36
; NumVgprs: 51
; ScratchSize: 64
; MemoryBound: 0
; FloatMode: 240
; IeeeMode: 1
; LDSByteSize: 0 bytes/workgroup (compile time only)
; SGPRBlocks: 0
; VGPRBlocks: 3
; NumSGPRsForWavesPerEU: 36
; NumVGPRsForWavesPerEU: 51
; NamedBarCnt: 0
; Occupancy: 16
; WaveLimiterHint : 1
; COMPUTE_PGM_RSRC2:SCRATCH_EN: 1
; COMPUTE_PGM_RSRC2:USER_SGPR: 2
; COMPUTE_PGM_RSRC2:TRAP_HANDLER: 0
; COMPUTE_PGM_RSRC2:TGID_X_EN: 1
; COMPUTE_PGM_RSRC2:TGID_Y_EN: 0
; COMPUTE_PGM_RSRC2:TGID_Z_EN: 0
; COMPUTE_PGM_RSRC2:TIDIG_COMP_CNT: 0
	.section	.text._Z39paged_attention_ll4mi_QKV_mfma16_kernelIDF16_hLN4vllm18Fp8KVCacheDataTypeE1EDF16_Li16ELi128ELi256ELb0ELi6EEvPKT_PKT0_S7_ifPKiS9_S9_iPKfiiiPfSC_PS2_PT2_iSB_SB_,"axG",@progbits,_Z39paged_attention_ll4mi_QKV_mfma16_kernelIDF16_hLN4vllm18Fp8KVCacheDataTypeE1EDF16_Li16ELi128ELi256ELb0ELi6EEvPKT_PKT0_S7_ifPKiS9_S9_iPKfiiiPfSC_PS2_PT2_iSB_SB_,comdat
	.protected	_Z39paged_attention_ll4mi_QKV_mfma16_kernelIDF16_hLN4vllm18Fp8KVCacheDataTypeE1EDF16_Li16ELi128ELi256ELb0ELi6EEvPKT_PKT0_S7_ifPKiS9_S9_iPKfiiiPfSC_PS2_PT2_iSB_SB_ ; -- Begin function _Z39paged_attention_ll4mi_QKV_mfma16_kernelIDF16_hLN4vllm18Fp8KVCacheDataTypeE1EDF16_Li16ELi128ELi256ELb0ELi6EEvPKT_PKT0_S7_ifPKiS9_S9_iPKfiiiPfSC_PS2_PT2_iSB_SB_
	.globl	_Z39paged_attention_ll4mi_QKV_mfma16_kernelIDF16_hLN4vllm18Fp8KVCacheDataTypeE1EDF16_Li16ELi128ELi256ELb0ELi6EEvPKT_PKT0_S7_ifPKiS9_S9_iPKfiiiPfSC_PS2_PT2_iSB_SB_
	.p2align	8
	.type	_Z39paged_attention_ll4mi_QKV_mfma16_kernelIDF16_hLN4vllm18Fp8KVCacheDataTypeE1EDF16_Li16ELi128ELi256ELb0ELi6EEvPKT_PKT0_S7_ifPKiS9_S9_iPKfiiiPfSC_PS2_PT2_iSB_SB_,@function
_Z39paged_attention_ll4mi_QKV_mfma16_kernelIDF16_hLN4vllm18Fp8KVCacheDataTypeE1EDF16_Li16ELi128ELi256ELb0ELi6EEvPKT_PKT0_S7_ifPKiS9_S9_iPKfiiiPfSC_PS2_PT2_iSB_SB_: ; @_Z39paged_attention_ll4mi_QKV_mfma16_kernelIDF16_hLN4vllm18Fp8KVCacheDataTypeE1EDF16_Li16ELi128ELi256ELb0ELi6EEvPKT_PKT0_S7_ifPKiS9_S9_iPKfiiiPfSC_PS2_PT2_iSB_SB_
; %bb.0:
	s_get_pc_i64 s[2:3]
	s_add_nc_u64 s[2:3], s[2:3], __PRETTY_FUNCTION__._Z39paged_attention_ll4mi_QKV_mfma16_kernelIDF16_hLN4vllm18Fp8KVCacheDataTypeE1EDF16_Li16ELi128ELi256ELb0ELi6EEvPKT_PKT0_S7_ifPKiS9_S9_iPKfiiiPfSC_PS2_PT2_iSB_SB_@rel64+4
	s_delay_alu instid0(SALU_CYCLE_1)
	v_dual_mov_b32 v0, 0xbb3 :: v_dual_mov_b32 v1, s2
	v_mov_b32_e32 v2, s3
	s_add_nc_u64 s[8:9], s[0:1], 0x90
	s_get_pc_i64 s[0:1]
	s_add_nc_u64 s[0:1], s[0:1], __assert_fail@rel64+4
	s_mov_b32 s32, 0
	s_swap_pc_i64 s[30:31], s[0:1]
	.section	.rodata,"a",@progbits
	.p2align	6, 0x0
	.amdhsa_kernel _Z39paged_attention_ll4mi_QKV_mfma16_kernelIDF16_hLN4vllm18Fp8KVCacheDataTypeE1EDF16_Li16ELi128ELi256ELb0ELi6EEvPKT_PKT0_S7_ifPKiS9_S9_iPKfiiiPfSC_PS2_PT2_iSB_SB_
		.amdhsa_group_segment_fixed_size 0
		.amdhsa_private_segment_fixed_size 64
		.amdhsa_kernarg_size 400
		.amdhsa_user_sgpr_count 2
		.amdhsa_user_sgpr_dispatch_ptr 0
		.amdhsa_user_sgpr_queue_ptr 0
		.amdhsa_user_sgpr_kernarg_segment_ptr 1
		.amdhsa_user_sgpr_dispatch_id 0
		.amdhsa_user_sgpr_kernarg_preload_length 0
		.amdhsa_user_sgpr_kernarg_preload_offset 0
		.amdhsa_user_sgpr_private_segment_size 0
		.amdhsa_wavefront_size32 1
		.amdhsa_uses_dynamic_stack 0
		.amdhsa_enable_private_segment 1
		.amdhsa_system_sgpr_workgroup_id_x 1
		.amdhsa_system_sgpr_workgroup_id_y 0
		.amdhsa_system_sgpr_workgroup_id_z 0
		.amdhsa_system_sgpr_workgroup_info 0
		.amdhsa_system_vgpr_workitem_id 0
		.amdhsa_next_free_vgpr 51
		.amdhsa_next_free_sgpr 34
		.amdhsa_named_barrier_count 0
		.amdhsa_reserve_vcc 1
		.amdhsa_float_round_mode_32 0
		.amdhsa_float_round_mode_16_64 0
		.amdhsa_float_denorm_mode_32 3
		.amdhsa_float_denorm_mode_16_64 3
		.amdhsa_fp16_overflow 0
		.amdhsa_memory_ordered 1
		.amdhsa_forward_progress 1
		.amdhsa_inst_pref_size 1
		.amdhsa_round_robin_scheduling 0
		.amdhsa_exception_fp_ieee_invalid_op 0
		.amdhsa_exception_fp_denorm_src 0
		.amdhsa_exception_fp_ieee_div_zero 0
		.amdhsa_exception_fp_ieee_overflow 0
		.amdhsa_exception_fp_ieee_underflow 0
		.amdhsa_exception_fp_ieee_inexact 0
		.amdhsa_exception_int_div_zero 0
	.end_amdhsa_kernel
	.section	.text._Z39paged_attention_ll4mi_QKV_mfma16_kernelIDF16_hLN4vllm18Fp8KVCacheDataTypeE1EDF16_Li16ELi128ELi256ELb0ELi6EEvPKT_PKT0_S7_ifPKiS9_S9_iPKfiiiPfSC_PS2_PT2_iSB_SB_,"axG",@progbits,_Z39paged_attention_ll4mi_QKV_mfma16_kernelIDF16_hLN4vllm18Fp8KVCacheDataTypeE1EDF16_Li16ELi128ELi256ELb0ELi6EEvPKT_PKT0_S7_ifPKiS9_S9_iPKfiiiPfSC_PS2_PT2_iSB_SB_,comdat
.Lfunc_end995:
	.size	_Z39paged_attention_ll4mi_QKV_mfma16_kernelIDF16_hLN4vllm18Fp8KVCacheDataTypeE1EDF16_Li16ELi128ELi256ELb0ELi6EEvPKT_PKT0_S7_ifPKiS9_S9_iPKfiiiPfSC_PS2_PT2_iSB_SB_, .Lfunc_end995-_Z39paged_attention_ll4mi_QKV_mfma16_kernelIDF16_hLN4vllm18Fp8KVCacheDataTypeE1EDF16_Li16ELi128ELi256ELb0ELi6EEvPKT_PKT0_S7_ifPKiS9_S9_iPKfiiiPfSC_PS2_PT2_iSB_SB_
                                        ; -- End function
	.set _Z39paged_attention_ll4mi_QKV_mfma16_kernelIDF16_hLN4vllm18Fp8KVCacheDataTypeE1EDF16_Li16ELi128ELi256ELb0ELi6EEvPKT_PKT0_S7_ifPKiS9_S9_iPKfiiiPfSC_PS2_PT2_iSB_SB_.num_vgpr, max(3, .L__assert_fail.num_vgpr)
	.set _Z39paged_attention_ll4mi_QKV_mfma16_kernelIDF16_hLN4vllm18Fp8KVCacheDataTypeE1EDF16_Li16ELi128ELi256ELb0ELi6EEvPKT_PKT0_S7_ifPKiS9_S9_iPKfiiiPfSC_PS2_PT2_iSB_SB_.num_agpr, max(0, .L__assert_fail.num_agpr)
	.set _Z39paged_attention_ll4mi_QKV_mfma16_kernelIDF16_hLN4vllm18Fp8KVCacheDataTypeE1EDF16_Li16ELi128ELi256ELb0ELi6EEvPKT_PKT0_S7_ifPKiS9_S9_iPKfiiiPfSC_PS2_PT2_iSB_SB_.numbered_sgpr, max(33, .L__assert_fail.numbered_sgpr)
	.set _Z39paged_attention_ll4mi_QKV_mfma16_kernelIDF16_hLN4vllm18Fp8KVCacheDataTypeE1EDF16_Li16ELi128ELi256ELb0ELi6EEvPKT_PKT0_S7_ifPKiS9_S9_iPKfiiiPfSC_PS2_PT2_iSB_SB_.num_named_barrier, max(0, .L__assert_fail.num_named_barrier)
	.set _Z39paged_attention_ll4mi_QKV_mfma16_kernelIDF16_hLN4vllm18Fp8KVCacheDataTypeE1EDF16_Li16ELi128ELi256ELb0ELi6EEvPKT_PKT0_S7_ifPKiS9_S9_iPKfiiiPfSC_PS2_PT2_iSB_SB_.private_seg_size, 0+max(.L__assert_fail.private_seg_size)
	.set _Z39paged_attention_ll4mi_QKV_mfma16_kernelIDF16_hLN4vllm18Fp8KVCacheDataTypeE1EDF16_Li16ELi128ELi256ELb0ELi6EEvPKT_PKT0_S7_ifPKiS9_S9_iPKfiiiPfSC_PS2_PT2_iSB_SB_.uses_vcc, or(1, .L__assert_fail.uses_vcc)
	.set _Z39paged_attention_ll4mi_QKV_mfma16_kernelIDF16_hLN4vllm18Fp8KVCacheDataTypeE1EDF16_Li16ELi128ELi256ELb0ELi6EEvPKT_PKT0_S7_ifPKiS9_S9_iPKfiiiPfSC_PS2_PT2_iSB_SB_.uses_flat_scratch, or(0, .L__assert_fail.uses_flat_scratch)
	.set _Z39paged_attention_ll4mi_QKV_mfma16_kernelIDF16_hLN4vllm18Fp8KVCacheDataTypeE1EDF16_Li16ELi128ELi256ELb0ELi6EEvPKT_PKT0_S7_ifPKiS9_S9_iPKfiiiPfSC_PS2_PT2_iSB_SB_.has_dyn_sized_stack, or(0, .L__assert_fail.has_dyn_sized_stack)
	.set _Z39paged_attention_ll4mi_QKV_mfma16_kernelIDF16_hLN4vllm18Fp8KVCacheDataTypeE1EDF16_Li16ELi128ELi256ELb0ELi6EEvPKT_PKT0_S7_ifPKiS9_S9_iPKfiiiPfSC_PS2_PT2_iSB_SB_.has_recursion, or(0, .L__assert_fail.has_recursion)
	.set _Z39paged_attention_ll4mi_QKV_mfma16_kernelIDF16_hLN4vllm18Fp8KVCacheDataTypeE1EDF16_Li16ELi128ELi256ELb0ELi6EEvPKT_PKT0_S7_ifPKiS9_S9_iPKfiiiPfSC_PS2_PT2_iSB_SB_.has_indirect_call, or(0, .L__assert_fail.has_indirect_call)
	.section	.AMDGPU.csdata,"",@progbits
; Kernel info:
; codeLenInByte = 68
; TotalNumSgprs: 36
; NumVgprs: 51
; ScratchSize: 64
; MemoryBound: 0
; FloatMode: 240
; IeeeMode: 1
; LDSByteSize: 0 bytes/workgroup (compile time only)
; SGPRBlocks: 0
; VGPRBlocks: 3
; NumSGPRsForWavesPerEU: 36
; NumVGPRsForWavesPerEU: 51
; NamedBarCnt: 0
; Occupancy: 16
; WaveLimiterHint : 1
; COMPUTE_PGM_RSRC2:SCRATCH_EN: 1
; COMPUTE_PGM_RSRC2:USER_SGPR: 2
; COMPUTE_PGM_RSRC2:TRAP_HANDLER: 0
; COMPUTE_PGM_RSRC2:TGID_X_EN: 1
; COMPUTE_PGM_RSRC2:TGID_Y_EN: 0
; COMPUTE_PGM_RSRC2:TGID_Z_EN: 0
; COMPUTE_PGM_RSRC2:TIDIG_COMP_CNT: 0
	.section	.text._Z39paged_attention_ll4mi_QKV_mfma16_kernelIDF16_hLN4vllm18Fp8KVCacheDataTypeE1EDF16_Li16ELi128ELi256ELb0ELi7EEvPKT_PKT0_S7_ifPKiS9_S9_iPKfiiiPfSC_PS2_PT2_iSB_SB_,"axG",@progbits,_Z39paged_attention_ll4mi_QKV_mfma16_kernelIDF16_hLN4vllm18Fp8KVCacheDataTypeE1EDF16_Li16ELi128ELi256ELb0ELi7EEvPKT_PKT0_S7_ifPKiS9_S9_iPKfiiiPfSC_PS2_PT2_iSB_SB_,comdat
	.protected	_Z39paged_attention_ll4mi_QKV_mfma16_kernelIDF16_hLN4vllm18Fp8KVCacheDataTypeE1EDF16_Li16ELi128ELi256ELb0ELi7EEvPKT_PKT0_S7_ifPKiS9_S9_iPKfiiiPfSC_PS2_PT2_iSB_SB_ ; -- Begin function _Z39paged_attention_ll4mi_QKV_mfma16_kernelIDF16_hLN4vllm18Fp8KVCacheDataTypeE1EDF16_Li16ELi128ELi256ELb0ELi7EEvPKT_PKT0_S7_ifPKiS9_S9_iPKfiiiPfSC_PS2_PT2_iSB_SB_
	.globl	_Z39paged_attention_ll4mi_QKV_mfma16_kernelIDF16_hLN4vllm18Fp8KVCacheDataTypeE1EDF16_Li16ELi128ELi256ELb0ELi7EEvPKT_PKT0_S7_ifPKiS9_S9_iPKfiiiPfSC_PS2_PT2_iSB_SB_
	.p2align	8
	.type	_Z39paged_attention_ll4mi_QKV_mfma16_kernelIDF16_hLN4vllm18Fp8KVCacheDataTypeE1EDF16_Li16ELi128ELi256ELb0ELi7EEvPKT_PKT0_S7_ifPKiS9_S9_iPKfiiiPfSC_PS2_PT2_iSB_SB_,@function
_Z39paged_attention_ll4mi_QKV_mfma16_kernelIDF16_hLN4vllm18Fp8KVCacheDataTypeE1EDF16_Li16ELi128ELi256ELb0ELi7EEvPKT_PKT0_S7_ifPKiS9_S9_iPKfiiiPfSC_PS2_PT2_iSB_SB_: ; @_Z39paged_attention_ll4mi_QKV_mfma16_kernelIDF16_hLN4vllm18Fp8KVCacheDataTypeE1EDF16_Li16ELi128ELi256ELb0ELi7EEvPKT_PKT0_S7_ifPKiS9_S9_iPKfiiiPfSC_PS2_PT2_iSB_SB_
; %bb.0:
	s_get_pc_i64 s[2:3]
	s_add_nc_u64 s[2:3], s[2:3], __PRETTY_FUNCTION__._Z39paged_attention_ll4mi_QKV_mfma16_kernelIDF16_hLN4vllm18Fp8KVCacheDataTypeE1EDF16_Li16ELi128ELi256ELb0ELi7EEvPKT_PKT0_S7_ifPKiS9_S9_iPKfiiiPfSC_PS2_PT2_iSB_SB_@rel64+4
	s_delay_alu instid0(SALU_CYCLE_1)
	v_dual_mov_b32 v0, 0xbb3 :: v_dual_mov_b32 v1, s2
	v_mov_b32_e32 v2, s3
	s_add_nc_u64 s[8:9], s[0:1], 0x90
	s_get_pc_i64 s[0:1]
	s_add_nc_u64 s[0:1], s[0:1], __assert_fail@rel64+4
	s_mov_b32 s32, 0
	s_swap_pc_i64 s[30:31], s[0:1]
	.section	.rodata,"a",@progbits
	.p2align	6, 0x0
	.amdhsa_kernel _Z39paged_attention_ll4mi_QKV_mfma16_kernelIDF16_hLN4vllm18Fp8KVCacheDataTypeE1EDF16_Li16ELi128ELi256ELb0ELi7EEvPKT_PKT0_S7_ifPKiS9_S9_iPKfiiiPfSC_PS2_PT2_iSB_SB_
		.amdhsa_group_segment_fixed_size 0
		.amdhsa_private_segment_fixed_size 64
		.amdhsa_kernarg_size 400
		.amdhsa_user_sgpr_count 2
		.amdhsa_user_sgpr_dispatch_ptr 0
		.amdhsa_user_sgpr_queue_ptr 0
		.amdhsa_user_sgpr_kernarg_segment_ptr 1
		.amdhsa_user_sgpr_dispatch_id 0
		.amdhsa_user_sgpr_kernarg_preload_length 0
		.amdhsa_user_sgpr_kernarg_preload_offset 0
		.amdhsa_user_sgpr_private_segment_size 0
		.amdhsa_wavefront_size32 1
		.amdhsa_uses_dynamic_stack 0
		.amdhsa_enable_private_segment 1
		.amdhsa_system_sgpr_workgroup_id_x 1
		.amdhsa_system_sgpr_workgroup_id_y 0
		.amdhsa_system_sgpr_workgroup_id_z 0
		.amdhsa_system_sgpr_workgroup_info 0
		.amdhsa_system_vgpr_workitem_id 0
		.amdhsa_next_free_vgpr 51
		.amdhsa_next_free_sgpr 34
		.amdhsa_named_barrier_count 0
		.amdhsa_reserve_vcc 1
		.amdhsa_float_round_mode_32 0
		.amdhsa_float_round_mode_16_64 0
		.amdhsa_float_denorm_mode_32 3
		.amdhsa_float_denorm_mode_16_64 3
		.amdhsa_fp16_overflow 0
		.amdhsa_memory_ordered 1
		.amdhsa_forward_progress 1
		.amdhsa_inst_pref_size 1
		.amdhsa_round_robin_scheduling 0
		.amdhsa_exception_fp_ieee_invalid_op 0
		.amdhsa_exception_fp_denorm_src 0
		.amdhsa_exception_fp_ieee_div_zero 0
		.amdhsa_exception_fp_ieee_overflow 0
		.amdhsa_exception_fp_ieee_underflow 0
		.amdhsa_exception_fp_ieee_inexact 0
		.amdhsa_exception_int_div_zero 0
	.end_amdhsa_kernel
	.section	.text._Z39paged_attention_ll4mi_QKV_mfma16_kernelIDF16_hLN4vllm18Fp8KVCacheDataTypeE1EDF16_Li16ELi128ELi256ELb0ELi7EEvPKT_PKT0_S7_ifPKiS9_S9_iPKfiiiPfSC_PS2_PT2_iSB_SB_,"axG",@progbits,_Z39paged_attention_ll4mi_QKV_mfma16_kernelIDF16_hLN4vllm18Fp8KVCacheDataTypeE1EDF16_Li16ELi128ELi256ELb0ELi7EEvPKT_PKT0_S7_ifPKiS9_S9_iPKfiiiPfSC_PS2_PT2_iSB_SB_,comdat
.Lfunc_end996:
	.size	_Z39paged_attention_ll4mi_QKV_mfma16_kernelIDF16_hLN4vllm18Fp8KVCacheDataTypeE1EDF16_Li16ELi128ELi256ELb0ELi7EEvPKT_PKT0_S7_ifPKiS9_S9_iPKfiiiPfSC_PS2_PT2_iSB_SB_, .Lfunc_end996-_Z39paged_attention_ll4mi_QKV_mfma16_kernelIDF16_hLN4vllm18Fp8KVCacheDataTypeE1EDF16_Li16ELi128ELi256ELb0ELi7EEvPKT_PKT0_S7_ifPKiS9_S9_iPKfiiiPfSC_PS2_PT2_iSB_SB_
                                        ; -- End function
	.set _Z39paged_attention_ll4mi_QKV_mfma16_kernelIDF16_hLN4vllm18Fp8KVCacheDataTypeE1EDF16_Li16ELi128ELi256ELb0ELi7EEvPKT_PKT0_S7_ifPKiS9_S9_iPKfiiiPfSC_PS2_PT2_iSB_SB_.num_vgpr, max(3, .L__assert_fail.num_vgpr)
	.set _Z39paged_attention_ll4mi_QKV_mfma16_kernelIDF16_hLN4vllm18Fp8KVCacheDataTypeE1EDF16_Li16ELi128ELi256ELb0ELi7EEvPKT_PKT0_S7_ifPKiS9_S9_iPKfiiiPfSC_PS2_PT2_iSB_SB_.num_agpr, max(0, .L__assert_fail.num_agpr)
	.set _Z39paged_attention_ll4mi_QKV_mfma16_kernelIDF16_hLN4vllm18Fp8KVCacheDataTypeE1EDF16_Li16ELi128ELi256ELb0ELi7EEvPKT_PKT0_S7_ifPKiS9_S9_iPKfiiiPfSC_PS2_PT2_iSB_SB_.numbered_sgpr, max(33, .L__assert_fail.numbered_sgpr)
	.set _Z39paged_attention_ll4mi_QKV_mfma16_kernelIDF16_hLN4vllm18Fp8KVCacheDataTypeE1EDF16_Li16ELi128ELi256ELb0ELi7EEvPKT_PKT0_S7_ifPKiS9_S9_iPKfiiiPfSC_PS2_PT2_iSB_SB_.num_named_barrier, max(0, .L__assert_fail.num_named_barrier)
	.set _Z39paged_attention_ll4mi_QKV_mfma16_kernelIDF16_hLN4vllm18Fp8KVCacheDataTypeE1EDF16_Li16ELi128ELi256ELb0ELi7EEvPKT_PKT0_S7_ifPKiS9_S9_iPKfiiiPfSC_PS2_PT2_iSB_SB_.private_seg_size, 0+max(.L__assert_fail.private_seg_size)
	.set _Z39paged_attention_ll4mi_QKV_mfma16_kernelIDF16_hLN4vllm18Fp8KVCacheDataTypeE1EDF16_Li16ELi128ELi256ELb0ELi7EEvPKT_PKT0_S7_ifPKiS9_S9_iPKfiiiPfSC_PS2_PT2_iSB_SB_.uses_vcc, or(1, .L__assert_fail.uses_vcc)
	.set _Z39paged_attention_ll4mi_QKV_mfma16_kernelIDF16_hLN4vllm18Fp8KVCacheDataTypeE1EDF16_Li16ELi128ELi256ELb0ELi7EEvPKT_PKT0_S7_ifPKiS9_S9_iPKfiiiPfSC_PS2_PT2_iSB_SB_.uses_flat_scratch, or(0, .L__assert_fail.uses_flat_scratch)
	.set _Z39paged_attention_ll4mi_QKV_mfma16_kernelIDF16_hLN4vllm18Fp8KVCacheDataTypeE1EDF16_Li16ELi128ELi256ELb0ELi7EEvPKT_PKT0_S7_ifPKiS9_S9_iPKfiiiPfSC_PS2_PT2_iSB_SB_.has_dyn_sized_stack, or(0, .L__assert_fail.has_dyn_sized_stack)
	.set _Z39paged_attention_ll4mi_QKV_mfma16_kernelIDF16_hLN4vllm18Fp8KVCacheDataTypeE1EDF16_Li16ELi128ELi256ELb0ELi7EEvPKT_PKT0_S7_ifPKiS9_S9_iPKfiiiPfSC_PS2_PT2_iSB_SB_.has_recursion, or(0, .L__assert_fail.has_recursion)
	.set _Z39paged_attention_ll4mi_QKV_mfma16_kernelIDF16_hLN4vllm18Fp8KVCacheDataTypeE1EDF16_Li16ELi128ELi256ELb0ELi7EEvPKT_PKT0_S7_ifPKiS9_S9_iPKfiiiPfSC_PS2_PT2_iSB_SB_.has_indirect_call, or(0, .L__assert_fail.has_indirect_call)
	.section	.AMDGPU.csdata,"",@progbits
; Kernel info:
; codeLenInByte = 68
; TotalNumSgprs: 36
; NumVgprs: 51
; ScratchSize: 64
; MemoryBound: 0
; FloatMode: 240
; IeeeMode: 1
; LDSByteSize: 0 bytes/workgroup (compile time only)
; SGPRBlocks: 0
; VGPRBlocks: 3
; NumSGPRsForWavesPerEU: 36
; NumVGPRsForWavesPerEU: 51
; NamedBarCnt: 0
; Occupancy: 16
; WaveLimiterHint : 1
; COMPUTE_PGM_RSRC2:SCRATCH_EN: 1
; COMPUTE_PGM_RSRC2:USER_SGPR: 2
; COMPUTE_PGM_RSRC2:TRAP_HANDLER: 0
; COMPUTE_PGM_RSRC2:TGID_X_EN: 1
; COMPUTE_PGM_RSRC2:TGID_Y_EN: 0
; COMPUTE_PGM_RSRC2:TGID_Z_EN: 0
; COMPUTE_PGM_RSRC2:TIDIG_COMP_CNT: 0
	.section	.text._Z39paged_attention_ll4mi_QKV_mfma16_kernelIDF16_hLN4vllm18Fp8KVCacheDataTypeE1EDF16_Li16ELi128ELi256ELb0ELi8EEvPKT_PKT0_S7_ifPKiS9_S9_iPKfiiiPfSC_PS2_PT2_iSB_SB_,"axG",@progbits,_Z39paged_attention_ll4mi_QKV_mfma16_kernelIDF16_hLN4vllm18Fp8KVCacheDataTypeE1EDF16_Li16ELi128ELi256ELb0ELi8EEvPKT_PKT0_S7_ifPKiS9_S9_iPKfiiiPfSC_PS2_PT2_iSB_SB_,comdat
	.protected	_Z39paged_attention_ll4mi_QKV_mfma16_kernelIDF16_hLN4vllm18Fp8KVCacheDataTypeE1EDF16_Li16ELi128ELi256ELb0ELi8EEvPKT_PKT0_S7_ifPKiS9_S9_iPKfiiiPfSC_PS2_PT2_iSB_SB_ ; -- Begin function _Z39paged_attention_ll4mi_QKV_mfma16_kernelIDF16_hLN4vllm18Fp8KVCacheDataTypeE1EDF16_Li16ELi128ELi256ELb0ELi8EEvPKT_PKT0_S7_ifPKiS9_S9_iPKfiiiPfSC_PS2_PT2_iSB_SB_
	.globl	_Z39paged_attention_ll4mi_QKV_mfma16_kernelIDF16_hLN4vllm18Fp8KVCacheDataTypeE1EDF16_Li16ELi128ELi256ELb0ELi8EEvPKT_PKT0_S7_ifPKiS9_S9_iPKfiiiPfSC_PS2_PT2_iSB_SB_
	.p2align	8
	.type	_Z39paged_attention_ll4mi_QKV_mfma16_kernelIDF16_hLN4vllm18Fp8KVCacheDataTypeE1EDF16_Li16ELi128ELi256ELb0ELi8EEvPKT_PKT0_S7_ifPKiS9_S9_iPKfiiiPfSC_PS2_PT2_iSB_SB_,@function
_Z39paged_attention_ll4mi_QKV_mfma16_kernelIDF16_hLN4vllm18Fp8KVCacheDataTypeE1EDF16_Li16ELi128ELi256ELb0ELi8EEvPKT_PKT0_S7_ifPKiS9_S9_iPKfiiiPfSC_PS2_PT2_iSB_SB_: ; @_Z39paged_attention_ll4mi_QKV_mfma16_kernelIDF16_hLN4vllm18Fp8KVCacheDataTypeE1EDF16_Li16ELi128ELi256ELb0ELi8EEvPKT_PKT0_S7_ifPKiS9_S9_iPKfiiiPfSC_PS2_PT2_iSB_SB_
; %bb.0:
	s_get_pc_i64 s[2:3]
	s_add_nc_u64 s[2:3], s[2:3], __PRETTY_FUNCTION__._Z39paged_attention_ll4mi_QKV_mfma16_kernelIDF16_hLN4vllm18Fp8KVCacheDataTypeE1EDF16_Li16ELi128ELi256ELb0ELi8EEvPKT_PKT0_S7_ifPKiS9_S9_iPKfiiiPfSC_PS2_PT2_iSB_SB_@rel64+4
	s_delay_alu instid0(SALU_CYCLE_1)
	v_dual_mov_b32 v0, 0xbb3 :: v_dual_mov_b32 v1, s2
	v_mov_b32_e32 v2, s3
	s_add_nc_u64 s[8:9], s[0:1], 0x90
	s_get_pc_i64 s[0:1]
	s_add_nc_u64 s[0:1], s[0:1], __assert_fail@rel64+4
	s_mov_b32 s32, 0
	s_swap_pc_i64 s[30:31], s[0:1]
	.section	.rodata,"a",@progbits
	.p2align	6, 0x0
	.amdhsa_kernel _Z39paged_attention_ll4mi_QKV_mfma16_kernelIDF16_hLN4vllm18Fp8KVCacheDataTypeE1EDF16_Li16ELi128ELi256ELb0ELi8EEvPKT_PKT0_S7_ifPKiS9_S9_iPKfiiiPfSC_PS2_PT2_iSB_SB_
		.amdhsa_group_segment_fixed_size 0
		.amdhsa_private_segment_fixed_size 64
		.amdhsa_kernarg_size 400
		.amdhsa_user_sgpr_count 2
		.amdhsa_user_sgpr_dispatch_ptr 0
		.amdhsa_user_sgpr_queue_ptr 0
		.amdhsa_user_sgpr_kernarg_segment_ptr 1
		.amdhsa_user_sgpr_dispatch_id 0
		.amdhsa_user_sgpr_kernarg_preload_length 0
		.amdhsa_user_sgpr_kernarg_preload_offset 0
		.amdhsa_user_sgpr_private_segment_size 0
		.amdhsa_wavefront_size32 1
		.amdhsa_uses_dynamic_stack 0
		.amdhsa_enable_private_segment 1
		.amdhsa_system_sgpr_workgroup_id_x 1
		.amdhsa_system_sgpr_workgroup_id_y 0
		.amdhsa_system_sgpr_workgroup_id_z 0
		.amdhsa_system_sgpr_workgroup_info 0
		.amdhsa_system_vgpr_workitem_id 0
		.amdhsa_next_free_vgpr 51
		.amdhsa_next_free_sgpr 34
		.amdhsa_named_barrier_count 0
		.amdhsa_reserve_vcc 1
		.amdhsa_float_round_mode_32 0
		.amdhsa_float_round_mode_16_64 0
		.amdhsa_float_denorm_mode_32 3
		.amdhsa_float_denorm_mode_16_64 3
		.amdhsa_fp16_overflow 0
		.amdhsa_memory_ordered 1
		.amdhsa_forward_progress 1
		.amdhsa_inst_pref_size 1
		.amdhsa_round_robin_scheduling 0
		.amdhsa_exception_fp_ieee_invalid_op 0
		.amdhsa_exception_fp_denorm_src 0
		.amdhsa_exception_fp_ieee_div_zero 0
		.amdhsa_exception_fp_ieee_overflow 0
		.amdhsa_exception_fp_ieee_underflow 0
		.amdhsa_exception_fp_ieee_inexact 0
		.amdhsa_exception_int_div_zero 0
	.end_amdhsa_kernel
	.section	.text._Z39paged_attention_ll4mi_QKV_mfma16_kernelIDF16_hLN4vllm18Fp8KVCacheDataTypeE1EDF16_Li16ELi128ELi256ELb0ELi8EEvPKT_PKT0_S7_ifPKiS9_S9_iPKfiiiPfSC_PS2_PT2_iSB_SB_,"axG",@progbits,_Z39paged_attention_ll4mi_QKV_mfma16_kernelIDF16_hLN4vllm18Fp8KVCacheDataTypeE1EDF16_Li16ELi128ELi256ELb0ELi8EEvPKT_PKT0_S7_ifPKiS9_S9_iPKfiiiPfSC_PS2_PT2_iSB_SB_,comdat
.Lfunc_end997:
	.size	_Z39paged_attention_ll4mi_QKV_mfma16_kernelIDF16_hLN4vllm18Fp8KVCacheDataTypeE1EDF16_Li16ELi128ELi256ELb0ELi8EEvPKT_PKT0_S7_ifPKiS9_S9_iPKfiiiPfSC_PS2_PT2_iSB_SB_, .Lfunc_end997-_Z39paged_attention_ll4mi_QKV_mfma16_kernelIDF16_hLN4vllm18Fp8KVCacheDataTypeE1EDF16_Li16ELi128ELi256ELb0ELi8EEvPKT_PKT0_S7_ifPKiS9_S9_iPKfiiiPfSC_PS2_PT2_iSB_SB_
                                        ; -- End function
	.set _Z39paged_attention_ll4mi_QKV_mfma16_kernelIDF16_hLN4vllm18Fp8KVCacheDataTypeE1EDF16_Li16ELi128ELi256ELb0ELi8EEvPKT_PKT0_S7_ifPKiS9_S9_iPKfiiiPfSC_PS2_PT2_iSB_SB_.num_vgpr, max(3, .L__assert_fail.num_vgpr)
	.set _Z39paged_attention_ll4mi_QKV_mfma16_kernelIDF16_hLN4vllm18Fp8KVCacheDataTypeE1EDF16_Li16ELi128ELi256ELb0ELi8EEvPKT_PKT0_S7_ifPKiS9_S9_iPKfiiiPfSC_PS2_PT2_iSB_SB_.num_agpr, max(0, .L__assert_fail.num_agpr)
	.set _Z39paged_attention_ll4mi_QKV_mfma16_kernelIDF16_hLN4vllm18Fp8KVCacheDataTypeE1EDF16_Li16ELi128ELi256ELb0ELi8EEvPKT_PKT0_S7_ifPKiS9_S9_iPKfiiiPfSC_PS2_PT2_iSB_SB_.numbered_sgpr, max(33, .L__assert_fail.numbered_sgpr)
	.set _Z39paged_attention_ll4mi_QKV_mfma16_kernelIDF16_hLN4vllm18Fp8KVCacheDataTypeE1EDF16_Li16ELi128ELi256ELb0ELi8EEvPKT_PKT0_S7_ifPKiS9_S9_iPKfiiiPfSC_PS2_PT2_iSB_SB_.num_named_barrier, max(0, .L__assert_fail.num_named_barrier)
	.set _Z39paged_attention_ll4mi_QKV_mfma16_kernelIDF16_hLN4vllm18Fp8KVCacheDataTypeE1EDF16_Li16ELi128ELi256ELb0ELi8EEvPKT_PKT0_S7_ifPKiS9_S9_iPKfiiiPfSC_PS2_PT2_iSB_SB_.private_seg_size, 0+max(.L__assert_fail.private_seg_size)
	.set _Z39paged_attention_ll4mi_QKV_mfma16_kernelIDF16_hLN4vllm18Fp8KVCacheDataTypeE1EDF16_Li16ELi128ELi256ELb0ELi8EEvPKT_PKT0_S7_ifPKiS9_S9_iPKfiiiPfSC_PS2_PT2_iSB_SB_.uses_vcc, or(1, .L__assert_fail.uses_vcc)
	.set _Z39paged_attention_ll4mi_QKV_mfma16_kernelIDF16_hLN4vllm18Fp8KVCacheDataTypeE1EDF16_Li16ELi128ELi256ELb0ELi8EEvPKT_PKT0_S7_ifPKiS9_S9_iPKfiiiPfSC_PS2_PT2_iSB_SB_.uses_flat_scratch, or(0, .L__assert_fail.uses_flat_scratch)
	.set _Z39paged_attention_ll4mi_QKV_mfma16_kernelIDF16_hLN4vllm18Fp8KVCacheDataTypeE1EDF16_Li16ELi128ELi256ELb0ELi8EEvPKT_PKT0_S7_ifPKiS9_S9_iPKfiiiPfSC_PS2_PT2_iSB_SB_.has_dyn_sized_stack, or(0, .L__assert_fail.has_dyn_sized_stack)
	.set _Z39paged_attention_ll4mi_QKV_mfma16_kernelIDF16_hLN4vllm18Fp8KVCacheDataTypeE1EDF16_Li16ELi128ELi256ELb0ELi8EEvPKT_PKT0_S7_ifPKiS9_S9_iPKfiiiPfSC_PS2_PT2_iSB_SB_.has_recursion, or(0, .L__assert_fail.has_recursion)
	.set _Z39paged_attention_ll4mi_QKV_mfma16_kernelIDF16_hLN4vllm18Fp8KVCacheDataTypeE1EDF16_Li16ELi128ELi256ELb0ELi8EEvPKT_PKT0_S7_ifPKiS9_S9_iPKfiiiPfSC_PS2_PT2_iSB_SB_.has_indirect_call, or(0, .L__assert_fail.has_indirect_call)
	.section	.AMDGPU.csdata,"",@progbits
; Kernel info:
; codeLenInByte = 68
; TotalNumSgprs: 36
; NumVgprs: 51
; ScratchSize: 64
; MemoryBound: 0
; FloatMode: 240
; IeeeMode: 1
; LDSByteSize: 0 bytes/workgroup (compile time only)
; SGPRBlocks: 0
; VGPRBlocks: 3
; NumSGPRsForWavesPerEU: 36
; NumVGPRsForWavesPerEU: 51
; NamedBarCnt: 0
; Occupancy: 16
; WaveLimiterHint : 1
; COMPUTE_PGM_RSRC2:SCRATCH_EN: 1
; COMPUTE_PGM_RSRC2:USER_SGPR: 2
; COMPUTE_PGM_RSRC2:TRAP_HANDLER: 0
; COMPUTE_PGM_RSRC2:TGID_X_EN: 1
; COMPUTE_PGM_RSRC2:TGID_Y_EN: 0
; COMPUTE_PGM_RSRC2:TGID_Z_EN: 0
; COMPUTE_PGM_RSRC2:TIDIG_COMP_CNT: 0
	.section	.text._Z39paged_attention_ll4mi_QKV_mfma16_kernelIDF16_hLN4vllm18Fp8KVCacheDataTypeE1EDF16_Li16ELi128ELi256ELb0ELi9EEvPKT_PKT0_S7_ifPKiS9_S9_iPKfiiiPfSC_PS2_PT2_iSB_SB_,"axG",@progbits,_Z39paged_attention_ll4mi_QKV_mfma16_kernelIDF16_hLN4vllm18Fp8KVCacheDataTypeE1EDF16_Li16ELi128ELi256ELb0ELi9EEvPKT_PKT0_S7_ifPKiS9_S9_iPKfiiiPfSC_PS2_PT2_iSB_SB_,comdat
	.protected	_Z39paged_attention_ll4mi_QKV_mfma16_kernelIDF16_hLN4vllm18Fp8KVCacheDataTypeE1EDF16_Li16ELi128ELi256ELb0ELi9EEvPKT_PKT0_S7_ifPKiS9_S9_iPKfiiiPfSC_PS2_PT2_iSB_SB_ ; -- Begin function _Z39paged_attention_ll4mi_QKV_mfma16_kernelIDF16_hLN4vllm18Fp8KVCacheDataTypeE1EDF16_Li16ELi128ELi256ELb0ELi9EEvPKT_PKT0_S7_ifPKiS9_S9_iPKfiiiPfSC_PS2_PT2_iSB_SB_
	.globl	_Z39paged_attention_ll4mi_QKV_mfma16_kernelIDF16_hLN4vllm18Fp8KVCacheDataTypeE1EDF16_Li16ELi128ELi256ELb0ELi9EEvPKT_PKT0_S7_ifPKiS9_S9_iPKfiiiPfSC_PS2_PT2_iSB_SB_
	.p2align	8
	.type	_Z39paged_attention_ll4mi_QKV_mfma16_kernelIDF16_hLN4vllm18Fp8KVCacheDataTypeE1EDF16_Li16ELi128ELi256ELb0ELi9EEvPKT_PKT0_S7_ifPKiS9_S9_iPKfiiiPfSC_PS2_PT2_iSB_SB_,@function
_Z39paged_attention_ll4mi_QKV_mfma16_kernelIDF16_hLN4vllm18Fp8KVCacheDataTypeE1EDF16_Li16ELi128ELi256ELb0ELi9EEvPKT_PKT0_S7_ifPKiS9_S9_iPKfiiiPfSC_PS2_PT2_iSB_SB_: ; @_Z39paged_attention_ll4mi_QKV_mfma16_kernelIDF16_hLN4vllm18Fp8KVCacheDataTypeE1EDF16_Li16ELi128ELi256ELb0ELi9EEvPKT_PKT0_S7_ifPKiS9_S9_iPKfiiiPfSC_PS2_PT2_iSB_SB_
; %bb.0:
	s_get_pc_i64 s[2:3]
	s_add_nc_u64 s[2:3], s[2:3], __PRETTY_FUNCTION__._Z39paged_attention_ll4mi_QKV_mfma16_kernelIDF16_hLN4vllm18Fp8KVCacheDataTypeE1EDF16_Li16ELi128ELi256ELb0ELi9EEvPKT_PKT0_S7_ifPKiS9_S9_iPKfiiiPfSC_PS2_PT2_iSB_SB_@rel64+4
	s_delay_alu instid0(SALU_CYCLE_1)
	v_dual_mov_b32 v0, 0xbb3 :: v_dual_mov_b32 v1, s2
	v_mov_b32_e32 v2, s3
	s_add_nc_u64 s[8:9], s[0:1], 0x90
	s_get_pc_i64 s[0:1]
	s_add_nc_u64 s[0:1], s[0:1], __assert_fail@rel64+4
	s_mov_b32 s32, 0
	s_swap_pc_i64 s[30:31], s[0:1]
	.section	.rodata,"a",@progbits
	.p2align	6, 0x0
	.amdhsa_kernel _Z39paged_attention_ll4mi_QKV_mfma16_kernelIDF16_hLN4vllm18Fp8KVCacheDataTypeE1EDF16_Li16ELi128ELi256ELb0ELi9EEvPKT_PKT0_S7_ifPKiS9_S9_iPKfiiiPfSC_PS2_PT2_iSB_SB_
		.amdhsa_group_segment_fixed_size 0
		.amdhsa_private_segment_fixed_size 64
		.amdhsa_kernarg_size 400
		.amdhsa_user_sgpr_count 2
		.amdhsa_user_sgpr_dispatch_ptr 0
		.amdhsa_user_sgpr_queue_ptr 0
		.amdhsa_user_sgpr_kernarg_segment_ptr 1
		.amdhsa_user_sgpr_dispatch_id 0
		.amdhsa_user_sgpr_kernarg_preload_length 0
		.amdhsa_user_sgpr_kernarg_preload_offset 0
		.amdhsa_user_sgpr_private_segment_size 0
		.amdhsa_wavefront_size32 1
		.amdhsa_uses_dynamic_stack 0
		.amdhsa_enable_private_segment 1
		.amdhsa_system_sgpr_workgroup_id_x 1
		.amdhsa_system_sgpr_workgroup_id_y 0
		.amdhsa_system_sgpr_workgroup_id_z 0
		.amdhsa_system_sgpr_workgroup_info 0
		.amdhsa_system_vgpr_workitem_id 0
		.amdhsa_next_free_vgpr 51
		.amdhsa_next_free_sgpr 34
		.amdhsa_named_barrier_count 0
		.amdhsa_reserve_vcc 1
		.amdhsa_float_round_mode_32 0
		.amdhsa_float_round_mode_16_64 0
		.amdhsa_float_denorm_mode_32 3
		.amdhsa_float_denorm_mode_16_64 3
		.amdhsa_fp16_overflow 0
		.amdhsa_memory_ordered 1
		.amdhsa_forward_progress 1
		.amdhsa_inst_pref_size 1
		.amdhsa_round_robin_scheduling 0
		.amdhsa_exception_fp_ieee_invalid_op 0
		.amdhsa_exception_fp_denorm_src 0
		.amdhsa_exception_fp_ieee_div_zero 0
		.amdhsa_exception_fp_ieee_overflow 0
		.amdhsa_exception_fp_ieee_underflow 0
		.amdhsa_exception_fp_ieee_inexact 0
		.amdhsa_exception_int_div_zero 0
	.end_amdhsa_kernel
	.section	.text._Z39paged_attention_ll4mi_QKV_mfma16_kernelIDF16_hLN4vllm18Fp8KVCacheDataTypeE1EDF16_Li16ELi128ELi256ELb0ELi9EEvPKT_PKT0_S7_ifPKiS9_S9_iPKfiiiPfSC_PS2_PT2_iSB_SB_,"axG",@progbits,_Z39paged_attention_ll4mi_QKV_mfma16_kernelIDF16_hLN4vllm18Fp8KVCacheDataTypeE1EDF16_Li16ELi128ELi256ELb0ELi9EEvPKT_PKT0_S7_ifPKiS9_S9_iPKfiiiPfSC_PS2_PT2_iSB_SB_,comdat
.Lfunc_end998:
	.size	_Z39paged_attention_ll4mi_QKV_mfma16_kernelIDF16_hLN4vllm18Fp8KVCacheDataTypeE1EDF16_Li16ELi128ELi256ELb0ELi9EEvPKT_PKT0_S7_ifPKiS9_S9_iPKfiiiPfSC_PS2_PT2_iSB_SB_, .Lfunc_end998-_Z39paged_attention_ll4mi_QKV_mfma16_kernelIDF16_hLN4vllm18Fp8KVCacheDataTypeE1EDF16_Li16ELi128ELi256ELb0ELi9EEvPKT_PKT0_S7_ifPKiS9_S9_iPKfiiiPfSC_PS2_PT2_iSB_SB_
                                        ; -- End function
	.set _Z39paged_attention_ll4mi_QKV_mfma16_kernelIDF16_hLN4vllm18Fp8KVCacheDataTypeE1EDF16_Li16ELi128ELi256ELb0ELi9EEvPKT_PKT0_S7_ifPKiS9_S9_iPKfiiiPfSC_PS2_PT2_iSB_SB_.num_vgpr, max(3, .L__assert_fail.num_vgpr)
	.set _Z39paged_attention_ll4mi_QKV_mfma16_kernelIDF16_hLN4vllm18Fp8KVCacheDataTypeE1EDF16_Li16ELi128ELi256ELb0ELi9EEvPKT_PKT0_S7_ifPKiS9_S9_iPKfiiiPfSC_PS2_PT2_iSB_SB_.num_agpr, max(0, .L__assert_fail.num_agpr)
	.set _Z39paged_attention_ll4mi_QKV_mfma16_kernelIDF16_hLN4vllm18Fp8KVCacheDataTypeE1EDF16_Li16ELi128ELi256ELb0ELi9EEvPKT_PKT0_S7_ifPKiS9_S9_iPKfiiiPfSC_PS2_PT2_iSB_SB_.numbered_sgpr, max(33, .L__assert_fail.numbered_sgpr)
	.set _Z39paged_attention_ll4mi_QKV_mfma16_kernelIDF16_hLN4vllm18Fp8KVCacheDataTypeE1EDF16_Li16ELi128ELi256ELb0ELi9EEvPKT_PKT0_S7_ifPKiS9_S9_iPKfiiiPfSC_PS2_PT2_iSB_SB_.num_named_barrier, max(0, .L__assert_fail.num_named_barrier)
	.set _Z39paged_attention_ll4mi_QKV_mfma16_kernelIDF16_hLN4vllm18Fp8KVCacheDataTypeE1EDF16_Li16ELi128ELi256ELb0ELi9EEvPKT_PKT0_S7_ifPKiS9_S9_iPKfiiiPfSC_PS2_PT2_iSB_SB_.private_seg_size, 0+max(.L__assert_fail.private_seg_size)
	.set _Z39paged_attention_ll4mi_QKV_mfma16_kernelIDF16_hLN4vllm18Fp8KVCacheDataTypeE1EDF16_Li16ELi128ELi256ELb0ELi9EEvPKT_PKT0_S7_ifPKiS9_S9_iPKfiiiPfSC_PS2_PT2_iSB_SB_.uses_vcc, or(1, .L__assert_fail.uses_vcc)
	.set _Z39paged_attention_ll4mi_QKV_mfma16_kernelIDF16_hLN4vllm18Fp8KVCacheDataTypeE1EDF16_Li16ELi128ELi256ELb0ELi9EEvPKT_PKT0_S7_ifPKiS9_S9_iPKfiiiPfSC_PS2_PT2_iSB_SB_.uses_flat_scratch, or(0, .L__assert_fail.uses_flat_scratch)
	.set _Z39paged_attention_ll4mi_QKV_mfma16_kernelIDF16_hLN4vllm18Fp8KVCacheDataTypeE1EDF16_Li16ELi128ELi256ELb0ELi9EEvPKT_PKT0_S7_ifPKiS9_S9_iPKfiiiPfSC_PS2_PT2_iSB_SB_.has_dyn_sized_stack, or(0, .L__assert_fail.has_dyn_sized_stack)
	.set _Z39paged_attention_ll4mi_QKV_mfma16_kernelIDF16_hLN4vllm18Fp8KVCacheDataTypeE1EDF16_Li16ELi128ELi256ELb0ELi9EEvPKT_PKT0_S7_ifPKiS9_S9_iPKfiiiPfSC_PS2_PT2_iSB_SB_.has_recursion, or(0, .L__assert_fail.has_recursion)
	.set _Z39paged_attention_ll4mi_QKV_mfma16_kernelIDF16_hLN4vllm18Fp8KVCacheDataTypeE1EDF16_Li16ELi128ELi256ELb0ELi9EEvPKT_PKT0_S7_ifPKiS9_S9_iPKfiiiPfSC_PS2_PT2_iSB_SB_.has_indirect_call, or(0, .L__assert_fail.has_indirect_call)
	.section	.AMDGPU.csdata,"",@progbits
; Kernel info:
; codeLenInByte = 68
; TotalNumSgprs: 36
; NumVgprs: 51
; ScratchSize: 64
; MemoryBound: 0
; FloatMode: 240
; IeeeMode: 1
; LDSByteSize: 0 bytes/workgroup (compile time only)
; SGPRBlocks: 0
; VGPRBlocks: 3
; NumSGPRsForWavesPerEU: 36
; NumVGPRsForWavesPerEU: 51
; NamedBarCnt: 0
; Occupancy: 16
; WaveLimiterHint : 1
; COMPUTE_PGM_RSRC2:SCRATCH_EN: 1
; COMPUTE_PGM_RSRC2:USER_SGPR: 2
; COMPUTE_PGM_RSRC2:TRAP_HANDLER: 0
; COMPUTE_PGM_RSRC2:TGID_X_EN: 1
; COMPUTE_PGM_RSRC2:TGID_Y_EN: 0
; COMPUTE_PGM_RSRC2:TGID_Z_EN: 0
; COMPUTE_PGM_RSRC2:TIDIG_COMP_CNT: 0
	.section	.text._Z39paged_attention_ll4mi_QKV_mfma16_kernelIDF16_hLN4vllm18Fp8KVCacheDataTypeE1EDF16_Li16ELi128ELi256ELb0ELi10EEvPKT_PKT0_S7_ifPKiS9_S9_iPKfiiiPfSC_PS2_PT2_iSB_SB_,"axG",@progbits,_Z39paged_attention_ll4mi_QKV_mfma16_kernelIDF16_hLN4vllm18Fp8KVCacheDataTypeE1EDF16_Li16ELi128ELi256ELb0ELi10EEvPKT_PKT0_S7_ifPKiS9_S9_iPKfiiiPfSC_PS2_PT2_iSB_SB_,comdat
	.protected	_Z39paged_attention_ll4mi_QKV_mfma16_kernelIDF16_hLN4vllm18Fp8KVCacheDataTypeE1EDF16_Li16ELi128ELi256ELb0ELi10EEvPKT_PKT0_S7_ifPKiS9_S9_iPKfiiiPfSC_PS2_PT2_iSB_SB_ ; -- Begin function _Z39paged_attention_ll4mi_QKV_mfma16_kernelIDF16_hLN4vllm18Fp8KVCacheDataTypeE1EDF16_Li16ELi128ELi256ELb0ELi10EEvPKT_PKT0_S7_ifPKiS9_S9_iPKfiiiPfSC_PS2_PT2_iSB_SB_
	.globl	_Z39paged_attention_ll4mi_QKV_mfma16_kernelIDF16_hLN4vllm18Fp8KVCacheDataTypeE1EDF16_Li16ELi128ELi256ELb0ELi10EEvPKT_PKT0_S7_ifPKiS9_S9_iPKfiiiPfSC_PS2_PT2_iSB_SB_
	.p2align	8
	.type	_Z39paged_attention_ll4mi_QKV_mfma16_kernelIDF16_hLN4vllm18Fp8KVCacheDataTypeE1EDF16_Li16ELi128ELi256ELb0ELi10EEvPKT_PKT0_S7_ifPKiS9_S9_iPKfiiiPfSC_PS2_PT2_iSB_SB_,@function
_Z39paged_attention_ll4mi_QKV_mfma16_kernelIDF16_hLN4vllm18Fp8KVCacheDataTypeE1EDF16_Li16ELi128ELi256ELb0ELi10EEvPKT_PKT0_S7_ifPKiS9_S9_iPKfiiiPfSC_PS2_PT2_iSB_SB_: ; @_Z39paged_attention_ll4mi_QKV_mfma16_kernelIDF16_hLN4vllm18Fp8KVCacheDataTypeE1EDF16_Li16ELi128ELi256ELb0ELi10EEvPKT_PKT0_S7_ifPKiS9_S9_iPKfiiiPfSC_PS2_PT2_iSB_SB_
; %bb.0:
	s_get_pc_i64 s[2:3]
	s_add_nc_u64 s[2:3], s[2:3], __PRETTY_FUNCTION__._Z39paged_attention_ll4mi_QKV_mfma16_kernelIDF16_hLN4vllm18Fp8KVCacheDataTypeE1EDF16_Li16ELi128ELi256ELb0ELi10EEvPKT_PKT0_S7_ifPKiS9_S9_iPKfiiiPfSC_PS2_PT2_iSB_SB_@rel64+4
	s_delay_alu instid0(SALU_CYCLE_1)
	v_dual_mov_b32 v0, 0xbb3 :: v_dual_mov_b32 v1, s2
	v_mov_b32_e32 v2, s3
	s_add_nc_u64 s[8:9], s[0:1], 0x90
	s_get_pc_i64 s[0:1]
	s_add_nc_u64 s[0:1], s[0:1], __assert_fail@rel64+4
	s_mov_b32 s32, 0
	s_swap_pc_i64 s[30:31], s[0:1]
	.section	.rodata,"a",@progbits
	.p2align	6, 0x0
	.amdhsa_kernel _Z39paged_attention_ll4mi_QKV_mfma16_kernelIDF16_hLN4vllm18Fp8KVCacheDataTypeE1EDF16_Li16ELi128ELi256ELb0ELi10EEvPKT_PKT0_S7_ifPKiS9_S9_iPKfiiiPfSC_PS2_PT2_iSB_SB_
		.amdhsa_group_segment_fixed_size 0
		.amdhsa_private_segment_fixed_size 64
		.amdhsa_kernarg_size 400
		.amdhsa_user_sgpr_count 2
		.amdhsa_user_sgpr_dispatch_ptr 0
		.amdhsa_user_sgpr_queue_ptr 0
		.amdhsa_user_sgpr_kernarg_segment_ptr 1
		.amdhsa_user_sgpr_dispatch_id 0
		.amdhsa_user_sgpr_kernarg_preload_length 0
		.amdhsa_user_sgpr_kernarg_preload_offset 0
		.amdhsa_user_sgpr_private_segment_size 0
		.amdhsa_wavefront_size32 1
		.amdhsa_uses_dynamic_stack 0
		.amdhsa_enable_private_segment 1
		.amdhsa_system_sgpr_workgroup_id_x 1
		.amdhsa_system_sgpr_workgroup_id_y 0
		.amdhsa_system_sgpr_workgroup_id_z 0
		.amdhsa_system_sgpr_workgroup_info 0
		.amdhsa_system_vgpr_workitem_id 0
		.amdhsa_next_free_vgpr 51
		.amdhsa_next_free_sgpr 34
		.amdhsa_named_barrier_count 0
		.amdhsa_reserve_vcc 1
		.amdhsa_float_round_mode_32 0
		.amdhsa_float_round_mode_16_64 0
		.amdhsa_float_denorm_mode_32 3
		.amdhsa_float_denorm_mode_16_64 3
		.amdhsa_fp16_overflow 0
		.amdhsa_memory_ordered 1
		.amdhsa_forward_progress 1
		.amdhsa_inst_pref_size 1
		.amdhsa_round_robin_scheduling 0
		.amdhsa_exception_fp_ieee_invalid_op 0
		.amdhsa_exception_fp_denorm_src 0
		.amdhsa_exception_fp_ieee_div_zero 0
		.amdhsa_exception_fp_ieee_overflow 0
		.amdhsa_exception_fp_ieee_underflow 0
		.amdhsa_exception_fp_ieee_inexact 0
		.amdhsa_exception_int_div_zero 0
	.end_amdhsa_kernel
	.section	.text._Z39paged_attention_ll4mi_QKV_mfma16_kernelIDF16_hLN4vllm18Fp8KVCacheDataTypeE1EDF16_Li16ELi128ELi256ELb0ELi10EEvPKT_PKT0_S7_ifPKiS9_S9_iPKfiiiPfSC_PS2_PT2_iSB_SB_,"axG",@progbits,_Z39paged_attention_ll4mi_QKV_mfma16_kernelIDF16_hLN4vllm18Fp8KVCacheDataTypeE1EDF16_Li16ELi128ELi256ELb0ELi10EEvPKT_PKT0_S7_ifPKiS9_S9_iPKfiiiPfSC_PS2_PT2_iSB_SB_,comdat
.Lfunc_end999:
	.size	_Z39paged_attention_ll4mi_QKV_mfma16_kernelIDF16_hLN4vllm18Fp8KVCacheDataTypeE1EDF16_Li16ELi128ELi256ELb0ELi10EEvPKT_PKT0_S7_ifPKiS9_S9_iPKfiiiPfSC_PS2_PT2_iSB_SB_, .Lfunc_end999-_Z39paged_attention_ll4mi_QKV_mfma16_kernelIDF16_hLN4vllm18Fp8KVCacheDataTypeE1EDF16_Li16ELi128ELi256ELb0ELi10EEvPKT_PKT0_S7_ifPKiS9_S9_iPKfiiiPfSC_PS2_PT2_iSB_SB_
                                        ; -- End function
	.set _Z39paged_attention_ll4mi_QKV_mfma16_kernelIDF16_hLN4vllm18Fp8KVCacheDataTypeE1EDF16_Li16ELi128ELi256ELb0ELi10EEvPKT_PKT0_S7_ifPKiS9_S9_iPKfiiiPfSC_PS2_PT2_iSB_SB_.num_vgpr, max(3, .L__assert_fail.num_vgpr)
	.set _Z39paged_attention_ll4mi_QKV_mfma16_kernelIDF16_hLN4vllm18Fp8KVCacheDataTypeE1EDF16_Li16ELi128ELi256ELb0ELi10EEvPKT_PKT0_S7_ifPKiS9_S9_iPKfiiiPfSC_PS2_PT2_iSB_SB_.num_agpr, max(0, .L__assert_fail.num_agpr)
	.set _Z39paged_attention_ll4mi_QKV_mfma16_kernelIDF16_hLN4vllm18Fp8KVCacheDataTypeE1EDF16_Li16ELi128ELi256ELb0ELi10EEvPKT_PKT0_S7_ifPKiS9_S9_iPKfiiiPfSC_PS2_PT2_iSB_SB_.numbered_sgpr, max(33, .L__assert_fail.numbered_sgpr)
	.set _Z39paged_attention_ll4mi_QKV_mfma16_kernelIDF16_hLN4vllm18Fp8KVCacheDataTypeE1EDF16_Li16ELi128ELi256ELb0ELi10EEvPKT_PKT0_S7_ifPKiS9_S9_iPKfiiiPfSC_PS2_PT2_iSB_SB_.num_named_barrier, max(0, .L__assert_fail.num_named_barrier)
	.set _Z39paged_attention_ll4mi_QKV_mfma16_kernelIDF16_hLN4vllm18Fp8KVCacheDataTypeE1EDF16_Li16ELi128ELi256ELb0ELi10EEvPKT_PKT0_S7_ifPKiS9_S9_iPKfiiiPfSC_PS2_PT2_iSB_SB_.private_seg_size, 0+max(.L__assert_fail.private_seg_size)
	.set _Z39paged_attention_ll4mi_QKV_mfma16_kernelIDF16_hLN4vllm18Fp8KVCacheDataTypeE1EDF16_Li16ELi128ELi256ELb0ELi10EEvPKT_PKT0_S7_ifPKiS9_S9_iPKfiiiPfSC_PS2_PT2_iSB_SB_.uses_vcc, or(1, .L__assert_fail.uses_vcc)
	.set _Z39paged_attention_ll4mi_QKV_mfma16_kernelIDF16_hLN4vllm18Fp8KVCacheDataTypeE1EDF16_Li16ELi128ELi256ELb0ELi10EEvPKT_PKT0_S7_ifPKiS9_S9_iPKfiiiPfSC_PS2_PT2_iSB_SB_.uses_flat_scratch, or(0, .L__assert_fail.uses_flat_scratch)
	.set _Z39paged_attention_ll4mi_QKV_mfma16_kernelIDF16_hLN4vllm18Fp8KVCacheDataTypeE1EDF16_Li16ELi128ELi256ELb0ELi10EEvPKT_PKT0_S7_ifPKiS9_S9_iPKfiiiPfSC_PS2_PT2_iSB_SB_.has_dyn_sized_stack, or(0, .L__assert_fail.has_dyn_sized_stack)
	.set _Z39paged_attention_ll4mi_QKV_mfma16_kernelIDF16_hLN4vllm18Fp8KVCacheDataTypeE1EDF16_Li16ELi128ELi256ELb0ELi10EEvPKT_PKT0_S7_ifPKiS9_S9_iPKfiiiPfSC_PS2_PT2_iSB_SB_.has_recursion, or(0, .L__assert_fail.has_recursion)
	.set _Z39paged_attention_ll4mi_QKV_mfma16_kernelIDF16_hLN4vllm18Fp8KVCacheDataTypeE1EDF16_Li16ELi128ELi256ELb0ELi10EEvPKT_PKT0_S7_ifPKiS9_S9_iPKfiiiPfSC_PS2_PT2_iSB_SB_.has_indirect_call, or(0, .L__assert_fail.has_indirect_call)
	.section	.AMDGPU.csdata,"",@progbits
; Kernel info:
; codeLenInByte = 68
; TotalNumSgprs: 36
; NumVgprs: 51
; ScratchSize: 64
; MemoryBound: 0
; FloatMode: 240
; IeeeMode: 1
; LDSByteSize: 0 bytes/workgroup (compile time only)
; SGPRBlocks: 0
; VGPRBlocks: 3
; NumSGPRsForWavesPerEU: 36
; NumVGPRsForWavesPerEU: 51
; NamedBarCnt: 0
; Occupancy: 16
; WaveLimiterHint : 1
; COMPUTE_PGM_RSRC2:SCRATCH_EN: 1
; COMPUTE_PGM_RSRC2:USER_SGPR: 2
; COMPUTE_PGM_RSRC2:TRAP_HANDLER: 0
; COMPUTE_PGM_RSRC2:TGID_X_EN: 1
; COMPUTE_PGM_RSRC2:TGID_Y_EN: 0
; COMPUTE_PGM_RSRC2:TGID_Z_EN: 0
; COMPUTE_PGM_RSRC2:TIDIG_COMP_CNT: 0
	.section	.text._Z39paged_attention_ll4mi_QKV_mfma16_kernelIDF16_hLN4vllm18Fp8KVCacheDataTypeE1EDF16_Li16ELi128ELi256ELb0ELi11EEvPKT_PKT0_S7_ifPKiS9_S9_iPKfiiiPfSC_PS2_PT2_iSB_SB_,"axG",@progbits,_Z39paged_attention_ll4mi_QKV_mfma16_kernelIDF16_hLN4vllm18Fp8KVCacheDataTypeE1EDF16_Li16ELi128ELi256ELb0ELi11EEvPKT_PKT0_S7_ifPKiS9_S9_iPKfiiiPfSC_PS2_PT2_iSB_SB_,comdat
	.protected	_Z39paged_attention_ll4mi_QKV_mfma16_kernelIDF16_hLN4vllm18Fp8KVCacheDataTypeE1EDF16_Li16ELi128ELi256ELb0ELi11EEvPKT_PKT0_S7_ifPKiS9_S9_iPKfiiiPfSC_PS2_PT2_iSB_SB_ ; -- Begin function _Z39paged_attention_ll4mi_QKV_mfma16_kernelIDF16_hLN4vllm18Fp8KVCacheDataTypeE1EDF16_Li16ELi128ELi256ELb0ELi11EEvPKT_PKT0_S7_ifPKiS9_S9_iPKfiiiPfSC_PS2_PT2_iSB_SB_
	.globl	_Z39paged_attention_ll4mi_QKV_mfma16_kernelIDF16_hLN4vllm18Fp8KVCacheDataTypeE1EDF16_Li16ELi128ELi256ELb0ELi11EEvPKT_PKT0_S7_ifPKiS9_S9_iPKfiiiPfSC_PS2_PT2_iSB_SB_
	.p2align	8
	.type	_Z39paged_attention_ll4mi_QKV_mfma16_kernelIDF16_hLN4vllm18Fp8KVCacheDataTypeE1EDF16_Li16ELi128ELi256ELb0ELi11EEvPKT_PKT0_S7_ifPKiS9_S9_iPKfiiiPfSC_PS2_PT2_iSB_SB_,@function
_Z39paged_attention_ll4mi_QKV_mfma16_kernelIDF16_hLN4vllm18Fp8KVCacheDataTypeE1EDF16_Li16ELi128ELi256ELb0ELi11EEvPKT_PKT0_S7_ifPKiS9_S9_iPKfiiiPfSC_PS2_PT2_iSB_SB_: ; @_Z39paged_attention_ll4mi_QKV_mfma16_kernelIDF16_hLN4vllm18Fp8KVCacheDataTypeE1EDF16_Li16ELi128ELi256ELb0ELi11EEvPKT_PKT0_S7_ifPKiS9_S9_iPKfiiiPfSC_PS2_PT2_iSB_SB_
; %bb.0:
	s_get_pc_i64 s[2:3]
	s_add_nc_u64 s[2:3], s[2:3], __PRETTY_FUNCTION__._Z39paged_attention_ll4mi_QKV_mfma16_kernelIDF16_hLN4vllm18Fp8KVCacheDataTypeE1EDF16_Li16ELi128ELi256ELb0ELi11EEvPKT_PKT0_S7_ifPKiS9_S9_iPKfiiiPfSC_PS2_PT2_iSB_SB_@rel64+4
	s_delay_alu instid0(SALU_CYCLE_1)
	v_dual_mov_b32 v0, 0xbb3 :: v_dual_mov_b32 v1, s2
	v_mov_b32_e32 v2, s3
	s_add_nc_u64 s[8:9], s[0:1], 0x90
	s_get_pc_i64 s[0:1]
	s_add_nc_u64 s[0:1], s[0:1], __assert_fail@rel64+4
	s_mov_b32 s32, 0
	s_swap_pc_i64 s[30:31], s[0:1]
	.section	.rodata,"a",@progbits
	.p2align	6, 0x0
	.amdhsa_kernel _Z39paged_attention_ll4mi_QKV_mfma16_kernelIDF16_hLN4vllm18Fp8KVCacheDataTypeE1EDF16_Li16ELi128ELi256ELb0ELi11EEvPKT_PKT0_S7_ifPKiS9_S9_iPKfiiiPfSC_PS2_PT2_iSB_SB_
		.amdhsa_group_segment_fixed_size 0
		.amdhsa_private_segment_fixed_size 64
		.amdhsa_kernarg_size 400
		.amdhsa_user_sgpr_count 2
		.amdhsa_user_sgpr_dispatch_ptr 0
		.amdhsa_user_sgpr_queue_ptr 0
		.amdhsa_user_sgpr_kernarg_segment_ptr 1
		.amdhsa_user_sgpr_dispatch_id 0
		.amdhsa_user_sgpr_kernarg_preload_length 0
		.amdhsa_user_sgpr_kernarg_preload_offset 0
		.amdhsa_user_sgpr_private_segment_size 0
		.amdhsa_wavefront_size32 1
		.amdhsa_uses_dynamic_stack 0
		.amdhsa_enable_private_segment 1
		.amdhsa_system_sgpr_workgroup_id_x 1
		.amdhsa_system_sgpr_workgroup_id_y 0
		.amdhsa_system_sgpr_workgroup_id_z 0
		.amdhsa_system_sgpr_workgroup_info 0
		.amdhsa_system_vgpr_workitem_id 0
		.amdhsa_next_free_vgpr 51
		.amdhsa_next_free_sgpr 34
		.amdhsa_named_barrier_count 0
		.amdhsa_reserve_vcc 1
		.amdhsa_float_round_mode_32 0
		.amdhsa_float_round_mode_16_64 0
		.amdhsa_float_denorm_mode_32 3
		.amdhsa_float_denorm_mode_16_64 3
		.amdhsa_fp16_overflow 0
		.amdhsa_memory_ordered 1
		.amdhsa_forward_progress 1
		.amdhsa_inst_pref_size 1
		.amdhsa_round_robin_scheduling 0
		.amdhsa_exception_fp_ieee_invalid_op 0
		.amdhsa_exception_fp_denorm_src 0
		.amdhsa_exception_fp_ieee_div_zero 0
		.amdhsa_exception_fp_ieee_overflow 0
		.amdhsa_exception_fp_ieee_underflow 0
		.amdhsa_exception_fp_ieee_inexact 0
		.amdhsa_exception_int_div_zero 0
	.end_amdhsa_kernel
	.section	.text._Z39paged_attention_ll4mi_QKV_mfma16_kernelIDF16_hLN4vllm18Fp8KVCacheDataTypeE1EDF16_Li16ELi128ELi256ELb0ELi11EEvPKT_PKT0_S7_ifPKiS9_S9_iPKfiiiPfSC_PS2_PT2_iSB_SB_,"axG",@progbits,_Z39paged_attention_ll4mi_QKV_mfma16_kernelIDF16_hLN4vllm18Fp8KVCacheDataTypeE1EDF16_Li16ELi128ELi256ELb0ELi11EEvPKT_PKT0_S7_ifPKiS9_S9_iPKfiiiPfSC_PS2_PT2_iSB_SB_,comdat
.Lfunc_end1000:
	.size	_Z39paged_attention_ll4mi_QKV_mfma16_kernelIDF16_hLN4vllm18Fp8KVCacheDataTypeE1EDF16_Li16ELi128ELi256ELb0ELi11EEvPKT_PKT0_S7_ifPKiS9_S9_iPKfiiiPfSC_PS2_PT2_iSB_SB_, .Lfunc_end1000-_Z39paged_attention_ll4mi_QKV_mfma16_kernelIDF16_hLN4vllm18Fp8KVCacheDataTypeE1EDF16_Li16ELi128ELi256ELb0ELi11EEvPKT_PKT0_S7_ifPKiS9_S9_iPKfiiiPfSC_PS2_PT2_iSB_SB_
                                        ; -- End function
	.set _Z39paged_attention_ll4mi_QKV_mfma16_kernelIDF16_hLN4vllm18Fp8KVCacheDataTypeE1EDF16_Li16ELi128ELi256ELb0ELi11EEvPKT_PKT0_S7_ifPKiS9_S9_iPKfiiiPfSC_PS2_PT2_iSB_SB_.num_vgpr, max(3, .L__assert_fail.num_vgpr)
	.set _Z39paged_attention_ll4mi_QKV_mfma16_kernelIDF16_hLN4vllm18Fp8KVCacheDataTypeE1EDF16_Li16ELi128ELi256ELb0ELi11EEvPKT_PKT0_S7_ifPKiS9_S9_iPKfiiiPfSC_PS2_PT2_iSB_SB_.num_agpr, max(0, .L__assert_fail.num_agpr)
	.set _Z39paged_attention_ll4mi_QKV_mfma16_kernelIDF16_hLN4vllm18Fp8KVCacheDataTypeE1EDF16_Li16ELi128ELi256ELb0ELi11EEvPKT_PKT0_S7_ifPKiS9_S9_iPKfiiiPfSC_PS2_PT2_iSB_SB_.numbered_sgpr, max(33, .L__assert_fail.numbered_sgpr)
	.set _Z39paged_attention_ll4mi_QKV_mfma16_kernelIDF16_hLN4vllm18Fp8KVCacheDataTypeE1EDF16_Li16ELi128ELi256ELb0ELi11EEvPKT_PKT0_S7_ifPKiS9_S9_iPKfiiiPfSC_PS2_PT2_iSB_SB_.num_named_barrier, max(0, .L__assert_fail.num_named_barrier)
	.set _Z39paged_attention_ll4mi_QKV_mfma16_kernelIDF16_hLN4vllm18Fp8KVCacheDataTypeE1EDF16_Li16ELi128ELi256ELb0ELi11EEvPKT_PKT0_S7_ifPKiS9_S9_iPKfiiiPfSC_PS2_PT2_iSB_SB_.private_seg_size, 0+max(.L__assert_fail.private_seg_size)
	.set _Z39paged_attention_ll4mi_QKV_mfma16_kernelIDF16_hLN4vllm18Fp8KVCacheDataTypeE1EDF16_Li16ELi128ELi256ELb0ELi11EEvPKT_PKT0_S7_ifPKiS9_S9_iPKfiiiPfSC_PS2_PT2_iSB_SB_.uses_vcc, or(1, .L__assert_fail.uses_vcc)
	.set _Z39paged_attention_ll4mi_QKV_mfma16_kernelIDF16_hLN4vllm18Fp8KVCacheDataTypeE1EDF16_Li16ELi128ELi256ELb0ELi11EEvPKT_PKT0_S7_ifPKiS9_S9_iPKfiiiPfSC_PS2_PT2_iSB_SB_.uses_flat_scratch, or(0, .L__assert_fail.uses_flat_scratch)
	.set _Z39paged_attention_ll4mi_QKV_mfma16_kernelIDF16_hLN4vllm18Fp8KVCacheDataTypeE1EDF16_Li16ELi128ELi256ELb0ELi11EEvPKT_PKT0_S7_ifPKiS9_S9_iPKfiiiPfSC_PS2_PT2_iSB_SB_.has_dyn_sized_stack, or(0, .L__assert_fail.has_dyn_sized_stack)
	.set _Z39paged_attention_ll4mi_QKV_mfma16_kernelIDF16_hLN4vllm18Fp8KVCacheDataTypeE1EDF16_Li16ELi128ELi256ELb0ELi11EEvPKT_PKT0_S7_ifPKiS9_S9_iPKfiiiPfSC_PS2_PT2_iSB_SB_.has_recursion, or(0, .L__assert_fail.has_recursion)
	.set _Z39paged_attention_ll4mi_QKV_mfma16_kernelIDF16_hLN4vllm18Fp8KVCacheDataTypeE1EDF16_Li16ELi128ELi256ELb0ELi11EEvPKT_PKT0_S7_ifPKiS9_S9_iPKfiiiPfSC_PS2_PT2_iSB_SB_.has_indirect_call, or(0, .L__assert_fail.has_indirect_call)
	.section	.AMDGPU.csdata,"",@progbits
; Kernel info:
; codeLenInByte = 68
; TotalNumSgprs: 36
; NumVgprs: 51
; ScratchSize: 64
; MemoryBound: 0
; FloatMode: 240
; IeeeMode: 1
; LDSByteSize: 0 bytes/workgroup (compile time only)
; SGPRBlocks: 0
; VGPRBlocks: 3
; NumSGPRsForWavesPerEU: 36
; NumVGPRsForWavesPerEU: 51
; NamedBarCnt: 0
; Occupancy: 16
; WaveLimiterHint : 1
; COMPUTE_PGM_RSRC2:SCRATCH_EN: 1
; COMPUTE_PGM_RSRC2:USER_SGPR: 2
; COMPUTE_PGM_RSRC2:TRAP_HANDLER: 0
; COMPUTE_PGM_RSRC2:TGID_X_EN: 1
; COMPUTE_PGM_RSRC2:TGID_Y_EN: 0
; COMPUTE_PGM_RSRC2:TGID_Z_EN: 0
; COMPUTE_PGM_RSRC2:TIDIG_COMP_CNT: 0
	.section	.text._Z39paged_attention_ll4mi_QKV_mfma16_kernelIDF16_hLN4vllm18Fp8KVCacheDataTypeE1EDF16_Li16ELi128ELi256ELb0ELi12EEvPKT_PKT0_S7_ifPKiS9_S9_iPKfiiiPfSC_PS2_PT2_iSB_SB_,"axG",@progbits,_Z39paged_attention_ll4mi_QKV_mfma16_kernelIDF16_hLN4vllm18Fp8KVCacheDataTypeE1EDF16_Li16ELi128ELi256ELb0ELi12EEvPKT_PKT0_S7_ifPKiS9_S9_iPKfiiiPfSC_PS2_PT2_iSB_SB_,comdat
	.protected	_Z39paged_attention_ll4mi_QKV_mfma16_kernelIDF16_hLN4vllm18Fp8KVCacheDataTypeE1EDF16_Li16ELi128ELi256ELb0ELi12EEvPKT_PKT0_S7_ifPKiS9_S9_iPKfiiiPfSC_PS2_PT2_iSB_SB_ ; -- Begin function _Z39paged_attention_ll4mi_QKV_mfma16_kernelIDF16_hLN4vllm18Fp8KVCacheDataTypeE1EDF16_Li16ELi128ELi256ELb0ELi12EEvPKT_PKT0_S7_ifPKiS9_S9_iPKfiiiPfSC_PS2_PT2_iSB_SB_
	.globl	_Z39paged_attention_ll4mi_QKV_mfma16_kernelIDF16_hLN4vllm18Fp8KVCacheDataTypeE1EDF16_Li16ELi128ELi256ELb0ELi12EEvPKT_PKT0_S7_ifPKiS9_S9_iPKfiiiPfSC_PS2_PT2_iSB_SB_
	.p2align	8
	.type	_Z39paged_attention_ll4mi_QKV_mfma16_kernelIDF16_hLN4vllm18Fp8KVCacheDataTypeE1EDF16_Li16ELi128ELi256ELb0ELi12EEvPKT_PKT0_S7_ifPKiS9_S9_iPKfiiiPfSC_PS2_PT2_iSB_SB_,@function
_Z39paged_attention_ll4mi_QKV_mfma16_kernelIDF16_hLN4vllm18Fp8KVCacheDataTypeE1EDF16_Li16ELi128ELi256ELb0ELi12EEvPKT_PKT0_S7_ifPKiS9_S9_iPKfiiiPfSC_PS2_PT2_iSB_SB_: ; @_Z39paged_attention_ll4mi_QKV_mfma16_kernelIDF16_hLN4vllm18Fp8KVCacheDataTypeE1EDF16_Li16ELi128ELi256ELb0ELi12EEvPKT_PKT0_S7_ifPKiS9_S9_iPKfiiiPfSC_PS2_PT2_iSB_SB_
; %bb.0:
	s_get_pc_i64 s[2:3]
	s_add_nc_u64 s[2:3], s[2:3], __PRETTY_FUNCTION__._Z39paged_attention_ll4mi_QKV_mfma16_kernelIDF16_hLN4vllm18Fp8KVCacheDataTypeE1EDF16_Li16ELi128ELi256ELb0ELi12EEvPKT_PKT0_S7_ifPKiS9_S9_iPKfiiiPfSC_PS2_PT2_iSB_SB_@rel64+4
	s_delay_alu instid0(SALU_CYCLE_1)
	v_dual_mov_b32 v0, 0xbb3 :: v_dual_mov_b32 v1, s2
	v_mov_b32_e32 v2, s3
	s_add_nc_u64 s[8:9], s[0:1], 0x90
	s_get_pc_i64 s[0:1]
	s_add_nc_u64 s[0:1], s[0:1], __assert_fail@rel64+4
	s_mov_b32 s32, 0
	s_swap_pc_i64 s[30:31], s[0:1]
	.section	.rodata,"a",@progbits
	.p2align	6, 0x0
	.amdhsa_kernel _Z39paged_attention_ll4mi_QKV_mfma16_kernelIDF16_hLN4vllm18Fp8KVCacheDataTypeE1EDF16_Li16ELi128ELi256ELb0ELi12EEvPKT_PKT0_S7_ifPKiS9_S9_iPKfiiiPfSC_PS2_PT2_iSB_SB_
		.amdhsa_group_segment_fixed_size 0
		.amdhsa_private_segment_fixed_size 64
		.amdhsa_kernarg_size 400
		.amdhsa_user_sgpr_count 2
		.amdhsa_user_sgpr_dispatch_ptr 0
		.amdhsa_user_sgpr_queue_ptr 0
		.amdhsa_user_sgpr_kernarg_segment_ptr 1
		.amdhsa_user_sgpr_dispatch_id 0
		.amdhsa_user_sgpr_kernarg_preload_length 0
		.amdhsa_user_sgpr_kernarg_preload_offset 0
		.amdhsa_user_sgpr_private_segment_size 0
		.amdhsa_wavefront_size32 1
		.amdhsa_uses_dynamic_stack 0
		.amdhsa_enable_private_segment 1
		.amdhsa_system_sgpr_workgroup_id_x 1
		.amdhsa_system_sgpr_workgroup_id_y 0
		.amdhsa_system_sgpr_workgroup_id_z 0
		.amdhsa_system_sgpr_workgroup_info 0
		.amdhsa_system_vgpr_workitem_id 0
		.amdhsa_next_free_vgpr 51
		.amdhsa_next_free_sgpr 34
		.amdhsa_named_barrier_count 0
		.amdhsa_reserve_vcc 1
		.amdhsa_float_round_mode_32 0
		.amdhsa_float_round_mode_16_64 0
		.amdhsa_float_denorm_mode_32 3
		.amdhsa_float_denorm_mode_16_64 3
		.amdhsa_fp16_overflow 0
		.amdhsa_memory_ordered 1
		.amdhsa_forward_progress 1
		.amdhsa_inst_pref_size 1
		.amdhsa_round_robin_scheduling 0
		.amdhsa_exception_fp_ieee_invalid_op 0
		.amdhsa_exception_fp_denorm_src 0
		.amdhsa_exception_fp_ieee_div_zero 0
		.amdhsa_exception_fp_ieee_overflow 0
		.amdhsa_exception_fp_ieee_underflow 0
		.amdhsa_exception_fp_ieee_inexact 0
		.amdhsa_exception_int_div_zero 0
	.end_amdhsa_kernel
	.section	.text._Z39paged_attention_ll4mi_QKV_mfma16_kernelIDF16_hLN4vllm18Fp8KVCacheDataTypeE1EDF16_Li16ELi128ELi256ELb0ELi12EEvPKT_PKT0_S7_ifPKiS9_S9_iPKfiiiPfSC_PS2_PT2_iSB_SB_,"axG",@progbits,_Z39paged_attention_ll4mi_QKV_mfma16_kernelIDF16_hLN4vllm18Fp8KVCacheDataTypeE1EDF16_Li16ELi128ELi256ELb0ELi12EEvPKT_PKT0_S7_ifPKiS9_S9_iPKfiiiPfSC_PS2_PT2_iSB_SB_,comdat
.Lfunc_end1001:
	.size	_Z39paged_attention_ll4mi_QKV_mfma16_kernelIDF16_hLN4vllm18Fp8KVCacheDataTypeE1EDF16_Li16ELi128ELi256ELb0ELi12EEvPKT_PKT0_S7_ifPKiS9_S9_iPKfiiiPfSC_PS2_PT2_iSB_SB_, .Lfunc_end1001-_Z39paged_attention_ll4mi_QKV_mfma16_kernelIDF16_hLN4vllm18Fp8KVCacheDataTypeE1EDF16_Li16ELi128ELi256ELb0ELi12EEvPKT_PKT0_S7_ifPKiS9_S9_iPKfiiiPfSC_PS2_PT2_iSB_SB_
                                        ; -- End function
	.set _Z39paged_attention_ll4mi_QKV_mfma16_kernelIDF16_hLN4vllm18Fp8KVCacheDataTypeE1EDF16_Li16ELi128ELi256ELb0ELi12EEvPKT_PKT0_S7_ifPKiS9_S9_iPKfiiiPfSC_PS2_PT2_iSB_SB_.num_vgpr, max(3, .L__assert_fail.num_vgpr)
	.set _Z39paged_attention_ll4mi_QKV_mfma16_kernelIDF16_hLN4vllm18Fp8KVCacheDataTypeE1EDF16_Li16ELi128ELi256ELb0ELi12EEvPKT_PKT0_S7_ifPKiS9_S9_iPKfiiiPfSC_PS2_PT2_iSB_SB_.num_agpr, max(0, .L__assert_fail.num_agpr)
	.set _Z39paged_attention_ll4mi_QKV_mfma16_kernelIDF16_hLN4vllm18Fp8KVCacheDataTypeE1EDF16_Li16ELi128ELi256ELb0ELi12EEvPKT_PKT0_S7_ifPKiS9_S9_iPKfiiiPfSC_PS2_PT2_iSB_SB_.numbered_sgpr, max(33, .L__assert_fail.numbered_sgpr)
	.set _Z39paged_attention_ll4mi_QKV_mfma16_kernelIDF16_hLN4vllm18Fp8KVCacheDataTypeE1EDF16_Li16ELi128ELi256ELb0ELi12EEvPKT_PKT0_S7_ifPKiS9_S9_iPKfiiiPfSC_PS2_PT2_iSB_SB_.num_named_barrier, max(0, .L__assert_fail.num_named_barrier)
	.set _Z39paged_attention_ll4mi_QKV_mfma16_kernelIDF16_hLN4vllm18Fp8KVCacheDataTypeE1EDF16_Li16ELi128ELi256ELb0ELi12EEvPKT_PKT0_S7_ifPKiS9_S9_iPKfiiiPfSC_PS2_PT2_iSB_SB_.private_seg_size, 0+max(.L__assert_fail.private_seg_size)
	.set _Z39paged_attention_ll4mi_QKV_mfma16_kernelIDF16_hLN4vllm18Fp8KVCacheDataTypeE1EDF16_Li16ELi128ELi256ELb0ELi12EEvPKT_PKT0_S7_ifPKiS9_S9_iPKfiiiPfSC_PS2_PT2_iSB_SB_.uses_vcc, or(1, .L__assert_fail.uses_vcc)
	.set _Z39paged_attention_ll4mi_QKV_mfma16_kernelIDF16_hLN4vllm18Fp8KVCacheDataTypeE1EDF16_Li16ELi128ELi256ELb0ELi12EEvPKT_PKT0_S7_ifPKiS9_S9_iPKfiiiPfSC_PS2_PT2_iSB_SB_.uses_flat_scratch, or(0, .L__assert_fail.uses_flat_scratch)
	.set _Z39paged_attention_ll4mi_QKV_mfma16_kernelIDF16_hLN4vllm18Fp8KVCacheDataTypeE1EDF16_Li16ELi128ELi256ELb0ELi12EEvPKT_PKT0_S7_ifPKiS9_S9_iPKfiiiPfSC_PS2_PT2_iSB_SB_.has_dyn_sized_stack, or(0, .L__assert_fail.has_dyn_sized_stack)
	.set _Z39paged_attention_ll4mi_QKV_mfma16_kernelIDF16_hLN4vllm18Fp8KVCacheDataTypeE1EDF16_Li16ELi128ELi256ELb0ELi12EEvPKT_PKT0_S7_ifPKiS9_S9_iPKfiiiPfSC_PS2_PT2_iSB_SB_.has_recursion, or(0, .L__assert_fail.has_recursion)
	.set _Z39paged_attention_ll4mi_QKV_mfma16_kernelIDF16_hLN4vllm18Fp8KVCacheDataTypeE1EDF16_Li16ELi128ELi256ELb0ELi12EEvPKT_PKT0_S7_ifPKiS9_S9_iPKfiiiPfSC_PS2_PT2_iSB_SB_.has_indirect_call, or(0, .L__assert_fail.has_indirect_call)
	.section	.AMDGPU.csdata,"",@progbits
; Kernel info:
; codeLenInByte = 68
; TotalNumSgprs: 36
; NumVgprs: 51
; ScratchSize: 64
; MemoryBound: 0
; FloatMode: 240
; IeeeMode: 1
; LDSByteSize: 0 bytes/workgroup (compile time only)
; SGPRBlocks: 0
; VGPRBlocks: 3
; NumSGPRsForWavesPerEU: 36
; NumVGPRsForWavesPerEU: 51
; NamedBarCnt: 0
; Occupancy: 16
; WaveLimiterHint : 1
; COMPUTE_PGM_RSRC2:SCRATCH_EN: 1
; COMPUTE_PGM_RSRC2:USER_SGPR: 2
; COMPUTE_PGM_RSRC2:TRAP_HANDLER: 0
; COMPUTE_PGM_RSRC2:TGID_X_EN: 1
; COMPUTE_PGM_RSRC2:TGID_Y_EN: 0
; COMPUTE_PGM_RSRC2:TGID_Z_EN: 0
; COMPUTE_PGM_RSRC2:TIDIG_COMP_CNT: 0
	.section	.text._Z39paged_attention_ll4mi_QKV_mfma16_kernelIDF16_hLN4vllm18Fp8KVCacheDataTypeE1EDF16_Li16ELi128ELi256ELb0ELi13EEvPKT_PKT0_S7_ifPKiS9_S9_iPKfiiiPfSC_PS2_PT2_iSB_SB_,"axG",@progbits,_Z39paged_attention_ll4mi_QKV_mfma16_kernelIDF16_hLN4vllm18Fp8KVCacheDataTypeE1EDF16_Li16ELi128ELi256ELb0ELi13EEvPKT_PKT0_S7_ifPKiS9_S9_iPKfiiiPfSC_PS2_PT2_iSB_SB_,comdat
	.protected	_Z39paged_attention_ll4mi_QKV_mfma16_kernelIDF16_hLN4vllm18Fp8KVCacheDataTypeE1EDF16_Li16ELi128ELi256ELb0ELi13EEvPKT_PKT0_S7_ifPKiS9_S9_iPKfiiiPfSC_PS2_PT2_iSB_SB_ ; -- Begin function _Z39paged_attention_ll4mi_QKV_mfma16_kernelIDF16_hLN4vllm18Fp8KVCacheDataTypeE1EDF16_Li16ELi128ELi256ELb0ELi13EEvPKT_PKT0_S7_ifPKiS9_S9_iPKfiiiPfSC_PS2_PT2_iSB_SB_
	.globl	_Z39paged_attention_ll4mi_QKV_mfma16_kernelIDF16_hLN4vllm18Fp8KVCacheDataTypeE1EDF16_Li16ELi128ELi256ELb0ELi13EEvPKT_PKT0_S7_ifPKiS9_S9_iPKfiiiPfSC_PS2_PT2_iSB_SB_
	.p2align	8
	.type	_Z39paged_attention_ll4mi_QKV_mfma16_kernelIDF16_hLN4vllm18Fp8KVCacheDataTypeE1EDF16_Li16ELi128ELi256ELb0ELi13EEvPKT_PKT0_S7_ifPKiS9_S9_iPKfiiiPfSC_PS2_PT2_iSB_SB_,@function
_Z39paged_attention_ll4mi_QKV_mfma16_kernelIDF16_hLN4vllm18Fp8KVCacheDataTypeE1EDF16_Li16ELi128ELi256ELb0ELi13EEvPKT_PKT0_S7_ifPKiS9_S9_iPKfiiiPfSC_PS2_PT2_iSB_SB_: ; @_Z39paged_attention_ll4mi_QKV_mfma16_kernelIDF16_hLN4vllm18Fp8KVCacheDataTypeE1EDF16_Li16ELi128ELi256ELb0ELi13EEvPKT_PKT0_S7_ifPKiS9_S9_iPKfiiiPfSC_PS2_PT2_iSB_SB_
; %bb.0:
	s_get_pc_i64 s[2:3]
	s_add_nc_u64 s[2:3], s[2:3], __PRETTY_FUNCTION__._Z39paged_attention_ll4mi_QKV_mfma16_kernelIDF16_hLN4vllm18Fp8KVCacheDataTypeE1EDF16_Li16ELi128ELi256ELb0ELi13EEvPKT_PKT0_S7_ifPKiS9_S9_iPKfiiiPfSC_PS2_PT2_iSB_SB_@rel64+4
	s_delay_alu instid0(SALU_CYCLE_1)
	v_dual_mov_b32 v0, 0xbb3 :: v_dual_mov_b32 v1, s2
	v_mov_b32_e32 v2, s3
	s_add_nc_u64 s[8:9], s[0:1], 0x90
	s_get_pc_i64 s[0:1]
	s_add_nc_u64 s[0:1], s[0:1], __assert_fail@rel64+4
	s_mov_b32 s32, 0
	s_swap_pc_i64 s[30:31], s[0:1]
	.section	.rodata,"a",@progbits
	.p2align	6, 0x0
	.amdhsa_kernel _Z39paged_attention_ll4mi_QKV_mfma16_kernelIDF16_hLN4vllm18Fp8KVCacheDataTypeE1EDF16_Li16ELi128ELi256ELb0ELi13EEvPKT_PKT0_S7_ifPKiS9_S9_iPKfiiiPfSC_PS2_PT2_iSB_SB_
		.amdhsa_group_segment_fixed_size 0
		.amdhsa_private_segment_fixed_size 64
		.amdhsa_kernarg_size 400
		.amdhsa_user_sgpr_count 2
		.amdhsa_user_sgpr_dispatch_ptr 0
		.amdhsa_user_sgpr_queue_ptr 0
		.amdhsa_user_sgpr_kernarg_segment_ptr 1
		.amdhsa_user_sgpr_dispatch_id 0
		.amdhsa_user_sgpr_kernarg_preload_length 0
		.amdhsa_user_sgpr_kernarg_preload_offset 0
		.amdhsa_user_sgpr_private_segment_size 0
		.amdhsa_wavefront_size32 1
		.amdhsa_uses_dynamic_stack 0
		.amdhsa_enable_private_segment 1
		.amdhsa_system_sgpr_workgroup_id_x 1
		.amdhsa_system_sgpr_workgroup_id_y 0
		.amdhsa_system_sgpr_workgroup_id_z 0
		.amdhsa_system_sgpr_workgroup_info 0
		.amdhsa_system_vgpr_workitem_id 0
		.amdhsa_next_free_vgpr 51
		.amdhsa_next_free_sgpr 34
		.amdhsa_named_barrier_count 0
		.amdhsa_reserve_vcc 1
		.amdhsa_float_round_mode_32 0
		.amdhsa_float_round_mode_16_64 0
		.amdhsa_float_denorm_mode_32 3
		.amdhsa_float_denorm_mode_16_64 3
		.amdhsa_fp16_overflow 0
		.amdhsa_memory_ordered 1
		.amdhsa_forward_progress 1
		.amdhsa_inst_pref_size 1
		.amdhsa_round_robin_scheduling 0
		.amdhsa_exception_fp_ieee_invalid_op 0
		.amdhsa_exception_fp_denorm_src 0
		.amdhsa_exception_fp_ieee_div_zero 0
		.amdhsa_exception_fp_ieee_overflow 0
		.amdhsa_exception_fp_ieee_underflow 0
		.amdhsa_exception_fp_ieee_inexact 0
		.amdhsa_exception_int_div_zero 0
	.end_amdhsa_kernel
	.section	.text._Z39paged_attention_ll4mi_QKV_mfma16_kernelIDF16_hLN4vllm18Fp8KVCacheDataTypeE1EDF16_Li16ELi128ELi256ELb0ELi13EEvPKT_PKT0_S7_ifPKiS9_S9_iPKfiiiPfSC_PS2_PT2_iSB_SB_,"axG",@progbits,_Z39paged_attention_ll4mi_QKV_mfma16_kernelIDF16_hLN4vllm18Fp8KVCacheDataTypeE1EDF16_Li16ELi128ELi256ELb0ELi13EEvPKT_PKT0_S7_ifPKiS9_S9_iPKfiiiPfSC_PS2_PT2_iSB_SB_,comdat
.Lfunc_end1002:
	.size	_Z39paged_attention_ll4mi_QKV_mfma16_kernelIDF16_hLN4vllm18Fp8KVCacheDataTypeE1EDF16_Li16ELi128ELi256ELb0ELi13EEvPKT_PKT0_S7_ifPKiS9_S9_iPKfiiiPfSC_PS2_PT2_iSB_SB_, .Lfunc_end1002-_Z39paged_attention_ll4mi_QKV_mfma16_kernelIDF16_hLN4vllm18Fp8KVCacheDataTypeE1EDF16_Li16ELi128ELi256ELb0ELi13EEvPKT_PKT0_S7_ifPKiS9_S9_iPKfiiiPfSC_PS2_PT2_iSB_SB_
                                        ; -- End function
	.set _Z39paged_attention_ll4mi_QKV_mfma16_kernelIDF16_hLN4vllm18Fp8KVCacheDataTypeE1EDF16_Li16ELi128ELi256ELb0ELi13EEvPKT_PKT0_S7_ifPKiS9_S9_iPKfiiiPfSC_PS2_PT2_iSB_SB_.num_vgpr, max(3, .L__assert_fail.num_vgpr)
	.set _Z39paged_attention_ll4mi_QKV_mfma16_kernelIDF16_hLN4vllm18Fp8KVCacheDataTypeE1EDF16_Li16ELi128ELi256ELb0ELi13EEvPKT_PKT0_S7_ifPKiS9_S9_iPKfiiiPfSC_PS2_PT2_iSB_SB_.num_agpr, max(0, .L__assert_fail.num_agpr)
	.set _Z39paged_attention_ll4mi_QKV_mfma16_kernelIDF16_hLN4vllm18Fp8KVCacheDataTypeE1EDF16_Li16ELi128ELi256ELb0ELi13EEvPKT_PKT0_S7_ifPKiS9_S9_iPKfiiiPfSC_PS2_PT2_iSB_SB_.numbered_sgpr, max(33, .L__assert_fail.numbered_sgpr)
	.set _Z39paged_attention_ll4mi_QKV_mfma16_kernelIDF16_hLN4vllm18Fp8KVCacheDataTypeE1EDF16_Li16ELi128ELi256ELb0ELi13EEvPKT_PKT0_S7_ifPKiS9_S9_iPKfiiiPfSC_PS2_PT2_iSB_SB_.num_named_barrier, max(0, .L__assert_fail.num_named_barrier)
	.set _Z39paged_attention_ll4mi_QKV_mfma16_kernelIDF16_hLN4vllm18Fp8KVCacheDataTypeE1EDF16_Li16ELi128ELi256ELb0ELi13EEvPKT_PKT0_S7_ifPKiS9_S9_iPKfiiiPfSC_PS2_PT2_iSB_SB_.private_seg_size, 0+max(.L__assert_fail.private_seg_size)
	.set _Z39paged_attention_ll4mi_QKV_mfma16_kernelIDF16_hLN4vllm18Fp8KVCacheDataTypeE1EDF16_Li16ELi128ELi256ELb0ELi13EEvPKT_PKT0_S7_ifPKiS9_S9_iPKfiiiPfSC_PS2_PT2_iSB_SB_.uses_vcc, or(1, .L__assert_fail.uses_vcc)
	.set _Z39paged_attention_ll4mi_QKV_mfma16_kernelIDF16_hLN4vllm18Fp8KVCacheDataTypeE1EDF16_Li16ELi128ELi256ELb0ELi13EEvPKT_PKT0_S7_ifPKiS9_S9_iPKfiiiPfSC_PS2_PT2_iSB_SB_.uses_flat_scratch, or(0, .L__assert_fail.uses_flat_scratch)
	.set _Z39paged_attention_ll4mi_QKV_mfma16_kernelIDF16_hLN4vllm18Fp8KVCacheDataTypeE1EDF16_Li16ELi128ELi256ELb0ELi13EEvPKT_PKT0_S7_ifPKiS9_S9_iPKfiiiPfSC_PS2_PT2_iSB_SB_.has_dyn_sized_stack, or(0, .L__assert_fail.has_dyn_sized_stack)
	.set _Z39paged_attention_ll4mi_QKV_mfma16_kernelIDF16_hLN4vllm18Fp8KVCacheDataTypeE1EDF16_Li16ELi128ELi256ELb0ELi13EEvPKT_PKT0_S7_ifPKiS9_S9_iPKfiiiPfSC_PS2_PT2_iSB_SB_.has_recursion, or(0, .L__assert_fail.has_recursion)
	.set _Z39paged_attention_ll4mi_QKV_mfma16_kernelIDF16_hLN4vllm18Fp8KVCacheDataTypeE1EDF16_Li16ELi128ELi256ELb0ELi13EEvPKT_PKT0_S7_ifPKiS9_S9_iPKfiiiPfSC_PS2_PT2_iSB_SB_.has_indirect_call, or(0, .L__assert_fail.has_indirect_call)
	.section	.AMDGPU.csdata,"",@progbits
; Kernel info:
; codeLenInByte = 68
; TotalNumSgprs: 36
; NumVgprs: 51
; ScratchSize: 64
; MemoryBound: 0
; FloatMode: 240
; IeeeMode: 1
; LDSByteSize: 0 bytes/workgroup (compile time only)
; SGPRBlocks: 0
; VGPRBlocks: 3
; NumSGPRsForWavesPerEU: 36
; NumVGPRsForWavesPerEU: 51
; NamedBarCnt: 0
; Occupancy: 16
; WaveLimiterHint : 1
; COMPUTE_PGM_RSRC2:SCRATCH_EN: 1
; COMPUTE_PGM_RSRC2:USER_SGPR: 2
; COMPUTE_PGM_RSRC2:TRAP_HANDLER: 0
; COMPUTE_PGM_RSRC2:TGID_X_EN: 1
; COMPUTE_PGM_RSRC2:TGID_Y_EN: 0
; COMPUTE_PGM_RSRC2:TGID_Z_EN: 0
; COMPUTE_PGM_RSRC2:TIDIG_COMP_CNT: 0
	.section	.text._Z39paged_attention_ll4mi_QKV_mfma16_kernelIDF16_hLN4vllm18Fp8KVCacheDataTypeE1EDF16_Li16ELi128ELi256ELb0ELi14EEvPKT_PKT0_S7_ifPKiS9_S9_iPKfiiiPfSC_PS2_PT2_iSB_SB_,"axG",@progbits,_Z39paged_attention_ll4mi_QKV_mfma16_kernelIDF16_hLN4vllm18Fp8KVCacheDataTypeE1EDF16_Li16ELi128ELi256ELb0ELi14EEvPKT_PKT0_S7_ifPKiS9_S9_iPKfiiiPfSC_PS2_PT2_iSB_SB_,comdat
	.protected	_Z39paged_attention_ll4mi_QKV_mfma16_kernelIDF16_hLN4vllm18Fp8KVCacheDataTypeE1EDF16_Li16ELi128ELi256ELb0ELi14EEvPKT_PKT0_S7_ifPKiS9_S9_iPKfiiiPfSC_PS2_PT2_iSB_SB_ ; -- Begin function _Z39paged_attention_ll4mi_QKV_mfma16_kernelIDF16_hLN4vllm18Fp8KVCacheDataTypeE1EDF16_Li16ELi128ELi256ELb0ELi14EEvPKT_PKT0_S7_ifPKiS9_S9_iPKfiiiPfSC_PS2_PT2_iSB_SB_
	.globl	_Z39paged_attention_ll4mi_QKV_mfma16_kernelIDF16_hLN4vllm18Fp8KVCacheDataTypeE1EDF16_Li16ELi128ELi256ELb0ELi14EEvPKT_PKT0_S7_ifPKiS9_S9_iPKfiiiPfSC_PS2_PT2_iSB_SB_
	.p2align	8
	.type	_Z39paged_attention_ll4mi_QKV_mfma16_kernelIDF16_hLN4vllm18Fp8KVCacheDataTypeE1EDF16_Li16ELi128ELi256ELb0ELi14EEvPKT_PKT0_S7_ifPKiS9_S9_iPKfiiiPfSC_PS2_PT2_iSB_SB_,@function
_Z39paged_attention_ll4mi_QKV_mfma16_kernelIDF16_hLN4vllm18Fp8KVCacheDataTypeE1EDF16_Li16ELi128ELi256ELb0ELi14EEvPKT_PKT0_S7_ifPKiS9_S9_iPKfiiiPfSC_PS2_PT2_iSB_SB_: ; @_Z39paged_attention_ll4mi_QKV_mfma16_kernelIDF16_hLN4vllm18Fp8KVCacheDataTypeE1EDF16_Li16ELi128ELi256ELb0ELi14EEvPKT_PKT0_S7_ifPKiS9_S9_iPKfiiiPfSC_PS2_PT2_iSB_SB_
; %bb.0:
	s_get_pc_i64 s[2:3]
	s_add_nc_u64 s[2:3], s[2:3], __PRETTY_FUNCTION__._Z39paged_attention_ll4mi_QKV_mfma16_kernelIDF16_hLN4vllm18Fp8KVCacheDataTypeE1EDF16_Li16ELi128ELi256ELb0ELi14EEvPKT_PKT0_S7_ifPKiS9_S9_iPKfiiiPfSC_PS2_PT2_iSB_SB_@rel64+4
	s_delay_alu instid0(SALU_CYCLE_1)
	v_dual_mov_b32 v0, 0xbb3 :: v_dual_mov_b32 v1, s2
	v_mov_b32_e32 v2, s3
	s_add_nc_u64 s[8:9], s[0:1], 0x90
	s_get_pc_i64 s[0:1]
	s_add_nc_u64 s[0:1], s[0:1], __assert_fail@rel64+4
	s_mov_b32 s32, 0
	s_swap_pc_i64 s[30:31], s[0:1]
	.section	.rodata,"a",@progbits
	.p2align	6, 0x0
	.amdhsa_kernel _Z39paged_attention_ll4mi_QKV_mfma16_kernelIDF16_hLN4vllm18Fp8KVCacheDataTypeE1EDF16_Li16ELi128ELi256ELb0ELi14EEvPKT_PKT0_S7_ifPKiS9_S9_iPKfiiiPfSC_PS2_PT2_iSB_SB_
		.amdhsa_group_segment_fixed_size 0
		.amdhsa_private_segment_fixed_size 64
		.amdhsa_kernarg_size 400
		.amdhsa_user_sgpr_count 2
		.amdhsa_user_sgpr_dispatch_ptr 0
		.amdhsa_user_sgpr_queue_ptr 0
		.amdhsa_user_sgpr_kernarg_segment_ptr 1
		.amdhsa_user_sgpr_dispatch_id 0
		.amdhsa_user_sgpr_kernarg_preload_length 0
		.amdhsa_user_sgpr_kernarg_preload_offset 0
		.amdhsa_user_sgpr_private_segment_size 0
		.amdhsa_wavefront_size32 1
		.amdhsa_uses_dynamic_stack 0
		.amdhsa_enable_private_segment 1
		.amdhsa_system_sgpr_workgroup_id_x 1
		.amdhsa_system_sgpr_workgroup_id_y 0
		.amdhsa_system_sgpr_workgroup_id_z 0
		.amdhsa_system_sgpr_workgroup_info 0
		.amdhsa_system_vgpr_workitem_id 0
		.amdhsa_next_free_vgpr 51
		.amdhsa_next_free_sgpr 34
		.amdhsa_named_barrier_count 0
		.amdhsa_reserve_vcc 1
		.amdhsa_float_round_mode_32 0
		.amdhsa_float_round_mode_16_64 0
		.amdhsa_float_denorm_mode_32 3
		.amdhsa_float_denorm_mode_16_64 3
		.amdhsa_fp16_overflow 0
		.amdhsa_memory_ordered 1
		.amdhsa_forward_progress 1
		.amdhsa_inst_pref_size 1
		.amdhsa_round_robin_scheduling 0
		.amdhsa_exception_fp_ieee_invalid_op 0
		.amdhsa_exception_fp_denorm_src 0
		.amdhsa_exception_fp_ieee_div_zero 0
		.amdhsa_exception_fp_ieee_overflow 0
		.amdhsa_exception_fp_ieee_underflow 0
		.amdhsa_exception_fp_ieee_inexact 0
		.amdhsa_exception_int_div_zero 0
	.end_amdhsa_kernel
	.section	.text._Z39paged_attention_ll4mi_QKV_mfma16_kernelIDF16_hLN4vllm18Fp8KVCacheDataTypeE1EDF16_Li16ELi128ELi256ELb0ELi14EEvPKT_PKT0_S7_ifPKiS9_S9_iPKfiiiPfSC_PS2_PT2_iSB_SB_,"axG",@progbits,_Z39paged_attention_ll4mi_QKV_mfma16_kernelIDF16_hLN4vllm18Fp8KVCacheDataTypeE1EDF16_Li16ELi128ELi256ELb0ELi14EEvPKT_PKT0_S7_ifPKiS9_S9_iPKfiiiPfSC_PS2_PT2_iSB_SB_,comdat
.Lfunc_end1003:
	.size	_Z39paged_attention_ll4mi_QKV_mfma16_kernelIDF16_hLN4vllm18Fp8KVCacheDataTypeE1EDF16_Li16ELi128ELi256ELb0ELi14EEvPKT_PKT0_S7_ifPKiS9_S9_iPKfiiiPfSC_PS2_PT2_iSB_SB_, .Lfunc_end1003-_Z39paged_attention_ll4mi_QKV_mfma16_kernelIDF16_hLN4vllm18Fp8KVCacheDataTypeE1EDF16_Li16ELi128ELi256ELb0ELi14EEvPKT_PKT0_S7_ifPKiS9_S9_iPKfiiiPfSC_PS2_PT2_iSB_SB_
                                        ; -- End function
	.set _Z39paged_attention_ll4mi_QKV_mfma16_kernelIDF16_hLN4vllm18Fp8KVCacheDataTypeE1EDF16_Li16ELi128ELi256ELb0ELi14EEvPKT_PKT0_S7_ifPKiS9_S9_iPKfiiiPfSC_PS2_PT2_iSB_SB_.num_vgpr, max(3, .L__assert_fail.num_vgpr)
	.set _Z39paged_attention_ll4mi_QKV_mfma16_kernelIDF16_hLN4vllm18Fp8KVCacheDataTypeE1EDF16_Li16ELi128ELi256ELb0ELi14EEvPKT_PKT0_S7_ifPKiS9_S9_iPKfiiiPfSC_PS2_PT2_iSB_SB_.num_agpr, max(0, .L__assert_fail.num_agpr)
	.set _Z39paged_attention_ll4mi_QKV_mfma16_kernelIDF16_hLN4vllm18Fp8KVCacheDataTypeE1EDF16_Li16ELi128ELi256ELb0ELi14EEvPKT_PKT0_S7_ifPKiS9_S9_iPKfiiiPfSC_PS2_PT2_iSB_SB_.numbered_sgpr, max(33, .L__assert_fail.numbered_sgpr)
	.set _Z39paged_attention_ll4mi_QKV_mfma16_kernelIDF16_hLN4vllm18Fp8KVCacheDataTypeE1EDF16_Li16ELi128ELi256ELb0ELi14EEvPKT_PKT0_S7_ifPKiS9_S9_iPKfiiiPfSC_PS2_PT2_iSB_SB_.num_named_barrier, max(0, .L__assert_fail.num_named_barrier)
	.set _Z39paged_attention_ll4mi_QKV_mfma16_kernelIDF16_hLN4vllm18Fp8KVCacheDataTypeE1EDF16_Li16ELi128ELi256ELb0ELi14EEvPKT_PKT0_S7_ifPKiS9_S9_iPKfiiiPfSC_PS2_PT2_iSB_SB_.private_seg_size, 0+max(.L__assert_fail.private_seg_size)
	.set _Z39paged_attention_ll4mi_QKV_mfma16_kernelIDF16_hLN4vllm18Fp8KVCacheDataTypeE1EDF16_Li16ELi128ELi256ELb0ELi14EEvPKT_PKT0_S7_ifPKiS9_S9_iPKfiiiPfSC_PS2_PT2_iSB_SB_.uses_vcc, or(1, .L__assert_fail.uses_vcc)
	.set _Z39paged_attention_ll4mi_QKV_mfma16_kernelIDF16_hLN4vllm18Fp8KVCacheDataTypeE1EDF16_Li16ELi128ELi256ELb0ELi14EEvPKT_PKT0_S7_ifPKiS9_S9_iPKfiiiPfSC_PS2_PT2_iSB_SB_.uses_flat_scratch, or(0, .L__assert_fail.uses_flat_scratch)
	.set _Z39paged_attention_ll4mi_QKV_mfma16_kernelIDF16_hLN4vllm18Fp8KVCacheDataTypeE1EDF16_Li16ELi128ELi256ELb0ELi14EEvPKT_PKT0_S7_ifPKiS9_S9_iPKfiiiPfSC_PS2_PT2_iSB_SB_.has_dyn_sized_stack, or(0, .L__assert_fail.has_dyn_sized_stack)
	.set _Z39paged_attention_ll4mi_QKV_mfma16_kernelIDF16_hLN4vllm18Fp8KVCacheDataTypeE1EDF16_Li16ELi128ELi256ELb0ELi14EEvPKT_PKT0_S7_ifPKiS9_S9_iPKfiiiPfSC_PS2_PT2_iSB_SB_.has_recursion, or(0, .L__assert_fail.has_recursion)
	.set _Z39paged_attention_ll4mi_QKV_mfma16_kernelIDF16_hLN4vllm18Fp8KVCacheDataTypeE1EDF16_Li16ELi128ELi256ELb0ELi14EEvPKT_PKT0_S7_ifPKiS9_S9_iPKfiiiPfSC_PS2_PT2_iSB_SB_.has_indirect_call, or(0, .L__assert_fail.has_indirect_call)
	.section	.AMDGPU.csdata,"",@progbits
; Kernel info:
; codeLenInByte = 68
; TotalNumSgprs: 36
; NumVgprs: 51
; ScratchSize: 64
; MemoryBound: 0
; FloatMode: 240
; IeeeMode: 1
; LDSByteSize: 0 bytes/workgroup (compile time only)
; SGPRBlocks: 0
; VGPRBlocks: 3
; NumSGPRsForWavesPerEU: 36
; NumVGPRsForWavesPerEU: 51
; NamedBarCnt: 0
; Occupancy: 16
; WaveLimiterHint : 1
; COMPUTE_PGM_RSRC2:SCRATCH_EN: 1
; COMPUTE_PGM_RSRC2:USER_SGPR: 2
; COMPUTE_PGM_RSRC2:TRAP_HANDLER: 0
; COMPUTE_PGM_RSRC2:TGID_X_EN: 1
; COMPUTE_PGM_RSRC2:TGID_Y_EN: 0
; COMPUTE_PGM_RSRC2:TGID_Z_EN: 0
; COMPUTE_PGM_RSRC2:TIDIG_COMP_CNT: 0
	.section	.text._Z39paged_attention_ll4mi_QKV_mfma16_kernelIDF16_hLN4vllm18Fp8KVCacheDataTypeE1EDF16_Li16ELi128ELi256ELb0ELi15EEvPKT_PKT0_S7_ifPKiS9_S9_iPKfiiiPfSC_PS2_PT2_iSB_SB_,"axG",@progbits,_Z39paged_attention_ll4mi_QKV_mfma16_kernelIDF16_hLN4vllm18Fp8KVCacheDataTypeE1EDF16_Li16ELi128ELi256ELb0ELi15EEvPKT_PKT0_S7_ifPKiS9_S9_iPKfiiiPfSC_PS2_PT2_iSB_SB_,comdat
	.protected	_Z39paged_attention_ll4mi_QKV_mfma16_kernelIDF16_hLN4vllm18Fp8KVCacheDataTypeE1EDF16_Li16ELi128ELi256ELb0ELi15EEvPKT_PKT0_S7_ifPKiS9_S9_iPKfiiiPfSC_PS2_PT2_iSB_SB_ ; -- Begin function _Z39paged_attention_ll4mi_QKV_mfma16_kernelIDF16_hLN4vllm18Fp8KVCacheDataTypeE1EDF16_Li16ELi128ELi256ELb0ELi15EEvPKT_PKT0_S7_ifPKiS9_S9_iPKfiiiPfSC_PS2_PT2_iSB_SB_
	.globl	_Z39paged_attention_ll4mi_QKV_mfma16_kernelIDF16_hLN4vllm18Fp8KVCacheDataTypeE1EDF16_Li16ELi128ELi256ELb0ELi15EEvPKT_PKT0_S7_ifPKiS9_S9_iPKfiiiPfSC_PS2_PT2_iSB_SB_
	.p2align	8
	.type	_Z39paged_attention_ll4mi_QKV_mfma16_kernelIDF16_hLN4vllm18Fp8KVCacheDataTypeE1EDF16_Li16ELi128ELi256ELb0ELi15EEvPKT_PKT0_S7_ifPKiS9_S9_iPKfiiiPfSC_PS2_PT2_iSB_SB_,@function
_Z39paged_attention_ll4mi_QKV_mfma16_kernelIDF16_hLN4vllm18Fp8KVCacheDataTypeE1EDF16_Li16ELi128ELi256ELb0ELi15EEvPKT_PKT0_S7_ifPKiS9_S9_iPKfiiiPfSC_PS2_PT2_iSB_SB_: ; @_Z39paged_attention_ll4mi_QKV_mfma16_kernelIDF16_hLN4vllm18Fp8KVCacheDataTypeE1EDF16_Li16ELi128ELi256ELb0ELi15EEvPKT_PKT0_S7_ifPKiS9_S9_iPKfiiiPfSC_PS2_PT2_iSB_SB_
; %bb.0:
	s_get_pc_i64 s[2:3]
	s_add_nc_u64 s[2:3], s[2:3], __PRETTY_FUNCTION__._Z39paged_attention_ll4mi_QKV_mfma16_kernelIDF16_hLN4vllm18Fp8KVCacheDataTypeE1EDF16_Li16ELi128ELi256ELb0ELi15EEvPKT_PKT0_S7_ifPKiS9_S9_iPKfiiiPfSC_PS2_PT2_iSB_SB_@rel64+4
	s_delay_alu instid0(SALU_CYCLE_1)
	v_dual_mov_b32 v0, 0xbb3 :: v_dual_mov_b32 v1, s2
	v_mov_b32_e32 v2, s3
	s_add_nc_u64 s[8:9], s[0:1], 0x90
	s_get_pc_i64 s[0:1]
	s_add_nc_u64 s[0:1], s[0:1], __assert_fail@rel64+4
	s_mov_b32 s32, 0
	s_swap_pc_i64 s[30:31], s[0:1]
	.section	.rodata,"a",@progbits
	.p2align	6, 0x0
	.amdhsa_kernel _Z39paged_attention_ll4mi_QKV_mfma16_kernelIDF16_hLN4vllm18Fp8KVCacheDataTypeE1EDF16_Li16ELi128ELi256ELb0ELi15EEvPKT_PKT0_S7_ifPKiS9_S9_iPKfiiiPfSC_PS2_PT2_iSB_SB_
		.amdhsa_group_segment_fixed_size 0
		.amdhsa_private_segment_fixed_size 64
		.amdhsa_kernarg_size 400
		.amdhsa_user_sgpr_count 2
		.amdhsa_user_sgpr_dispatch_ptr 0
		.amdhsa_user_sgpr_queue_ptr 0
		.amdhsa_user_sgpr_kernarg_segment_ptr 1
		.amdhsa_user_sgpr_dispatch_id 0
		.amdhsa_user_sgpr_kernarg_preload_length 0
		.amdhsa_user_sgpr_kernarg_preload_offset 0
		.amdhsa_user_sgpr_private_segment_size 0
		.amdhsa_wavefront_size32 1
		.amdhsa_uses_dynamic_stack 0
		.amdhsa_enable_private_segment 1
		.amdhsa_system_sgpr_workgroup_id_x 1
		.amdhsa_system_sgpr_workgroup_id_y 0
		.amdhsa_system_sgpr_workgroup_id_z 0
		.amdhsa_system_sgpr_workgroup_info 0
		.amdhsa_system_vgpr_workitem_id 0
		.amdhsa_next_free_vgpr 51
		.amdhsa_next_free_sgpr 34
		.amdhsa_named_barrier_count 0
		.amdhsa_reserve_vcc 1
		.amdhsa_float_round_mode_32 0
		.amdhsa_float_round_mode_16_64 0
		.amdhsa_float_denorm_mode_32 3
		.amdhsa_float_denorm_mode_16_64 3
		.amdhsa_fp16_overflow 0
		.amdhsa_memory_ordered 1
		.amdhsa_forward_progress 1
		.amdhsa_inst_pref_size 1
		.amdhsa_round_robin_scheduling 0
		.amdhsa_exception_fp_ieee_invalid_op 0
		.amdhsa_exception_fp_denorm_src 0
		.amdhsa_exception_fp_ieee_div_zero 0
		.amdhsa_exception_fp_ieee_overflow 0
		.amdhsa_exception_fp_ieee_underflow 0
		.amdhsa_exception_fp_ieee_inexact 0
		.amdhsa_exception_int_div_zero 0
	.end_amdhsa_kernel
	.section	.text._Z39paged_attention_ll4mi_QKV_mfma16_kernelIDF16_hLN4vllm18Fp8KVCacheDataTypeE1EDF16_Li16ELi128ELi256ELb0ELi15EEvPKT_PKT0_S7_ifPKiS9_S9_iPKfiiiPfSC_PS2_PT2_iSB_SB_,"axG",@progbits,_Z39paged_attention_ll4mi_QKV_mfma16_kernelIDF16_hLN4vllm18Fp8KVCacheDataTypeE1EDF16_Li16ELi128ELi256ELb0ELi15EEvPKT_PKT0_S7_ifPKiS9_S9_iPKfiiiPfSC_PS2_PT2_iSB_SB_,comdat
.Lfunc_end1004:
	.size	_Z39paged_attention_ll4mi_QKV_mfma16_kernelIDF16_hLN4vllm18Fp8KVCacheDataTypeE1EDF16_Li16ELi128ELi256ELb0ELi15EEvPKT_PKT0_S7_ifPKiS9_S9_iPKfiiiPfSC_PS2_PT2_iSB_SB_, .Lfunc_end1004-_Z39paged_attention_ll4mi_QKV_mfma16_kernelIDF16_hLN4vllm18Fp8KVCacheDataTypeE1EDF16_Li16ELi128ELi256ELb0ELi15EEvPKT_PKT0_S7_ifPKiS9_S9_iPKfiiiPfSC_PS2_PT2_iSB_SB_
                                        ; -- End function
	.set _Z39paged_attention_ll4mi_QKV_mfma16_kernelIDF16_hLN4vllm18Fp8KVCacheDataTypeE1EDF16_Li16ELi128ELi256ELb0ELi15EEvPKT_PKT0_S7_ifPKiS9_S9_iPKfiiiPfSC_PS2_PT2_iSB_SB_.num_vgpr, max(3, .L__assert_fail.num_vgpr)
	.set _Z39paged_attention_ll4mi_QKV_mfma16_kernelIDF16_hLN4vllm18Fp8KVCacheDataTypeE1EDF16_Li16ELi128ELi256ELb0ELi15EEvPKT_PKT0_S7_ifPKiS9_S9_iPKfiiiPfSC_PS2_PT2_iSB_SB_.num_agpr, max(0, .L__assert_fail.num_agpr)
	.set _Z39paged_attention_ll4mi_QKV_mfma16_kernelIDF16_hLN4vllm18Fp8KVCacheDataTypeE1EDF16_Li16ELi128ELi256ELb0ELi15EEvPKT_PKT0_S7_ifPKiS9_S9_iPKfiiiPfSC_PS2_PT2_iSB_SB_.numbered_sgpr, max(33, .L__assert_fail.numbered_sgpr)
	.set _Z39paged_attention_ll4mi_QKV_mfma16_kernelIDF16_hLN4vllm18Fp8KVCacheDataTypeE1EDF16_Li16ELi128ELi256ELb0ELi15EEvPKT_PKT0_S7_ifPKiS9_S9_iPKfiiiPfSC_PS2_PT2_iSB_SB_.num_named_barrier, max(0, .L__assert_fail.num_named_barrier)
	.set _Z39paged_attention_ll4mi_QKV_mfma16_kernelIDF16_hLN4vllm18Fp8KVCacheDataTypeE1EDF16_Li16ELi128ELi256ELb0ELi15EEvPKT_PKT0_S7_ifPKiS9_S9_iPKfiiiPfSC_PS2_PT2_iSB_SB_.private_seg_size, 0+max(.L__assert_fail.private_seg_size)
	.set _Z39paged_attention_ll4mi_QKV_mfma16_kernelIDF16_hLN4vllm18Fp8KVCacheDataTypeE1EDF16_Li16ELi128ELi256ELb0ELi15EEvPKT_PKT0_S7_ifPKiS9_S9_iPKfiiiPfSC_PS2_PT2_iSB_SB_.uses_vcc, or(1, .L__assert_fail.uses_vcc)
	.set _Z39paged_attention_ll4mi_QKV_mfma16_kernelIDF16_hLN4vllm18Fp8KVCacheDataTypeE1EDF16_Li16ELi128ELi256ELb0ELi15EEvPKT_PKT0_S7_ifPKiS9_S9_iPKfiiiPfSC_PS2_PT2_iSB_SB_.uses_flat_scratch, or(0, .L__assert_fail.uses_flat_scratch)
	.set _Z39paged_attention_ll4mi_QKV_mfma16_kernelIDF16_hLN4vllm18Fp8KVCacheDataTypeE1EDF16_Li16ELi128ELi256ELb0ELi15EEvPKT_PKT0_S7_ifPKiS9_S9_iPKfiiiPfSC_PS2_PT2_iSB_SB_.has_dyn_sized_stack, or(0, .L__assert_fail.has_dyn_sized_stack)
	.set _Z39paged_attention_ll4mi_QKV_mfma16_kernelIDF16_hLN4vllm18Fp8KVCacheDataTypeE1EDF16_Li16ELi128ELi256ELb0ELi15EEvPKT_PKT0_S7_ifPKiS9_S9_iPKfiiiPfSC_PS2_PT2_iSB_SB_.has_recursion, or(0, .L__assert_fail.has_recursion)
	.set _Z39paged_attention_ll4mi_QKV_mfma16_kernelIDF16_hLN4vllm18Fp8KVCacheDataTypeE1EDF16_Li16ELi128ELi256ELb0ELi15EEvPKT_PKT0_S7_ifPKiS9_S9_iPKfiiiPfSC_PS2_PT2_iSB_SB_.has_indirect_call, or(0, .L__assert_fail.has_indirect_call)
	.section	.AMDGPU.csdata,"",@progbits
; Kernel info:
; codeLenInByte = 68
; TotalNumSgprs: 36
; NumVgprs: 51
; ScratchSize: 64
; MemoryBound: 0
; FloatMode: 240
; IeeeMode: 1
; LDSByteSize: 0 bytes/workgroup (compile time only)
; SGPRBlocks: 0
; VGPRBlocks: 3
; NumSGPRsForWavesPerEU: 36
; NumVGPRsForWavesPerEU: 51
; NamedBarCnt: 0
; Occupancy: 16
; WaveLimiterHint : 1
; COMPUTE_PGM_RSRC2:SCRATCH_EN: 1
; COMPUTE_PGM_RSRC2:USER_SGPR: 2
; COMPUTE_PGM_RSRC2:TRAP_HANDLER: 0
; COMPUTE_PGM_RSRC2:TGID_X_EN: 1
; COMPUTE_PGM_RSRC2:TGID_Y_EN: 0
; COMPUTE_PGM_RSRC2:TGID_Z_EN: 0
; COMPUTE_PGM_RSRC2:TIDIG_COMP_CNT: 0
	.section	.text._Z39paged_attention_ll4mi_QKV_mfma16_kernelIDF16_hLN4vllm18Fp8KVCacheDataTypeE1EDF16_Li16ELi128ELi256ELb0ELi16EEvPKT_PKT0_S7_ifPKiS9_S9_iPKfiiiPfSC_PS2_PT2_iSB_SB_,"axG",@progbits,_Z39paged_attention_ll4mi_QKV_mfma16_kernelIDF16_hLN4vllm18Fp8KVCacheDataTypeE1EDF16_Li16ELi128ELi256ELb0ELi16EEvPKT_PKT0_S7_ifPKiS9_S9_iPKfiiiPfSC_PS2_PT2_iSB_SB_,comdat
	.protected	_Z39paged_attention_ll4mi_QKV_mfma16_kernelIDF16_hLN4vllm18Fp8KVCacheDataTypeE1EDF16_Li16ELi128ELi256ELb0ELi16EEvPKT_PKT0_S7_ifPKiS9_S9_iPKfiiiPfSC_PS2_PT2_iSB_SB_ ; -- Begin function _Z39paged_attention_ll4mi_QKV_mfma16_kernelIDF16_hLN4vllm18Fp8KVCacheDataTypeE1EDF16_Li16ELi128ELi256ELb0ELi16EEvPKT_PKT0_S7_ifPKiS9_S9_iPKfiiiPfSC_PS2_PT2_iSB_SB_
	.globl	_Z39paged_attention_ll4mi_QKV_mfma16_kernelIDF16_hLN4vllm18Fp8KVCacheDataTypeE1EDF16_Li16ELi128ELi256ELb0ELi16EEvPKT_PKT0_S7_ifPKiS9_S9_iPKfiiiPfSC_PS2_PT2_iSB_SB_
	.p2align	8
	.type	_Z39paged_attention_ll4mi_QKV_mfma16_kernelIDF16_hLN4vllm18Fp8KVCacheDataTypeE1EDF16_Li16ELi128ELi256ELb0ELi16EEvPKT_PKT0_S7_ifPKiS9_S9_iPKfiiiPfSC_PS2_PT2_iSB_SB_,@function
_Z39paged_attention_ll4mi_QKV_mfma16_kernelIDF16_hLN4vllm18Fp8KVCacheDataTypeE1EDF16_Li16ELi128ELi256ELb0ELi16EEvPKT_PKT0_S7_ifPKiS9_S9_iPKfiiiPfSC_PS2_PT2_iSB_SB_: ; @_Z39paged_attention_ll4mi_QKV_mfma16_kernelIDF16_hLN4vllm18Fp8KVCacheDataTypeE1EDF16_Li16ELi128ELi256ELb0ELi16EEvPKT_PKT0_S7_ifPKiS9_S9_iPKfiiiPfSC_PS2_PT2_iSB_SB_
; %bb.0:
	s_get_pc_i64 s[2:3]
	s_add_nc_u64 s[2:3], s[2:3], __PRETTY_FUNCTION__._Z39paged_attention_ll4mi_QKV_mfma16_kernelIDF16_hLN4vllm18Fp8KVCacheDataTypeE1EDF16_Li16ELi128ELi256ELb0ELi16EEvPKT_PKT0_S7_ifPKiS9_S9_iPKfiiiPfSC_PS2_PT2_iSB_SB_@rel64+4
	s_delay_alu instid0(SALU_CYCLE_1)
	v_dual_mov_b32 v0, 0xbb3 :: v_dual_mov_b32 v1, s2
	v_mov_b32_e32 v2, s3
	s_add_nc_u64 s[8:9], s[0:1], 0x90
	s_get_pc_i64 s[0:1]
	s_add_nc_u64 s[0:1], s[0:1], __assert_fail@rel64+4
	s_mov_b32 s32, 0
	s_swap_pc_i64 s[30:31], s[0:1]
	.section	.rodata,"a",@progbits
	.p2align	6, 0x0
	.amdhsa_kernel _Z39paged_attention_ll4mi_QKV_mfma16_kernelIDF16_hLN4vllm18Fp8KVCacheDataTypeE1EDF16_Li16ELi128ELi256ELb0ELi16EEvPKT_PKT0_S7_ifPKiS9_S9_iPKfiiiPfSC_PS2_PT2_iSB_SB_
		.amdhsa_group_segment_fixed_size 0
		.amdhsa_private_segment_fixed_size 64
		.amdhsa_kernarg_size 400
		.amdhsa_user_sgpr_count 2
		.amdhsa_user_sgpr_dispatch_ptr 0
		.amdhsa_user_sgpr_queue_ptr 0
		.amdhsa_user_sgpr_kernarg_segment_ptr 1
		.amdhsa_user_sgpr_dispatch_id 0
		.amdhsa_user_sgpr_kernarg_preload_length 0
		.amdhsa_user_sgpr_kernarg_preload_offset 0
		.amdhsa_user_sgpr_private_segment_size 0
		.amdhsa_wavefront_size32 1
		.amdhsa_uses_dynamic_stack 0
		.amdhsa_enable_private_segment 1
		.amdhsa_system_sgpr_workgroup_id_x 1
		.amdhsa_system_sgpr_workgroup_id_y 0
		.amdhsa_system_sgpr_workgroup_id_z 0
		.amdhsa_system_sgpr_workgroup_info 0
		.amdhsa_system_vgpr_workitem_id 0
		.amdhsa_next_free_vgpr 51
		.amdhsa_next_free_sgpr 34
		.amdhsa_named_barrier_count 0
		.amdhsa_reserve_vcc 1
		.amdhsa_float_round_mode_32 0
		.amdhsa_float_round_mode_16_64 0
		.amdhsa_float_denorm_mode_32 3
		.amdhsa_float_denorm_mode_16_64 3
		.amdhsa_fp16_overflow 0
		.amdhsa_memory_ordered 1
		.amdhsa_forward_progress 1
		.amdhsa_inst_pref_size 1
		.amdhsa_round_robin_scheduling 0
		.amdhsa_exception_fp_ieee_invalid_op 0
		.amdhsa_exception_fp_denorm_src 0
		.amdhsa_exception_fp_ieee_div_zero 0
		.amdhsa_exception_fp_ieee_overflow 0
		.amdhsa_exception_fp_ieee_underflow 0
		.amdhsa_exception_fp_ieee_inexact 0
		.amdhsa_exception_int_div_zero 0
	.end_amdhsa_kernel
	.section	.text._Z39paged_attention_ll4mi_QKV_mfma16_kernelIDF16_hLN4vllm18Fp8KVCacheDataTypeE1EDF16_Li16ELi128ELi256ELb0ELi16EEvPKT_PKT0_S7_ifPKiS9_S9_iPKfiiiPfSC_PS2_PT2_iSB_SB_,"axG",@progbits,_Z39paged_attention_ll4mi_QKV_mfma16_kernelIDF16_hLN4vllm18Fp8KVCacheDataTypeE1EDF16_Li16ELi128ELi256ELb0ELi16EEvPKT_PKT0_S7_ifPKiS9_S9_iPKfiiiPfSC_PS2_PT2_iSB_SB_,comdat
.Lfunc_end1005:
	.size	_Z39paged_attention_ll4mi_QKV_mfma16_kernelIDF16_hLN4vllm18Fp8KVCacheDataTypeE1EDF16_Li16ELi128ELi256ELb0ELi16EEvPKT_PKT0_S7_ifPKiS9_S9_iPKfiiiPfSC_PS2_PT2_iSB_SB_, .Lfunc_end1005-_Z39paged_attention_ll4mi_QKV_mfma16_kernelIDF16_hLN4vllm18Fp8KVCacheDataTypeE1EDF16_Li16ELi128ELi256ELb0ELi16EEvPKT_PKT0_S7_ifPKiS9_S9_iPKfiiiPfSC_PS2_PT2_iSB_SB_
                                        ; -- End function
	.set _Z39paged_attention_ll4mi_QKV_mfma16_kernelIDF16_hLN4vllm18Fp8KVCacheDataTypeE1EDF16_Li16ELi128ELi256ELb0ELi16EEvPKT_PKT0_S7_ifPKiS9_S9_iPKfiiiPfSC_PS2_PT2_iSB_SB_.num_vgpr, max(3, .L__assert_fail.num_vgpr)
	.set _Z39paged_attention_ll4mi_QKV_mfma16_kernelIDF16_hLN4vllm18Fp8KVCacheDataTypeE1EDF16_Li16ELi128ELi256ELb0ELi16EEvPKT_PKT0_S7_ifPKiS9_S9_iPKfiiiPfSC_PS2_PT2_iSB_SB_.num_agpr, max(0, .L__assert_fail.num_agpr)
	.set _Z39paged_attention_ll4mi_QKV_mfma16_kernelIDF16_hLN4vllm18Fp8KVCacheDataTypeE1EDF16_Li16ELi128ELi256ELb0ELi16EEvPKT_PKT0_S7_ifPKiS9_S9_iPKfiiiPfSC_PS2_PT2_iSB_SB_.numbered_sgpr, max(33, .L__assert_fail.numbered_sgpr)
	.set _Z39paged_attention_ll4mi_QKV_mfma16_kernelIDF16_hLN4vllm18Fp8KVCacheDataTypeE1EDF16_Li16ELi128ELi256ELb0ELi16EEvPKT_PKT0_S7_ifPKiS9_S9_iPKfiiiPfSC_PS2_PT2_iSB_SB_.num_named_barrier, max(0, .L__assert_fail.num_named_barrier)
	.set _Z39paged_attention_ll4mi_QKV_mfma16_kernelIDF16_hLN4vllm18Fp8KVCacheDataTypeE1EDF16_Li16ELi128ELi256ELb0ELi16EEvPKT_PKT0_S7_ifPKiS9_S9_iPKfiiiPfSC_PS2_PT2_iSB_SB_.private_seg_size, 0+max(.L__assert_fail.private_seg_size)
	.set _Z39paged_attention_ll4mi_QKV_mfma16_kernelIDF16_hLN4vllm18Fp8KVCacheDataTypeE1EDF16_Li16ELi128ELi256ELb0ELi16EEvPKT_PKT0_S7_ifPKiS9_S9_iPKfiiiPfSC_PS2_PT2_iSB_SB_.uses_vcc, or(1, .L__assert_fail.uses_vcc)
	.set _Z39paged_attention_ll4mi_QKV_mfma16_kernelIDF16_hLN4vllm18Fp8KVCacheDataTypeE1EDF16_Li16ELi128ELi256ELb0ELi16EEvPKT_PKT0_S7_ifPKiS9_S9_iPKfiiiPfSC_PS2_PT2_iSB_SB_.uses_flat_scratch, or(0, .L__assert_fail.uses_flat_scratch)
	.set _Z39paged_attention_ll4mi_QKV_mfma16_kernelIDF16_hLN4vllm18Fp8KVCacheDataTypeE1EDF16_Li16ELi128ELi256ELb0ELi16EEvPKT_PKT0_S7_ifPKiS9_S9_iPKfiiiPfSC_PS2_PT2_iSB_SB_.has_dyn_sized_stack, or(0, .L__assert_fail.has_dyn_sized_stack)
	.set _Z39paged_attention_ll4mi_QKV_mfma16_kernelIDF16_hLN4vllm18Fp8KVCacheDataTypeE1EDF16_Li16ELi128ELi256ELb0ELi16EEvPKT_PKT0_S7_ifPKiS9_S9_iPKfiiiPfSC_PS2_PT2_iSB_SB_.has_recursion, or(0, .L__assert_fail.has_recursion)
	.set _Z39paged_attention_ll4mi_QKV_mfma16_kernelIDF16_hLN4vllm18Fp8KVCacheDataTypeE1EDF16_Li16ELi128ELi256ELb0ELi16EEvPKT_PKT0_S7_ifPKiS9_S9_iPKfiiiPfSC_PS2_PT2_iSB_SB_.has_indirect_call, or(0, .L__assert_fail.has_indirect_call)
	.section	.AMDGPU.csdata,"",@progbits
; Kernel info:
; codeLenInByte = 68
; TotalNumSgprs: 36
; NumVgprs: 51
; ScratchSize: 64
; MemoryBound: 0
; FloatMode: 240
; IeeeMode: 1
; LDSByteSize: 0 bytes/workgroup (compile time only)
; SGPRBlocks: 0
; VGPRBlocks: 3
; NumSGPRsForWavesPerEU: 36
; NumVGPRsForWavesPerEU: 51
; NamedBarCnt: 0
; Occupancy: 16
; WaveLimiterHint : 1
; COMPUTE_PGM_RSRC2:SCRATCH_EN: 1
; COMPUTE_PGM_RSRC2:USER_SGPR: 2
; COMPUTE_PGM_RSRC2:TRAP_HANDLER: 0
; COMPUTE_PGM_RSRC2:TGID_X_EN: 1
; COMPUTE_PGM_RSRC2:TGID_Y_EN: 0
; COMPUTE_PGM_RSRC2:TGID_Z_EN: 0
; COMPUTE_PGM_RSRC2:TIDIG_COMP_CNT: 0
	.section	.text._Z39paged_attention_ll4mi_QKV_mfma16_kernelIDF16_hLN4vllm18Fp8KVCacheDataTypeE1EDF16_Li16ELi128ELi256ELb0ELi1EEvPKT_PKT0_S7_ifPKiS9_S9_iPKfiiiPfSC_PS2_PT2_iSB_SB_,"axG",@progbits,_Z39paged_attention_ll4mi_QKV_mfma16_kernelIDF16_hLN4vllm18Fp8KVCacheDataTypeE1EDF16_Li16ELi128ELi256ELb0ELi1EEvPKT_PKT0_S7_ifPKiS9_S9_iPKfiiiPfSC_PS2_PT2_iSB_SB_,comdat
	.protected	_Z39paged_attention_ll4mi_QKV_mfma16_kernelIDF16_hLN4vllm18Fp8KVCacheDataTypeE1EDF16_Li16ELi128ELi256ELb0ELi1EEvPKT_PKT0_S7_ifPKiS9_S9_iPKfiiiPfSC_PS2_PT2_iSB_SB_ ; -- Begin function _Z39paged_attention_ll4mi_QKV_mfma16_kernelIDF16_hLN4vllm18Fp8KVCacheDataTypeE1EDF16_Li16ELi128ELi256ELb0ELi1EEvPKT_PKT0_S7_ifPKiS9_S9_iPKfiiiPfSC_PS2_PT2_iSB_SB_
	.globl	_Z39paged_attention_ll4mi_QKV_mfma16_kernelIDF16_hLN4vllm18Fp8KVCacheDataTypeE1EDF16_Li16ELi128ELi256ELb0ELi1EEvPKT_PKT0_S7_ifPKiS9_S9_iPKfiiiPfSC_PS2_PT2_iSB_SB_
	.p2align	8
	.type	_Z39paged_attention_ll4mi_QKV_mfma16_kernelIDF16_hLN4vllm18Fp8KVCacheDataTypeE1EDF16_Li16ELi128ELi256ELb0ELi1EEvPKT_PKT0_S7_ifPKiS9_S9_iPKfiiiPfSC_PS2_PT2_iSB_SB_,@function
_Z39paged_attention_ll4mi_QKV_mfma16_kernelIDF16_hLN4vllm18Fp8KVCacheDataTypeE1EDF16_Li16ELi128ELi256ELb0ELi1EEvPKT_PKT0_S7_ifPKiS9_S9_iPKfiiiPfSC_PS2_PT2_iSB_SB_: ; @_Z39paged_attention_ll4mi_QKV_mfma16_kernelIDF16_hLN4vllm18Fp8KVCacheDataTypeE1EDF16_Li16ELi128ELi256ELb0ELi1EEvPKT_PKT0_S7_ifPKiS9_S9_iPKfiiiPfSC_PS2_PT2_iSB_SB_
; %bb.0:
	s_get_pc_i64 s[2:3]
	s_add_nc_u64 s[2:3], s[2:3], __PRETTY_FUNCTION__._Z39paged_attention_ll4mi_QKV_mfma16_kernelIDF16_hLN4vllm18Fp8KVCacheDataTypeE1EDF16_Li16ELi128ELi256ELb0ELi1EEvPKT_PKT0_S7_ifPKiS9_S9_iPKfiiiPfSC_PS2_PT2_iSB_SB_@rel64+4
	s_delay_alu instid0(SALU_CYCLE_1)
	v_dual_mov_b32 v0, 0xbb3 :: v_dual_mov_b32 v1, s2
	v_mov_b32_e32 v2, s3
	s_add_nc_u64 s[8:9], s[0:1], 0x90
	s_get_pc_i64 s[0:1]
	s_add_nc_u64 s[0:1], s[0:1], __assert_fail@rel64+4
	s_mov_b32 s32, 0
	s_swap_pc_i64 s[30:31], s[0:1]
	.section	.rodata,"a",@progbits
	.p2align	6, 0x0
	.amdhsa_kernel _Z39paged_attention_ll4mi_QKV_mfma16_kernelIDF16_hLN4vllm18Fp8KVCacheDataTypeE1EDF16_Li16ELi128ELi256ELb0ELi1EEvPKT_PKT0_S7_ifPKiS9_S9_iPKfiiiPfSC_PS2_PT2_iSB_SB_
		.amdhsa_group_segment_fixed_size 0
		.amdhsa_private_segment_fixed_size 64
		.amdhsa_kernarg_size 400
		.amdhsa_user_sgpr_count 2
		.amdhsa_user_sgpr_dispatch_ptr 0
		.amdhsa_user_sgpr_queue_ptr 0
		.amdhsa_user_sgpr_kernarg_segment_ptr 1
		.amdhsa_user_sgpr_dispatch_id 0
		.amdhsa_user_sgpr_kernarg_preload_length 0
		.amdhsa_user_sgpr_kernarg_preload_offset 0
		.amdhsa_user_sgpr_private_segment_size 0
		.amdhsa_wavefront_size32 1
		.amdhsa_uses_dynamic_stack 0
		.amdhsa_enable_private_segment 1
		.amdhsa_system_sgpr_workgroup_id_x 1
		.amdhsa_system_sgpr_workgroup_id_y 0
		.amdhsa_system_sgpr_workgroup_id_z 0
		.amdhsa_system_sgpr_workgroup_info 0
		.amdhsa_system_vgpr_workitem_id 0
		.amdhsa_next_free_vgpr 51
		.amdhsa_next_free_sgpr 34
		.amdhsa_named_barrier_count 0
		.amdhsa_reserve_vcc 1
		.amdhsa_float_round_mode_32 0
		.amdhsa_float_round_mode_16_64 0
		.amdhsa_float_denorm_mode_32 3
		.amdhsa_float_denorm_mode_16_64 3
		.amdhsa_fp16_overflow 0
		.amdhsa_memory_ordered 1
		.amdhsa_forward_progress 1
		.amdhsa_inst_pref_size 1
		.amdhsa_round_robin_scheduling 0
		.amdhsa_exception_fp_ieee_invalid_op 0
		.amdhsa_exception_fp_denorm_src 0
		.amdhsa_exception_fp_ieee_div_zero 0
		.amdhsa_exception_fp_ieee_overflow 0
		.amdhsa_exception_fp_ieee_underflow 0
		.amdhsa_exception_fp_ieee_inexact 0
		.amdhsa_exception_int_div_zero 0
	.end_amdhsa_kernel
	.section	.text._Z39paged_attention_ll4mi_QKV_mfma16_kernelIDF16_hLN4vllm18Fp8KVCacheDataTypeE1EDF16_Li16ELi128ELi256ELb0ELi1EEvPKT_PKT0_S7_ifPKiS9_S9_iPKfiiiPfSC_PS2_PT2_iSB_SB_,"axG",@progbits,_Z39paged_attention_ll4mi_QKV_mfma16_kernelIDF16_hLN4vllm18Fp8KVCacheDataTypeE1EDF16_Li16ELi128ELi256ELb0ELi1EEvPKT_PKT0_S7_ifPKiS9_S9_iPKfiiiPfSC_PS2_PT2_iSB_SB_,comdat
.Lfunc_end1006:
	.size	_Z39paged_attention_ll4mi_QKV_mfma16_kernelIDF16_hLN4vllm18Fp8KVCacheDataTypeE1EDF16_Li16ELi128ELi256ELb0ELi1EEvPKT_PKT0_S7_ifPKiS9_S9_iPKfiiiPfSC_PS2_PT2_iSB_SB_, .Lfunc_end1006-_Z39paged_attention_ll4mi_QKV_mfma16_kernelIDF16_hLN4vllm18Fp8KVCacheDataTypeE1EDF16_Li16ELi128ELi256ELb0ELi1EEvPKT_PKT0_S7_ifPKiS9_S9_iPKfiiiPfSC_PS2_PT2_iSB_SB_
                                        ; -- End function
	.set _Z39paged_attention_ll4mi_QKV_mfma16_kernelIDF16_hLN4vllm18Fp8KVCacheDataTypeE1EDF16_Li16ELi128ELi256ELb0ELi1EEvPKT_PKT0_S7_ifPKiS9_S9_iPKfiiiPfSC_PS2_PT2_iSB_SB_.num_vgpr, max(3, .L__assert_fail.num_vgpr)
	.set _Z39paged_attention_ll4mi_QKV_mfma16_kernelIDF16_hLN4vllm18Fp8KVCacheDataTypeE1EDF16_Li16ELi128ELi256ELb0ELi1EEvPKT_PKT0_S7_ifPKiS9_S9_iPKfiiiPfSC_PS2_PT2_iSB_SB_.num_agpr, max(0, .L__assert_fail.num_agpr)
	.set _Z39paged_attention_ll4mi_QKV_mfma16_kernelIDF16_hLN4vllm18Fp8KVCacheDataTypeE1EDF16_Li16ELi128ELi256ELb0ELi1EEvPKT_PKT0_S7_ifPKiS9_S9_iPKfiiiPfSC_PS2_PT2_iSB_SB_.numbered_sgpr, max(33, .L__assert_fail.numbered_sgpr)
	.set _Z39paged_attention_ll4mi_QKV_mfma16_kernelIDF16_hLN4vllm18Fp8KVCacheDataTypeE1EDF16_Li16ELi128ELi256ELb0ELi1EEvPKT_PKT0_S7_ifPKiS9_S9_iPKfiiiPfSC_PS2_PT2_iSB_SB_.num_named_barrier, max(0, .L__assert_fail.num_named_barrier)
	.set _Z39paged_attention_ll4mi_QKV_mfma16_kernelIDF16_hLN4vllm18Fp8KVCacheDataTypeE1EDF16_Li16ELi128ELi256ELb0ELi1EEvPKT_PKT0_S7_ifPKiS9_S9_iPKfiiiPfSC_PS2_PT2_iSB_SB_.private_seg_size, 0+max(.L__assert_fail.private_seg_size)
	.set _Z39paged_attention_ll4mi_QKV_mfma16_kernelIDF16_hLN4vllm18Fp8KVCacheDataTypeE1EDF16_Li16ELi128ELi256ELb0ELi1EEvPKT_PKT0_S7_ifPKiS9_S9_iPKfiiiPfSC_PS2_PT2_iSB_SB_.uses_vcc, or(1, .L__assert_fail.uses_vcc)
	.set _Z39paged_attention_ll4mi_QKV_mfma16_kernelIDF16_hLN4vllm18Fp8KVCacheDataTypeE1EDF16_Li16ELi128ELi256ELb0ELi1EEvPKT_PKT0_S7_ifPKiS9_S9_iPKfiiiPfSC_PS2_PT2_iSB_SB_.uses_flat_scratch, or(0, .L__assert_fail.uses_flat_scratch)
	.set _Z39paged_attention_ll4mi_QKV_mfma16_kernelIDF16_hLN4vllm18Fp8KVCacheDataTypeE1EDF16_Li16ELi128ELi256ELb0ELi1EEvPKT_PKT0_S7_ifPKiS9_S9_iPKfiiiPfSC_PS2_PT2_iSB_SB_.has_dyn_sized_stack, or(0, .L__assert_fail.has_dyn_sized_stack)
	.set _Z39paged_attention_ll4mi_QKV_mfma16_kernelIDF16_hLN4vllm18Fp8KVCacheDataTypeE1EDF16_Li16ELi128ELi256ELb0ELi1EEvPKT_PKT0_S7_ifPKiS9_S9_iPKfiiiPfSC_PS2_PT2_iSB_SB_.has_recursion, or(0, .L__assert_fail.has_recursion)
	.set _Z39paged_attention_ll4mi_QKV_mfma16_kernelIDF16_hLN4vllm18Fp8KVCacheDataTypeE1EDF16_Li16ELi128ELi256ELb0ELi1EEvPKT_PKT0_S7_ifPKiS9_S9_iPKfiiiPfSC_PS2_PT2_iSB_SB_.has_indirect_call, or(0, .L__assert_fail.has_indirect_call)
	.section	.AMDGPU.csdata,"",@progbits
; Kernel info:
; codeLenInByte = 68
; TotalNumSgprs: 36
; NumVgprs: 51
; ScratchSize: 64
; MemoryBound: 0
; FloatMode: 240
; IeeeMode: 1
; LDSByteSize: 0 bytes/workgroup (compile time only)
; SGPRBlocks: 0
; VGPRBlocks: 3
; NumSGPRsForWavesPerEU: 36
; NumVGPRsForWavesPerEU: 51
; NamedBarCnt: 0
; Occupancy: 16
; WaveLimiterHint : 1
; COMPUTE_PGM_RSRC2:SCRATCH_EN: 1
; COMPUTE_PGM_RSRC2:USER_SGPR: 2
; COMPUTE_PGM_RSRC2:TRAP_HANDLER: 0
; COMPUTE_PGM_RSRC2:TGID_X_EN: 1
; COMPUTE_PGM_RSRC2:TGID_Y_EN: 0
; COMPUTE_PGM_RSRC2:TGID_Z_EN: 0
; COMPUTE_PGM_RSRC2:TIDIG_COMP_CNT: 0
	.section	.text._Z39paged_attention_ll4mi_QKV_mfma16_kernelIDF16_hLN4vllm18Fp8KVCacheDataTypeE1EDF16_Li16ELi128ELi256ELb0ELi2EEvPKT_PKT0_S7_ifPKiS9_S9_iPKfiiiPfSC_PS2_PT2_iSB_SB_,"axG",@progbits,_Z39paged_attention_ll4mi_QKV_mfma16_kernelIDF16_hLN4vllm18Fp8KVCacheDataTypeE1EDF16_Li16ELi128ELi256ELb0ELi2EEvPKT_PKT0_S7_ifPKiS9_S9_iPKfiiiPfSC_PS2_PT2_iSB_SB_,comdat
	.protected	_Z39paged_attention_ll4mi_QKV_mfma16_kernelIDF16_hLN4vllm18Fp8KVCacheDataTypeE1EDF16_Li16ELi128ELi256ELb0ELi2EEvPKT_PKT0_S7_ifPKiS9_S9_iPKfiiiPfSC_PS2_PT2_iSB_SB_ ; -- Begin function _Z39paged_attention_ll4mi_QKV_mfma16_kernelIDF16_hLN4vllm18Fp8KVCacheDataTypeE1EDF16_Li16ELi128ELi256ELb0ELi2EEvPKT_PKT0_S7_ifPKiS9_S9_iPKfiiiPfSC_PS2_PT2_iSB_SB_
	.globl	_Z39paged_attention_ll4mi_QKV_mfma16_kernelIDF16_hLN4vllm18Fp8KVCacheDataTypeE1EDF16_Li16ELi128ELi256ELb0ELi2EEvPKT_PKT0_S7_ifPKiS9_S9_iPKfiiiPfSC_PS2_PT2_iSB_SB_
	.p2align	8
	.type	_Z39paged_attention_ll4mi_QKV_mfma16_kernelIDF16_hLN4vllm18Fp8KVCacheDataTypeE1EDF16_Li16ELi128ELi256ELb0ELi2EEvPKT_PKT0_S7_ifPKiS9_S9_iPKfiiiPfSC_PS2_PT2_iSB_SB_,@function
_Z39paged_attention_ll4mi_QKV_mfma16_kernelIDF16_hLN4vllm18Fp8KVCacheDataTypeE1EDF16_Li16ELi128ELi256ELb0ELi2EEvPKT_PKT0_S7_ifPKiS9_S9_iPKfiiiPfSC_PS2_PT2_iSB_SB_: ; @_Z39paged_attention_ll4mi_QKV_mfma16_kernelIDF16_hLN4vllm18Fp8KVCacheDataTypeE1EDF16_Li16ELi128ELi256ELb0ELi2EEvPKT_PKT0_S7_ifPKiS9_S9_iPKfiiiPfSC_PS2_PT2_iSB_SB_
; %bb.0:
	s_get_pc_i64 s[2:3]
	s_add_nc_u64 s[2:3], s[2:3], __PRETTY_FUNCTION__._Z39paged_attention_ll4mi_QKV_mfma16_kernelIDF16_hLN4vllm18Fp8KVCacheDataTypeE1EDF16_Li16ELi128ELi256ELb0ELi2EEvPKT_PKT0_S7_ifPKiS9_S9_iPKfiiiPfSC_PS2_PT2_iSB_SB_@rel64+4
	s_delay_alu instid0(SALU_CYCLE_1)
	v_dual_mov_b32 v0, 0xbb3 :: v_dual_mov_b32 v1, s2
	v_mov_b32_e32 v2, s3
	s_add_nc_u64 s[8:9], s[0:1], 0x90
	s_get_pc_i64 s[0:1]
	s_add_nc_u64 s[0:1], s[0:1], __assert_fail@rel64+4
	s_mov_b32 s32, 0
	s_swap_pc_i64 s[30:31], s[0:1]
	.section	.rodata,"a",@progbits
	.p2align	6, 0x0
	.amdhsa_kernel _Z39paged_attention_ll4mi_QKV_mfma16_kernelIDF16_hLN4vllm18Fp8KVCacheDataTypeE1EDF16_Li16ELi128ELi256ELb0ELi2EEvPKT_PKT0_S7_ifPKiS9_S9_iPKfiiiPfSC_PS2_PT2_iSB_SB_
		.amdhsa_group_segment_fixed_size 0
		.amdhsa_private_segment_fixed_size 64
		.amdhsa_kernarg_size 400
		.amdhsa_user_sgpr_count 2
		.amdhsa_user_sgpr_dispatch_ptr 0
		.amdhsa_user_sgpr_queue_ptr 0
		.amdhsa_user_sgpr_kernarg_segment_ptr 1
		.amdhsa_user_sgpr_dispatch_id 0
		.amdhsa_user_sgpr_kernarg_preload_length 0
		.amdhsa_user_sgpr_kernarg_preload_offset 0
		.amdhsa_user_sgpr_private_segment_size 0
		.amdhsa_wavefront_size32 1
		.amdhsa_uses_dynamic_stack 0
		.amdhsa_enable_private_segment 1
		.amdhsa_system_sgpr_workgroup_id_x 1
		.amdhsa_system_sgpr_workgroup_id_y 0
		.amdhsa_system_sgpr_workgroup_id_z 0
		.amdhsa_system_sgpr_workgroup_info 0
		.amdhsa_system_vgpr_workitem_id 0
		.amdhsa_next_free_vgpr 51
		.amdhsa_next_free_sgpr 34
		.amdhsa_named_barrier_count 0
		.amdhsa_reserve_vcc 1
		.amdhsa_float_round_mode_32 0
		.amdhsa_float_round_mode_16_64 0
		.amdhsa_float_denorm_mode_32 3
		.amdhsa_float_denorm_mode_16_64 3
		.amdhsa_fp16_overflow 0
		.amdhsa_memory_ordered 1
		.amdhsa_forward_progress 1
		.amdhsa_inst_pref_size 1
		.amdhsa_round_robin_scheduling 0
		.amdhsa_exception_fp_ieee_invalid_op 0
		.amdhsa_exception_fp_denorm_src 0
		.amdhsa_exception_fp_ieee_div_zero 0
		.amdhsa_exception_fp_ieee_overflow 0
		.amdhsa_exception_fp_ieee_underflow 0
		.amdhsa_exception_fp_ieee_inexact 0
		.amdhsa_exception_int_div_zero 0
	.end_amdhsa_kernel
	.section	.text._Z39paged_attention_ll4mi_QKV_mfma16_kernelIDF16_hLN4vllm18Fp8KVCacheDataTypeE1EDF16_Li16ELi128ELi256ELb0ELi2EEvPKT_PKT0_S7_ifPKiS9_S9_iPKfiiiPfSC_PS2_PT2_iSB_SB_,"axG",@progbits,_Z39paged_attention_ll4mi_QKV_mfma16_kernelIDF16_hLN4vllm18Fp8KVCacheDataTypeE1EDF16_Li16ELi128ELi256ELb0ELi2EEvPKT_PKT0_S7_ifPKiS9_S9_iPKfiiiPfSC_PS2_PT2_iSB_SB_,comdat
.Lfunc_end1007:
	.size	_Z39paged_attention_ll4mi_QKV_mfma16_kernelIDF16_hLN4vllm18Fp8KVCacheDataTypeE1EDF16_Li16ELi128ELi256ELb0ELi2EEvPKT_PKT0_S7_ifPKiS9_S9_iPKfiiiPfSC_PS2_PT2_iSB_SB_, .Lfunc_end1007-_Z39paged_attention_ll4mi_QKV_mfma16_kernelIDF16_hLN4vllm18Fp8KVCacheDataTypeE1EDF16_Li16ELi128ELi256ELb0ELi2EEvPKT_PKT0_S7_ifPKiS9_S9_iPKfiiiPfSC_PS2_PT2_iSB_SB_
                                        ; -- End function
	.set _Z39paged_attention_ll4mi_QKV_mfma16_kernelIDF16_hLN4vllm18Fp8KVCacheDataTypeE1EDF16_Li16ELi128ELi256ELb0ELi2EEvPKT_PKT0_S7_ifPKiS9_S9_iPKfiiiPfSC_PS2_PT2_iSB_SB_.num_vgpr, max(3, .L__assert_fail.num_vgpr)
	.set _Z39paged_attention_ll4mi_QKV_mfma16_kernelIDF16_hLN4vllm18Fp8KVCacheDataTypeE1EDF16_Li16ELi128ELi256ELb0ELi2EEvPKT_PKT0_S7_ifPKiS9_S9_iPKfiiiPfSC_PS2_PT2_iSB_SB_.num_agpr, max(0, .L__assert_fail.num_agpr)
	.set _Z39paged_attention_ll4mi_QKV_mfma16_kernelIDF16_hLN4vllm18Fp8KVCacheDataTypeE1EDF16_Li16ELi128ELi256ELb0ELi2EEvPKT_PKT0_S7_ifPKiS9_S9_iPKfiiiPfSC_PS2_PT2_iSB_SB_.numbered_sgpr, max(33, .L__assert_fail.numbered_sgpr)
	.set _Z39paged_attention_ll4mi_QKV_mfma16_kernelIDF16_hLN4vllm18Fp8KVCacheDataTypeE1EDF16_Li16ELi128ELi256ELb0ELi2EEvPKT_PKT0_S7_ifPKiS9_S9_iPKfiiiPfSC_PS2_PT2_iSB_SB_.num_named_barrier, max(0, .L__assert_fail.num_named_barrier)
	.set _Z39paged_attention_ll4mi_QKV_mfma16_kernelIDF16_hLN4vllm18Fp8KVCacheDataTypeE1EDF16_Li16ELi128ELi256ELb0ELi2EEvPKT_PKT0_S7_ifPKiS9_S9_iPKfiiiPfSC_PS2_PT2_iSB_SB_.private_seg_size, 0+max(.L__assert_fail.private_seg_size)
	.set _Z39paged_attention_ll4mi_QKV_mfma16_kernelIDF16_hLN4vllm18Fp8KVCacheDataTypeE1EDF16_Li16ELi128ELi256ELb0ELi2EEvPKT_PKT0_S7_ifPKiS9_S9_iPKfiiiPfSC_PS2_PT2_iSB_SB_.uses_vcc, or(1, .L__assert_fail.uses_vcc)
	.set _Z39paged_attention_ll4mi_QKV_mfma16_kernelIDF16_hLN4vllm18Fp8KVCacheDataTypeE1EDF16_Li16ELi128ELi256ELb0ELi2EEvPKT_PKT0_S7_ifPKiS9_S9_iPKfiiiPfSC_PS2_PT2_iSB_SB_.uses_flat_scratch, or(0, .L__assert_fail.uses_flat_scratch)
	.set _Z39paged_attention_ll4mi_QKV_mfma16_kernelIDF16_hLN4vllm18Fp8KVCacheDataTypeE1EDF16_Li16ELi128ELi256ELb0ELi2EEvPKT_PKT0_S7_ifPKiS9_S9_iPKfiiiPfSC_PS2_PT2_iSB_SB_.has_dyn_sized_stack, or(0, .L__assert_fail.has_dyn_sized_stack)
	.set _Z39paged_attention_ll4mi_QKV_mfma16_kernelIDF16_hLN4vllm18Fp8KVCacheDataTypeE1EDF16_Li16ELi128ELi256ELb0ELi2EEvPKT_PKT0_S7_ifPKiS9_S9_iPKfiiiPfSC_PS2_PT2_iSB_SB_.has_recursion, or(0, .L__assert_fail.has_recursion)
	.set _Z39paged_attention_ll4mi_QKV_mfma16_kernelIDF16_hLN4vllm18Fp8KVCacheDataTypeE1EDF16_Li16ELi128ELi256ELb0ELi2EEvPKT_PKT0_S7_ifPKiS9_S9_iPKfiiiPfSC_PS2_PT2_iSB_SB_.has_indirect_call, or(0, .L__assert_fail.has_indirect_call)
	.section	.AMDGPU.csdata,"",@progbits
; Kernel info:
; codeLenInByte = 68
; TotalNumSgprs: 36
; NumVgprs: 51
; ScratchSize: 64
; MemoryBound: 0
; FloatMode: 240
; IeeeMode: 1
; LDSByteSize: 0 bytes/workgroup (compile time only)
; SGPRBlocks: 0
; VGPRBlocks: 3
; NumSGPRsForWavesPerEU: 36
; NumVGPRsForWavesPerEU: 51
; NamedBarCnt: 0
; Occupancy: 16
; WaveLimiterHint : 1
; COMPUTE_PGM_RSRC2:SCRATCH_EN: 1
; COMPUTE_PGM_RSRC2:USER_SGPR: 2
; COMPUTE_PGM_RSRC2:TRAP_HANDLER: 0
; COMPUTE_PGM_RSRC2:TGID_X_EN: 1
; COMPUTE_PGM_RSRC2:TGID_Y_EN: 0
; COMPUTE_PGM_RSRC2:TGID_Z_EN: 0
; COMPUTE_PGM_RSRC2:TIDIG_COMP_CNT: 0
	.section	.text._Z39paged_attention_ll4mi_QKV_mfma16_kernelIDF16_hLN4vllm18Fp8KVCacheDataTypeE1EDF16_Li16ELi128ELi256ELb0ELi3EEvPKT_PKT0_S7_ifPKiS9_S9_iPKfiiiPfSC_PS2_PT2_iSB_SB_,"axG",@progbits,_Z39paged_attention_ll4mi_QKV_mfma16_kernelIDF16_hLN4vllm18Fp8KVCacheDataTypeE1EDF16_Li16ELi128ELi256ELb0ELi3EEvPKT_PKT0_S7_ifPKiS9_S9_iPKfiiiPfSC_PS2_PT2_iSB_SB_,comdat
	.protected	_Z39paged_attention_ll4mi_QKV_mfma16_kernelIDF16_hLN4vllm18Fp8KVCacheDataTypeE1EDF16_Li16ELi128ELi256ELb0ELi3EEvPKT_PKT0_S7_ifPKiS9_S9_iPKfiiiPfSC_PS2_PT2_iSB_SB_ ; -- Begin function _Z39paged_attention_ll4mi_QKV_mfma16_kernelIDF16_hLN4vllm18Fp8KVCacheDataTypeE1EDF16_Li16ELi128ELi256ELb0ELi3EEvPKT_PKT0_S7_ifPKiS9_S9_iPKfiiiPfSC_PS2_PT2_iSB_SB_
	.globl	_Z39paged_attention_ll4mi_QKV_mfma16_kernelIDF16_hLN4vllm18Fp8KVCacheDataTypeE1EDF16_Li16ELi128ELi256ELb0ELi3EEvPKT_PKT0_S7_ifPKiS9_S9_iPKfiiiPfSC_PS2_PT2_iSB_SB_
	.p2align	8
	.type	_Z39paged_attention_ll4mi_QKV_mfma16_kernelIDF16_hLN4vllm18Fp8KVCacheDataTypeE1EDF16_Li16ELi128ELi256ELb0ELi3EEvPKT_PKT0_S7_ifPKiS9_S9_iPKfiiiPfSC_PS2_PT2_iSB_SB_,@function
_Z39paged_attention_ll4mi_QKV_mfma16_kernelIDF16_hLN4vllm18Fp8KVCacheDataTypeE1EDF16_Li16ELi128ELi256ELb0ELi3EEvPKT_PKT0_S7_ifPKiS9_S9_iPKfiiiPfSC_PS2_PT2_iSB_SB_: ; @_Z39paged_attention_ll4mi_QKV_mfma16_kernelIDF16_hLN4vllm18Fp8KVCacheDataTypeE1EDF16_Li16ELi128ELi256ELb0ELi3EEvPKT_PKT0_S7_ifPKiS9_S9_iPKfiiiPfSC_PS2_PT2_iSB_SB_
; %bb.0:
	s_get_pc_i64 s[2:3]
	s_add_nc_u64 s[2:3], s[2:3], __PRETTY_FUNCTION__._Z39paged_attention_ll4mi_QKV_mfma16_kernelIDF16_hLN4vllm18Fp8KVCacheDataTypeE1EDF16_Li16ELi128ELi256ELb0ELi3EEvPKT_PKT0_S7_ifPKiS9_S9_iPKfiiiPfSC_PS2_PT2_iSB_SB_@rel64+4
	s_delay_alu instid0(SALU_CYCLE_1)
	v_dual_mov_b32 v0, 0xbb3 :: v_dual_mov_b32 v1, s2
	v_mov_b32_e32 v2, s3
	s_add_nc_u64 s[8:9], s[0:1], 0x90
	s_get_pc_i64 s[0:1]
	s_add_nc_u64 s[0:1], s[0:1], __assert_fail@rel64+4
	s_mov_b32 s32, 0
	s_swap_pc_i64 s[30:31], s[0:1]
	.section	.rodata,"a",@progbits
	.p2align	6, 0x0
	.amdhsa_kernel _Z39paged_attention_ll4mi_QKV_mfma16_kernelIDF16_hLN4vllm18Fp8KVCacheDataTypeE1EDF16_Li16ELi128ELi256ELb0ELi3EEvPKT_PKT0_S7_ifPKiS9_S9_iPKfiiiPfSC_PS2_PT2_iSB_SB_
		.amdhsa_group_segment_fixed_size 0
		.amdhsa_private_segment_fixed_size 64
		.amdhsa_kernarg_size 400
		.amdhsa_user_sgpr_count 2
		.amdhsa_user_sgpr_dispatch_ptr 0
		.amdhsa_user_sgpr_queue_ptr 0
		.amdhsa_user_sgpr_kernarg_segment_ptr 1
		.amdhsa_user_sgpr_dispatch_id 0
		.amdhsa_user_sgpr_kernarg_preload_length 0
		.amdhsa_user_sgpr_kernarg_preload_offset 0
		.amdhsa_user_sgpr_private_segment_size 0
		.amdhsa_wavefront_size32 1
		.amdhsa_uses_dynamic_stack 0
		.amdhsa_enable_private_segment 1
		.amdhsa_system_sgpr_workgroup_id_x 1
		.amdhsa_system_sgpr_workgroup_id_y 0
		.amdhsa_system_sgpr_workgroup_id_z 0
		.amdhsa_system_sgpr_workgroup_info 0
		.amdhsa_system_vgpr_workitem_id 0
		.amdhsa_next_free_vgpr 51
		.amdhsa_next_free_sgpr 34
		.amdhsa_named_barrier_count 0
		.amdhsa_reserve_vcc 1
		.amdhsa_float_round_mode_32 0
		.amdhsa_float_round_mode_16_64 0
		.amdhsa_float_denorm_mode_32 3
		.amdhsa_float_denorm_mode_16_64 3
		.amdhsa_fp16_overflow 0
		.amdhsa_memory_ordered 1
		.amdhsa_forward_progress 1
		.amdhsa_inst_pref_size 1
		.amdhsa_round_robin_scheduling 0
		.amdhsa_exception_fp_ieee_invalid_op 0
		.amdhsa_exception_fp_denorm_src 0
		.amdhsa_exception_fp_ieee_div_zero 0
		.amdhsa_exception_fp_ieee_overflow 0
		.amdhsa_exception_fp_ieee_underflow 0
		.amdhsa_exception_fp_ieee_inexact 0
		.amdhsa_exception_int_div_zero 0
	.end_amdhsa_kernel
	.section	.text._Z39paged_attention_ll4mi_QKV_mfma16_kernelIDF16_hLN4vllm18Fp8KVCacheDataTypeE1EDF16_Li16ELi128ELi256ELb0ELi3EEvPKT_PKT0_S7_ifPKiS9_S9_iPKfiiiPfSC_PS2_PT2_iSB_SB_,"axG",@progbits,_Z39paged_attention_ll4mi_QKV_mfma16_kernelIDF16_hLN4vllm18Fp8KVCacheDataTypeE1EDF16_Li16ELi128ELi256ELb0ELi3EEvPKT_PKT0_S7_ifPKiS9_S9_iPKfiiiPfSC_PS2_PT2_iSB_SB_,comdat
.Lfunc_end1008:
	.size	_Z39paged_attention_ll4mi_QKV_mfma16_kernelIDF16_hLN4vllm18Fp8KVCacheDataTypeE1EDF16_Li16ELi128ELi256ELb0ELi3EEvPKT_PKT0_S7_ifPKiS9_S9_iPKfiiiPfSC_PS2_PT2_iSB_SB_, .Lfunc_end1008-_Z39paged_attention_ll4mi_QKV_mfma16_kernelIDF16_hLN4vllm18Fp8KVCacheDataTypeE1EDF16_Li16ELi128ELi256ELb0ELi3EEvPKT_PKT0_S7_ifPKiS9_S9_iPKfiiiPfSC_PS2_PT2_iSB_SB_
                                        ; -- End function
	.set _Z39paged_attention_ll4mi_QKV_mfma16_kernelIDF16_hLN4vllm18Fp8KVCacheDataTypeE1EDF16_Li16ELi128ELi256ELb0ELi3EEvPKT_PKT0_S7_ifPKiS9_S9_iPKfiiiPfSC_PS2_PT2_iSB_SB_.num_vgpr, max(3, .L__assert_fail.num_vgpr)
	.set _Z39paged_attention_ll4mi_QKV_mfma16_kernelIDF16_hLN4vllm18Fp8KVCacheDataTypeE1EDF16_Li16ELi128ELi256ELb0ELi3EEvPKT_PKT0_S7_ifPKiS9_S9_iPKfiiiPfSC_PS2_PT2_iSB_SB_.num_agpr, max(0, .L__assert_fail.num_agpr)
	.set _Z39paged_attention_ll4mi_QKV_mfma16_kernelIDF16_hLN4vllm18Fp8KVCacheDataTypeE1EDF16_Li16ELi128ELi256ELb0ELi3EEvPKT_PKT0_S7_ifPKiS9_S9_iPKfiiiPfSC_PS2_PT2_iSB_SB_.numbered_sgpr, max(33, .L__assert_fail.numbered_sgpr)
	.set _Z39paged_attention_ll4mi_QKV_mfma16_kernelIDF16_hLN4vllm18Fp8KVCacheDataTypeE1EDF16_Li16ELi128ELi256ELb0ELi3EEvPKT_PKT0_S7_ifPKiS9_S9_iPKfiiiPfSC_PS2_PT2_iSB_SB_.num_named_barrier, max(0, .L__assert_fail.num_named_barrier)
	.set _Z39paged_attention_ll4mi_QKV_mfma16_kernelIDF16_hLN4vllm18Fp8KVCacheDataTypeE1EDF16_Li16ELi128ELi256ELb0ELi3EEvPKT_PKT0_S7_ifPKiS9_S9_iPKfiiiPfSC_PS2_PT2_iSB_SB_.private_seg_size, 0+max(.L__assert_fail.private_seg_size)
	.set _Z39paged_attention_ll4mi_QKV_mfma16_kernelIDF16_hLN4vllm18Fp8KVCacheDataTypeE1EDF16_Li16ELi128ELi256ELb0ELi3EEvPKT_PKT0_S7_ifPKiS9_S9_iPKfiiiPfSC_PS2_PT2_iSB_SB_.uses_vcc, or(1, .L__assert_fail.uses_vcc)
	.set _Z39paged_attention_ll4mi_QKV_mfma16_kernelIDF16_hLN4vllm18Fp8KVCacheDataTypeE1EDF16_Li16ELi128ELi256ELb0ELi3EEvPKT_PKT0_S7_ifPKiS9_S9_iPKfiiiPfSC_PS2_PT2_iSB_SB_.uses_flat_scratch, or(0, .L__assert_fail.uses_flat_scratch)
	.set _Z39paged_attention_ll4mi_QKV_mfma16_kernelIDF16_hLN4vllm18Fp8KVCacheDataTypeE1EDF16_Li16ELi128ELi256ELb0ELi3EEvPKT_PKT0_S7_ifPKiS9_S9_iPKfiiiPfSC_PS2_PT2_iSB_SB_.has_dyn_sized_stack, or(0, .L__assert_fail.has_dyn_sized_stack)
	.set _Z39paged_attention_ll4mi_QKV_mfma16_kernelIDF16_hLN4vllm18Fp8KVCacheDataTypeE1EDF16_Li16ELi128ELi256ELb0ELi3EEvPKT_PKT0_S7_ifPKiS9_S9_iPKfiiiPfSC_PS2_PT2_iSB_SB_.has_recursion, or(0, .L__assert_fail.has_recursion)
	.set _Z39paged_attention_ll4mi_QKV_mfma16_kernelIDF16_hLN4vllm18Fp8KVCacheDataTypeE1EDF16_Li16ELi128ELi256ELb0ELi3EEvPKT_PKT0_S7_ifPKiS9_S9_iPKfiiiPfSC_PS2_PT2_iSB_SB_.has_indirect_call, or(0, .L__assert_fail.has_indirect_call)
	.section	.AMDGPU.csdata,"",@progbits
; Kernel info:
; codeLenInByte = 68
; TotalNumSgprs: 36
; NumVgprs: 51
; ScratchSize: 64
; MemoryBound: 0
; FloatMode: 240
; IeeeMode: 1
; LDSByteSize: 0 bytes/workgroup (compile time only)
; SGPRBlocks: 0
; VGPRBlocks: 3
; NumSGPRsForWavesPerEU: 36
; NumVGPRsForWavesPerEU: 51
; NamedBarCnt: 0
; Occupancy: 16
; WaveLimiterHint : 1
; COMPUTE_PGM_RSRC2:SCRATCH_EN: 1
; COMPUTE_PGM_RSRC2:USER_SGPR: 2
; COMPUTE_PGM_RSRC2:TRAP_HANDLER: 0
; COMPUTE_PGM_RSRC2:TGID_X_EN: 1
; COMPUTE_PGM_RSRC2:TGID_Y_EN: 0
; COMPUTE_PGM_RSRC2:TGID_Z_EN: 0
; COMPUTE_PGM_RSRC2:TIDIG_COMP_CNT: 0
	.section	.text._Z39paged_attention_ll4mi_QKV_mfma16_kernelIDF16_hLN4vllm18Fp8KVCacheDataTypeE1EDF16_Li16ELi128ELi256ELb0ELi4EEvPKT_PKT0_S7_ifPKiS9_S9_iPKfiiiPfSC_PS2_PT2_iSB_SB_,"axG",@progbits,_Z39paged_attention_ll4mi_QKV_mfma16_kernelIDF16_hLN4vllm18Fp8KVCacheDataTypeE1EDF16_Li16ELi128ELi256ELb0ELi4EEvPKT_PKT0_S7_ifPKiS9_S9_iPKfiiiPfSC_PS2_PT2_iSB_SB_,comdat
	.protected	_Z39paged_attention_ll4mi_QKV_mfma16_kernelIDF16_hLN4vllm18Fp8KVCacheDataTypeE1EDF16_Li16ELi128ELi256ELb0ELi4EEvPKT_PKT0_S7_ifPKiS9_S9_iPKfiiiPfSC_PS2_PT2_iSB_SB_ ; -- Begin function _Z39paged_attention_ll4mi_QKV_mfma16_kernelIDF16_hLN4vllm18Fp8KVCacheDataTypeE1EDF16_Li16ELi128ELi256ELb0ELi4EEvPKT_PKT0_S7_ifPKiS9_S9_iPKfiiiPfSC_PS2_PT2_iSB_SB_
	.globl	_Z39paged_attention_ll4mi_QKV_mfma16_kernelIDF16_hLN4vllm18Fp8KVCacheDataTypeE1EDF16_Li16ELi128ELi256ELb0ELi4EEvPKT_PKT0_S7_ifPKiS9_S9_iPKfiiiPfSC_PS2_PT2_iSB_SB_
	.p2align	8
	.type	_Z39paged_attention_ll4mi_QKV_mfma16_kernelIDF16_hLN4vllm18Fp8KVCacheDataTypeE1EDF16_Li16ELi128ELi256ELb0ELi4EEvPKT_PKT0_S7_ifPKiS9_S9_iPKfiiiPfSC_PS2_PT2_iSB_SB_,@function
_Z39paged_attention_ll4mi_QKV_mfma16_kernelIDF16_hLN4vllm18Fp8KVCacheDataTypeE1EDF16_Li16ELi128ELi256ELb0ELi4EEvPKT_PKT0_S7_ifPKiS9_S9_iPKfiiiPfSC_PS2_PT2_iSB_SB_: ; @_Z39paged_attention_ll4mi_QKV_mfma16_kernelIDF16_hLN4vllm18Fp8KVCacheDataTypeE1EDF16_Li16ELi128ELi256ELb0ELi4EEvPKT_PKT0_S7_ifPKiS9_S9_iPKfiiiPfSC_PS2_PT2_iSB_SB_
; %bb.0:
	s_get_pc_i64 s[2:3]
	s_add_nc_u64 s[2:3], s[2:3], __PRETTY_FUNCTION__._Z39paged_attention_ll4mi_QKV_mfma16_kernelIDF16_hLN4vllm18Fp8KVCacheDataTypeE1EDF16_Li16ELi128ELi256ELb0ELi4EEvPKT_PKT0_S7_ifPKiS9_S9_iPKfiiiPfSC_PS2_PT2_iSB_SB_@rel64+4
	s_delay_alu instid0(SALU_CYCLE_1)
	v_dual_mov_b32 v0, 0xbb3 :: v_dual_mov_b32 v1, s2
	v_mov_b32_e32 v2, s3
	s_add_nc_u64 s[8:9], s[0:1], 0x90
	s_get_pc_i64 s[0:1]
	s_add_nc_u64 s[0:1], s[0:1], __assert_fail@rel64+4
	s_mov_b32 s32, 0
	s_swap_pc_i64 s[30:31], s[0:1]
	.section	.rodata,"a",@progbits
	.p2align	6, 0x0
	.amdhsa_kernel _Z39paged_attention_ll4mi_QKV_mfma16_kernelIDF16_hLN4vllm18Fp8KVCacheDataTypeE1EDF16_Li16ELi128ELi256ELb0ELi4EEvPKT_PKT0_S7_ifPKiS9_S9_iPKfiiiPfSC_PS2_PT2_iSB_SB_
		.amdhsa_group_segment_fixed_size 0
		.amdhsa_private_segment_fixed_size 64
		.amdhsa_kernarg_size 400
		.amdhsa_user_sgpr_count 2
		.amdhsa_user_sgpr_dispatch_ptr 0
		.amdhsa_user_sgpr_queue_ptr 0
		.amdhsa_user_sgpr_kernarg_segment_ptr 1
		.amdhsa_user_sgpr_dispatch_id 0
		.amdhsa_user_sgpr_kernarg_preload_length 0
		.amdhsa_user_sgpr_kernarg_preload_offset 0
		.amdhsa_user_sgpr_private_segment_size 0
		.amdhsa_wavefront_size32 1
		.amdhsa_uses_dynamic_stack 0
		.amdhsa_enable_private_segment 1
		.amdhsa_system_sgpr_workgroup_id_x 1
		.amdhsa_system_sgpr_workgroup_id_y 0
		.amdhsa_system_sgpr_workgroup_id_z 0
		.amdhsa_system_sgpr_workgroup_info 0
		.amdhsa_system_vgpr_workitem_id 0
		.amdhsa_next_free_vgpr 51
		.amdhsa_next_free_sgpr 34
		.amdhsa_named_barrier_count 0
		.amdhsa_reserve_vcc 1
		.amdhsa_float_round_mode_32 0
		.amdhsa_float_round_mode_16_64 0
		.amdhsa_float_denorm_mode_32 3
		.amdhsa_float_denorm_mode_16_64 3
		.amdhsa_fp16_overflow 0
		.amdhsa_memory_ordered 1
		.amdhsa_forward_progress 1
		.amdhsa_inst_pref_size 1
		.amdhsa_round_robin_scheduling 0
		.amdhsa_exception_fp_ieee_invalid_op 0
		.amdhsa_exception_fp_denorm_src 0
		.amdhsa_exception_fp_ieee_div_zero 0
		.amdhsa_exception_fp_ieee_overflow 0
		.amdhsa_exception_fp_ieee_underflow 0
		.amdhsa_exception_fp_ieee_inexact 0
		.amdhsa_exception_int_div_zero 0
	.end_amdhsa_kernel
	.section	.text._Z39paged_attention_ll4mi_QKV_mfma16_kernelIDF16_hLN4vllm18Fp8KVCacheDataTypeE1EDF16_Li16ELi128ELi256ELb0ELi4EEvPKT_PKT0_S7_ifPKiS9_S9_iPKfiiiPfSC_PS2_PT2_iSB_SB_,"axG",@progbits,_Z39paged_attention_ll4mi_QKV_mfma16_kernelIDF16_hLN4vllm18Fp8KVCacheDataTypeE1EDF16_Li16ELi128ELi256ELb0ELi4EEvPKT_PKT0_S7_ifPKiS9_S9_iPKfiiiPfSC_PS2_PT2_iSB_SB_,comdat
.Lfunc_end1009:
	.size	_Z39paged_attention_ll4mi_QKV_mfma16_kernelIDF16_hLN4vllm18Fp8KVCacheDataTypeE1EDF16_Li16ELi128ELi256ELb0ELi4EEvPKT_PKT0_S7_ifPKiS9_S9_iPKfiiiPfSC_PS2_PT2_iSB_SB_, .Lfunc_end1009-_Z39paged_attention_ll4mi_QKV_mfma16_kernelIDF16_hLN4vllm18Fp8KVCacheDataTypeE1EDF16_Li16ELi128ELi256ELb0ELi4EEvPKT_PKT0_S7_ifPKiS9_S9_iPKfiiiPfSC_PS2_PT2_iSB_SB_
                                        ; -- End function
	.set _Z39paged_attention_ll4mi_QKV_mfma16_kernelIDF16_hLN4vllm18Fp8KVCacheDataTypeE1EDF16_Li16ELi128ELi256ELb0ELi4EEvPKT_PKT0_S7_ifPKiS9_S9_iPKfiiiPfSC_PS2_PT2_iSB_SB_.num_vgpr, max(3, .L__assert_fail.num_vgpr)
	.set _Z39paged_attention_ll4mi_QKV_mfma16_kernelIDF16_hLN4vllm18Fp8KVCacheDataTypeE1EDF16_Li16ELi128ELi256ELb0ELi4EEvPKT_PKT0_S7_ifPKiS9_S9_iPKfiiiPfSC_PS2_PT2_iSB_SB_.num_agpr, max(0, .L__assert_fail.num_agpr)
	.set _Z39paged_attention_ll4mi_QKV_mfma16_kernelIDF16_hLN4vllm18Fp8KVCacheDataTypeE1EDF16_Li16ELi128ELi256ELb0ELi4EEvPKT_PKT0_S7_ifPKiS9_S9_iPKfiiiPfSC_PS2_PT2_iSB_SB_.numbered_sgpr, max(33, .L__assert_fail.numbered_sgpr)
	.set _Z39paged_attention_ll4mi_QKV_mfma16_kernelIDF16_hLN4vllm18Fp8KVCacheDataTypeE1EDF16_Li16ELi128ELi256ELb0ELi4EEvPKT_PKT0_S7_ifPKiS9_S9_iPKfiiiPfSC_PS2_PT2_iSB_SB_.num_named_barrier, max(0, .L__assert_fail.num_named_barrier)
	.set _Z39paged_attention_ll4mi_QKV_mfma16_kernelIDF16_hLN4vllm18Fp8KVCacheDataTypeE1EDF16_Li16ELi128ELi256ELb0ELi4EEvPKT_PKT0_S7_ifPKiS9_S9_iPKfiiiPfSC_PS2_PT2_iSB_SB_.private_seg_size, 0+max(.L__assert_fail.private_seg_size)
	.set _Z39paged_attention_ll4mi_QKV_mfma16_kernelIDF16_hLN4vllm18Fp8KVCacheDataTypeE1EDF16_Li16ELi128ELi256ELb0ELi4EEvPKT_PKT0_S7_ifPKiS9_S9_iPKfiiiPfSC_PS2_PT2_iSB_SB_.uses_vcc, or(1, .L__assert_fail.uses_vcc)
	.set _Z39paged_attention_ll4mi_QKV_mfma16_kernelIDF16_hLN4vllm18Fp8KVCacheDataTypeE1EDF16_Li16ELi128ELi256ELb0ELi4EEvPKT_PKT0_S7_ifPKiS9_S9_iPKfiiiPfSC_PS2_PT2_iSB_SB_.uses_flat_scratch, or(0, .L__assert_fail.uses_flat_scratch)
	.set _Z39paged_attention_ll4mi_QKV_mfma16_kernelIDF16_hLN4vllm18Fp8KVCacheDataTypeE1EDF16_Li16ELi128ELi256ELb0ELi4EEvPKT_PKT0_S7_ifPKiS9_S9_iPKfiiiPfSC_PS2_PT2_iSB_SB_.has_dyn_sized_stack, or(0, .L__assert_fail.has_dyn_sized_stack)
	.set _Z39paged_attention_ll4mi_QKV_mfma16_kernelIDF16_hLN4vllm18Fp8KVCacheDataTypeE1EDF16_Li16ELi128ELi256ELb0ELi4EEvPKT_PKT0_S7_ifPKiS9_S9_iPKfiiiPfSC_PS2_PT2_iSB_SB_.has_recursion, or(0, .L__assert_fail.has_recursion)
	.set _Z39paged_attention_ll4mi_QKV_mfma16_kernelIDF16_hLN4vllm18Fp8KVCacheDataTypeE1EDF16_Li16ELi128ELi256ELb0ELi4EEvPKT_PKT0_S7_ifPKiS9_S9_iPKfiiiPfSC_PS2_PT2_iSB_SB_.has_indirect_call, or(0, .L__assert_fail.has_indirect_call)
	.section	.AMDGPU.csdata,"",@progbits
; Kernel info:
; codeLenInByte = 68
; TotalNumSgprs: 36
; NumVgprs: 51
; ScratchSize: 64
; MemoryBound: 0
; FloatMode: 240
; IeeeMode: 1
; LDSByteSize: 0 bytes/workgroup (compile time only)
; SGPRBlocks: 0
; VGPRBlocks: 3
; NumSGPRsForWavesPerEU: 36
; NumVGPRsForWavesPerEU: 51
; NamedBarCnt: 0
; Occupancy: 16
; WaveLimiterHint : 1
; COMPUTE_PGM_RSRC2:SCRATCH_EN: 1
; COMPUTE_PGM_RSRC2:USER_SGPR: 2
; COMPUTE_PGM_RSRC2:TRAP_HANDLER: 0
; COMPUTE_PGM_RSRC2:TGID_X_EN: 1
; COMPUTE_PGM_RSRC2:TGID_Y_EN: 0
; COMPUTE_PGM_RSRC2:TGID_Z_EN: 0
; COMPUTE_PGM_RSRC2:TIDIG_COMP_CNT: 0
	.section	.text._Z38paged_attention_ll4mi_QKV_mfma4_kernelIDF16_hLN4vllm18Fp8KVCacheDataTypeE1EhLi32ELi128ELi256ELb1ELi1EEvPKT_PKT0_S7_ifPKiS9_S9_iPKfiiiPfSC_PS2_PT2_iSB_SB_,"axG",@progbits,_Z38paged_attention_ll4mi_QKV_mfma4_kernelIDF16_hLN4vllm18Fp8KVCacheDataTypeE1EhLi32ELi128ELi256ELb1ELi1EEvPKT_PKT0_S7_ifPKiS9_S9_iPKfiiiPfSC_PS2_PT2_iSB_SB_,comdat
	.protected	_Z38paged_attention_ll4mi_QKV_mfma4_kernelIDF16_hLN4vllm18Fp8KVCacheDataTypeE1EhLi32ELi128ELi256ELb1ELi1EEvPKT_PKT0_S7_ifPKiS9_S9_iPKfiiiPfSC_PS2_PT2_iSB_SB_ ; -- Begin function _Z38paged_attention_ll4mi_QKV_mfma4_kernelIDF16_hLN4vllm18Fp8KVCacheDataTypeE1EhLi32ELi128ELi256ELb1ELi1EEvPKT_PKT0_S7_ifPKiS9_S9_iPKfiiiPfSC_PS2_PT2_iSB_SB_
	.globl	_Z38paged_attention_ll4mi_QKV_mfma4_kernelIDF16_hLN4vllm18Fp8KVCacheDataTypeE1EhLi32ELi128ELi256ELb1ELi1EEvPKT_PKT0_S7_ifPKiS9_S9_iPKfiiiPfSC_PS2_PT2_iSB_SB_
	.p2align	8
	.type	_Z38paged_attention_ll4mi_QKV_mfma4_kernelIDF16_hLN4vllm18Fp8KVCacheDataTypeE1EhLi32ELi128ELi256ELb1ELi1EEvPKT_PKT0_S7_ifPKiS9_S9_iPKfiiiPfSC_PS2_PT2_iSB_SB_,@function
_Z38paged_attention_ll4mi_QKV_mfma4_kernelIDF16_hLN4vllm18Fp8KVCacheDataTypeE1EhLi32ELi128ELi256ELb1ELi1EEvPKT_PKT0_S7_ifPKiS9_S9_iPKfiiiPfSC_PS2_PT2_iSB_SB_: ; @_Z38paged_attention_ll4mi_QKV_mfma4_kernelIDF16_hLN4vllm18Fp8KVCacheDataTypeE1EhLi32ELi128ELi256ELb1ELi1EEvPKT_PKT0_S7_ifPKiS9_S9_iPKfiiiPfSC_PS2_PT2_iSB_SB_
; %bb.0:
	s_get_pc_i64 s[2:3]
	s_add_nc_u64 s[2:3], s[2:3], __PRETTY_FUNCTION__._Z38paged_attention_ll4mi_QKV_mfma4_kernelIDF16_hLN4vllm18Fp8KVCacheDataTypeE1EhLi32ELi128ELi256ELb1ELi1EEvPKT_PKT0_S7_ifPKiS9_S9_iPKfiiiPfSC_PS2_PT2_iSB_SB_@rel64+4
	s_delay_alu instid0(SALU_CYCLE_1)
	v_dual_mov_b32 v0, 0xbce :: v_dual_mov_b32 v1, s2
	v_mov_b32_e32 v2, s3
	s_add_nc_u64 s[8:9], s[0:1], 0x90
	s_get_pc_i64 s[0:1]
	s_add_nc_u64 s[0:1], s[0:1], __assert_fail@rel64+4
	s_mov_b32 s32, 0
	s_swap_pc_i64 s[30:31], s[0:1]
	.section	.rodata,"a",@progbits
	.p2align	6, 0x0
	.amdhsa_kernel _Z38paged_attention_ll4mi_QKV_mfma4_kernelIDF16_hLN4vllm18Fp8KVCacheDataTypeE1EhLi32ELi128ELi256ELb1ELi1EEvPKT_PKT0_S7_ifPKiS9_S9_iPKfiiiPfSC_PS2_PT2_iSB_SB_
		.amdhsa_group_segment_fixed_size 0
		.amdhsa_private_segment_fixed_size 64
		.amdhsa_kernarg_size 400
		.amdhsa_user_sgpr_count 2
		.amdhsa_user_sgpr_dispatch_ptr 0
		.amdhsa_user_sgpr_queue_ptr 0
		.amdhsa_user_sgpr_kernarg_segment_ptr 1
		.amdhsa_user_sgpr_dispatch_id 0
		.amdhsa_user_sgpr_kernarg_preload_length 0
		.amdhsa_user_sgpr_kernarg_preload_offset 0
		.amdhsa_user_sgpr_private_segment_size 0
		.amdhsa_wavefront_size32 1
		.amdhsa_uses_dynamic_stack 0
		.amdhsa_enable_private_segment 1
		.amdhsa_system_sgpr_workgroup_id_x 1
		.amdhsa_system_sgpr_workgroup_id_y 0
		.amdhsa_system_sgpr_workgroup_id_z 0
		.amdhsa_system_sgpr_workgroup_info 0
		.amdhsa_system_vgpr_workitem_id 0
		.amdhsa_next_free_vgpr 51
		.amdhsa_next_free_sgpr 34
		.amdhsa_named_barrier_count 0
		.amdhsa_reserve_vcc 1
		.amdhsa_float_round_mode_32 0
		.amdhsa_float_round_mode_16_64 0
		.amdhsa_float_denorm_mode_32 3
		.amdhsa_float_denorm_mode_16_64 3
		.amdhsa_fp16_overflow 0
		.amdhsa_memory_ordered 1
		.amdhsa_forward_progress 1
		.amdhsa_inst_pref_size 1
		.amdhsa_round_robin_scheduling 0
		.amdhsa_exception_fp_ieee_invalid_op 0
		.amdhsa_exception_fp_denorm_src 0
		.amdhsa_exception_fp_ieee_div_zero 0
		.amdhsa_exception_fp_ieee_overflow 0
		.amdhsa_exception_fp_ieee_underflow 0
		.amdhsa_exception_fp_ieee_inexact 0
		.amdhsa_exception_int_div_zero 0
	.end_amdhsa_kernel
	.section	.text._Z38paged_attention_ll4mi_QKV_mfma4_kernelIDF16_hLN4vllm18Fp8KVCacheDataTypeE1EhLi32ELi128ELi256ELb1ELi1EEvPKT_PKT0_S7_ifPKiS9_S9_iPKfiiiPfSC_PS2_PT2_iSB_SB_,"axG",@progbits,_Z38paged_attention_ll4mi_QKV_mfma4_kernelIDF16_hLN4vllm18Fp8KVCacheDataTypeE1EhLi32ELi128ELi256ELb1ELi1EEvPKT_PKT0_S7_ifPKiS9_S9_iPKfiiiPfSC_PS2_PT2_iSB_SB_,comdat
.Lfunc_end1010:
	.size	_Z38paged_attention_ll4mi_QKV_mfma4_kernelIDF16_hLN4vllm18Fp8KVCacheDataTypeE1EhLi32ELi128ELi256ELb1ELi1EEvPKT_PKT0_S7_ifPKiS9_S9_iPKfiiiPfSC_PS2_PT2_iSB_SB_, .Lfunc_end1010-_Z38paged_attention_ll4mi_QKV_mfma4_kernelIDF16_hLN4vllm18Fp8KVCacheDataTypeE1EhLi32ELi128ELi256ELb1ELi1EEvPKT_PKT0_S7_ifPKiS9_S9_iPKfiiiPfSC_PS2_PT2_iSB_SB_
                                        ; -- End function
	.set _Z38paged_attention_ll4mi_QKV_mfma4_kernelIDF16_hLN4vllm18Fp8KVCacheDataTypeE1EhLi32ELi128ELi256ELb1ELi1EEvPKT_PKT0_S7_ifPKiS9_S9_iPKfiiiPfSC_PS2_PT2_iSB_SB_.num_vgpr, max(3, .L__assert_fail.num_vgpr)
	.set _Z38paged_attention_ll4mi_QKV_mfma4_kernelIDF16_hLN4vllm18Fp8KVCacheDataTypeE1EhLi32ELi128ELi256ELb1ELi1EEvPKT_PKT0_S7_ifPKiS9_S9_iPKfiiiPfSC_PS2_PT2_iSB_SB_.num_agpr, max(0, .L__assert_fail.num_agpr)
	.set _Z38paged_attention_ll4mi_QKV_mfma4_kernelIDF16_hLN4vllm18Fp8KVCacheDataTypeE1EhLi32ELi128ELi256ELb1ELi1EEvPKT_PKT0_S7_ifPKiS9_S9_iPKfiiiPfSC_PS2_PT2_iSB_SB_.numbered_sgpr, max(33, .L__assert_fail.numbered_sgpr)
	.set _Z38paged_attention_ll4mi_QKV_mfma4_kernelIDF16_hLN4vllm18Fp8KVCacheDataTypeE1EhLi32ELi128ELi256ELb1ELi1EEvPKT_PKT0_S7_ifPKiS9_S9_iPKfiiiPfSC_PS2_PT2_iSB_SB_.num_named_barrier, max(0, .L__assert_fail.num_named_barrier)
	.set _Z38paged_attention_ll4mi_QKV_mfma4_kernelIDF16_hLN4vllm18Fp8KVCacheDataTypeE1EhLi32ELi128ELi256ELb1ELi1EEvPKT_PKT0_S7_ifPKiS9_S9_iPKfiiiPfSC_PS2_PT2_iSB_SB_.private_seg_size, 0+max(.L__assert_fail.private_seg_size)
	.set _Z38paged_attention_ll4mi_QKV_mfma4_kernelIDF16_hLN4vllm18Fp8KVCacheDataTypeE1EhLi32ELi128ELi256ELb1ELi1EEvPKT_PKT0_S7_ifPKiS9_S9_iPKfiiiPfSC_PS2_PT2_iSB_SB_.uses_vcc, or(1, .L__assert_fail.uses_vcc)
	.set _Z38paged_attention_ll4mi_QKV_mfma4_kernelIDF16_hLN4vllm18Fp8KVCacheDataTypeE1EhLi32ELi128ELi256ELb1ELi1EEvPKT_PKT0_S7_ifPKiS9_S9_iPKfiiiPfSC_PS2_PT2_iSB_SB_.uses_flat_scratch, or(0, .L__assert_fail.uses_flat_scratch)
	.set _Z38paged_attention_ll4mi_QKV_mfma4_kernelIDF16_hLN4vllm18Fp8KVCacheDataTypeE1EhLi32ELi128ELi256ELb1ELi1EEvPKT_PKT0_S7_ifPKiS9_S9_iPKfiiiPfSC_PS2_PT2_iSB_SB_.has_dyn_sized_stack, or(0, .L__assert_fail.has_dyn_sized_stack)
	.set _Z38paged_attention_ll4mi_QKV_mfma4_kernelIDF16_hLN4vllm18Fp8KVCacheDataTypeE1EhLi32ELi128ELi256ELb1ELi1EEvPKT_PKT0_S7_ifPKiS9_S9_iPKfiiiPfSC_PS2_PT2_iSB_SB_.has_recursion, or(0, .L__assert_fail.has_recursion)
	.set _Z38paged_attention_ll4mi_QKV_mfma4_kernelIDF16_hLN4vllm18Fp8KVCacheDataTypeE1EhLi32ELi128ELi256ELb1ELi1EEvPKT_PKT0_S7_ifPKiS9_S9_iPKfiiiPfSC_PS2_PT2_iSB_SB_.has_indirect_call, or(0, .L__assert_fail.has_indirect_call)
	.section	.AMDGPU.csdata,"",@progbits
; Kernel info:
; codeLenInByte = 68
; TotalNumSgprs: 36
; NumVgprs: 51
; ScratchSize: 64
; MemoryBound: 0
; FloatMode: 240
; IeeeMode: 1
; LDSByteSize: 0 bytes/workgroup (compile time only)
; SGPRBlocks: 0
; VGPRBlocks: 3
; NumSGPRsForWavesPerEU: 36
; NumVGPRsForWavesPerEU: 51
; NamedBarCnt: 0
; Occupancy: 16
; WaveLimiterHint : 1
; COMPUTE_PGM_RSRC2:SCRATCH_EN: 1
; COMPUTE_PGM_RSRC2:USER_SGPR: 2
; COMPUTE_PGM_RSRC2:TRAP_HANDLER: 0
; COMPUTE_PGM_RSRC2:TGID_X_EN: 1
; COMPUTE_PGM_RSRC2:TGID_Y_EN: 0
; COMPUTE_PGM_RSRC2:TGID_Z_EN: 0
; COMPUTE_PGM_RSRC2:TIDIG_COMP_CNT: 0
	.section	.text._Z38paged_attention_ll4mi_QKV_mfma4_kernelIDF16_hLN4vllm18Fp8KVCacheDataTypeE1EhLi32ELi128ELi256ELb1ELi2EEvPKT_PKT0_S7_ifPKiS9_S9_iPKfiiiPfSC_PS2_PT2_iSB_SB_,"axG",@progbits,_Z38paged_attention_ll4mi_QKV_mfma4_kernelIDF16_hLN4vllm18Fp8KVCacheDataTypeE1EhLi32ELi128ELi256ELb1ELi2EEvPKT_PKT0_S7_ifPKiS9_S9_iPKfiiiPfSC_PS2_PT2_iSB_SB_,comdat
	.protected	_Z38paged_attention_ll4mi_QKV_mfma4_kernelIDF16_hLN4vllm18Fp8KVCacheDataTypeE1EhLi32ELi128ELi256ELb1ELi2EEvPKT_PKT0_S7_ifPKiS9_S9_iPKfiiiPfSC_PS2_PT2_iSB_SB_ ; -- Begin function _Z38paged_attention_ll4mi_QKV_mfma4_kernelIDF16_hLN4vllm18Fp8KVCacheDataTypeE1EhLi32ELi128ELi256ELb1ELi2EEvPKT_PKT0_S7_ifPKiS9_S9_iPKfiiiPfSC_PS2_PT2_iSB_SB_
	.globl	_Z38paged_attention_ll4mi_QKV_mfma4_kernelIDF16_hLN4vllm18Fp8KVCacheDataTypeE1EhLi32ELi128ELi256ELb1ELi2EEvPKT_PKT0_S7_ifPKiS9_S9_iPKfiiiPfSC_PS2_PT2_iSB_SB_
	.p2align	8
	.type	_Z38paged_attention_ll4mi_QKV_mfma4_kernelIDF16_hLN4vllm18Fp8KVCacheDataTypeE1EhLi32ELi128ELi256ELb1ELi2EEvPKT_PKT0_S7_ifPKiS9_S9_iPKfiiiPfSC_PS2_PT2_iSB_SB_,@function
_Z38paged_attention_ll4mi_QKV_mfma4_kernelIDF16_hLN4vllm18Fp8KVCacheDataTypeE1EhLi32ELi128ELi256ELb1ELi2EEvPKT_PKT0_S7_ifPKiS9_S9_iPKfiiiPfSC_PS2_PT2_iSB_SB_: ; @_Z38paged_attention_ll4mi_QKV_mfma4_kernelIDF16_hLN4vllm18Fp8KVCacheDataTypeE1EhLi32ELi128ELi256ELb1ELi2EEvPKT_PKT0_S7_ifPKiS9_S9_iPKfiiiPfSC_PS2_PT2_iSB_SB_
; %bb.0:
	s_get_pc_i64 s[2:3]
	s_add_nc_u64 s[2:3], s[2:3], __PRETTY_FUNCTION__._Z38paged_attention_ll4mi_QKV_mfma4_kernelIDF16_hLN4vllm18Fp8KVCacheDataTypeE1EhLi32ELi128ELi256ELb1ELi2EEvPKT_PKT0_S7_ifPKiS9_S9_iPKfiiiPfSC_PS2_PT2_iSB_SB_@rel64+4
	s_delay_alu instid0(SALU_CYCLE_1)
	v_dual_mov_b32 v0, 0xbce :: v_dual_mov_b32 v1, s2
	v_mov_b32_e32 v2, s3
	s_add_nc_u64 s[8:9], s[0:1], 0x90
	s_get_pc_i64 s[0:1]
	s_add_nc_u64 s[0:1], s[0:1], __assert_fail@rel64+4
	s_mov_b32 s32, 0
	s_swap_pc_i64 s[30:31], s[0:1]
	.section	.rodata,"a",@progbits
	.p2align	6, 0x0
	.amdhsa_kernel _Z38paged_attention_ll4mi_QKV_mfma4_kernelIDF16_hLN4vllm18Fp8KVCacheDataTypeE1EhLi32ELi128ELi256ELb1ELi2EEvPKT_PKT0_S7_ifPKiS9_S9_iPKfiiiPfSC_PS2_PT2_iSB_SB_
		.amdhsa_group_segment_fixed_size 0
		.amdhsa_private_segment_fixed_size 64
		.amdhsa_kernarg_size 400
		.amdhsa_user_sgpr_count 2
		.amdhsa_user_sgpr_dispatch_ptr 0
		.amdhsa_user_sgpr_queue_ptr 0
		.amdhsa_user_sgpr_kernarg_segment_ptr 1
		.amdhsa_user_sgpr_dispatch_id 0
		.amdhsa_user_sgpr_kernarg_preload_length 0
		.amdhsa_user_sgpr_kernarg_preload_offset 0
		.amdhsa_user_sgpr_private_segment_size 0
		.amdhsa_wavefront_size32 1
		.amdhsa_uses_dynamic_stack 0
		.amdhsa_enable_private_segment 1
		.amdhsa_system_sgpr_workgroup_id_x 1
		.amdhsa_system_sgpr_workgroup_id_y 0
		.amdhsa_system_sgpr_workgroup_id_z 0
		.amdhsa_system_sgpr_workgroup_info 0
		.amdhsa_system_vgpr_workitem_id 0
		.amdhsa_next_free_vgpr 51
		.amdhsa_next_free_sgpr 34
		.amdhsa_named_barrier_count 0
		.amdhsa_reserve_vcc 1
		.amdhsa_float_round_mode_32 0
		.amdhsa_float_round_mode_16_64 0
		.amdhsa_float_denorm_mode_32 3
		.amdhsa_float_denorm_mode_16_64 3
		.amdhsa_fp16_overflow 0
		.amdhsa_memory_ordered 1
		.amdhsa_forward_progress 1
		.amdhsa_inst_pref_size 1
		.amdhsa_round_robin_scheduling 0
		.amdhsa_exception_fp_ieee_invalid_op 0
		.amdhsa_exception_fp_denorm_src 0
		.amdhsa_exception_fp_ieee_div_zero 0
		.amdhsa_exception_fp_ieee_overflow 0
		.amdhsa_exception_fp_ieee_underflow 0
		.amdhsa_exception_fp_ieee_inexact 0
		.amdhsa_exception_int_div_zero 0
	.end_amdhsa_kernel
	.section	.text._Z38paged_attention_ll4mi_QKV_mfma4_kernelIDF16_hLN4vllm18Fp8KVCacheDataTypeE1EhLi32ELi128ELi256ELb1ELi2EEvPKT_PKT0_S7_ifPKiS9_S9_iPKfiiiPfSC_PS2_PT2_iSB_SB_,"axG",@progbits,_Z38paged_attention_ll4mi_QKV_mfma4_kernelIDF16_hLN4vllm18Fp8KVCacheDataTypeE1EhLi32ELi128ELi256ELb1ELi2EEvPKT_PKT0_S7_ifPKiS9_S9_iPKfiiiPfSC_PS2_PT2_iSB_SB_,comdat
.Lfunc_end1011:
	.size	_Z38paged_attention_ll4mi_QKV_mfma4_kernelIDF16_hLN4vllm18Fp8KVCacheDataTypeE1EhLi32ELi128ELi256ELb1ELi2EEvPKT_PKT0_S7_ifPKiS9_S9_iPKfiiiPfSC_PS2_PT2_iSB_SB_, .Lfunc_end1011-_Z38paged_attention_ll4mi_QKV_mfma4_kernelIDF16_hLN4vllm18Fp8KVCacheDataTypeE1EhLi32ELi128ELi256ELb1ELi2EEvPKT_PKT0_S7_ifPKiS9_S9_iPKfiiiPfSC_PS2_PT2_iSB_SB_
                                        ; -- End function
	.set _Z38paged_attention_ll4mi_QKV_mfma4_kernelIDF16_hLN4vllm18Fp8KVCacheDataTypeE1EhLi32ELi128ELi256ELb1ELi2EEvPKT_PKT0_S7_ifPKiS9_S9_iPKfiiiPfSC_PS2_PT2_iSB_SB_.num_vgpr, max(3, .L__assert_fail.num_vgpr)
	.set _Z38paged_attention_ll4mi_QKV_mfma4_kernelIDF16_hLN4vllm18Fp8KVCacheDataTypeE1EhLi32ELi128ELi256ELb1ELi2EEvPKT_PKT0_S7_ifPKiS9_S9_iPKfiiiPfSC_PS2_PT2_iSB_SB_.num_agpr, max(0, .L__assert_fail.num_agpr)
	.set _Z38paged_attention_ll4mi_QKV_mfma4_kernelIDF16_hLN4vllm18Fp8KVCacheDataTypeE1EhLi32ELi128ELi256ELb1ELi2EEvPKT_PKT0_S7_ifPKiS9_S9_iPKfiiiPfSC_PS2_PT2_iSB_SB_.numbered_sgpr, max(33, .L__assert_fail.numbered_sgpr)
	.set _Z38paged_attention_ll4mi_QKV_mfma4_kernelIDF16_hLN4vllm18Fp8KVCacheDataTypeE1EhLi32ELi128ELi256ELb1ELi2EEvPKT_PKT0_S7_ifPKiS9_S9_iPKfiiiPfSC_PS2_PT2_iSB_SB_.num_named_barrier, max(0, .L__assert_fail.num_named_barrier)
	.set _Z38paged_attention_ll4mi_QKV_mfma4_kernelIDF16_hLN4vllm18Fp8KVCacheDataTypeE1EhLi32ELi128ELi256ELb1ELi2EEvPKT_PKT0_S7_ifPKiS9_S9_iPKfiiiPfSC_PS2_PT2_iSB_SB_.private_seg_size, 0+max(.L__assert_fail.private_seg_size)
	.set _Z38paged_attention_ll4mi_QKV_mfma4_kernelIDF16_hLN4vllm18Fp8KVCacheDataTypeE1EhLi32ELi128ELi256ELb1ELi2EEvPKT_PKT0_S7_ifPKiS9_S9_iPKfiiiPfSC_PS2_PT2_iSB_SB_.uses_vcc, or(1, .L__assert_fail.uses_vcc)
	.set _Z38paged_attention_ll4mi_QKV_mfma4_kernelIDF16_hLN4vllm18Fp8KVCacheDataTypeE1EhLi32ELi128ELi256ELb1ELi2EEvPKT_PKT0_S7_ifPKiS9_S9_iPKfiiiPfSC_PS2_PT2_iSB_SB_.uses_flat_scratch, or(0, .L__assert_fail.uses_flat_scratch)
	.set _Z38paged_attention_ll4mi_QKV_mfma4_kernelIDF16_hLN4vllm18Fp8KVCacheDataTypeE1EhLi32ELi128ELi256ELb1ELi2EEvPKT_PKT0_S7_ifPKiS9_S9_iPKfiiiPfSC_PS2_PT2_iSB_SB_.has_dyn_sized_stack, or(0, .L__assert_fail.has_dyn_sized_stack)
	.set _Z38paged_attention_ll4mi_QKV_mfma4_kernelIDF16_hLN4vllm18Fp8KVCacheDataTypeE1EhLi32ELi128ELi256ELb1ELi2EEvPKT_PKT0_S7_ifPKiS9_S9_iPKfiiiPfSC_PS2_PT2_iSB_SB_.has_recursion, or(0, .L__assert_fail.has_recursion)
	.set _Z38paged_attention_ll4mi_QKV_mfma4_kernelIDF16_hLN4vllm18Fp8KVCacheDataTypeE1EhLi32ELi128ELi256ELb1ELi2EEvPKT_PKT0_S7_ifPKiS9_S9_iPKfiiiPfSC_PS2_PT2_iSB_SB_.has_indirect_call, or(0, .L__assert_fail.has_indirect_call)
	.section	.AMDGPU.csdata,"",@progbits
; Kernel info:
; codeLenInByte = 68
; TotalNumSgprs: 36
; NumVgprs: 51
; ScratchSize: 64
; MemoryBound: 0
; FloatMode: 240
; IeeeMode: 1
; LDSByteSize: 0 bytes/workgroup (compile time only)
; SGPRBlocks: 0
; VGPRBlocks: 3
; NumSGPRsForWavesPerEU: 36
; NumVGPRsForWavesPerEU: 51
; NamedBarCnt: 0
; Occupancy: 16
; WaveLimiterHint : 1
; COMPUTE_PGM_RSRC2:SCRATCH_EN: 1
; COMPUTE_PGM_RSRC2:USER_SGPR: 2
; COMPUTE_PGM_RSRC2:TRAP_HANDLER: 0
; COMPUTE_PGM_RSRC2:TGID_X_EN: 1
; COMPUTE_PGM_RSRC2:TGID_Y_EN: 0
; COMPUTE_PGM_RSRC2:TGID_Z_EN: 0
; COMPUTE_PGM_RSRC2:TIDIG_COMP_CNT: 0
	.section	.text._Z38paged_attention_ll4mi_QKV_mfma4_kernelIDF16_hLN4vllm18Fp8KVCacheDataTypeE1EhLi32ELi128ELi256ELb1ELi3EEvPKT_PKT0_S7_ifPKiS9_S9_iPKfiiiPfSC_PS2_PT2_iSB_SB_,"axG",@progbits,_Z38paged_attention_ll4mi_QKV_mfma4_kernelIDF16_hLN4vllm18Fp8KVCacheDataTypeE1EhLi32ELi128ELi256ELb1ELi3EEvPKT_PKT0_S7_ifPKiS9_S9_iPKfiiiPfSC_PS2_PT2_iSB_SB_,comdat
	.protected	_Z38paged_attention_ll4mi_QKV_mfma4_kernelIDF16_hLN4vllm18Fp8KVCacheDataTypeE1EhLi32ELi128ELi256ELb1ELi3EEvPKT_PKT0_S7_ifPKiS9_S9_iPKfiiiPfSC_PS2_PT2_iSB_SB_ ; -- Begin function _Z38paged_attention_ll4mi_QKV_mfma4_kernelIDF16_hLN4vllm18Fp8KVCacheDataTypeE1EhLi32ELi128ELi256ELb1ELi3EEvPKT_PKT0_S7_ifPKiS9_S9_iPKfiiiPfSC_PS2_PT2_iSB_SB_
	.globl	_Z38paged_attention_ll4mi_QKV_mfma4_kernelIDF16_hLN4vllm18Fp8KVCacheDataTypeE1EhLi32ELi128ELi256ELb1ELi3EEvPKT_PKT0_S7_ifPKiS9_S9_iPKfiiiPfSC_PS2_PT2_iSB_SB_
	.p2align	8
	.type	_Z38paged_attention_ll4mi_QKV_mfma4_kernelIDF16_hLN4vllm18Fp8KVCacheDataTypeE1EhLi32ELi128ELi256ELb1ELi3EEvPKT_PKT0_S7_ifPKiS9_S9_iPKfiiiPfSC_PS2_PT2_iSB_SB_,@function
_Z38paged_attention_ll4mi_QKV_mfma4_kernelIDF16_hLN4vllm18Fp8KVCacheDataTypeE1EhLi32ELi128ELi256ELb1ELi3EEvPKT_PKT0_S7_ifPKiS9_S9_iPKfiiiPfSC_PS2_PT2_iSB_SB_: ; @_Z38paged_attention_ll4mi_QKV_mfma4_kernelIDF16_hLN4vllm18Fp8KVCacheDataTypeE1EhLi32ELi128ELi256ELb1ELi3EEvPKT_PKT0_S7_ifPKiS9_S9_iPKfiiiPfSC_PS2_PT2_iSB_SB_
; %bb.0:
	s_get_pc_i64 s[2:3]
	s_add_nc_u64 s[2:3], s[2:3], __PRETTY_FUNCTION__._Z38paged_attention_ll4mi_QKV_mfma4_kernelIDF16_hLN4vllm18Fp8KVCacheDataTypeE1EhLi32ELi128ELi256ELb1ELi3EEvPKT_PKT0_S7_ifPKiS9_S9_iPKfiiiPfSC_PS2_PT2_iSB_SB_@rel64+4
	s_delay_alu instid0(SALU_CYCLE_1)
	v_dual_mov_b32 v0, 0xbce :: v_dual_mov_b32 v1, s2
	v_mov_b32_e32 v2, s3
	s_add_nc_u64 s[8:9], s[0:1], 0x90
	s_get_pc_i64 s[0:1]
	s_add_nc_u64 s[0:1], s[0:1], __assert_fail@rel64+4
	s_mov_b32 s32, 0
	s_swap_pc_i64 s[30:31], s[0:1]
	.section	.rodata,"a",@progbits
	.p2align	6, 0x0
	.amdhsa_kernel _Z38paged_attention_ll4mi_QKV_mfma4_kernelIDF16_hLN4vllm18Fp8KVCacheDataTypeE1EhLi32ELi128ELi256ELb1ELi3EEvPKT_PKT0_S7_ifPKiS9_S9_iPKfiiiPfSC_PS2_PT2_iSB_SB_
		.amdhsa_group_segment_fixed_size 0
		.amdhsa_private_segment_fixed_size 64
		.amdhsa_kernarg_size 400
		.amdhsa_user_sgpr_count 2
		.amdhsa_user_sgpr_dispatch_ptr 0
		.amdhsa_user_sgpr_queue_ptr 0
		.amdhsa_user_sgpr_kernarg_segment_ptr 1
		.amdhsa_user_sgpr_dispatch_id 0
		.amdhsa_user_sgpr_kernarg_preload_length 0
		.amdhsa_user_sgpr_kernarg_preload_offset 0
		.amdhsa_user_sgpr_private_segment_size 0
		.amdhsa_wavefront_size32 1
		.amdhsa_uses_dynamic_stack 0
		.amdhsa_enable_private_segment 1
		.amdhsa_system_sgpr_workgroup_id_x 1
		.amdhsa_system_sgpr_workgroup_id_y 0
		.amdhsa_system_sgpr_workgroup_id_z 0
		.amdhsa_system_sgpr_workgroup_info 0
		.amdhsa_system_vgpr_workitem_id 0
		.amdhsa_next_free_vgpr 51
		.amdhsa_next_free_sgpr 34
		.amdhsa_named_barrier_count 0
		.amdhsa_reserve_vcc 1
		.amdhsa_float_round_mode_32 0
		.amdhsa_float_round_mode_16_64 0
		.amdhsa_float_denorm_mode_32 3
		.amdhsa_float_denorm_mode_16_64 3
		.amdhsa_fp16_overflow 0
		.amdhsa_memory_ordered 1
		.amdhsa_forward_progress 1
		.amdhsa_inst_pref_size 1
		.amdhsa_round_robin_scheduling 0
		.amdhsa_exception_fp_ieee_invalid_op 0
		.amdhsa_exception_fp_denorm_src 0
		.amdhsa_exception_fp_ieee_div_zero 0
		.amdhsa_exception_fp_ieee_overflow 0
		.amdhsa_exception_fp_ieee_underflow 0
		.amdhsa_exception_fp_ieee_inexact 0
		.amdhsa_exception_int_div_zero 0
	.end_amdhsa_kernel
	.section	.text._Z38paged_attention_ll4mi_QKV_mfma4_kernelIDF16_hLN4vllm18Fp8KVCacheDataTypeE1EhLi32ELi128ELi256ELb1ELi3EEvPKT_PKT0_S7_ifPKiS9_S9_iPKfiiiPfSC_PS2_PT2_iSB_SB_,"axG",@progbits,_Z38paged_attention_ll4mi_QKV_mfma4_kernelIDF16_hLN4vllm18Fp8KVCacheDataTypeE1EhLi32ELi128ELi256ELb1ELi3EEvPKT_PKT0_S7_ifPKiS9_S9_iPKfiiiPfSC_PS2_PT2_iSB_SB_,comdat
.Lfunc_end1012:
	.size	_Z38paged_attention_ll4mi_QKV_mfma4_kernelIDF16_hLN4vllm18Fp8KVCacheDataTypeE1EhLi32ELi128ELi256ELb1ELi3EEvPKT_PKT0_S7_ifPKiS9_S9_iPKfiiiPfSC_PS2_PT2_iSB_SB_, .Lfunc_end1012-_Z38paged_attention_ll4mi_QKV_mfma4_kernelIDF16_hLN4vllm18Fp8KVCacheDataTypeE1EhLi32ELi128ELi256ELb1ELi3EEvPKT_PKT0_S7_ifPKiS9_S9_iPKfiiiPfSC_PS2_PT2_iSB_SB_
                                        ; -- End function
	.set _Z38paged_attention_ll4mi_QKV_mfma4_kernelIDF16_hLN4vllm18Fp8KVCacheDataTypeE1EhLi32ELi128ELi256ELb1ELi3EEvPKT_PKT0_S7_ifPKiS9_S9_iPKfiiiPfSC_PS2_PT2_iSB_SB_.num_vgpr, max(3, .L__assert_fail.num_vgpr)
	.set _Z38paged_attention_ll4mi_QKV_mfma4_kernelIDF16_hLN4vllm18Fp8KVCacheDataTypeE1EhLi32ELi128ELi256ELb1ELi3EEvPKT_PKT0_S7_ifPKiS9_S9_iPKfiiiPfSC_PS2_PT2_iSB_SB_.num_agpr, max(0, .L__assert_fail.num_agpr)
	.set _Z38paged_attention_ll4mi_QKV_mfma4_kernelIDF16_hLN4vllm18Fp8KVCacheDataTypeE1EhLi32ELi128ELi256ELb1ELi3EEvPKT_PKT0_S7_ifPKiS9_S9_iPKfiiiPfSC_PS2_PT2_iSB_SB_.numbered_sgpr, max(33, .L__assert_fail.numbered_sgpr)
	.set _Z38paged_attention_ll4mi_QKV_mfma4_kernelIDF16_hLN4vllm18Fp8KVCacheDataTypeE1EhLi32ELi128ELi256ELb1ELi3EEvPKT_PKT0_S7_ifPKiS9_S9_iPKfiiiPfSC_PS2_PT2_iSB_SB_.num_named_barrier, max(0, .L__assert_fail.num_named_barrier)
	.set _Z38paged_attention_ll4mi_QKV_mfma4_kernelIDF16_hLN4vllm18Fp8KVCacheDataTypeE1EhLi32ELi128ELi256ELb1ELi3EEvPKT_PKT0_S7_ifPKiS9_S9_iPKfiiiPfSC_PS2_PT2_iSB_SB_.private_seg_size, 0+max(.L__assert_fail.private_seg_size)
	.set _Z38paged_attention_ll4mi_QKV_mfma4_kernelIDF16_hLN4vllm18Fp8KVCacheDataTypeE1EhLi32ELi128ELi256ELb1ELi3EEvPKT_PKT0_S7_ifPKiS9_S9_iPKfiiiPfSC_PS2_PT2_iSB_SB_.uses_vcc, or(1, .L__assert_fail.uses_vcc)
	.set _Z38paged_attention_ll4mi_QKV_mfma4_kernelIDF16_hLN4vllm18Fp8KVCacheDataTypeE1EhLi32ELi128ELi256ELb1ELi3EEvPKT_PKT0_S7_ifPKiS9_S9_iPKfiiiPfSC_PS2_PT2_iSB_SB_.uses_flat_scratch, or(0, .L__assert_fail.uses_flat_scratch)
	.set _Z38paged_attention_ll4mi_QKV_mfma4_kernelIDF16_hLN4vllm18Fp8KVCacheDataTypeE1EhLi32ELi128ELi256ELb1ELi3EEvPKT_PKT0_S7_ifPKiS9_S9_iPKfiiiPfSC_PS2_PT2_iSB_SB_.has_dyn_sized_stack, or(0, .L__assert_fail.has_dyn_sized_stack)
	.set _Z38paged_attention_ll4mi_QKV_mfma4_kernelIDF16_hLN4vllm18Fp8KVCacheDataTypeE1EhLi32ELi128ELi256ELb1ELi3EEvPKT_PKT0_S7_ifPKiS9_S9_iPKfiiiPfSC_PS2_PT2_iSB_SB_.has_recursion, or(0, .L__assert_fail.has_recursion)
	.set _Z38paged_attention_ll4mi_QKV_mfma4_kernelIDF16_hLN4vllm18Fp8KVCacheDataTypeE1EhLi32ELi128ELi256ELb1ELi3EEvPKT_PKT0_S7_ifPKiS9_S9_iPKfiiiPfSC_PS2_PT2_iSB_SB_.has_indirect_call, or(0, .L__assert_fail.has_indirect_call)
	.section	.AMDGPU.csdata,"",@progbits
; Kernel info:
; codeLenInByte = 68
; TotalNumSgprs: 36
; NumVgprs: 51
; ScratchSize: 64
; MemoryBound: 0
; FloatMode: 240
; IeeeMode: 1
; LDSByteSize: 0 bytes/workgroup (compile time only)
; SGPRBlocks: 0
; VGPRBlocks: 3
; NumSGPRsForWavesPerEU: 36
; NumVGPRsForWavesPerEU: 51
; NamedBarCnt: 0
; Occupancy: 16
; WaveLimiterHint : 1
; COMPUTE_PGM_RSRC2:SCRATCH_EN: 1
; COMPUTE_PGM_RSRC2:USER_SGPR: 2
; COMPUTE_PGM_RSRC2:TRAP_HANDLER: 0
; COMPUTE_PGM_RSRC2:TGID_X_EN: 1
; COMPUTE_PGM_RSRC2:TGID_Y_EN: 0
; COMPUTE_PGM_RSRC2:TGID_Z_EN: 0
; COMPUTE_PGM_RSRC2:TIDIG_COMP_CNT: 0
	.section	.text._Z38paged_attention_ll4mi_QKV_mfma4_kernelIDF16_hLN4vllm18Fp8KVCacheDataTypeE1EhLi32ELi128ELi256ELb1ELi4EEvPKT_PKT0_S7_ifPKiS9_S9_iPKfiiiPfSC_PS2_PT2_iSB_SB_,"axG",@progbits,_Z38paged_attention_ll4mi_QKV_mfma4_kernelIDF16_hLN4vllm18Fp8KVCacheDataTypeE1EhLi32ELi128ELi256ELb1ELi4EEvPKT_PKT0_S7_ifPKiS9_S9_iPKfiiiPfSC_PS2_PT2_iSB_SB_,comdat
	.protected	_Z38paged_attention_ll4mi_QKV_mfma4_kernelIDF16_hLN4vllm18Fp8KVCacheDataTypeE1EhLi32ELi128ELi256ELb1ELi4EEvPKT_PKT0_S7_ifPKiS9_S9_iPKfiiiPfSC_PS2_PT2_iSB_SB_ ; -- Begin function _Z38paged_attention_ll4mi_QKV_mfma4_kernelIDF16_hLN4vllm18Fp8KVCacheDataTypeE1EhLi32ELi128ELi256ELb1ELi4EEvPKT_PKT0_S7_ifPKiS9_S9_iPKfiiiPfSC_PS2_PT2_iSB_SB_
	.globl	_Z38paged_attention_ll4mi_QKV_mfma4_kernelIDF16_hLN4vllm18Fp8KVCacheDataTypeE1EhLi32ELi128ELi256ELb1ELi4EEvPKT_PKT0_S7_ifPKiS9_S9_iPKfiiiPfSC_PS2_PT2_iSB_SB_
	.p2align	8
	.type	_Z38paged_attention_ll4mi_QKV_mfma4_kernelIDF16_hLN4vllm18Fp8KVCacheDataTypeE1EhLi32ELi128ELi256ELb1ELi4EEvPKT_PKT0_S7_ifPKiS9_S9_iPKfiiiPfSC_PS2_PT2_iSB_SB_,@function
_Z38paged_attention_ll4mi_QKV_mfma4_kernelIDF16_hLN4vllm18Fp8KVCacheDataTypeE1EhLi32ELi128ELi256ELb1ELi4EEvPKT_PKT0_S7_ifPKiS9_S9_iPKfiiiPfSC_PS2_PT2_iSB_SB_: ; @_Z38paged_attention_ll4mi_QKV_mfma4_kernelIDF16_hLN4vllm18Fp8KVCacheDataTypeE1EhLi32ELi128ELi256ELb1ELi4EEvPKT_PKT0_S7_ifPKiS9_S9_iPKfiiiPfSC_PS2_PT2_iSB_SB_
; %bb.0:
	s_get_pc_i64 s[2:3]
	s_add_nc_u64 s[2:3], s[2:3], __PRETTY_FUNCTION__._Z38paged_attention_ll4mi_QKV_mfma4_kernelIDF16_hLN4vllm18Fp8KVCacheDataTypeE1EhLi32ELi128ELi256ELb1ELi4EEvPKT_PKT0_S7_ifPKiS9_S9_iPKfiiiPfSC_PS2_PT2_iSB_SB_@rel64+4
	s_delay_alu instid0(SALU_CYCLE_1)
	v_dual_mov_b32 v0, 0xbce :: v_dual_mov_b32 v1, s2
	v_mov_b32_e32 v2, s3
	s_add_nc_u64 s[8:9], s[0:1], 0x90
	s_get_pc_i64 s[0:1]
	s_add_nc_u64 s[0:1], s[0:1], __assert_fail@rel64+4
	s_mov_b32 s32, 0
	s_swap_pc_i64 s[30:31], s[0:1]
	.section	.rodata,"a",@progbits
	.p2align	6, 0x0
	.amdhsa_kernel _Z38paged_attention_ll4mi_QKV_mfma4_kernelIDF16_hLN4vllm18Fp8KVCacheDataTypeE1EhLi32ELi128ELi256ELb1ELi4EEvPKT_PKT0_S7_ifPKiS9_S9_iPKfiiiPfSC_PS2_PT2_iSB_SB_
		.amdhsa_group_segment_fixed_size 0
		.amdhsa_private_segment_fixed_size 64
		.amdhsa_kernarg_size 400
		.amdhsa_user_sgpr_count 2
		.amdhsa_user_sgpr_dispatch_ptr 0
		.amdhsa_user_sgpr_queue_ptr 0
		.amdhsa_user_sgpr_kernarg_segment_ptr 1
		.amdhsa_user_sgpr_dispatch_id 0
		.amdhsa_user_sgpr_kernarg_preload_length 0
		.amdhsa_user_sgpr_kernarg_preload_offset 0
		.amdhsa_user_sgpr_private_segment_size 0
		.amdhsa_wavefront_size32 1
		.amdhsa_uses_dynamic_stack 0
		.amdhsa_enable_private_segment 1
		.amdhsa_system_sgpr_workgroup_id_x 1
		.amdhsa_system_sgpr_workgroup_id_y 0
		.amdhsa_system_sgpr_workgroup_id_z 0
		.amdhsa_system_sgpr_workgroup_info 0
		.amdhsa_system_vgpr_workitem_id 0
		.amdhsa_next_free_vgpr 51
		.amdhsa_next_free_sgpr 34
		.amdhsa_named_barrier_count 0
		.amdhsa_reserve_vcc 1
		.amdhsa_float_round_mode_32 0
		.amdhsa_float_round_mode_16_64 0
		.amdhsa_float_denorm_mode_32 3
		.amdhsa_float_denorm_mode_16_64 3
		.amdhsa_fp16_overflow 0
		.amdhsa_memory_ordered 1
		.amdhsa_forward_progress 1
		.amdhsa_inst_pref_size 1
		.amdhsa_round_robin_scheduling 0
		.amdhsa_exception_fp_ieee_invalid_op 0
		.amdhsa_exception_fp_denorm_src 0
		.amdhsa_exception_fp_ieee_div_zero 0
		.amdhsa_exception_fp_ieee_overflow 0
		.amdhsa_exception_fp_ieee_underflow 0
		.amdhsa_exception_fp_ieee_inexact 0
		.amdhsa_exception_int_div_zero 0
	.end_amdhsa_kernel
	.section	.text._Z38paged_attention_ll4mi_QKV_mfma4_kernelIDF16_hLN4vllm18Fp8KVCacheDataTypeE1EhLi32ELi128ELi256ELb1ELi4EEvPKT_PKT0_S7_ifPKiS9_S9_iPKfiiiPfSC_PS2_PT2_iSB_SB_,"axG",@progbits,_Z38paged_attention_ll4mi_QKV_mfma4_kernelIDF16_hLN4vllm18Fp8KVCacheDataTypeE1EhLi32ELi128ELi256ELb1ELi4EEvPKT_PKT0_S7_ifPKiS9_S9_iPKfiiiPfSC_PS2_PT2_iSB_SB_,comdat
.Lfunc_end1013:
	.size	_Z38paged_attention_ll4mi_QKV_mfma4_kernelIDF16_hLN4vllm18Fp8KVCacheDataTypeE1EhLi32ELi128ELi256ELb1ELi4EEvPKT_PKT0_S7_ifPKiS9_S9_iPKfiiiPfSC_PS2_PT2_iSB_SB_, .Lfunc_end1013-_Z38paged_attention_ll4mi_QKV_mfma4_kernelIDF16_hLN4vllm18Fp8KVCacheDataTypeE1EhLi32ELi128ELi256ELb1ELi4EEvPKT_PKT0_S7_ifPKiS9_S9_iPKfiiiPfSC_PS2_PT2_iSB_SB_
                                        ; -- End function
	.set _Z38paged_attention_ll4mi_QKV_mfma4_kernelIDF16_hLN4vllm18Fp8KVCacheDataTypeE1EhLi32ELi128ELi256ELb1ELi4EEvPKT_PKT0_S7_ifPKiS9_S9_iPKfiiiPfSC_PS2_PT2_iSB_SB_.num_vgpr, max(3, .L__assert_fail.num_vgpr)
	.set _Z38paged_attention_ll4mi_QKV_mfma4_kernelIDF16_hLN4vllm18Fp8KVCacheDataTypeE1EhLi32ELi128ELi256ELb1ELi4EEvPKT_PKT0_S7_ifPKiS9_S9_iPKfiiiPfSC_PS2_PT2_iSB_SB_.num_agpr, max(0, .L__assert_fail.num_agpr)
	.set _Z38paged_attention_ll4mi_QKV_mfma4_kernelIDF16_hLN4vllm18Fp8KVCacheDataTypeE1EhLi32ELi128ELi256ELb1ELi4EEvPKT_PKT0_S7_ifPKiS9_S9_iPKfiiiPfSC_PS2_PT2_iSB_SB_.numbered_sgpr, max(33, .L__assert_fail.numbered_sgpr)
	.set _Z38paged_attention_ll4mi_QKV_mfma4_kernelIDF16_hLN4vllm18Fp8KVCacheDataTypeE1EhLi32ELi128ELi256ELb1ELi4EEvPKT_PKT0_S7_ifPKiS9_S9_iPKfiiiPfSC_PS2_PT2_iSB_SB_.num_named_barrier, max(0, .L__assert_fail.num_named_barrier)
	.set _Z38paged_attention_ll4mi_QKV_mfma4_kernelIDF16_hLN4vllm18Fp8KVCacheDataTypeE1EhLi32ELi128ELi256ELb1ELi4EEvPKT_PKT0_S7_ifPKiS9_S9_iPKfiiiPfSC_PS2_PT2_iSB_SB_.private_seg_size, 0+max(.L__assert_fail.private_seg_size)
	.set _Z38paged_attention_ll4mi_QKV_mfma4_kernelIDF16_hLN4vllm18Fp8KVCacheDataTypeE1EhLi32ELi128ELi256ELb1ELi4EEvPKT_PKT0_S7_ifPKiS9_S9_iPKfiiiPfSC_PS2_PT2_iSB_SB_.uses_vcc, or(1, .L__assert_fail.uses_vcc)
	.set _Z38paged_attention_ll4mi_QKV_mfma4_kernelIDF16_hLN4vllm18Fp8KVCacheDataTypeE1EhLi32ELi128ELi256ELb1ELi4EEvPKT_PKT0_S7_ifPKiS9_S9_iPKfiiiPfSC_PS2_PT2_iSB_SB_.uses_flat_scratch, or(0, .L__assert_fail.uses_flat_scratch)
	.set _Z38paged_attention_ll4mi_QKV_mfma4_kernelIDF16_hLN4vllm18Fp8KVCacheDataTypeE1EhLi32ELi128ELi256ELb1ELi4EEvPKT_PKT0_S7_ifPKiS9_S9_iPKfiiiPfSC_PS2_PT2_iSB_SB_.has_dyn_sized_stack, or(0, .L__assert_fail.has_dyn_sized_stack)
	.set _Z38paged_attention_ll4mi_QKV_mfma4_kernelIDF16_hLN4vllm18Fp8KVCacheDataTypeE1EhLi32ELi128ELi256ELb1ELi4EEvPKT_PKT0_S7_ifPKiS9_S9_iPKfiiiPfSC_PS2_PT2_iSB_SB_.has_recursion, or(0, .L__assert_fail.has_recursion)
	.set _Z38paged_attention_ll4mi_QKV_mfma4_kernelIDF16_hLN4vllm18Fp8KVCacheDataTypeE1EhLi32ELi128ELi256ELb1ELi4EEvPKT_PKT0_S7_ifPKiS9_S9_iPKfiiiPfSC_PS2_PT2_iSB_SB_.has_indirect_call, or(0, .L__assert_fail.has_indirect_call)
	.section	.AMDGPU.csdata,"",@progbits
; Kernel info:
; codeLenInByte = 68
; TotalNumSgprs: 36
; NumVgprs: 51
; ScratchSize: 64
; MemoryBound: 0
; FloatMode: 240
; IeeeMode: 1
; LDSByteSize: 0 bytes/workgroup (compile time only)
; SGPRBlocks: 0
; VGPRBlocks: 3
; NumSGPRsForWavesPerEU: 36
; NumVGPRsForWavesPerEU: 51
; NamedBarCnt: 0
; Occupancy: 16
; WaveLimiterHint : 1
; COMPUTE_PGM_RSRC2:SCRATCH_EN: 1
; COMPUTE_PGM_RSRC2:USER_SGPR: 2
; COMPUTE_PGM_RSRC2:TRAP_HANDLER: 0
; COMPUTE_PGM_RSRC2:TGID_X_EN: 1
; COMPUTE_PGM_RSRC2:TGID_Y_EN: 0
; COMPUTE_PGM_RSRC2:TGID_Z_EN: 0
; COMPUTE_PGM_RSRC2:TIDIG_COMP_CNT: 0
	.section	.text._Z39paged_attention_ll4mi_QKV_mfma16_kernelIDF16_hLN4vllm18Fp8KVCacheDataTypeE1EhLi32ELi128ELi256ELb1ELi5EEvPKT_PKT0_S7_ifPKiS9_S9_iPKfiiiPfSC_PS2_PT2_iSB_SB_,"axG",@progbits,_Z39paged_attention_ll4mi_QKV_mfma16_kernelIDF16_hLN4vllm18Fp8KVCacheDataTypeE1EhLi32ELi128ELi256ELb1ELi5EEvPKT_PKT0_S7_ifPKiS9_S9_iPKfiiiPfSC_PS2_PT2_iSB_SB_,comdat
	.protected	_Z39paged_attention_ll4mi_QKV_mfma16_kernelIDF16_hLN4vllm18Fp8KVCacheDataTypeE1EhLi32ELi128ELi256ELb1ELi5EEvPKT_PKT0_S7_ifPKiS9_S9_iPKfiiiPfSC_PS2_PT2_iSB_SB_ ; -- Begin function _Z39paged_attention_ll4mi_QKV_mfma16_kernelIDF16_hLN4vllm18Fp8KVCacheDataTypeE1EhLi32ELi128ELi256ELb1ELi5EEvPKT_PKT0_S7_ifPKiS9_S9_iPKfiiiPfSC_PS2_PT2_iSB_SB_
	.globl	_Z39paged_attention_ll4mi_QKV_mfma16_kernelIDF16_hLN4vllm18Fp8KVCacheDataTypeE1EhLi32ELi128ELi256ELb1ELi5EEvPKT_PKT0_S7_ifPKiS9_S9_iPKfiiiPfSC_PS2_PT2_iSB_SB_
	.p2align	8
	.type	_Z39paged_attention_ll4mi_QKV_mfma16_kernelIDF16_hLN4vllm18Fp8KVCacheDataTypeE1EhLi32ELi128ELi256ELb1ELi5EEvPKT_PKT0_S7_ifPKiS9_S9_iPKfiiiPfSC_PS2_PT2_iSB_SB_,@function
_Z39paged_attention_ll4mi_QKV_mfma16_kernelIDF16_hLN4vllm18Fp8KVCacheDataTypeE1EhLi32ELi128ELi256ELb1ELi5EEvPKT_PKT0_S7_ifPKiS9_S9_iPKfiiiPfSC_PS2_PT2_iSB_SB_: ; @_Z39paged_attention_ll4mi_QKV_mfma16_kernelIDF16_hLN4vllm18Fp8KVCacheDataTypeE1EhLi32ELi128ELi256ELb1ELi5EEvPKT_PKT0_S7_ifPKiS9_S9_iPKfiiiPfSC_PS2_PT2_iSB_SB_
; %bb.0:
	s_get_pc_i64 s[2:3]
	s_add_nc_u64 s[2:3], s[2:3], __PRETTY_FUNCTION__._Z39paged_attention_ll4mi_QKV_mfma16_kernelIDF16_hLN4vllm18Fp8KVCacheDataTypeE1EhLi32ELi128ELi256ELb1ELi5EEvPKT_PKT0_S7_ifPKiS9_S9_iPKfiiiPfSC_PS2_PT2_iSB_SB_@rel64+4
	s_delay_alu instid0(SALU_CYCLE_1)
	v_dual_mov_b32 v0, 0xbb3 :: v_dual_mov_b32 v1, s2
	v_mov_b32_e32 v2, s3
	s_add_nc_u64 s[8:9], s[0:1], 0x90
	s_get_pc_i64 s[0:1]
	s_add_nc_u64 s[0:1], s[0:1], __assert_fail@rel64+4
	s_mov_b32 s32, 0
	s_swap_pc_i64 s[30:31], s[0:1]
	.section	.rodata,"a",@progbits
	.p2align	6, 0x0
	.amdhsa_kernel _Z39paged_attention_ll4mi_QKV_mfma16_kernelIDF16_hLN4vllm18Fp8KVCacheDataTypeE1EhLi32ELi128ELi256ELb1ELi5EEvPKT_PKT0_S7_ifPKiS9_S9_iPKfiiiPfSC_PS2_PT2_iSB_SB_
		.amdhsa_group_segment_fixed_size 0
		.amdhsa_private_segment_fixed_size 64
		.amdhsa_kernarg_size 400
		.amdhsa_user_sgpr_count 2
		.amdhsa_user_sgpr_dispatch_ptr 0
		.amdhsa_user_sgpr_queue_ptr 0
		.amdhsa_user_sgpr_kernarg_segment_ptr 1
		.amdhsa_user_sgpr_dispatch_id 0
		.amdhsa_user_sgpr_kernarg_preload_length 0
		.amdhsa_user_sgpr_kernarg_preload_offset 0
		.amdhsa_user_sgpr_private_segment_size 0
		.amdhsa_wavefront_size32 1
		.amdhsa_uses_dynamic_stack 0
		.amdhsa_enable_private_segment 1
		.amdhsa_system_sgpr_workgroup_id_x 1
		.amdhsa_system_sgpr_workgroup_id_y 0
		.amdhsa_system_sgpr_workgroup_id_z 0
		.amdhsa_system_sgpr_workgroup_info 0
		.amdhsa_system_vgpr_workitem_id 0
		.amdhsa_next_free_vgpr 51
		.amdhsa_next_free_sgpr 34
		.amdhsa_named_barrier_count 0
		.amdhsa_reserve_vcc 1
		.amdhsa_float_round_mode_32 0
		.amdhsa_float_round_mode_16_64 0
		.amdhsa_float_denorm_mode_32 3
		.amdhsa_float_denorm_mode_16_64 3
		.amdhsa_fp16_overflow 0
		.amdhsa_memory_ordered 1
		.amdhsa_forward_progress 1
		.amdhsa_inst_pref_size 1
		.amdhsa_round_robin_scheduling 0
		.amdhsa_exception_fp_ieee_invalid_op 0
		.amdhsa_exception_fp_denorm_src 0
		.amdhsa_exception_fp_ieee_div_zero 0
		.amdhsa_exception_fp_ieee_overflow 0
		.amdhsa_exception_fp_ieee_underflow 0
		.amdhsa_exception_fp_ieee_inexact 0
		.amdhsa_exception_int_div_zero 0
	.end_amdhsa_kernel
	.section	.text._Z39paged_attention_ll4mi_QKV_mfma16_kernelIDF16_hLN4vllm18Fp8KVCacheDataTypeE1EhLi32ELi128ELi256ELb1ELi5EEvPKT_PKT0_S7_ifPKiS9_S9_iPKfiiiPfSC_PS2_PT2_iSB_SB_,"axG",@progbits,_Z39paged_attention_ll4mi_QKV_mfma16_kernelIDF16_hLN4vllm18Fp8KVCacheDataTypeE1EhLi32ELi128ELi256ELb1ELi5EEvPKT_PKT0_S7_ifPKiS9_S9_iPKfiiiPfSC_PS2_PT2_iSB_SB_,comdat
.Lfunc_end1014:
	.size	_Z39paged_attention_ll4mi_QKV_mfma16_kernelIDF16_hLN4vllm18Fp8KVCacheDataTypeE1EhLi32ELi128ELi256ELb1ELi5EEvPKT_PKT0_S7_ifPKiS9_S9_iPKfiiiPfSC_PS2_PT2_iSB_SB_, .Lfunc_end1014-_Z39paged_attention_ll4mi_QKV_mfma16_kernelIDF16_hLN4vllm18Fp8KVCacheDataTypeE1EhLi32ELi128ELi256ELb1ELi5EEvPKT_PKT0_S7_ifPKiS9_S9_iPKfiiiPfSC_PS2_PT2_iSB_SB_
                                        ; -- End function
	.set _Z39paged_attention_ll4mi_QKV_mfma16_kernelIDF16_hLN4vllm18Fp8KVCacheDataTypeE1EhLi32ELi128ELi256ELb1ELi5EEvPKT_PKT0_S7_ifPKiS9_S9_iPKfiiiPfSC_PS2_PT2_iSB_SB_.num_vgpr, max(3, .L__assert_fail.num_vgpr)
	.set _Z39paged_attention_ll4mi_QKV_mfma16_kernelIDF16_hLN4vllm18Fp8KVCacheDataTypeE1EhLi32ELi128ELi256ELb1ELi5EEvPKT_PKT0_S7_ifPKiS9_S9_iPKfiiiPfSC_PS2_PT2_iSB_SB_.num_agpr, max(0, .L__assert_fail.num_agpr)
	.set _Z39paged_attention_ll4mi_QKV_mfma16_kernelIDF16_hLN4vllm18Fp8KVCacheDataTypeE1EhLi32ELi128ELi256ELb1ELi5EEvPKT_PKT0_S7_ifPKiS9_S9_iPKfiiiPfSC_PS2_PT2_iSB_SB_.numbered_sgpr, max(33, .L__assert_fail.numbered_sgpr)
	.set _Z39paged_attention_ll4mi_QKV_mfma16_kernelIDF16_hLN4vllm18Fp8KVCacheDataTypeE1EhLi32ELi128ELi256ELb1ELi5EEvPKT_PKT0_S7_ifPKiS9_S9_iPKfiiiPfSC_PS2_PT2_iSB_SB_.num_named_barrier, max(0, .L__assert_fail.num_named_barrier)
	.set _Z39paged_attention_ll4mi_QKV_mfma16_kernelIDF16_hLN4vllm18Fp8KVCacheDataTypeE1EhLi32ELi128ELi256ELb1ELi5EEvPKT_PKT0_S7_ifPKiS9_S9_iPKfiiiPfSC_PS2_PT2_iSB_SB_.private_seg_size, 0+max(.L__assert_fail.private_seg_size)
	.set _Z39paged_attention_ll4mi_QKV_mfma16_kernelIDF16_hLN4vllm18Fp8KVCacheDataTypeE1EhLi32ELi128ELi256ELb1ELi5EEvPKT_PKT0_S7_ifPKiS9_S9_iPKfiiiPfSC_PS2_PT2_iSB_SB_.uses_vcc, or(1, .L__assert_fail.uses_vcc)
	.set _Z39paged_attention_ll4mi_QKV_mfma16_kernelIDF16_hLN4vllm18Fp8KVCacheDataTypeE1EhLi32ELi128ELi256ELb1ELi5EEvPKT_PKT0_S7_ifPKiS9_S9_iPKfiiiPfSC_PS2_PT2_iSB_SB_.uses_flat_scratch, or(0, .L__assert_fail.uses_flat_scratch)
	.set _Z39paged_attention_ll4mi_QKV_mfma16_kernelIDF16_hLN4vllm18Fp8KVCacheDataTypeE1EhLi32ELi128ELi256ELb1ELi5EEvPKT_PKT0_S7_ifPKiS9_S9_iPKfiiiPfSC_PS2_PT2_iSB_SB_.has_dyn_sized_stack, or(0, .L__assert_fail.has_dyn_sized_stack)
	.set _Z39paged_attention_ll4mi_QKV_mfma16_kernelIDF16_hLN4vllm18Fp8KVCacheDataTypeE1EhLi32ELi128ELi256ELb1ELi5EEvPKT_PKT0_S7_ifPKiS9_S9_iPKfiiiPfSC_PS2_PT2_iSB_SB_.has_recursion, or(0, .L__assert_fail.has_recursion)
	.set _Z39paged_attention_ll4mi_QKV_mfma16_kernelIDF16_hLN4vllm18Fp8KVCacheDataTypeE1EhLi32ELi128ELi256ELb1ELi5EEvPKT_PKT0_S7_ifPKiS9_S9_iPKfiiiPfSC_PS2_PT2_iSB_SB_.has_indirect_call, or(0, .L__assert_fail.has_indirect_call)
	.section	.AMDGPU.csdata,"",@progbits
; Kernel info:
; codeLenInByte = 68
; TotalNumSgprs: 36
; NumVgprs: 51
; ScratchSize: 64
; MemoryBound: 0
; FloatMode: 240
; IeeeMode: 1
; LDSByteSize: 0 bytes/workgroup (compile time only)
; SGPRBlocks: 0
; VGPRBlocks: 3
; NumSGPRsForWavesPerEU: 36
; NumVGPRsForWavesPerEU: 51
; NamedBarCnt: 0
; Occupancy: 16
; WaveLimiterHint : 1
; COMPUTE_PGM_RSRC2:SCRATCH_EN: 1
; COMPUTE_PGM_RSRC2:USER_SGPR: 2
; COMPUTE_PGM_RSRC2:TRAP_HANDLER: 0
; COMPUTE_PGM_RSRC2:TGID_X_EN: 1
; COMPUTE_PGM_RSRC2:TGID_Y_EN: 0
; COMPUTE_PGM_RSRC2:TGID_Z_EN: 0
; COMPUTE_PGM_RSRC2:TIDIG_COMP_CNT: 0
	.section	.text._Z39paged_attention_ll4mi_QKV_mfma16_kernelIDF16_hLN4vllm18Fp8KVCacheDataTypeE1EhLi32ELi128ELi256ELb1ELi6EEvPKT_PKT0_S7_ifPKiS9_S9_iPKfiiiPfSC_PS2_PT2_iSB_SB_,"axG",@progbits,_Z39paged_attention_ll4mi_QKV_mfma16_kernelIDF16_hLN4vllm18Fp8KVCacheDataTypeE1EhLi32ELi128ELi256ELb1ELi6EEvPKT_PKT0_S7_ifPKiS9_S9_iPKfiiiPfSC_PS2_PT2_iSB_SB_,comdat
	.protected	_Z39paged_attention_ll4mi_QKV_mfma16_kernelIDF16_hLN4vllm18Fp8KVCacheDataTypeE1EhLi32ELi128ELi256ELb1ELi6EEvPKT_PKT0_S7_ifPKiS9_S9_iPKfiiiPfSC_PS2_PT2_iSB_SB_ ; -- Begin function _Z39paged_attention_ll4mi_QKV_mfma16_kernelIDF16_hLN4vllm18Fp8KVCacheDataTypeE1EhLi32ELi128ELi256ELb1ELi6EEvPKT_PKT0_S7_ifPKiS9_S9_iPKfiiiPfSC_PS2_PT2_iSB_SB_
	.globl	_Z39paged_attention_ll4mi_QKV_mfma16_kernelIDF16_hLN4vllm18Fp8KVCacheDataTypeE1EhLi32ELi128ELi256ELb1ELi6EEvPKT_PKT0_S7_ifPKiS9_S9_iPKfiiiPfSC_PS2_PT2_iSB_SB_
	.p2align	8
	.type	_Z39paged_attention_ll4mi_QKV_mfma16_kernelIDF16_hLN4vllm18Fp8KVCacheDataTypeE1EhLi32ELi128ELi256ELb1ELi6EEvPKT_PKT0_S7_ifPKiS9_S9_iPKfiiiPfSC_PS2_PT2_iSB_SB_,@function
_Z39paged_attention_ll4mi_QKV_mfma16_kernelIDF16_hLN4vllm18Fp8KVCacheDataTypeE1EhLi32ELi128ELi256ELb1ELi6EEvPKT_PKT0_S7_ifPKiS9_S9_iPKfiiiPfSC_PS2_PT2_iSB_SB_: ; @_Z39paged_attention_ll4mi_QKV_mfma16_kernelIDF16_hLN4vllm18Fp8KVCacheDataTypeE1EhLi32ELi128ELi256ELb1ELi6EEvPKT_PKT0_S7_ifPKiS9_S9_iPKfiiiPfSC_PS2_PT2_iSB_SB_
; %bb.0:
	s_get_pc_i64 s[2:3]
	s_add_nc_u64 s[2:3], s[2:3], __PRETTY_FUNCTION__._Z39paged_attention_ll4mi_QKV_mfma16_kernelIDF16_hLN4vllm18Fp8KVCacheDataTypeE1EhLi32ELi128ELi256ELb1ELi6EEvPKT_PKT0_S7_ifPKiS9_S9_iPKfiiiPfSC_PS2_PT2_iSB_SB_@rel64+4
	s_delay_alu instid0(SALU_CYCLE_1)
	v_dual_mov_b32 v0, 0xbb3 :: v_dual_mov_b32 v1, s2
	v_mov_b32_e32 v2, s3
	s_add_nc_u64 s[8:9], s[0:1], 0x90
	s_get_pc_i64 s[0:1]
	s_add_nc_u64 s[0:1], s[0:1], __assert_fail@rel64+4
	s_mov_b32 s32, 0
	s_swap_pc_i64 s[30:31], s[0:1]
	.section	.rodata,"a",@progbits
	.p2align	6, 0x0
	.amdhsa_kernel _Z39paged_attention_ll4mi_QKV_mfma16_kernelIDF16_hLN4vllm18Fp8KVCacheDataTypeE1EhLi32ELi128ELi256ELb1ELi6EEvPKT_PKT0_S7_ifPKiS9_S9_iPKfiiiPfSC_PS2_PT2_iSB_SB_
		.amdhsa_group_segment_fixed_size 0
		.amdhsa_private_segment_fixed_size 64
		.amdhsa_kernarg_size 400
		.amdhsa_user_sgpr_count 2
		.amdhsa_user_sgpr_dispatch_ptr 0
		.amdhsa_user_sgpr_queue_ptr 0
		.amdhsa_user_sgpr_kernarg_segment_ptr 1
		.amdhsa_user_sgpr_dispatch_id 0
		.amdhsa_user_sgpr_kernarg_preload_length 0
		.amdhsa_user_sgpr_kernarg_preload_offset 0
		.amdhsa_user_sgpr_private_segment_size 0
		.amdhsa_wavefront_size32 1
		.amdhsa_uses_dynamic_stack 0
		.amdhsa_enable_private_segment 1
		.amdhsa_system_sgpr_workgroup_id_x 1
		.amdhsa_system_sgpr_workgroup_id_y 0
		.amdhsa_system_sgpr_workgroup_id_z 0
		.amdhsa_system_sgpr_workgroup_info 0
		.amdhsa_system_vgpr_workitem_id 0
		.amdhsa_next_free_vgpr 51
		.amdhsa_next_free_sgpr 34
		.amdhsa_named_barrier_count 0
		.amdhsa_reserve_vcc 1
		.amdhsa_float_round_mode_32 0
		.amdhsa_float_round_mode_16_64 0
		.amdhsa_float_denorm_mode_32 3
		.amdhsa_float_denorm_mode_16_64 3
		.amdhsa_fp16_overflow 0
		.amdhsa_memory_ordered 1
		.amdhsa_forward_progress 1
		.amdhsa_inst_pref_size 1
		.amdhsa_round_robin_scheduling 0
		.amdhsa_exception_fp_ieee_invalid_op 0
		.amdhsa_exception_fp_denorm_src 0
		.amdhsa_exception_fp_ieee_div_zero 0
		.amdhsa_exception_fp_ieee_overflow 0
		.amdhsa_exception_fp_ieee_underflow 0
		.amdhsa_exception_fp_ieee_inexact 0
		.amdhsa_exception_int_div_zero 0
	.end_amdhsa_kernel
	.section	.text._Z39paged_attention_ll4mi_QKV_mfma16_kernelIDF16_hLN4vllm18Fp8KVCacheDataTypeE1EhLi32ELi128ELi256ELb1ELi6EEvPKT_PKT0_S7_ifPKiS9_S9_iPKfiiiPfSC_PS2_PT2_iSB_SB_,"axG",@progbits,_Z39paged_attention_ll4mi_QKV_mfma16_kernelIDF16_hLN4vllm18Fp8KVCacheDataTypeE1EhLi32ELi128ELi256ELb1ELi6EEvPKT_PKT0_S7_ifPKiS9_S9_iPKfiiiPfSC_PS2_PT2_iSB_SB_,comdat
.Lfunc_end1015:
	.size	_Z39paged_attention_ll4mi_QKV_mfma16_kernelIDF16_hLN4vllm18Fp8KVCacheDataTypeE1EhLi32ELi128ELi256ELb1ELi6EEvPKT_PKT0_S7_ifPKiS9_S9_iPKfiiiPfSC_PS2_PT2_iSB_SB_, .Lfunc_end1015-_Z39paged_attention_ll4mi_QKV_mfma16_kernelIDF16_hLN4vllm18Fp8KVCacheDataTypeE1EhLi32ELi128ELi256ELb1ELi6EEvPKT_PKT0_S7_ifPKiS9_S9_iPKfiiiPfSC_PS2_PT2_iSB_SB_
                                        ; -- End function
	.set _Z39paged_attention_ll4mi_QKV_mfma16_kernelIDF16_hLN4vllm18Fp8KVCacheDataTypeE1EhLi32ELi128ELi256ELb1ELi6EEvPKT_PKT0_S7_ifPKiS9_S9_iPKfiiiPfSC_PS2_PT2_iSB_SB_.num_vgpr, max(3, .L__assert_fail.num_vgpr)
	.set _Z39paged_attention_ll4mi_QKV_mfma16_kernelIDF16_hLN4vllm18Fp8KVCacheDataTypeE1EhLi32ELi128ELi256ELb1ELi6EEvPKT_PKT0_S7_ifPKiS9_S9_iPKfiiiPfSC_PS2_PT2_iSB_SB_.num_agpr, max(0, .L__assert_fail.num_agpr)
	.set _Z39paged_attention_ll4mi_QKV_mfma16_kernelIDF16_hLN4vllm18Fp8KVCacheDataTypeE1EhLi32ELi128ELi256ELb1ELi6EEvPKT_PKT0_S7_ifPKiS9_S9_iPKfiiiPfSC_PS2_PT2_iSB_SB_.numbered_sgpr, max(33, .L__assert_fail.numbered_sgpr)
	.set _Z39paged_attention_ll4mi_QKV_mfma16_kernelIDF16_hLN4vllm18Fp8KVCacheDataTypeE1EhLi32ELi128ELi256ELb1ELi6EEvPKT_PKT0_S7_ifPKiS9_S9_iPKfiiiPfSC_PS2_PT2_iSB_SB_.num_named_barrier, max(0, .L__assert_fail.num_named_barrier)
	.set _Z39paged_attention_ll4mi_QKV_mfma16_kernelIDF16_hLN4vllm18Fp8KVCacheDataTypeE1EhLi32ELi128ELi256ELb1ELi6EEvPKT_PKT0_S7_ifPKiS9_S9_iPKfiiiPfSC_PS2_PT2_iSB_SB_.private_seg_size, 0+max(.L__assert_fail.private_seg_size)
	.set _Z39paged_attention_ll4mi_QKV_mfma16_kernelIDF16_hLN4vllm18Fp8KVCacheDataTypeE1EhLi32ELi128ELi256ELb1ELi6EEvPKT_PKT0_S7_ifPKiS9_S9_iPKfiiiPfSC_PS2_PT2_iSB_SB_.uses_vcc, or(1, .L__assert_fail.uses_vcc)
	.set _Z39paged_attention_ll4mi_QKV_mfma16_kernelIDF16_hLN4vllm18Fp8KVCacheDataTypeE1EhLi32ELi128ELi256ELb1ELi6EEvPKT_PKT0_S7_ifPKiS9_S9_iPKfiiiPfSC_PS2_PT2_iSB_SB_.uses_flat_scratch, or(0, .L__assert_fail.uses_flat_scratch)
	.set _Z39paged_attention_ll4mi_QKV_mfma16_kernelIDF16_hLN4vllm18Fp8KVCacheDataTypeE1EhLi32ELi128ELi256ELb1ELi6EEvPKT_PKT0_S7_ifPKiS9_S9_iPKfiiiPfSC_PS2_PT2_iSB_SB_.has_dyn_sized_stack, or(0, .L__assert_fail.has_dyn_sized_stack)
	.set _Z39paged_attention_ll4mi_QKV_mfma16_kernelIDF16_hLN4vllm18Fp8KVCacheDataTypeE1EhLi32ELi128ELi256ELb1ELi6EEvPKT_PKT0_S7_ifPKiS9_S9_iPKfiiiPfSC_PS2_PT2_iSB_SB_.has_recursion, or(0, .L__assert_fail.has_recursion)
	.set _Z39paged_attention_ll4mi_QKV_mfma16_kernelIDF16_hLN4vllm18Fp8KVCacheDataTypeE1EhLi32ELi128ELi256ELb1ELi6EEvPKT_PKT0_S7_ifPKiS9_S9_iPKfiiiPfSC_PS2_PT2_iSB_SB_.has_indirect_call, or(0, .L__assert_fail.has_indirect_call)
	.section	.AMDGPU.csdata,"",@progbits
; Kernel info:
; codeLenInByte = 68
; TotalNumSgprs: 36
; NumVgprs: 51
; ScratchSize: 64
; MemoryBound: 0
; FloatMode: 240
; IeeeMode: 1
; LDSByteSize: 0 bytes/workgroup (compile time only)
; SGPRBlocks: 0
; VGPRBlocks: 3
; NumSGPRsForWavesPerEU: 36
; NumVGPRsForWavesPerEU: 51
; NamedBarCnt: 0
; Occupancy: 16
; WaveLimiterHint : 1
; COMPUTE_PGM_RSRC2:SCRATCH_EN: 1
; COMPUTE_PGM_RSRC2:USER_SGPR: 2
; COMPUTE_PGM_RSRC2:TRAP_HANDLER: 0
; COMPUTE_PGM_RSRC2:TGID_X_EN: 1
; COMPUTE_PGM_RSRC2:TGID_Y_EN: 0
; COMPUTE_PGM_RSRC2:TGID_Z_EN: 0
; COMPUTE_PGM_RSRC2:TIDIG_COMP_CNT: 0
	.section	.text._Z39paged_attention_ll4mi_QKV_mfma16_kernelIDF16_hLN4vllm18Fp8KVCacheDataTypeE1EhLi32ELi128ELi256ELb1ELi7EEvPKT_PKT0_S7_ifPKiS9_S9_iPKfiiiPfSC_PS2_PT2_iSB_SB_,"axG",@progbits,_Z39paged_attention_ll4mi_QKV_mfma16_kernelIDF16_hLN4vllm18Fp8KVCacheDataTypeE1EhLi32ELi128ELi256ELb1ELi7EEvPKT_PKT0_S7_ifPKiS9_S9_iPKfiiiPfSC_PS2_PT2_iSB_SB_,comdat
	.protected	_Z39paged_attention_ll4mi_QKV_mfma16_kernelIDF16_hLN4vllm18Fp8KVCacheDataTypeE1EhLi32ELi128ELi256ELb1ELi7EEvPKT_PKT0_S7_ifPKiS9_S9_iPKfiiiPfSC_PS2_PT2_iSB_SB_ ; -- Begin function _Z39paged_attention_ll4mi_QKV_mfma16_kernelIDF16_hLN4vllm18Fp8KVCacheDataTypeE1EhLi32ELi128ELi256ELb1ELi7EEvPKT_PKT0_S7_ifPKiS9_S9_iPKfiiiPfSC_PS2_PT2_iSB_SB_
	.globl	_Z39paged_attention_ll4mi_QKV_mfma16_kernelIDF16_hLN4vllm18Fp8KVCacheDataTypeE1EhLi32ELi128ELi256ELb1ELi7EEvPKT_PKT0_S7_ifPKiS9_S9_iPKfiiiPfSC_PS2_PT2_iSB_SB_
	.p2align	8
	.type	_Z39paged_attention_ll4mi_QKV_mfma16_kernelIDF16_hLN4vllm18Fp8KVCacheDataTypeE1EhLi32ELi128ELi256ELb1ELi7EEvPKT_PKT0_S7_ifPKiS9_S9_iPKfiiiPfSC_PS2_PT2_iSB_SB_,@function
_Z39paged_attention_ll4mi_QKV_mfma16_kernelIDF16_hLN4vllm18Fp8KVCacheDataTypeE1EhLi32ELi128ELi256ELb1ELi7EEvPKT_PKT0_S7_ifPKiS9_S9_iPKfiiiPfSC_PS2_PT2_iSB_SB_: ; @_Z39paged_attention_ll4mi_QKV_mfma16_kernelIDF16_hLN4vllm18Fp8KVCacheDataTypeE1EhLi32ELi128ELi256ELb1ELi7EEvPKT_PKT0_S7_ifPKiS9_S9_iPKfiiiPfSC_PS2_PT2_iSB_SB_
; %bb.0:
	s_get_pc_i64 s[2:3]
	s_add_nc_u64 s[2:3], s[2:3], __PRETTY_FUNCTION__._Z39paged_attention_ll4mi_QKV_mfma16_kernelIDF16_hLN4vllm18Fp8KVCacheDataTypeE1EhLi32ELi128ELi256ELb1ELi7EEvPKT_PKT0_S7_ifPKiS9_S9_iPKfiiiPfSC_PS2_PT2_iSB_SB_@rel64+4
	s_delay_alu instid0(SALU_CYCLE_1)
	v_dual_mov_b32 v0, 0xbb3 :: v_dual_mov_b32 v1, s2
	v_mov_b32_e32 v2, s3
	s_add_nc_u64 s[8:9], s[0:1], 0x90
	s_get_pc_i64 s[0:1]
	s_add_nc_u64 s[0:1], s[0:1], __assert_fail@rel64+4
	s_mov_b32 s32, 0
	s_swap_pc_i64 s[30:31], s[0:1]
	.section	.rodata,"a",@progbits
	.p2align	6, 0x0
	.amdhsa_kernel _Z39paged_attention_ll4mi_QKV_mfma16_kernelIDF16_hLN4vllm18Fp8KVCacheDataTypeE1EhLi32ELi128ELi256ELb1ELi7EEvPKT_PKT0_S7_ifPKiS9_S9_iPKfiiiPfSC_PS2_PT2_iSB_SB_
		.amdhsa_group_segment_fixed_size 0
		.amdhsa_private_segment_fixed_size 64
		.amdhsa_kernarg_size 400
		.amdhsa_user_sgpr_count 2
		.amdhsa_user_sgpr_dispatch_ptr 0
		.amdhsa_user_sgpr_queue_ptr 0
		.amdhsa_user_sgpr_kernarg_segment_ptr 1
		.amdhsa_user_sgpr_dispatch_id 0
		.amdhsa_user_sgpr_kernarg_preload_length 0
		.amdhsa_user_sgpr_kernarg_preload_offset 0
		.amdhsa_user_sgpr_private_segment_size 0
		.amdhsa_wavefront_size32 1
		.amdhsa_uses_dynamic_stack 0
		.amdhsa_enable_private_segment 1
		.amdhsa_system_sgpr_workgroup_id_x 1
		.amdhsa_system_sgpr_workgroup_id_y 0
		.amdhsa_system_sgpr_workgroup_id_z 0
		.amdhsa_system_sgpr_workgroup_info 0
		.amdhsa_system_vgpr_workitem_id 0
		.amdhsa_next_free_vgpr 51
		.amdhsa_next_free_sgpr 34
		.amdhsa_named_barrier_count 0
		.amdhsa_reserve_vcc 1
		.amdhsa_float_round_mode_32 0
		.amdhsa_float_round_mode_16_64 0
		.amdhsa_float_denorm_mode_32 3
		.amdhsa_float_denorm_mode_16_64 3
		.amdhsa_fp16_overflow 0
		.amdhsa_memory_ordered 1
		.amdhsa_forward_progress 1
		.amdhsa_inst_pref_size 1
		.amdhsa_round_robin_scheduling 0
		.amdhsa_exception_fp_ieee_invalid_op 0
		.amdhsa_exception_fp_denorm_src 0
		.amdhsa_exception_fp_ieee_div_zero 0
		.amdhsa_exception_fp_ieee_overflow 0
		.amdhsa_exception_fp_ieee_underflow 0
		.amdhsa_exception_fp_ieee_inexact 0
		.amdhsa_exception_int_div_zero 0
	.end_amdhsa_kernel
	.section	.text._Z39paged_attention_ll4mi_QKV_mfma16_kernelIDF16_hLN4vllm18Fp8KVCacheDataTypeE1EhLi32ELi128ELi256ELb1ELi7EEvPKT_PKT0_S7_ifPKiS9_S9_iPKfiiiPfSC_PS2_PT2_iSB_SB_,"axG",@progbits,_Z39paged_attention_ll4mi_QKV_mfma16_kernelIDF16_hLN4vllm18Fp8KVCacheDataTypeE1EhLi32ELi128ELi256ELb1ELi7EEvPKT_PKT0_S7_ifPKiS9_S9_iPKfiiiPfSC_PS2_PT2_iSB_SB_,comdat
.Lfunc_end1016:
	.size	_Z39paged_attention_ll4mi_QKV_mfma16_kernelIDF16_hLN4vllm18Fp8KVCacheDataTypeE1EhLi32ELi128ELi256ELb1ELi7EEvPKT_PKT0_S7_ifPKiS9_S9_iPKfiiiPfSC_PS2_PT2_iSB_SB_, .Lfunc_end1016-_Z39paged_attention_ll4mi_QKV_mfma16_kernelIDF16_hLN4vllm18Fp8KVCacheDataTypeE1EhLi32ELi128ELi256ELb1ELi7EEvPKT_PKT0_S7_ifPKiS9_S9_iPKfiiiPfSC_PS2_PT2_iSB_SB_
                                        ; -- End function
	.set _Z39paged_attention_ll4mi_QKV_mfma16_kernelIDF16_hLN4vllm18Fp8KVCacheDataTypeE1EhLi32ELi128ELi256ELb1ELi7EEvPKT_PKT0_S7_ifPKiS9_S9_iPKfiiiPfSC_PS2_PT2_iSB_SB_.num_vgpr, max(3, .L__assert_fail.num_vgpr)
	.set _Z39paged_attention_ll4mi_QKV_mfma16_kernelIDF16_hLN4vllm18Fp8KVCacheDataTypeE1EhLi32ELi128ELi256ELb1ELi7EEvPKT_PKT0_S7_ifPKiS9_S9_iPKfiiiPfSC_PS2_PT2_iSB_SB_.num_agpr, max(0, .L__assert_fail.num_agpr)
	.set _Z39paged_attention_ll4mi_QKV_mfma16_kernelIDF16_hLN4vllm18Fp8KVCacheDataTypeE1EhLi32ELi128ELi256ELb1ELi7EEvPKT_PKT0_S7_ifPKiS9_S9_iPKfiiiPfSC_PS2_PT2_iSB_SB_.numbered_sgpr, max(33, .L__assert_fail.numbered_sgpr)
	.set _Z39paged_attention_ll4mi_QKV_mfma16_kernelIDF16_hLN4vllm18Fp8KVCacheDataTypeE1EhLi32ELi128ELi256ELb1ELi7EEvPKT_PKT0_S7_ifPKiS9_S9_iPKfiiiPfSC_PS2_PT2_iSB_SB_.num_named_barrier, max(0, .L__assert_fail.num_named_barrier)
	.set _Z39paged_attention_ll4mi_QKV_mfma16_kernelIDF16_hLN4vllm18Fp8KVCacheDataTypeE1EhLi32ELi128ELi256ELb1ELi7EEvPKT_PKT0_S7_ifPKiS9_S9_iPKfiiiPfSC_PS2_PT2_iSB_SB_.private_seg_size, 0+max(.L__assert_fail.private_seg_size)
	.set _Z39paged_attention_ll4mi_QKV_mfma16_kernelIDF16_hLN4vllm18Fp8KVCacheDataTypeE1EhLi32ELi128ELi256ELb1ELi7EEvPKT_PKT0_S7_ifPKiS9_S9_iPKfiiiPfSC_PS2_PT2_iSB_SB_.uses_vcc, or(1, .L__assert_fail.uses_vcc)
	.set _Z39paged_attention_ll4mi_QKV_mfma16_kernelIDF16_hLN4vllm18Fp8KVCacheDataTypeE1EhLi32ELi128ELi256ELb1ELi7EEvPKT_PKT0_S7_ifPKiS9_S9_iPKfiiiPfSC_PS2_PT2_iSB_SB_.uses_flat_scratch, or(0, .L__assert_fail.uses_flat_scratch)
	.set _Z39paged_attention_ll4mi_QKV_mfma16_kernelIDF16_hLN4vllm18Fp8KVCacheDataTypeE1EhLi32ELi128ELi256ELb1ELi7EEvPKT_PKT0_S7_ifPKiS9_S9_iPKfiiiPfSC_PS2_PT2_iSB_SB_.has_dyn_sized_stack, or(0, .L__assert_fail.has_dyn_sized_stack)
	.set _Z39paged_attention_ll4mi_QKV_mfma16_kernelIDF16_hLN4vllm18Fp8KVCacheDataTypeE1EhLi32ELi128ELi256ELb1ELi7EEvPKT_PKT0_S7_ifPKiS9_S9_iPKfiiiPfSC_PS2_PT2_iSB_SB_.has_recursion, or(0, .L__assert_fail.has_recursion)
	.set _Z39paged_attention_ll4mi_QKV_mfma16_kernelIDF16_hLN4vllm18Fp8KVCacheDataTypeE1EhLi32ELi128ELi256ELb1ELi7EEvPKT_PKT0_S7_ifPKiS9_S9_iPKfiiiPfSC_PS2_PT2_iSB_SB_.has_indirect_call, or(0, .L__assert_fail.has_indirect_call)
	.section	.AMDGPU.csdata,"",@progbits
; Kernel info:
; codeLenInByte = 68
; TotalNumSgprs: 36
; NumVgprs: 51
; ScratchSize: 64
; MemoryBound: 0
; FloatMode: 240
; IeeeMode: 1
; LDSByteSize: 0 bytes/workgroup (compile time only)
; SGPRBlocks: 0
; VGPRBlocks: 3
; NumSGPRsForWavesPerEU: 36
; NumVGPRsForWavesPerEU: 51
; NamedBarCnt: 0
; Occupancy: 16
; WaveLimiterHint : 1
; COMPUTE_PGM_RSRC2:SCRATCH_EN: 1
; COMPUTE_PGM_RSRC2:USER_SGPR: 2
; COMPUTE_PGM_RSRC2:TRAP_HANDLER: 0
; COMPUTE_PGM_RSRC2:TGID_X_EN: 1
; COMPUTE_PGM_RSRC2:TGID_Y_EN: 0
; COMPUTE_PGM_RSRC2:TGID_Z_EN: 0
; COMPUTE_PGM_RSRC2:TIDIG_COMP_CNT: 0
	.section	.text._Z39paged_attention_ll4mi_QKV_mfma16_kernelIDF16_hLN4vllm18Fp8KVCacheDataTypeE1EhLi32ELi128ELi256ELb1ELi8EEvPKT_PKT0_S7_ifPKiS9_S9_iPKfiiiPfSC_PS2_PT2_iSB_SB_,"axG",@progbits,_Z39paged_attention_ll4mi_QKV_mfma16_kernelIDF16_hLN4vllm18Fp8KVCacheDataTypeE1EhLi32ELi128ELi256ELb1ELi8EEvPKT_PKT0_S7_ifPKiS9_S9_iPKfiiiPfSC_PS2_PT2_iSB_SB_,comdat
	.protected	_Z39paged_attention_ll4mi_QKV_mfma16_kernelIDF16_hLN4vllm18Fp8KVCacheDataTypeE1EhLi32ELi128ELi256ELb1ELi8EEvPKT_PKT0_S7_ifPKiS9_S9_iPKfiiiPfSC_PS2_PT2_iSB_SB_ ; -- Begin function _Z39paged_attention_ll4mi_QKV_mfma16_kernelIDF16_hLN4vllm18Fp8KVCacheDataTypeE1EhLi32ELi128ELi256ELb1ELi8EEvPKT_PKT0_S7_ifPKiS9_S9_iPKfiiiPfSC_PS2_PT2_iSB_SB_
	.globl	_Z39paged_attention_ll4mi_QKV_mfma16_kernelIDF16_hLN4vllm18Fp8KVCacheDataTypeE1EhLi32ELi128ELi256ELb1ELi8EEvPKT_PKT0_S7_ifPKiS9_S9_iPKfiiiPfSC_PS2_PT2_iSB_SB_
	.p2align	8
	.type	_Z39paged_attention_ll4mi_QKV_mfma16_kernelIDF16_hLN4vllm18Fp8KVCacheDataTypeE1EhLi32ELi128ELi256ELb1ELi8EEvPKT_PKT0_S7_ifPKiS9_S9_iPKfiiiPfSC_PS2_PT2_iSB_SB_,@function
_Z39paged_attention_ll4mi_QKV_mfma16_kernelIDF16_hLN4vllm18Fp8KVCacheDataTypeE1EhLi32ELi128ELi256ELb1ELi8EEvPKT_PKT0_S7_ifPKiS9_S9_iPKfiiiPfSC_PS2_PT2_iSB_SB_: ; @_Z39paged_attention_ll4mi_QKV_mfma16_kernelIDF16_hLN4vllm18Fp8KVCacheDataTypeE1EhLi32ELi128ELi256ELb1ELi8EEvPKT_PKT0_S7_ifPKiS9_S9_iPKfiiiPfSC_PS2_PT2_iSB_SB_
; %bb.0:
	s_get_pc_i64 s[2:3]
	s_add_nc_u64 s[2:3], s[2:3], __PRETTY_FUNCTION__._Z39paged_attention_ll4mi_QKV_mfma16_kernelIDF16_hLN4vllm18Fp8KVCacheDataTypeE1EhLi32ELi128ELi256ELb1ELi8EEvPKT_PKT0_S7_ifPKiS9_S9_iPKfiiiPfSC_PS2_PT2_iSB_SB_@rel64+4
	s_delay_alu instid0(SALU_CYCLE_1)
	v_dual_mov_b32 v0, 0xbb3 :: v_dual_mov_b32 v1, s2
	v_mov_b32_e32 v2, s3
	s_add_nc_u64 s[8:9], s[0:1], 0x90
	s_get_pc_i64 s[0:1]
	s_add_nc_u64 s[0:1], s[0:1], __assert_fail@rel64+4
	s_mov_b32 s32, 0
	s_swap_pc_i64 s[30:31], s[0:1]
	.section	.rodata,"a",@progbits
	.p2align	6, 0x0
	.amdhsa_kernel _Z39paged_attention_ll4mi_QKV_mfma16_kernelIDF16_hLN4vllm18Fp8KVCacheDataTypeE1EhLi32ELi128ELi256ELb1ELi8EEvPKT_PKT0_S7_ifPKiS9_S9_iPKfiiiPfSC_PS2_PT2_iSB_SB_
		.amdhsa_group_segment_fixed_size 0
		.amdhsa_private_segment_fixed_size 64
		.amdhsa_kernarg_size 400
		.amdhsa_user_sgpr_count 2
		.amdhsa_user_sgpr_dispatch_ptr 0
		.amdhsa_user_sgpr_queue_ptr 0
		.amdhsa_user_sgpr_kernarg_segment_ptr 1
		.amdhsa_user_sgpr_dispatch_id 0
		.amdhsa_user_sgpr_kernarg_preload_length 0
		.amdhsa_user_sgpr_kernarg_preload_offset 0
		.amdhsa_user_sgpr_private_segment_size 0
		.amdhsa_wavefront_size32 1
		.amdhsa_uses_dynamic_stack 0
		.amdhsa_enable_private_segment 1
		.amdhsa_system_sgpr_workgroup_id_x 1
		.amdhsa_system_sgpr_workgroup_id_y 0
		.amdhsa_system_sgpr_workgroup_id_z 0
		.amdhsa_system_sgpr_workgroup_info 0
		.amdhsa_system_vgpr_workitem_id 0
		.amdhsa_next_free_vgpr 51
		.amdhsa_next_free_sgpr 34
		.amdhsa_named_barrier_count 0
		.amdhsa_reserve_vcc 1
		.amdhsa_float_round_mode_32 0
		.amdhsa_float_round_mode_16_64 0
		.amdhsa_float_denorm_mode_32 3
		.amdhsa_float_denorm_mode_16_64 3
		.amdhsa_fp16_overflow 0
		.amdhsa_memory_ordered 1
		.amdhsa_forward_progress 1
		.amdhsa_inst_pref_size 1
		.amdhsa_round_robin_scheduling 0
		.amdhsa_exception_fp_ieee_invalid_op 0
		.amdhsa_exception_fp_denorm_src 0
		.amdhsa_exception_fp_ieee_div_zero 0
		.amdhsa_exception_fp_ieee_overflow 0
		.amdhsa_exception_fp_ieee_underflow 0
		.amdhsa_exception_fp_ieee_inexact 0
		.amdhsa_exception_int_div_zero 0
	.end_amdhsa_kernel
	.section	.text._Z39paged_attention_ll4mi_QKV_mfma16_kernelIDF16_hLN4vllm18Fp8KVCacheDataTypeE1EhLi32ELi128ELi256ELb1ELi8EEvPKT_PKT0_S7_ifPKiS9_S9_iPKfiiiPfSC_PS2_PT2_iSB_SB_,"axG",@progbits,_Z39paged_attention_ll4mi_QKV_mfma16_kernelIDF16_hLN4vllm18Fp8KVCacheDataTypeE1EhLi32ELi128ELi256ELb1ELi8EEvPKT_PKT0_S7_ifPKiS9_S9_iPKfiiiPfSC_PS2_PT2_iSB_SB_,comdat
.Lfunc_end1017:
	.size	_Z39paged_attention_ll4mi_QKV_mfma16_kernelIDF16_hLN4vllm18Fp8KVCacheDataTypeE1EhLi32ELi128ELi256ELb1ELi8EEvPKT_PKT0_S7_ifPKiS9_S9_iPKfiiiPfSC_PS2_PT2_iSB_SB_, .Lfunc_end1017-_Z39paged_attention_ll4mi_QKV_mfma16_kernelIDF16_hLN4vllm18Fp8KVCacheDataTypeE1EhLi32ELi128ELi256ELb1ELi8EEvPKT_PKT0_S7_ifPKiS9_S9_iPKfiiiPfSC_PS2_PT2_iSB_SB_
                                        ; -- End function
	.set _Z39paged_attention_ll4mi_QKV_mfma16_kernelIDF16_hLN4vllm18Fp8KVCacheDataTypeE1EhLi32ELi128ELi256ELb1ELi8EEvPKT_PKT0_S7_ifPKiS9_S9_iPKfiiiPfSC_PS2_PT2_iSB_SB_.num_vgpr, max(3, .L__assert_fail.num_vgpr)
	.set _Z39paged_attention_ll4mi_QKV_mfma16_kernelIDF16_hLN4vllm18Fp8KVCacheDataTypeE1EhLi32ELi128ELi256ELb1ELi8EEvPKT_PKT0_S7_ifPKiS9_S9_iPKfiiiPfSC_PS2_PT2_iSB_SB_.num_agpr, max(0, .L__assert_fail.num_agpr)
	.set _Z39paged_attention_ll4mi_QKV_mfma16_kernelIDF16_hLN4vllm18Fp8KVCacheDataTypeE1EhLi32ELi128ELi256ELb1ELi8EEvPKT_PKT0_S7_ifPKiS9_S9_iPKfiiiPfSC_PS2_PT2_iSB_SB_.numbered_sgpr, max(33, .L__assert_fail.numbered_sgpr)
	.set _Z39paged_attention_ll4mi_QKV_mfma16_kernelIDF16_hLN4vllm18Fp8KVCacheDataTypeE1EhLi32ELi128ELi256ELb1ELi8EEvPKT_PKT0_S7_ifPKiS9_S9_iPKfiiiPfSC_PS2_PT2_iSB_SB_.num_named_barrier, max(0, .L__assert_fail.num_named_barrier)
	.set _Z39paged_attention_ll4mi_QKV_mfma16_kernelIDF16_hLN4vllm18Fp8KVCacheDataTypeE1EhLi32ELi128ELi256ELb1ELi8EEvPKT_PKT0_S7_ifPKiS9_S9_iPKfiiiPfSC_PS2_PT2_iSB_SB_.private_seg_size, 0+max(.L__assert_fail.private_seg_size)
	.set _Z39paged_attention_ll4mi_QKV_mfma16_kernelIDF16_hLN4vllm18Fp8KVCacheDataTypeE1EhLi32ELi128ELi256ELb1ELi8EEvPKT_PKT0_S7_ifPKiS9_S9_iPKfiiiPfSC_PS2_PT2_iSB_SB_.uses_vcc, or(1, .L__assert_fail.uses_vcc)
	.set _Z39paged_attention_ll4mi_QKV_mfma16_kernelIDF16_hLN4vllm18Fp8KVCacheDataTypeE1EhLi32ELi128ELi256ELb1ELi8EEvPKT_PKT0_S7_ifPKiS9_S9_iPKfiiiPfSC_PS2_PT2_iSB_SB_.uses_flat_scratch, or(0, .L__assert_fail.uses_flat_scratch)
	.set _Z39paged_attention_ll4mi_QKV_mfma16_kernelIDF16_hLN4vllm18Fp8KVCacheDataTypeE1EhLi32ELi128ELi256ELb1ELi8EEvPKT_PKT0_S7_ifPKiS9_S9_iPKfiiiPfSC_PS2_PT2_iSB_SB_.has_dyn_sized_stack, or(0, .L__assert_fail.has_dyn_sized_stack)
	.set _Z39paged_attention_ll4mi_QKV_mfma16_kernelIDF16_hLN4vllm18Fp8KVCacheDataTypeE1EhLi32ELi128ELi256ELb1ELi8EEvPKT_PKT0_S7_ifPKiS9_S9_iPKfiiiPfSC_PS2_PT2_iSB_SB_.has_recursion, or(0, .L__assert_fail.has_recursion)
	.set _Z39paged_attention_ll4mi_QKV_mfma16_kernelIDF16_hLN4vllm18Fp8KVCacheDataTypeE1EhLi32ELi128ELi256ELb1ELi8EEvPKT_PKT0_S7_ifPKiS9_S9_iPKfiiiPfSC_PS2_PT2_iSB_SB_.has_indirect_call, or(0, .L__assert_fail.has_indirect_call)
	.section	.AMDGPU.csdata,"",@progbits
; Kernel info:
; codeLenInByte = 68
; TotalNumSgprs: 36
; NumVgprs: 51
; ScratchSize: 64
; MemoryBound: 0
; FloatMode: 240
; IeeeMode: 1
; LDSByteSize: 0 bytes/workgroup (compile time only)
; SGPRBlocks: 0
; VGPRBlocks: 3
; NumSGPRsForWavesPerEU: 36
; NumVGPRsForWavesPerEU: 51
; NamedBarCnt: 0
; Occupancy: 16
; WaveLimiterHint : 1
; COMPUTE_PGM_RSRC2:SCRATCH_EN: 1
; COMPUTE_PGM_RSRC2:USER_SGPR: 2
; COMPUTE_PGM_RSRC2:TRAP_HANDLER: 0
; COMPUTE_PGM_RSRC2:TGID_X_EN: 1
; COMPUTE_PGM_RSRC2:TGID_Y_EN: 0
; COMPUTE_PGM_RSRC2:TGID_Z_EN: 0
; COMPUTE_PGM_RSRC2:TIDIG_COMP_CNT: 0
	.section	.text._Z39paged_attention_ll4mi_QKV_mfma16_kernelIDF16_hLN4vllm18Fp8KVCacheDataTypeE1EhLi32ELi128ELi256ELb1ELi9EEvPKT_PKT0_S7_ifPKiS9_S9_iPKfiiiPfSC_PS2_PT2_iSB_SB_,"axG",@progbits,_Z39paged_attention_ll4mi_QKV_mfma16_kernelIDF16_hLN4vllm18Fp8KVCacheDataTypeE1EhLi32ELi128ELi256ELb1ELi9EEvPKT_PKT0_S7_ifPKiS9_S9_iPKfiiiPfSC_PS2_PT2_iSB_SB_,comdat
	.protected	_Z39paged_attention_ll4mi_QKV_mfma16_kernelIDF16_hLN4vllm18Fp8KVCacheDataTypeE1EhLi32ELi128ELi256ELb1ELi9EEvPKT_PKT0_S7_ifPKiS9_S9_iPKfiiiPfSC_PS2_PT2_iSB_SB_ ; -- Begin function _Z39paged_attention_ll4mi_QKV_mfma16_kernelIDF16_hLN4vllm18Fp8KVCacheDataTypeE1EhLi32ELi128ELi256ELb1ELi9EEvPKT_PKT0_S7_ifPKiS9_S9_iPKfiiiPfSC_PS2_PT2_iSB_SB_
	.globl	_Z39paged_attention_ll4mi_QKV_mfma16_kernelIDF16_hLN4vllm18Fp8KVCacheDataTypeE1EhLi32ELi128ELi256ELb1ELi9EEvPKT_PKT0_S7_ifPKiS9_S9_iPKfiiiPfSC_PS2_PT2_iSB_SB_
	.p2align	8
	.type	_Z39paged_attention_ll4mi_QKV_mfma16_kernelIDF16_hLN4vllm18Fp8KVCacheDataTypeE1EhLi32ELi128ELi256ELb1ELi9EEvPKT_PKT0_S7_ifPKiS9_S9_iPKfiiiPfSC_PS2_PT2_iSB_SB_,@function
_Z39paged_attention_ll4mi_QKV_mfma16_kernelIDF16_hLN4vllm18Fp8KVCacheDataTypeE1EhLi32ELi128ELi256ELb1ELi9EEvPKT_PKT0_S7_ifPKiS9_S9_iPKfiiiPfSC_PS2_PT2_iSB_SB_: ; @_Z39paged_attention_ll4mi_QKV_mfma16_kernelIDF16_hLN4vllm18Fp8KVCacheDataTypeE1EhLi32ELi128ELi256ELb1ELi9EEvPKT_PKT0_S7_ifPKiS9_S9_iPKfiiiPfSC_PS2_PT2_iSB_SB_
; %bb.0:
	s_get_pc_i64 s[2:3]
	s_add_nc_u64 s[2:3], s[2:3], __PRETTY_FUNCTION__._Z39paged_attention_ll4mi_QKV_mfma16_kernelIDF16_hLN4vllm18Fp8KVCacheDataTypeE1EhLi32ELi128ELi256ELb1ELi9EEvPKT_PKT0_S7_ifPKiS9_S9_iPKfiiiPfSC_PS2_PT2_iSB_SB_@rel64+4
	s_delay_alu instid0(SALU_CYCLE_1)
	v_dual_mov_b32 v0, 0xbb3 :: v_dual_mov_b32 v1, s2
	v_mov_b32_e32 v2, s3
	s_add_nc_u64 s[8:9], s[0:1], 0x90
	s_get_pc_i64 s[0:1]
	s_add_nc_u64 s[0:1], s[0:1], __assert_fail@rel64+4
	s_mov_b32 s32, 0
	s_swap_pc_i64 s[30:31], s[0:1]
	.section	.rodata,"a",@progbits
	.p2align	6, 0x0
	.amdhsa_kernel _Z39paged_attention_ll4mi_QKV_mfma16_kernelIDF16_hLN4vllm18Fp8KVCacheDataTypeE1EhLi32ELi128ELi256ELb1ELi9EEvPKT_PKT0_S7_ifPKiS9_S9_iPKfiiiPfSC_PS2_PT2_iSB_SB_
		.amdhsa_group_segment_fixed_size 0
		.amdhsa_private_segment_fixed_size 64
		.amdhsa_kernarg_size 400
		.amdhsa_user_sgpr_count 2
		.amdhsa_user_sgpr_dispatch_ptr 0
		.amdhsa_user_sgpr_queue_ptr 0
		.amdhsa_user_sgpr_kernarg_segment_ptr 1
		.amdhsa_user_sgpr_dispatch_id 0
		.amdhsa_user_sgpr_kernarg_preload_length 0
		.amdhsa_user_sgpr_kernarg_preload_offset 0
		.amdhsa_user_sgpr_private_segment_size 0
		.amdhsa_wavefront_size32 1
		.amdhsa_uses_dynamic_stack 0
		.amdhsa_enable_private_segment 1
		.amdhsa_system_sgpr_workgroup_id_x 1
		.amdhsa_system_sgpr_workgroup_id_y 0
		.amdhsa_system_sgpr_workgroup_id_z 0
		.amdhsa_system_sgpr_workgroup_info 0
		.amdhsa_system_vgpr_workitem_id 0
		.amdhsa_next_free_vgpr 51
		.amdhsa_next_free_sgpr 34
		.amdhsa_named_barrier_count 0
		.amdhsa_reserve_vcc 1
		.amdhsa_float_round_mode_32 0
		.amdhsa_float_round_mode_16_64 0
		.amdhsa_float_denorm_mode_32 3
		.amdhsa_float_denorm_mode_16_64 3
		.amdhsa_fp16_overflow 0
		.amdhsa_memory_ordered 1
		.amdhsa_forward_progress 1
		.amdhsa_inst_pref_size 1
		.amdhsa_round_robin_scheduling 0
		.amdhsa_exception_fp_ieee_invalid_op 0
		.amdhsa_exception_fp_denorm_src 0
		.amdhsa_exception_fp_ieee_div_zero 0
		.amdhsa_exception_fp_ieee_overflow 0
		.amdhsa_exception_fp_ieee_underflow 0
		.amdhsa_exception_fp_ieee_inexact 0
		.amdhsa_exception_int_div_zero 0
	.end_amdhsa_kernel
	.section	.text._Z39paged_attention_ll4mi_QKV_mfma16_kernelIDF16_hLN4vllm18Fp8KVCacheDataTypeE1EhLi32ELi128ELi256ELb1ELi9EEvPKT_PKT0_S7_ifPKiS9_S9_iPKfiiiPfSC_PS2_PT2_iSB_SB_,"axG",@progbits,_Z39paged_attention_ll4mi_QKV_mfma16_kernelIDF16_hLN4vllm18Fp8KVCacheDataTypeE1EhLi32ELi128ELi256ELb1ELi9EEvPKT_PKT0_S7_ifPKiS9_S9_iPKfiiiPfSC_PS2_PT2_iSB_SB_,comdat
.Lfunc_end1018:
	.size	_Z39paged_attention_ll4mi_QKV_mfma16_kernelIDF16_hLN4vllm18Fp8KVCacheDataTypeE1EhLi32ELi128ELi256ELb1ELi9EEvPKT_PKT0_S7_ifPKiS9_S9_iPKfiiiPfSC_PS2_PT2_iSB_SB_, .Lfunc_end1018-_Z39paged_attention_ll4mi_QKV_mfma16_kernelIDF16_hLN4vllm18Fp8KVCacheDataTypeE1EhLi32ELi128ELi256ELb1ELi9EEvPKT_PKT0_S7_ifPKiS9_S9_iPKfiiiPfSC_PS2_PT2_iSB_SB_
                                        ; -- End function
	.set _Z39paged_attention_ll4mi_QKV_mfma16_kernelIDF16_hLN4vllm18Fp8KVCacheDataTypeE1EhLi32ELi128ELi256ELb1ELi9EEvPKT_PKT0_S7_ifPKiS9_S9_iPKfiiiPfSC_PS2_PT2_iSB_SB_.num_vgpr, max(3, .L__assert_fail.num_vgpr)
	.set _Z39paged_attention_ll4mi_QKV_mfma16_kernelIDF16_hLN4vllm18Fp8KVCacheDataTypeE1EhLi32ELi128ELi256ELb1ELi9EEvPKT_PKT0_S7_ifPKiS9_S9_iPKfiiiPfSC_PS2_PT2_iSB_SB_.num_agpr, max(0, .L__assert_fail.num_agpr)
	.set _Z39paged_attention_ll4mi_QKV_mfma16_kernelIDF16_hLN4vllm18Fp8KVCacheDataTypeE1EhLi32ELi128ELi256ELb1ELi9EEvPKT_PKT0_S7_ifPKiS9_S9_iPKfiiiPfSC_PS2_PT2_iSB_SB_.numbered_sgpr, max(33, .L__assert_fail.numbered_sgpr)
	.set _Z39paged_attention_ll4mi_QKV_mfma16_kernelIDF16_hLN4vllm18Fp8KVCacheDataTypeE1EhLi32ELi128ELi256ELb1ELi9EEvPKT_PKT0_S7_ifPKiS9_S9_iPKfiiiPfSC_PS2_PT2_iSB_SB_.num_named_barrier, max(0, .L__assert_fail.num_named_barrier)
	.set _Z39paged_attention_ll4mi_QKV_mfma16_kernelIDF16_hLN4vllm18Fp8KVCacheDataTypeE1EhLi32ELi128ELi256ELb1ELi9EEvPKT_PKT0_S7_ifPKiS9_S9_iPKfiiiPfSC_PS2_PT2_iSB_SB_.private_seg_size, 0+max(.L__assert_fail.private_seg_size)
	.set _Z39paged_attention_ll4mi_QKV_mfma16_kernelIDF16_hLN4vllm18Fp8KVCacheDataTypeE1EhLi32ELi128ELi256ELb1ELi9EEvPKT_PKT0_S7_ifPKiS9_S9_iPKfiiiPfSC_PS2_PT2_iSB_SB_.uses_vcc, or(1, .L__assert_fail.uses_vcc)
	.set _Z39paged_attention_ll4mi_QKV_mfma16_kernelIDF16_hLN4vllm18Fp8KVCacheDataTypeE1EhLi32ELi128ELi256ELb1ELi9EEvPKT_PKT0_S7_ifPKiS9_S9_iPKfiiiPfSC_PS2_PT2_iSB_SB_.uses_flat_scratch, or(0, .L__assert_fail.uses_flat_scratch)
	.set _Z39paged_attention_ll4mi_QKV_mfma16_kernelIDF16_hLN4vllm18Fp8KVCacheDataTypeE1EhLi32ELi128ELi256ELb1ELi9EEvPKT_PKT0_S7_ifPKiS9_S9_iPKfiiiPfSC_PS2_PT2_iSB_SB_.has_dyn_sized_stack, or(0, .L__assert_fail.has_dyn_sized_stack)
	.set _Z39paged_attention_ll4mi_QKV_mfma16_kernelIDF16_hLN4vllm18Fp8KVCacheDataTypeE1EhLi32ELi128ELi256ELb1ELi9EEvPKT_PKT0_S7_ifPKiS9_S9_iPKfiiiPfSC_PS2_PT2_iSB_SB_.has_recursion, or(0, .L__assert_fail.has_recursion)
	.set _Z39paged_attention_ll4mi_QKV_mfma16_kernelIDF16_hLN4vllm18Fp8KVCacheDataTypeE1EhLi32ELi128ELi256ELb1ELi9EEvPKT_PKT0_S7_ifPKiS9_S9_iPKfiiiPfSC_PS2_PT2_iSB_SB_.has_indirect_call, or(0, .L__assert_fail.has_indirect_call)
	.section	.AMDGPU.csdata,"",@progbits
; Kernel info:
; codeLenInByte = 68
; TotalNumSgprs: 36
; NumVgprs: 51
; ScratchSize: 64
; MemoryBound: 0
; FloatMode: 240
; IeeeMode: 1
; LDSByteSize: 0 bytes/workgroup (compile time only)
; SGPRBlocks: 0
; VGPRBlocks: 3
; NumSGPRsForWavesPerEU: 36
; NumVGPRsForWavesPerEU: 51
; NamedBarCnt: 0
; Occupancy: 16
; WaveLimiterHint : 1
; COMPUTE_PGM_RSRC2:SCRATCH_EN: 1
; COMPUTE_PGM_RSRC2:USER_SGPR: 2
; COMPUTE_PGM_RSRC2:TRAP_HANDLER: 0
; COMPUTE_PGM_RSRC2:TGID_X_EN: 1
; COMPUTE_PGM_RSRC2:TGID_Y_EN: 0
; COMPUTE_PGM_RSRC2:TGID_Z_EN: 0
; COMPUTE_PGM_RSRC2:TIDIG_COMP_CNT: 0
	.section	.text._Z39paged_attention_ll4mi_QKV_mfma16_kernelIDF16_hLN4vllm18Fp8KVCacheDataTypeE1EhLi32ELi128ELi256ELb1ELi10EEvPKT_PKT0_S7_ifPKiS9_S9_iPKfiiiPfSC_PS2_PT2_iSB_SB_,"axG",@progbits,_Z39paged_attention_ll4mi_QKV_mfma16_kernelIDF16_hLN4vllm18Fp8KVCacheDataTypeE1EhLi32ELi128ELi256ELb1ELi10EEvPKT_PKT0_S7_ifPKiS9_S9_iPKfiiiPfSC_PS2_PT2_iSB_SB_,comdat
	.protected	_Z39paged_attention_ll4mi_QKV_mfma16_kernelIDF16_hLN4vllm18Fp8KVCacheDataTypeE1EhLi32ELi128ELi256ELb1ELi10EEvPKT_PKT0_S7_ifPKiS9_S9_iPKfiiiPfSC_PS2_PT2_iSB_SB_ ; -- Begin function _Z39paged_attention_ll4mi_QKV_mfma16_kernelIDF16_hLN4vllm18Fp8KVCacheDataTypeE1EhLi32ELi128ELi256ELb1ELi10EEvPKT_PKT0_S7_ifPKiS9_S9_iPKfiiiPfSC_PS2_PT2_iSB_SB_
	.globl	_Z39paged_attention_ll4mi_QKV_mfma16_kernelIDF16_hLN4vllm18Fp8KVCacheDataTypeE1EhLi32ELi128ELi256ELb1ELi10EEvPKT_PKT0_S7_ifPKiS9_S9_iPKfiiiPfSC_PS2_PT2_iSB_SB_
	.p2align	8
	.type	_Z39paged_attention_ll4mi_QKV_mfma16_kernelIDF16_hLN4vllm18Fp8KVCacheDataTypeE1EhLi32ELi128ELi256ELb1ELi10EEvPKT_PKT0_S7_ifPKiS9_S9_iPKfiiiPfSC_PS2_PT2_iSB_SB_,@function
_Z39paged_attention_ll4mi_QKV_mfma16_kernelIDF16_hLN4vllm18Fp8KVCacheDataTypeE1EhLi32ELi128ELi256ELb1ELi10EEvPKT_PKT0_S7_ifPKiS9_S9_iPKfiiiPfSC_PS2_PT2_iSB_SB_: ; @_Z39paged_attention_ll4mi_QKV_mfma16_kernelIDF16_hLN4vllm18Fp8KVCacheDataTypeE1EhLi32ELi128ELi256ELb1ELi10EEvPKT_PKT0_S7_ifPKiS9_S9_iPKfiiiPfSC_PS2_PT2_iSB_SB_
; %bb.0:
	s_get_pc_i64 s[2:3]
	s_add_nc_u64 s[2:3], s[2:3], __PRETTY_FUNCTION__._Z39paged_attention_ll4mi_QKV_mfma16_kernelIDF16_hLN4vllm18Fp8KVCacheDataTypeE1EhLi32ELi128ELi256ELb1ELi10EEvPKT_PKT0_S7_ifPKiS9_S9_iPKfiiiPfSC_PS2_PT2_iSB_SB_@rel64+4
	s_delay_alu instid0(SALU_CYCLE_1)
	v_dual_mov_b32 v0, 0xbb3 :: v_dual_mov_b32 v1, s2
	v_mov_b32_e32 v2, s3
	s_add_nc_u64 s[8:9], s[0:1], 0x90
	s_get_pc_i64 s[0:1]
	s_add_nc_u64 s[0:1], s[0:1], __assert_fail@rel64+4
	s_mov_b32 s32, 0
	s_swap_pc_i64 s[30:31], s[0:1]
	.section	.rodata,"a",@progbits
	.p2align	6, 0x0
	.amdhsa_kernel _Z39paged_attention_ll4mi_QKV_mfma16_kernelIDF16_hLN4vllm18Fp8KVCacheDataTypeE1EhLi32ELi128ELi256ELb1ELi10EEvPKT_PKT0_S7_ifPKiS9_S9_iPKfiiiPfSC_PS2_PT2_iSB_SB_
		.amdhsa_group_segment_fixed_size 0
		.amdhsa_private_segment_fixed_size 64
		.amdhsa_kernarg_size 400
		.amdhsa_user_sgpr_count 2
		.amdhsa_user_sgpr_dispatch_ptr 0
		.amdhsa_user_sgpr_queue_ptr 0
		.amdhsa_user_sgpr_kernarg_segment_ptr 1
		.amdhsa_user_sgpr_dispatch_id 0
		.amdhsa_user_sgpr_kernarg_preload_length 0
		.amdhsa_user_sgpr_kernarg_preload_offset 0
		.amdhsa_user_sgpr_private_segment_size 0
		.amdhsa_wavefront_size32 1
		.amdhsa_uses_dynamic_stack 0
		.amdhsa_enable_private_segment 1
		.amdhsa_system_sgpr_workgroup_id_x 1
		.amdhsa_system_sgpr_workgroup_id_y 0
		.amdhsa_system_sgpr_workgroup_id_z 0
		.amdhsa_system_sgpr_workgroup_info 0
		.amdhsa_system_vgpr_workitem_id 0
		.amdhsa_next_free_vgpr 51
		.amdhsa_next_free_sgpr 34
		.amdhsa_named_barrier_count 0
		.amdhsa_reserve_vcc 1
		.amdhsa_float_round_mode_32 0
		.amdhsa_float_round_mode_16_64 0
		.amdhsa_float_denorm_mode_32 3
		.amdhsa_float_denorm_mode_16_64 3
		.amdhsa_fp16_overflow 0
		.amdhsa_memory_ordered 1
		.amdhsa_forward_progress 1
		.amdhsa_inst_pref_size 1
		.amdhsa_round_robin_scheduling 0
		.amdhsa_exception_fp_ieee_invalid_op 0
		.amdhsa_exception_fp_denorm_src 0
		.amdhsa_exception_fp_ieee_div_zero 0
		.amdhsa_exception_fp_ieee_overflow 0
		.amdhsa_exception_fp_ieee_underflow 0
		.amdhsa_exception_fp_ieee_inexact 0
		.amdhsa_exception_int_div_zero 0
	.end_amdhsa_kernel
	.section	.text._Z39paged_attention_ll4mi_QKV_mfma16_kernelIDF16_hLN4vllm18Fp8KVCacheDataTypeE1EhLi32ELi128ELi256ELb1ELi10EEvPKT_PKT0_S7_ifPKiS9_S9_iPKfiiiPfSC_PS2_PT2_iSB_SB_,"axG",@progbits,_Z39paged_attention_ll4mi_QKV_mfma16_kernelIDF16_hLN4vllm18Fp8KVCacheDataTypeE1EhLi32ELi128ELi256ELb1ELi10EEvPKT_PKT0_S7_ifPKiS9_S9_iPKfiiiPfSC_PS2_PT2_iSB_SB_,comdat
.Lfunc_end1019:
	.size	_Z39paged_attention_ll4mi_QKV_mfma16_kernelIDF16_hLN4vllm18Fp8KVCacheDataTypeE1EhLi32ELi128ELi256ELb1ELi10EEvPKT_PKT0_S7_ifPKiS9_S9_iPKfiiiPfSC_PS2_PT2_iSB_SB_, .Lfunc_end1019-_Z39paged_attention_ll4mi_QKV_mfma16_kernelIDF16_hLN4vllm18Fp8KVCacheDataTypeE1EhLi32ELi128ELi256ELb1ELi10EEvPKT_PKT0_S7_ifPKiS9_S9_iPKfiiiPfSC_PS2_PT2_iSB_SB_
                                        ; -- End function
	.set _Z39paged_attention_ll4mi_QKV_mfma16_kernelIDF16_hLN4vllm18Fp8KVCacheDataTypeE1EhLi32ELi128ELi256ELb1ELi10EEvPKT_PKT0_S7_ifPKiS9_S9_iPKfiiiPfSC_PS2_PT2_iSB_SB_.num_vgpr, max(3, .L__assert_fail.num_vgpr)
	.set _Z39paged_attention_ll4mi_QKV_mfma16_kernelIDF16_hLN4vllm18Fp8KVCacheDataTypeE1EhLi32ELi128ELi256ELb1ELi10EEvPKT_PKT0_S7_ifPKiS9_S9_iPKfiiiPfSC_PS2_PT2_iSB_SB_.num_agpr, max(0, .L__assert_fail.num_agpr)
	.set _Z39paged_attention_ll4mi_QKV_mfma16_kernelIDF16_hLN4vllm18Fp8KVCacheDataTypeE1EhLi32ELi128ELi256ELb1ELi10EEvPKT_PKT0_S7_ifPKiS9_S9_iPKfiiiPfSC_PS2_PT2_iSB_SB_.numbered_sgpr, max(33, .L__assert_fail.numbered_sgpr)
	.set _Z39paged_attention_ll4mi_QKV_mfma16_kernelIDF16_hLN4vllm18Fp8KVCacheDataTypeE1EhLi32ELi128ELi256ELb1ELi10EEvPKT_PKT0_S7_ifPKiS9_S9_iPKfiiiPfSC_PS2_PT2_iSB_SB_.num_named_barrier, max(0, .L__assert_fail.num_named_barrier)
	.set _Z39paged_attention_ll4mi_QKV_mfma16_kernelIDF16_hLN4vllm18Fp8KVCacheDataTypeE1EhLi32ELi128ELi256ELb1ELi10EEvPKT_PKT0_S7_ifPKiS9_S9_iPKfiiiPfSC_PS2_PT2_iSB_SB_.private_seg_size, 0+max(.L__assert_fail.private_seg_size)
	.set _Z39paged_attention_ll4mi_QKV_mfma16_kernelIDF16_hLN4vllm18Fp8KVCacheDataTypeE1EhLi32ELi128ELi256ELb1ELi10EEvPKT_PKT0_S7_ifPKiS9_S9_iPKfiiiPfSC_PS2_PT2_iSB_SB_.uses_vcc, or(1, .L__assert_fail.uses_vcc)
	.set _Z39paged_attention_ll4mi_QKV_mfma16_kernelIDF16_hLN4vllm18Fp8KVCacheDataTypeE1EhLi32ELi128ELi256ELb1ELi10EEvPKT_PKT0_S7_ifPKiS9_S9_iPKfiiiPfSC_PS2_PT2_iSB_SB_.uses_flat_scratch, or(0, .L__assert_fail.uses_flat_scratch)
	.set _Z39paged_attention_ll4mi_QKV_mfma16_kernelIDF16_hLN4vllm18Fp8KVCacheDataTypeE1EhLi32ELi128ELi256ELb1ELi10EEvPKT_PKT0_S7_ifPKiS9_S9_iPKfiiiPfSC_PS2_PT2_iSB_SB_.has_dyn_sized_stack, or(0, .L__assert_fail.has_dyn_sized_stack)
	.set _Z39paged_attention_ll4mi_QKV_mfma16_kernelIDF16_hLN4vllm18Fp8KVCacheDataTypeE1EhLi32ELi128ELi256ELb1ELi10EEvPKT_PKT0_S7_ifPKiS9_S9_iPKfiiiPfSC_PS2_PT2_iSB_SB_.has_recursion, or(0, .L__assert_fail.has_recursion)
	.set _Z39paged_attention_ll4mi_QKV_mfma16_kernelIDF16_hLN4vllm18Fp8KVCacheDataTypeE1EhLi32ELi128ELi256ELb1ELi10EEvPKT_PKT0_S7_ifPKiS9_S9_iPKfiiiPfSC_PS2_PT2_iSB_SB_.has_indirect_call, or(0, .L__assert_fail.has_indirect_call)
	.section	.AMDGPU.csdata,"",@progbits
; Kernel info:
; codeLenInByte = 68
; TotalNumSgprs: 36
; NumVgprs: 51
; ScratchSize: 64
; MemoryBound: 0
; FloatMode: 240
; IeeeMode: 1
; LDSByteSize: 0 bytes/workgroup (compile time only)
; SGPRBlocks: 0
; VGPRBlocks: 3
; NumSGPRsForWavesPerEU: 36
; NumVGPRsForWavesPerEU: 51
; NamedBarCnt: 0
; Occupancy: 16
; WaveLimiterHint : 1
; COMPUTE_PGM_RSRC2:SCRATCH_EN: 1
; COMPUTE_PGM_RSRC2:USER_SGPR: 2
; COMPUTE_PGM_RSRC2:TRAP_HANDLER: 0
; COMPUTE_PGM_RSRC2:TGID_X_EN: 1
; COMPUTE_PGM_RSRC2:TGID_Y_EN: 0
; COMPUTE_PGM_RSRC2:TGID_Z_EN: 0
; COMPUTE_PGM_RSRC2:TIDIG_COMP_CNT: 0
	.section	.text._Z39paged_attention_ll4mi_QKV_mfma16_kernelIDF16_hLN4vllm18Fp8KVCacheDataTypeE1EhLi32ELi128ELi256ELb1ELi11EEvPKT_PKT0_S7_ifPKiS9_S9_iPKfiiiPfSC_PS2_PT2_iSB_SB_,"axG",@progbits,_Z39paged_attention_ll4mi_QKV_mfma16_kernelIDF16_hLN4vllm18Fp8KVCacheDataTypeE1EhLi32ELi128ELi256ELb1ELi11EEvPKT_PKT0_S7_ifPKiS9_S9_iPKfiiiPfSC_PS2_PT2_iSB_SB_,comdat
	.protected	_Z39paged_attention_ll4mi_QKV_mfma16_kernelIDF16_hLN4vllm18Fp8KVCacheDataTypeE1EhLi32ELi128ELi256ELb1ELi11EEvPKT_PKT0_S7_ifPKiS9_S9_iPKfiiiPfSC_PS2_PT2_iSB_SB_ ; -- Begin function _Z39paged_attention_ll4mi_QKV_mfma16_kernelIDF16_hLN4vllm18Fp8KVCacheDataTypeE1EhLi32ELi128ELi256ELb1ELi11EEvPKT_PKT0_S7_ifPKiS9_S9_iPKfiiiPfSC_PS2_PT2_iSB_SB_
	.globl	_Z39paged_attention_ll4mi_QKV_mfma16_kernelIDF16_hLN4vllm18Fp8KVCacheDataTypeE1EhLi32ELi128ELi256ELb1ELi11EEvPKT_PKT0_S7_ifPKiS9_S9_iPKfiiiPfSC_PS2_PT2_iSB_SB_
	.p2align	8
	.type	_Z39paged_attention_ll4mi_QKV_mfma16_kernelIDF16_hLN4vllm18Fp8KVCacheDataTypeE1EhLi32ELi128ELi256ELb1ELi11EEvPKT_PKT0_S7_ifPKiS9_S9_iPKfiiiPfSC_PS2_PT2_iSB_SB_,@function
_Z39paged_attention_ll4mi_QKV_mfma16_kernelIDF16_hLN4vllm18Fp8KVCacheDataTypeE1EhLi32ELi128ELi256ELb1ELi11EEvPKT_PKT0_S7_ifPKiS9_S9_iPKfiiiPfSC_PS2_PT2_iSB_SB_: ; @_Z39paged_attention_ll4mi_QKV_mfma16_kernelIDF16_hLN4vllm18Fp8KVCacheDataTypeE1EhLi32ELi128ELi256ELb1ELi11EEvPKT_PKT0_S7_ifPKiS9_S9_iPKfiiiPfSC_PS2_PT2_iSB_SB_
; %bb.0:
	s_get_pc_i64 s[2:3]
	s_add_nc_u64 s[2:3], s[2:3], __PRETTY_FUNCTION__._Z39paged_attention_ll4mi_QKV_mfma16_kernelIDF16_hLN4vllm18Fp8KVCacheDataTypeE1EhLi32ELi128ELi256ELb1ELi11EEvPKT_PKT0_S7_ifPKiS9_S9_iPKfiiiPfSC_PS2_PT2_iSB_SB_@rel64+4
	s_delay_alu instid0(SALU_CYCLE_1)
	v_dual_mov_b32 v0, 0xbb3 :: v_dual_mov_b32 v1, s2
	v_mov_b32_e32 v2, s3
	s_add_nc_u64 s[8:9], s[0:1], 0x90
	s_get_pc_i64 s[0:1]
	s_add_nc_u64 s[0:1], s[0:1], __assert_fail@rel64+4
	s_mov_b32 s32, 0
	s_swap_pc_i64 s[30:31], s[0:1]
	.section	.rodata,"a",@progbits
	.p2align	6, 0x0
	.amdhsa_kernel _Z39paged_attention_ll4mi_QKV_mfma16_kernelIDF16_hLN4vllm18Fp8KVCacheDataTypeE1EhLi32ELi128ELi256ELb1ELi11EEvPKT_PKT0_S7_ifPKiS9_S9_iPKfiiiPfSC_PS2_PT2_iSB_SB_
		.amdhsa_group_segment_fixed_size 0
		.amdhsa_private_segment_fixed_size 64
		.amdhsa_kernarg_size 400
		.amdhsa_user_sgpr_count 2
		.amdhsa_user_sgpr_dispatch_ptr 0
		.amdhsa_user_sgpr_queue_ptr 0
		.amdhsa_user_sgpr_kernarg_segment_ptr 1
		.amdhsa_user_sgpr_dispatch_id 0
		.amdhsa_user_sgpr_kernarg_preload_length 0
		.amdhsa_user_sgpr_kernarg_preload_offset 0
		.amdhsa_user_sgpr_private_segment_size 0
		.amdhsa_wavefront_size32 1
		.amdhsa_uses_dynamic_stack 0
		.amdhsa_enable_private_segment 1
		.amdhsa_system_sgpr_workgroup_id_x 1
		.amdhsa_system_sgpr_workgroup_id_y 0
		.amdhsa_system_sgpr_workgroup_id_z 0
		.amdhsa_system_sgpr_workgroup_info 0
		.amdhsa_system_vgpr_workitem_id 0
		.amdhsa_next_free_vgpr 51
		.amdhsa_next_free_sgpr 34
		.amdhsa_named_barrier_count 0
		.amdhsa_reserve_vcc 1
		.amdhsa_float_round_mode_32 0
		.amdhsa_float_round_mode_16_64 0
		.amdhsa_float_denorm_mode_32 3
		.amdhsa_float_denorm_mode_16_64 3
		.amdhsa_fp16_overflow 0
		.amdhsa_memory_ordered 1
		.amdhsa_forward_progress 1
		.amdhsa_inst_pref_size 1
		.amdhsa_round_robin_scheduling 0
		.amdhsa_exception_fp_ieee_invalid_op 0
		.amdhsa_exception_fp_denorm_src 0
		.amdhsa_exception_fp_ieee_div_zero 0
		.amdhsa_exception_fp_ieee_overflow 0
		.amdhsa_exception_fp_ieee_underflow 0
		.amdhsa_exception_fp_ieee_inexact 0
		.amdhsa_exception_int_div_zero 0
	.end_amdhsa_kernel
	.section	.text._Z39paged_attention_ll4mi_QKV_mfma16_kernelIDF16_hLN4vllm18Fp8KVCacheDataTypeE1EhLi32ELi128ELi256ELb1ELi11EEvPKT_PKT0_S7_ifPKiS9_S9_iPKfiiiPfSC_PS2_PT2_iSB_SB_,"axG",@progbits,_Z39paged_attention_ll4mi_QKV_mfma16_kernelIDF16_hLN4vllm18Fp8KVCacheDataTypeE1EhLi32ELi128ELi256ELb1ELi11EEvPKT_PKT0_S7_ifPKiS9_S9_iPKfiiiPfSC_PS2_PT2_iSB_SB_,comdat
.Lfunc_end1020:
	.size	_Z39paged_attention_ll4mi_QKV_mfma16_kernelIDF16_hLN4vllm18Fp8KVCacheDataTypeE1EhLi32ELi128ELi256ELb1ELi11EEvPKT_PKT0_S7_ifPKiS9_S9_iPKfiiiPfSC_PS2_PT2_iSB_SB_, .Lfunc_end1020-_Z39paged_attention_ll4mi_QKV_mfma16_kernelIDF16_hLN4vllm18Fp8KVCacheDataTypeE1EhLi32ELi128ELi256ELb1ELi11EEvPKT_PKT0_S7_ifPKiS9_S9_iPKfiiiPfSC_PS2_PT2_iSB_SB_
                                        ; -- End function
	.set _Z39paged_attention_ll4mi_QKV_mfma16_kernelIDF16_hLN4vllm18Fp8KVCacheDataTypeE1EhLi32ELi128ELi256ELb1ELi11EEvPKT_PKT0_S7_ifPKiS9_S9_iPKfiiiPfSC_PS2_PT2_iSB_SB_.num_vgpr, max(3, .L__assert_fail.num_vgpr)
	.set _Z39paged_attention_ll4mi_QKV_mfma16_kernelIDF16_hLN4vllm18Fp8KVCacheDataTypeE1EhLi32ELi128ELi256ELb1ELi11EEvPKT_PKT0_S7_ifPKiS9_S9_iPKfiiiPfSC_PS2_PT2_iSB_SB_.num_agpr, max(0, .L__assert_fail.num_agpr)
	.set _Z39paged_attention_ll4mi_QKV_mfma16_kernelIDF16_hLN4vllm18Fp8KVCacheDataTypeE1EhLi32ELi128ELi256ELb1ELi11EEvPKT_PKT0_S7_ifPKiS9_S9_iPKfiiiPfSC_PS2_PT2_iSB_SB_.numbered_sgpr, max(33, .L__assert_fail.numbered_sgpr)
	.set _Z39paged_attention_ll4mi_QKV_mfma16_kernelIDF16_hLN4vllm18Fp8KVCacheDataTypeE1EhLi32ELi128ELi256ELb1ELi11EEvPKT_PKT0_S7_ifPKiS9_S9_iPKfiiiPfSC_PS2_PT2_iSB_SB_.num_named_barrier, max(0, .L__assert_fail.num_named_barrier)
	.set _Z39paged_attention_ll4mi_QKV_mfma16_kernelIDF16_hLN4vllm18Fp8KVCacheDataTypeE1EhLi32ELi128ELi256ELb1ELi11EEvPKT_PKT0_S7_ifPKiS9_S9_iPKfiiiPfSC_PS2_PT2_iSB_SB_.private_seg_size, 0+max(.L__assert_fail.private_seg_size)
	.set _Z39paged_attention_ll4mi_QKV_mfma16_kernelIDF16_hLN4vllm18Fp8KVCacheDataTypeE1EhLi32ELi128ELi256ELb1ELi11EEvPKT_PKT0_S7_ifPKiS9_S9_iPKfiiiPfSC_PS2_PT2_iSB_SB_.uses_vcc, or(1, .L__assert_fail.uses_vcc)
	.set _Z39paged_attention_ll4mi_QKV_mfma16_kernelIDF16_hLN4vllm18Fp8KVCacheDataTypeE1EhLi32ELi128ELi256ELb1ELi11EEvPKT_PKT0_S7_ifPKiS9_S9_iPKfiiiPfSC_PS2_PT2_iSB_SB_.uses_flat_scratch, or(0, .L__assert_fail.uses_flat_scratch)
	.set _Z39paged_attention_ll4mi_QKV_mfma16_kernelIDF16_hLN4vllm18Fp8KVCacheDataTypeE1EhLi32ELi128ELi256ELb1ELi11EEvPKT_PKT0_S7_ifPKiS9_S9_iPKfiiiPfSC_PS2_PT2_iSB_SB_.has_dyn_sized_stack, or(0, .L__assert_fail.has_dyn_sized_stack)
	.set _Z39paged_attention_ll4mi_QKV_mfma16_kernelIDF16_hLN4vllm18Fp8KVCacheDataTypeE1EhLi32ELi128ELi256ELb1ELi11EEvPKT_PKT0_S7_ifPKiS9_S9_iPKfiiiPfSC_PS2_PT2_iSB_SB_.has_recursion, or(0, .L__assert_fail.has_recursion)
	.set _Z39paged_attention_ll4mi_QKV_mfma16_kernelIDF16_hLN4vllm18Fp8KVCacheDataTypeE1EhLi32ELi128ELi256ELb1ELi11EEvPKT_PKT0_S7_ifPKiS9_S9_iPKfiiiPfSC_PS2_PT2_iSB_SB_.has_indirect_call, or(0, .L__assert_fail.has_indirect_call)
	.section	.AMDGPU.csdata,"",@progbits
; Kernel info:
; codeLenInByte = 68
; TotalNumSgprs: 36
; NumVgprs: 51
; ScratchSize: 64
; MemoryBound: 0
; FloatMode: 240
; IeeeMode: 1
; LDSByteSize: 0 bytes/workgroup (compile time only)
; SGPRBlocks: 0
; VGPRBlocks: 3
; NumSGPRsForWavesPerEU: 36
; NumVGPRsForWavesPerEU: 51
; NamedBarCnt: 0
; Occupancy: 16
; WaveLimiterHint : 1
; COMPUTE_PGM_RSRC2:SCRATCH_EN: 1
; COMPUTE_PGM_RSRC2:USER_SGPR: 2
; COMPUTE_PGM_RSRC2:TRAP_HANDLER: 0
; COMPUTE_PGM_RSRC2:TGID_X_EN: 1
; COMPUTE_PGM_RSRC2:TGID_Y_EN: 0
; COMPUTE_PGM_RSRC2:TGID_Z_EN: 0
; COMPUTE_PGM_RSRC2:TIDIG_COMP_CNT: 0
	.section	.text._Z39paged_attention_ll4mi_QKV_mfma16_kernelIDF16_hLN4vllm18Fp8KVCacheDataTypeE1EhLi32ELi128ELi256ELb1ELi12EEvPKT_PKT0_S7_ifPKiS9_S9_iPKfiiiPfSC_PS2_PT2_iSB_SB_,"axG",@progbits,_Z39paged_attention_ll4mi_QKV_mfma16_kernelIDF16_hLN4vllm18Fp8KVCacheDataTypeE1EhLi32ELi128ELi256ELb1ELi12EEvPKT_PKT0_S7_ifPKiS9_S9_iPKfiiiPfSC_PS2_PT2_iSB_SB_,comdat
	.protected	_Z39paged_attention_ll4mi_QKV_mfma16_kernelIDF16_hLN4vllm18Fp8KVCacheDataTypeE1EhLi32ELi128ELi256ELb1ELi12EEvPKT_PKT0_S7_ifPKiS9_S9_iPKfiiiPfSC_PS2_PT2_iSB_SB_ ; -- Begin function _Z39paged_attention_ll4mi_QKV_mfma16_kernelIDF16_hLN4vllm18Fp8KVCacheDataTypeE1EhLi32ELi128ELi256ELb1ELi12EEvPKT_PKT0_S7_ifPKiS9_S9_iPKfiiiPfSC_PS2_PT2_iSB_SB_
	.globl	_Z39paged_attention_ll4mi_QKV_mfma16_kernelIDF16_hLN4vllm18Fp8KVCacheDataTypeE1EhLi32ELi128ELi256ELb1ELi12EEvPKT_PKT0_S7_ifPKiS9_S9_iPKfiiiPfSC_PS2_PT2_iSB_SB_
	.p2align	8
	.type	_Z39paged_attention_ll4mi_QKV_mfma16_kernelIDF16_hLN4vllm18Fp8KVCacheDataTypeE1EhLi32ELi128ELi256ELb1ELi12EEvPKT_PKT0_S7_ifPKiS9_S9_iPKfiiiPfSC_PS2_PT2_iSB_SB_,@function
_Z39paged_attention_ll4mi_QKV_mfma16_kernelIDF16_hLN4vllm18Fp8KVCacheDataTypeE1EhLi32ELi128ELi256ELb1ELi12EEvPKT_PKT0_S7_ifPKiS9_S9_iPKfiiiPfSC_PS2_PT2_iSB_SB_: ; @_Z39paged_attention_ll4mi_QKV_mfma16_kernelIDF16_hLN4vllm18Fp8KVCacheDataTypeE1EhLi32ELi128ELi256ELb1ELi12EEvPKT_PKT0_S7_ifPKiS9_S9_iPKfiiiPfSC_PS2_PT2_iSB_SB_
; %bb.0:
	s_get_pc_i64 s[2:3]
	s_add_nc_u64 s[2:3], s[2:3], __PRETTY_FUNCTION__._Z39paged_attention_ll4mi_QKV_mfma16_kernelIDF16_hLN4vllm18Fp8KVCacheDataTypeE1EhLi32ELi128ELi256ELb1ELi12EEvPKT_PKT0_S7_ifPKiS9_S9_iPKfiiiPfSC_PS2_PT2_iSB_SB_@rel64+4
	s_delay_alu instid0(SALU_CYCLE_1)
	v_dual_mov_b32 v0, 0xbb3 :: v_dual_mov_b32 v1, s2
	v_mov_b32_e32 v2, s3
	s_add_nc_u64 s[8:9], s[0:1], 0x90
	s_get_pc_i64 s[0:1]
	s_add_nc_u64 s[0:1], s[0:1], __assert_fail@rel64+4
	s_mov_b32 s32, 0
	s_swap_pc_i64 s[30:31], s[0:1]
	.section	.rodata,"a",@progbits
	.p2align	6, 0x0
	.amdhsa_kernel _Z39paged_attention_ll4mi_QKV_mfma16_kernelIDF16_hLN4vllm18Fp8KVCacheDataTypeE1EhLi32ELi128ELi256ELb1ELi12EEvPKT_PKT0_S7_ifPKiS9_S9_iPKfiiiPfSC_PS2_PT2_iSB_SB_
		.amdhsa_group_segment_fixed_size 0
		.amdhsa_private_segment_fixed_size 64
		.amdhsa_kernarg_size 400
		.amdhsa_user_sgpr_count 2
		.amdhsa_user_sgpr_dispatch_ptr 0
		.amdhsa_user_sgpr_queue_ptr 0
		.amdhsa_user_sgpr_kernarg_segment_ptr 1
		.amdhsa_user_sgpr_dispatch_id 0
		.amdhsa_user_sgpr_kernarg_preload_length 0
		.amdhsa_user_sgpr_kernarg_preload_offset 0
		.amdhsa_user_sgpr_private_segment_size 0
		.amdhsa_wavefront_size32 1
		.amdhsa_uses_dynamic_stack 0
		.amdhsa_enable_private_segment 1
		.amdhsa_system_sgpr_workgroup_id_x 1
		.amdhsa_system_sgpr_workgroup_id_y 0
		.amdhsa_system_sgpr_workgroup_id_z 0
		.amdhsa_system_sgpr_workgroup_info 0
		.amdhsa_system_vgpr_workitem_id 0
		.amdhsa_next_free_vgpr 51
		.amdhsa_next_free_sgpr 34
		.amdhsa_named_barrier_count 0
		.amdhsa_reserve_vcc 1
		.amdhsa_float_round_mode_32 0
		.amdhsa_float_round_mode_16_64 0
		.amdhsa_float_denorm_mode_32 3
		.amdhsa_float_denorm_mode_16_64 3
		.amdhsa_fp16_overflow 0
		.amdhsa_memory_ordered 1
		.amdhsa_forward_progress 1
		.amdhsa_inst_pref_size 1
		.amdhsa_round_robin_scheduling 0
		.amdhsa_exception_fp_ieee_invalid_op 0
		.amdhsa_exception_fp_denorm_src 0
		.amdhsa_exception_fp_ieee_div_zero 0
		.amdhsa_exception_fp_ieee_overflow 0
		.amdhsa_exception_fp_ieee_underflow 0
		.amdhsa_exception_fp_ieee_inexact 0
		.amdhsa_exception_int_div_zero 0
	.end_amdhsa_kernel
	.section	.text._Z39paged_attention_ll4mi_QKV_mfma16_kernelIDF16_hLN4vllm18Fp8KVCacheDataTypeE1EhLi32ELi128ELi256ELb1ELi12EEvPKT_PKT0_S7_ifPKiS9_S9_iPKfiiiPfSC_PS2_PT2_iSB_SB_,"axG",@progbits,_Z39paged_attention_ll4mi_QKV_mfma16_kernelIDF16_hLN4vllm18Fp8KVCacheDataTypeE1EhLi32ELi128ELi256ELb1ELi12EEvPKT_PKT0_S7_ifPKiS9_S9_iPKfiiiPfSC_PS2_PT2_iSB_SB_,comdat
.Lfunc_end1021:
	.size	_Z39paged_attention_ll4mi_QKV_mfma16_kernelIDF16_hLN4vllm18Fp8KVCacheDataTypeE1EhLi32ELi128ELi256ELb1ELi12EEvPKT_PKT0_S7_ifPKiS9_S9_iPKfiiiPfSC_PS2_PT2_iSB_SB_, .Lfunc_end1021-_Z39paged_attention_ll4mi_QKV_mfma16_kernelIDF16_hLN4vllm18Fp8KVCacheDataTypeE1EhLi32ELi128ELi256ELb1ELi12EEvPKT_PKT0_S7_ifPKiS9_S9_iPKfiiiPfSC_PS2_PT2_iSB_SB_
                                        ; -- End function
	.set _Z39paged_attention_ll4mi_QKV_mfma16_kernelIDF16_hLN4vllm18Fp8KVCacheDataTypeE1EhLi32ELi128ELi256ELb1ELi12EEvPKT_PKT0_S7_ifPKiS9_S9_iPKfiiiPfSC_PS2_PT2_iSB_SB_.num_vgpr, max(3, .L__assert_fail.num_vgpr)
	.set _Z39paged_attention_ll4mi_QKV_mfma16_kernelIDF16_hLN4vllm18Fp8KVCacheDataTypeE1EhLi32ELi128ELi256ELb1ELi12EEvPKT_PKT0_S7_ifPKiS9_S9_iPKfiiiPfSC_PS2_PT2_iSB_SB_.num_agpr, max(0, .L__assert_fail.num_agpr)
	.set _Z39paged_attention_ll4mi_QKV_mfma16_kernelIDF16_hLN4vllm18Fp8KVCacheDataTypeE1EhLi32ELi128ELi256ELb1ELi12EEvPKT_PKT0_S7_ifPKiS9_S9_iPKfiiiPfSC_PS2_PT2_iSB_SB_.numbered_sgpr, max(33, .L__assert_fail.numbered_sgpr)
	.set _Z39paged_attention_ll4mi_QKV_mfma16_kernelIDF16_hLN4vllm18Fp8KVCacheDataTypeE1EhLi32ELi128ELi256ELb1ELi12EEvPKT_PKT0_S7_ifPKiS9_S9_iPKfiiiPfSC_PS2_PT2_iSB_SB_.num_named_barrier, max(0, .L__assert_fail.num_named_barrier)
	.set _Z39paged_attention_ll4mi_QKV_mfma16_kernelIDF16_hLN4vllm18Fp8KVCacheDataTypeE1EhLi32ELi128ELi256ELb1ELi12EEvPKT_PKT0_S7_ifPKiS9_S9_iPKfiiiPfSC_PS2_PT2_iSB_SB_.private_seg_size, 0+max(.L__assert_fail.private_seg_size)
	.set _Z39paged_attention_ll4mi_QKV_mfma16_kernelIDF16_hLN4vllm18Fp8KVCacheDataTypeE1EhLi32ELi128ELi256ELb1ELi12EEvPKT_PKT0_S7_ifPKiS9_S9_iPKfiiiPfSC_PS2_PT2_iSB_SB_.uses_vcc, or(1, .L__assert_fail.uses_vcc)
	.set _Z39paged_attention_ll4mi_QKV_mfma16_kernelIDF16_hLN4vllm18Fp8KVCacheDataTypeE1EhLi32ELi128ELi256ELb1ELi12EEvPKT_PKT0_S7_ifPKiS9_S9_iPKfiiiPfSC_PS2_PT2_iSB_SB_.uses_flat_scratch, or(0, .L__assert_fail.uses_flat_scratch)
	.set _Z39paged_attention_ll4mi_QKV_mfma16_kernelIDF16_hLN4vllm18Fp8KVCacheDataTypeE1EhLi32ELi128ELi256ELb1ELi12EEvPKT_PKT0_S7_ifPKiS9_S9_iPKfiiiPfSC_PS2_PT2_iSB_SB_.has_dyn_sized_stack, or(0, .L__assert_fail.has_dyn_sized_stack)
	.set _Z39paged_attention_ll4mi_QKV_mfma16_kernelIDF16_hLN4vllm18Fp8KVCacheDataTypeE1EhLi32ELi128ELi256ELb1ELi12EEvPKT_PKT0_S7_ifPKiS9_S9_iPKfiiiPfSC_PS2_PT2_iSB_SB_.has_recursion, or(0, .L__assert_fail.has_recursion)
	.set _Z39paged_attention_ll4mi_QKV_mfma16_kernelIDF16_hLN4vllm18Fp8KVCacheDataTypeE1EhLi32ELi128ELi256ELb1ELi12EEvPKT_PKT0_S7_ifPKiS9_S9_iPKfiiiPfSC_PS2_PT2_iSB_SB_.has_indirect_call, or(0, .L__assert_fail.has_indirect_call)
	.section	.AMDGPU.csdata,"",@progbits
; Kernel info:
; codeLenInByte = 68
; TotalNumSgprs: 36
; NumVgprs: 51
; ScratchSize: 64
; MemoryBound: 0
; FloatMode: 240
; IeeeMode: 1
; LDSByteSize: 0 bytes/workgroup (compile time only)
; SGPRBlocks: 0
; VGPRBlocks: 3
; NumSGPRsForWavesPerEU: 36
; NumVGPRsForWavesPerEU: 51
; NamedBarCnt: 0
; Occupancy: 16
; WaveLimiterHint : 1
; COMPUTE_PGM_RSRC2:SCRATCH_EN: 1
; COMPUTE_PGM_RSRC2:USER_SGPR: 2
; COMPUTE_PGM_RSRC2:TRAP_HANDLER: 0
; COMPUTE_PGM_RSRC2:TGID_X_EN: 1
; COMPUTE_PGM_RSRC2:TGID_Y_EN: 0
; COMPUTE_PGM_RSRC2:TGID_Z_EN: 0
; COMPUTE_PGM_RSRC2:TIDIG_COMP_CNT: 0
	.section	.text._Z39paged_attention_ll4mi_QKV_mfma16_kernelIDF16_hLN4vllm18Fp8KVCacheDataTypeE1EhLi32ELi128ELi256ELb1ELi13EEvPKT_PKT0_S7_ifPKiS9_S9_iPKfiiiPfSC_PS2_PT2_iSB_SB_,"axG",@progbits,_Z39paged_attention_ll4mi_QKV_mfma16_kernelIDF16_hLN4vllm18Fp8KVCacheDataTypeE1EhLi32ELi128ELi256ELb1ELi13EEvPKT_PKT0_S7_ifPKiS9_S9_iPKfiiiPfSC_PS2_PT2_iSB_SB_,comdat
	.protected	_Z39paged_attention_ll4mi_QKV_mfma16_kernelIDF16_hLN4vllm18Fp8KVCacheDataTypeE1EhLi32ELi128ELi256ELb1ELi13EEvPKT_PKT0_S7_ifPKiS9_S9_iPKfiiiPfSC_PS2_PT2_iSB_SB_ ; -- Begin function _Z39paged_attention_ll4mi_QKV_mfma16_kernelIDF16_hLN4vllm18Fp8KVCacheDataTypeE1EhLi32ELi128ELi256ELb1ELi13EEvPKT_PKT0_S7_ifPKiS9_S9_iPKfiiiPfSC_PS2_PT2_iSB_SB_
	.globl	_Z39paged_attention_ll4mi_QKV_mfma16_kernelIDF16_hLN4vllm18Fp8KVCacheDataTypeE1EhLi32ELi128ELi256ELb1ELi13EEvPKT_PKT0_S7_ifPKiS9_S9_iPKfiiiPfSC_PS2_PT2_iSB_SB_
	.p2align	8
	.type	_Z39paged_attention_ll4mi_QKV_mfma16_kernelIDF16_hLN4vllm18Fp8KVCacheDataTypeE1EhLi32ELi128ELi256ELb1ELi13EEvPKT_PKT0_S7_ifPKiS9_S9_iPKfiiiPfSC_PS2_PT2_iSB_SB_,@function
_Z39paged_attention_ll4mi_QKV_mfma16_kernelIDF16_hLN4vllm18Fp8KVCacheDataTypeE1EhLi32ELi128ELi256ELb1ELi13EEvPKT_PKT0_S7_ifPKiS9_S9_iPKfiiiPfSC_PS2_PT2_iSB_SB_: ; @_Z39paged_attention_ll4mi_QKV_mfma16_kernelIDF16_hLN4vllm18Fp8KVCacheDataTypeE1EhLi32ELi128ELi256ELb1ELi13EEvPKT_PKT0_S7_ifPKiS9_S9_iPKfiiiPfSC_PS2_PT2_iSB_SB_
; %bb.0:
	s_get_pc_i64 s[2:3]
	s_add_nc_u64 s[2:3], s[2:3], __PRETTY_FUNCTION__._Z39paged_attention_ll4mi_QKV_mfma16_kernelIDF16_hLN4vllm18Fp8KVCacheDataTypeE1EhLi32ELi128ELi256ELb1ELi13EEvPKT_PKT0_S7_ifPKiS9_S9_iPKfiiiPfSC_PS2_PT2_iSB_SB_@rel64+4
	s_delay_alu instid0(SALU_CYCLE_1)
	v_dual_mov_b32 v0, 0xbb3 :: v_dual_mov_b32 v1, s2
	v_mov_b32_e32 v2, s3
	s_add_nc_u64 s[8:9], s[0:1], 0x90
	s_get_pc_i64 s[0:1]
	s_add_nc_u64 s[0:1], s[0:1], __assert_fail@rel64+4
	s_mov_b32 s32, 0
	s_swap_pc_i64 s[30:31], s[0:1]
	.section	.rodata,"a",@progbits
	.p2align	6, 0x0
	.amdhsa_kernel _Z39paged_attention_ll4mi_QKV_mfma16_kernelIDF16_hLN4vllm18Fp8KVCacheDataTypeE1EhLi32ELi128ELi256ELb1ELi13EEvPKT_PKT0_S7_ifPKiS9_S9_iPKfiiiPfSC_PS2_PT2_iSB_SB_
		.amdhsa_group_segment_fixed_size 0
		.amdhsa_private_segment_fixed_size 64
		.amdhsa_kernarg_size 400
		.amdhsa_user_sgpr_count 2
		.amdhsa_user_sgpr_dispatch_ptr 0
		.amdhsa_user_sgpr_queue_ptr 0
		.amdhsa_user_sgpr_kernarg_segment_ptr 1
		.amdhsa_user_sgpr_dispatch_id 0
		.amdhsa_user_sgpr_kernarg_preload_length 0
		.amdhsa_user_sgpr_kernarg_preload_offset 0
		.amdhsa_user_sgpr_private_segment_size 0
		.amdhsa_wavefront_size32 1
		.amdhsa_uses_dynamic_stack 0
		.amdhsa_enable_private_segment 1
		.amdhsa_system_sgpr_workgroup_id_x 1
		.amdhsa_system_sgpr_workgroup_id_y 0
		.amdhsa_system_sgpr_workgroup_id_z 0
		.amdhsa_system_sgpr_workgroup_info 0
		.amdhsa_system_vgpr_workitem_id 0
		.amdhsa_next_free_vgpr 51
		.amdhsa_next_free_sgpr 34
		.amdhsa_named_barrier_count 0
		.amdhsa_reserve_vcc 1
		.amdhsa_float_round_mode_32 0
		.amdhsa_float_round_mode_16_64 0
		.amdhsa_float_denorm_mode_32 3
		.amdhsa_float_denorm_mode_16_64 3
		.amdhsa_fp16_overflow 0
		.amdhsa_memory_ordered 1
		.amdhsa_forward_progress 1
		.amdhsa_inst_pref_size 1
		.amdhsa_round_robin_scheduling 0
		.amdhsa_exception_fp_ieee_invalid_op 0
		.amdhsa_exception_fp_denorm_src 0
		.amdhsa_exception_fp_ieee_div_zero 0
		.amdhsa_exception_fp_ieee_overflow 0
		.amdhsa_exception_fp_ieee_underflow 0
		.amdhsa_exception_fp_ieee_inexact 0
		.amdhsa_exception_int_div_zero 0
	.end_amdhsa_kernel
	.section	.text._Z39paged_attention_ll4mi_QKV_mfma16_kernelIDF16_hLN4vllm18Fp8KVCacheDataTypeE1EhLi32ELi128ELi256ELb1ELi13EEvPKT_PKT0_S7_ifPKiS9_S9_iPKfiiiPfSC_PS2_PT2_iSB_SB_,"axG",@progbits,_Z39paged_attention_ll4mi_QKV_mfma16_kernelIDF16_hLN4vllm18Fp8KVCacheDataTypeE1EhLi32ELi128ELi256ELb1ELi13EEvPKT_PKT0_S7_ifPKiS9_S9_iPKfiiiPfSC_PS2_PT2_iSB_SB_,comdat
.Lfunc_end1022:
	.size	_Z39paged_attention_ll4mi_QKV_mfma16_kernelIDF16_hLN4vllm18Fp8KVCacheDataTypeE1EhLi32ELi128ELi256ELb1ELi13EEvPKT_PKT0_S7_ifPKiS9_S9_iPKfiiiPfSC_PS2_PT2_iSB_SB_, .Lfunc_end1022-_Z39paged_attention_ll4mi_QKV_mfma16_kernelIDF16_hLN4vllm18Fp8KVCacheDataTypeE1EhLi32ELi128ELi256ELb1ELi13EEvPKT_PKT0_S7_ifPKiS9_S9_iPKfiiiPfSC_PS2_PT2_iSB_SB_
                                        ; -- End function
	.set _Z39paged_attention_ll4mi_QKV_mfma16_kernelIDF16_hLN4vllm18Fp8KVCacheDataTypeE1EhLi32ELi128ELi256ELb1ELi13EEvPKT_PKT0_S7_ifPKiS9_S9_iPKfiiiPfSC_PS2_PT2_iSB_SB_.num_vgpr, max(3, .L__assert_fail.num_vgpr)
	.set _Z39paged_attention_ll4mi_QKV_mfma16_kernelIDF16_hLN4vllm18Fp8KVCacheDataTypeE1EhLi32ELi128ELi256ELb1ELi13EEvPKT_PKT0_S7_ifPKiS9_S9_iPKfiiiPfSC_PS2_PT2_iSB_SB_.num_agpr, max(0, .L__assert_fail.num_agpr)
	.set _Z39paged_attention_ll4mi_QKV_mfma16_kernelIDF16_hLN4vllm18Fp8KVCacheDataTypeE1EhLi32ELi128ELi256ELb1ELi13EEvPKT_PKT0_S7_ifPKiS9_S9_iPKfiiiPfSC_PS2_PT2_iSB_SB_.numbered_sgpr, max(33, .L__assert_fail.numbered_sgpr)
	.set _Z39paged_attention_ll4mi_QKV_mfma16_kernelIDF16_hLN4vllm18Fp8KVCacheDataTypeE1EhLi32ELi128ELi256ELb1ELi13EEvPKT_PKT0_S7_ifPKiS9_S9_iPKfiiiPfSC_PS2_PT2_iSB_SB_.num_named_barrier, max(0, .L__assert_fail.num_named_barrier)
	.set _Z39paged_attention_ll4mi_QKV_mfma16_kernelIDF16_hLN4vllm18Fp8KVCacheDataTypeE1EhLi32ELi128ELi256ELb1ELi13EEvPKT_PKT0_S7_ifPKiS9_S9_iPKfiiiPfSC_PS2_PT2_iSB_SB_.private_seg_size, 0+max(.L__assert_fail.private_seg_size)
	.set _Z39paged_attention_ll4mi_QKV_mfma16_kernelIDF16_hLN4vllm18Fp8KVCacheDataTypeE1EhLi32ELi128ELi256ELb1ELi13EEvPKT_PKT0_S7_ifPKiS9_S9_iPKfiiiPfSC_PS2_PT2_iSB_SB_.uses_vcc, or(1, .L__assert_fail.uses_vcc)
	.set _Z39paged_attention_ll4mi_QKV_mfma16_kernelIDF16_hLN4vllm18Fp8KVCacheDataTypeE1EhLi32ELi128ELi256ELb1ELi13EEvPKT_PKT0_S7_ifPKiS9_S9_iPKfiiiPfSC_PS2_PT2_iSB_SB_.uses_flat_scratch, or(0, .L__assert_fail.uses_flat_scratch)
	.set _Z39paged_attention_ll4mi_QKV_mfma16_kernelIDF16_hLN4vllm18Fp8KVCacheDataTypeE1EhLi32ELi128ELi256ELb1ELi13EEvPKT_PKT0_S7_ifPKiS9_S9_iPKfiiiPfSC_PS2_PT2_iSB_SB_.has_dyn_sized_stack, or(0, .L__assert_fail.has_dyn_sized_stack)
	.set _Z39paged_attention_ll4mi_QKV_mfma16_kernelIDF16_hLN4vllm18Fp8KVCacheDataTypeE1EhLi32ELi128ELi256ELb1ELi13EEvPKT_PKT0_S7_ifPKiS9_S9_iPKfiiiPfSC_PS2_PT2_iSB_SB_.has_recursion, or(0, .L__assert_fail.has_recursion)
	.set _Z39paged_attention_ll4mi_QKV_mfma16_kernelIDF16_hLN4vllm18Fp8KVCacheDataTypeE1EhLi32ELi128ELi256ELb1ELi13EEvPKT_PKT0_S7_ifPKiS9_S9_iPKfiiiPfSC_PS2_PT2_iSB_SB_.has_indirect_call, or(0, .L__assert_fail.has_indirect_call)
	.section	.AMDGPU.csdata,"",@progbits
; Kernel info:
; codeLenInByte = 68
; TotalNumSgprs: 36
; NumVgprs: 51
; ScratchSize: 64
; MemoryBound: 0
; FloatMode: 240
; IeeeMode: 1
; LDSByteSize: 0 bytes/workgroup (compile time only)
; SGPRBlocks: 0
; VGPRBlocks: 3
; NumSGPRsForWavesPerEU: 36
; NumVGPRsForWavesPerEU: 51
; NamedBarCnt: 0
; Occupancy: 16
; WaveLimiterHint : 1
; COMPUTE_PGM_RSRC2:SCRATCH_EN: 1
; COMPUTE_PGM_RSRC2:USER_SGPR: 2
; COMPUTE_PGM_RSRC2:TRAP_HANDLER: 0
; COMPUTE_PGM_RSRC2:TGID_X_EN: 1
; COMPUTE_PGM_RSRC2:TGID_Y_EN: 0
; COMPUTE_PGM_RSRC2:TGID_Z_EN: 0
; COMPUTE_PGM_RSRC2:TIDIG_COMP_CNT: 0
	.section	.text._Z39paged_attention_ll4mi_QKV_mfma16_kernelIDF16_hLN4vllm18Fp8KVCacheDataTypeE1EhLi32ELi128ELi256ELb1ELi14EEvPKT_PKT0_S7_ifPKiS9_S9_iPKfiiiPfSC_PS2_PT2_iSB_SB_,"axG",@progbits,_Z39paged_attention_ll4mi_QKV_mfma16_kernelIDF16_hLN4vllm18Fp8KVCacheDataTypeE1EhLi32ELi128ELi256ELb1ELi14EEvPKT_PKT0_S7_ifPKiS9_S9_iPKfiiiPfSC_PS2_PT2_iSB_SB_,comdat
	.protected	_Z39paged_attention_ll4mi_QKV_mfma16_kernelIDF16_hLN4vllm18Fp8KVCacheDataTypeE1EhLi32ELi128ELi256ELb1ELi14EEvPKT_PKT0_S7_ifPKiS9_S9_iPKfiiiPfSC_PS2_PT2_iSB_SB_ ; -- Begin function _Z39paged_attention_ll4mi_QKV_mfma16_kernelIDF16_hLN4vllm18Fp8KVCacheDataTypeE1EhLi32ELi128ELi256ELb1ELi14EEvPKT_PKT0_S7_ifPKiS9_S9_iPKfiiiPfSC_PS2_PT2_iSB_SB_
	.globl	_Z39paged_attention_ll4mi_QKV_mfma16_kernelIDF16_hLN4vllm18Fp8KVCacheDataTypeE1EhLi32ELi128ELi256ELb1ELi14EEvPKT_PKT0_S7_ifPKiS9_S9_iPKfiiiPfSC_PS2_PT2_iSB_SB_
	.p2align	8
	.type	_Z39paged_attention_ll4mi_QKV_mfma16_kernelIDF16_hLN4vllm18Fp8KVCacheDataTypeE1EhLi32ELi128ELi256ELb1ELi14EEvPKT_PKT0_S7_ifPKiS9_S9_iPKfiiiPfSC_PS2_PT2_iSB_SB_,@function
_Z39paged_attention_ll4mi_QKV_mfma16_kernelIDF16_hLN4vllm18Fp8KVCacheDataTypeE1EhLi32ELi128ELi256ELb1ELi14EEvPKT_PKT0_S7_ifPKiS9_S9_iPKfiiiPfSC_PS2_PT2_iSB_SB_: ; @_Z39paged_attention_ll4mi_QKV_mfma16_kernelIDF16_hLN4vllm18Fp8KVCacheDataTypeE1EhLi32ELi128ELi256ELb1ELi14EEvPKT_PKT0_S7_ifPKiS9_S9_iPKfiiiPfSC_PS2_PT2_iSB_SB_
; %bb.0:
	s_get_pc_i64 s[2:3]
	s_add_nc_u64 s[2:3], s[2:3], __PRETTY_FUNCTION__._Z39paged_attention_ll4mi_QKV_mfma16_kernelIDF16_hLN4vllm18Fp8KVCacheDataTypeE1EhLi32ELi128ELi256ELb1ELi14EEvPKT_PKT0_S7_ifPKiS9_S9_iPKfiiiPfSC_PS2_PT2_iSB_SB_@rel64+4
	s_delay_alu instid0(SALU_CYCLE_1)
	v_dual_mov_b32 v0, 0xbb3 :: v_dual_mov_b32 v1, s2
	v_mov_b32_e32 v2, s3
	s_add_nc_u64 s[8:9], s[0:1], 0x90
	s_get_pc_i64 s[0:1]
	s_add_nc_u64 s[0:1], s[0:1], __assert_fail@rel64+4
	s_mov_b32 s32, 0
	s_swap_pc_i64 s[30:31], s[0:1]
	.section	.rodata,"a",@progbits
	.p2align	6, 0x0
	.amdhsa_kernel _Z39paged_attention_ll4mi_QKV_mfma16_kernelIDF16_hLN4vllm18Fp8KVCacheDataTypeE1EhLi32ELi128ELi256ELb1ELi14EEvPKT_PKT0_S7_ifPKiS9_S9_iPKfiiiPfSC_PS2_PT2_iSB_SB_
		.amdhsa_group_segment_fixed_size 0
		.amdhsa_private_segment_fixed_size 64
		.amdhsa_kernarg_size 400
		.amdhsa_user_sgpr_count 2
		.amdhsa_user_sgpr_dispatch_ptr 0
		.amdhsa_user_sgpr_queue_ptr 0
		.amdhsa_user_sgpr_kernarg_segment_ptr 1
		.amdhsa_user_sgpr_dispatch_id 0
		.amdhsa_user_sgpr_kernarg_preload_length 0
		.amdhsa_user_sgpr_kernarg_preload_offset 0
		.amdhsa_user_sgpr_private_segment_size 0
		.amdhsa_wavefront_size32 1
		.amdhsa_uses_dynamic_stack 0
		.amdhsa_enable_private_segment 1
		.amdhsa_system_sgpr_workgroup_id_x 1
		.amdhsa_system_sgpr_workgroup_id_y 0
		.amdhsa_system_sgpr_workgroup_id_z 0
		.amdhsa_system_sgpr_workgroup_info 0
		.amdhsa_system_vgpr_workitem_id 0
		.amdhsa_next_free_vgpr 51
		.amdhsa_next_free_sgpr 34
		.amdhsa_named_barrier_count 0
		.amdhsa_reserve_vcc 1
		.amdhsa_float_round_mode_32 0
		.amdhsa_float_round_mode_16_64 0
		.amdhsa_float_denorm_mode_32 3
		.amdhsa_float_denorm_mode_16_64 3
		.amdhsa_fp16_overflow 0
		.amdhsa_memory_ordered 1
		.amdhsa_forward_progress 1
		.amdhsa_inst_pref_size 1
		.amdhsa_round_robin_scheduling 0
		.amdhsa_exception_fp_ieee_invalid_op 0
		.amdhsa_exception_fp_denorm_src 0
		.amdhsa_exception_fp_ieee_div_zero 0
		.amdhsa_exception_fp_ieee_overflow 0
		.amdhsa_exception_fp_ieee_underflow 0
		.amdhsa_exception_fp_ieee_inexact 0
		.amdhsa_exception_int_div_zero 0
	.end_amdhsa_kernel
	.section	.text._Z39paged_attention_ll4mi_QKV_mfma16_kernelIDF16_hLN4vllm18Fp8KVCacheDataTypeE1EhLi32ELi128ELi256ELb1ELi14EEvPKT_PKT0_S7_ifPKiS9_S9_iPKfiiiPfSC_PS2_PT2_iSB_SB_,"axG",@progbits,_Z39paged_attention_ll4mi_QKV_mfma16_kernelIDF16_hLN4vllm18Fp8KVCacheDataTypeE1EhLi32ELi128ELi256ELb1ELi14EEvPKT_PKT0_S7_ifPKiS9_S9_iPKfiiiPfSC_PS2_PT2_iSB_SB_,comdat
.Lfunc_end1023:
	.size	_Z39paged_attention_ll4mi_QKV_mfma16_kernelIDF16_hLN4vllm18Fp8KVCacheDataTypeE1EhLi32ELi128ELi256ELb1ELi14EEvPKT_PKT0_S7_ifPKiS9_S9_iPKfiiiPfSC_PS2_PT2_iSB_SB_, .Lfunc_end1023-_Z39paged_attention_ll4mi_QKV_mfma16_kernelIDF16_hLN4vllm18Fp8KVCacheDataTypeE1EhLi32ELi128ELi256ELb1ELi14EEvPKT_PKT0_S7_ifPKiS9_S9_iPKfiiiPfSC_PS2_PT2_iSB_SB_
                                        ; -- End function
	.set _Z39paged_attention_ll4mi_QKV_mfma16_kernelIDF16_hLN4vllm18Fp8KVCacheDataTypeE1EhLi32ELi128ELi256ELb1ELi14EEvPKT_PKT0_S7_ifPKiS9_S9_iPKfiiiPfSC_PS2_PT2_iSB_SB_.num_vgpr, max(3, .L__assert_fail.num_vgpr)
	.set _Z39paged_attention_ll4mi_QKV_mfma16_kernelIDF16_hLN4vllm18Fp8KVCacheDataTypeE1EhLi32ELi128ELi256ELb1ELi14EEvPKT_PKT0_S7_ifPKiS9_S9_iPKfiiiPfSC_PS2_PT2_iSB_SB_.num_agpr, max(0, .L__assert_fail.num_agpr)
	.set _Z39paged_attention_ll4mi_QKV_mfma16_kernelIDF16_hLN4vllm18Fp8KVCacheDataTypeE1EhLi32ELi128ELi256ELb1ELi14EEvPKT_PKT0_S7_ifPKiS9_S9_iPKfiiiPfSC_PS2_PT2_iSB_SB_.numbered_sgpr, max(33, .L__assert_fail.numbered_sgpr)
	.set _Z39paged_attention_ll4mi_QKV_mfma16_kernelIDF16_hLN4vllm18Fp8KVCacheDataTypeE1EhLi32ELi128ELi256ELb1ELi14EEvPKT_PKT0_S7_ifPKiS9_S9_iPKfiiiPfSC_PS2_PT2_iSB_SB_.num_named_barrier, max(0, .L__assert_fail.num_named_barrier)
	.set _Z39paged_attention_ll4mi_QKV_mfma16_kernelIDF16_hLN4vllm18Fp8KVCacheDataTypeE1EhLi32ELi128ELi256ELb1ELi14EEvPKT_PKT0_S7_ifPKiS9_S9_iPKfiiiPfSC_PS2_PT2_iSB_SB_.private_seg_size, 0+max(.L__assert_fail.private_seg_size)
	.set _Z39paged_attention_ll4mi_QKV_mfma16_kernelIDF16_hLN4vllm18Fp8KVCacheDataTypeE1EhLi32ELi128ELi256ELb1ELi14EEvPKT_PKT0_S7_ifPKiS9_S9_iPKfiiiPfSC_PS2_PT2_iSB_SB_.uses_vcc, or(1, .L__assert_fail.uses_vcc)
	.set _Z39paged_attention_ll4mi_QKV_mfma16_kernelIDF16_hLN4vllm18Fp8KVCacheDataTypeE1EhLi32ELi128ELi256ELb1ELi14EEvPKT_PKT0_S7_ifPKiS9_S9_iPKfiiiPfSC_PS2_PT2_iSB_SB_.uses_flat_scratch, or(0, .L__assert_fail.uses_flat_scratch)
	.set _Z39paged_attention_ll4mi_QKV_mfma16_kernelIDF16_hLN4vllm18Fp8KVCacheDataTypeE1EhLi32ELi128ELi256ELb1ELi14EEvPKT_PKT0_S7_ifPKiS9_S9_iPKfiiiPfSC_PS2_PT2_iSB_SB_.has_dyn_sized_stack, or(0, .L__assert_fail.has_dyn_sized_stack)
	.set _Z39paged_attention_ll4mi_QKV_mfma16_kernelIDF16_hLN4vllm18Fp8KVCacheDataTypeE1EhLi32ELi128ELi256ELb1ELi14EEvPKT_PKT0_S7_ifPKiS9_S9_iPKfiiiPfSC_PS2_PT2_iSB_SB_.has_recursion, or(0, .L__assert_fail.has_recursion)
	.set _Z39paged_attention_ll4mi_QKV_mfma16_kernelIDF16_hLN4vllm18Fp8KVCacheDataTypeE1EhLi32ELi128ELi256ELb1ELi14EEvPKT_PKT0_S7_ifPKiS9_S9_iPKfiiiPfSC_PS2_PT2_iSB_SB_.has_indirect_call, or(0, .L__assert_fail.has_indirect_call)
	.section	.AMDGPU.csdata,"",@progbits
; Kernel info:
; codeLenInByte = 68
; TotalNumSgprs: 36
; NumVgprs: 51
; ScratchSize: 64
; MemoryBound: 0
; FloatMode: 240
; IeeeMode: 1
; LDSByteSize: 0 bytes/workgroup (compile time only)
; SGPRBlocks: 0
; VGPRBlocks: 3
; NumSGPRsForWavesPerEU: 36
; NumVGPRsForWavesPerEU: 51
; NamedBarCnt: 0
; Occupancy: 16
; WaveLimiterHint : 1
; COMPUTE_PGM_RSRC2:SCRATCH_EN: 1
; COMPUTE_PGM_RSRC2:USER_SGPR: 2
; COMPUTE_PGM_RSRC2:TRAP_HANDLER: 0
; COMPUTE_PGM_RSRC2:TGID_X_EN: 1
; COMPUTE_PGM_RSRC2:TGID_Y_EN: 0
; COMPUTE_PGM_RSRC2:TGID_Z_EN: 0
; COMPUTE_PGM_RSRC2:TIDIG_COMP_CNT: 0
	.section	.text._Z39paged_attention_ll4mi_QKV_mfma16_kernelIDF16_hLN4vllm18Fp8KVCacheDataTypeE1EhLi32ELi128ELi256ELb1ELi15EEvPKT_PKT0_S7_ifPKiS9_S9_iPKfiiiPfSC_PS2_PT2_iSB_SB_,"axG",@progbits,_Z39paged_attention_ll4mi_QKV_mfma16_kernelIDF16_hLN4vllm18Fp8KVCacheDataTypeE1EhLi32ELi128ELi256ELb1ELi15EEvPKT_PKT0_S7_ifPKiS9_S9_iPKfiiiPfSC_PS2_PT2_iSB_SB_,comdat
	.protected	_Z39paged_attention_ll4mi_QKV_mfma16_kernelIDF16_hLN4vllm18Fp8KVCacheDataTypeE1EhLi32ELi128ELi256ELb1ELi15EEvPKT_PKT0_S7_ifPKiS9_S9_iPKfiiiPfSC_PS2_PT2_iSB_SB_ ; -- Begin function _Z39paged_attention_ll4mi_QKV_mfma16_kernelIDF16_hLN4vllm18Fp8KVCacheDataTypeE1EhLi32ELi128ELi256ELb1ELi15EEvPKT_PKT0_S7_ifPKiS9_S9_iPKfiiiPfSC_PS2_PT2_iSB_SB_
	.globl	_Z39paged_attention_ll4mi_QKV_mfma16_kernelIDF16_hLN4vllm18Fp8KVCacheDataTypeE1EhLi32ELi128ELi256ELb1ELi15EEvPKT_PKT0_S7_ifPKiS9_S9_iPKfiiiPfSC_PS2_PT2_iSB_SB_
	.p2align	8
	.type	_Z39paged_attention_ll4mi_QKV_mfma16_kernelIDF16_hLN4vllm18Fp8KVCacheDataTypeE1EhLi32ELi128ELi256ELb1ELi15EEvPKT_PKT0_S7_ifPKiS9_S9_iPKfiiiPfSC_PS2_PT2_iSB_SB_,@function
_Z39paged_attention_ll4mi_QKV_mfma16_kernelIDF16_hLN4vllm18Fp8KVCacheDataTypeE1EhLi32ELi128ELi256ELb1ELi15EEvPKT_PKT0_S7_ifPKiS9_S9_iPKfiiiPfSC_PS2_PT2_iSB_SB_: ; @_Z39paged_attention_ll4mi_QKV_mfma16_kernelIDF16_hLN4vllm18Fp8KVCacheDataTypeE1EhLi32ELi128ELi256ELb1ELi15EEvPKT_PKT0_S7_ifPKiS9_S9_iPKfiiiPfSC_PS2_PT2_iSB_SB_
; %bb.0:
	s_get_pc_i64 s[2:3]
	s_add_nc_u64 s[2:3], s[2:3], __PRETTY_FUNCTION__._Z39paged_attention_ll4mi_QKV_mfma16_kernelIDF16_hLN4vllm18Fp8KVCacheDataTypeE1EhLi32ELi128ELi256ELb1ELi15EEvPKT_PKT0_S7_ifPKiS9_S9_iPKfiiiPfSC_PS2_PT2_iSB_SB_@rel64+4
	s_delay_alu instid0(SALU_CYCLE_1)
	v_dual_mov_b32 v0, 0xbb3 :: v_dual_mov_b32 v1, s2
	v_mov_b32_e32 v2, s3
	s_add_nc_u64 s[8:9], s[0:1], 0x90
	s_get_pc_i64 s[0:1]
	s_add_nc_u64 s[0:1], s[0:1], __assert_fail@rel64+4
	s_mov_b32 s32, 0
	s_swap_pc_i64 s[30:31], s[0:1]
	.section	.rodata,"a",@progbits
	.p2align	6, 0x0
	.amdhsa_kernel _Z39paged_attention_ll4mi_QKV_mfma16_kernelIDF16_hLN4vllm18Fp8KVCacheDataTypeE1EhLi32ELi128ELi256ELb1ELi15EEvPKT_PKT0_S7_ifPKiS9_S9_iPKfiiiPfSC_PS2_PT2_iSB_SB_
		.amdhsa_group_segment_fixed_size 0
		.amdhsa_private_segment_fixed_size 64
		.amdhsa_kernarg_size 400
		.amdhsa_user_sgpr_count 2
		.amdhsa_user_sgpr_dispatch_ptr 0
		.amdhsa_user_sgpr_queue_ptr 0
		.amdhsa_user_sgpr_kernarg_segment_ptr 1
		.amdhsa_user_sgpr_dispatch_id 0
		.amdhsa_user_sgpr_kernarg_preload_length 0
		.amdhsa_user_sgpr_kernarg_preload_offset 0
		.amdhsa_user_sgpr_private_segment_size 0
		.amdhsa_wavefront_size32 1
		.amdhsa_uses_dynamic_stack 0
		.amdhsa_enable_private_segment 1
		.amdhsa_system_sgpr_workgroup_id_x 1
		.amdhsa_system_sgpr_workgroup_id_y 0
		.amdhsa_system_sgpr_workgroup_id_z 0
		.amdhsa_system_sgpr_workgroup_info 0
		.amdhsa_system_vgpr_workitem_id 0
		.amdhsa_next_free_vgpr 51
		.amdhsa_next_free_sgpr 34
		.amdhsa_named_barrier_count 0
		.amdhsa_reserve_vcc 1
		.amdhsa_float_round_mode_32 0
		.amdhsa_float_round_mode_16_64 0
		.amdhsa_float_denorm_mode_32 3
		.amdhsa_float_denorm_mode_16_64 3
		.amdhsa_fp16_overflow 0
		.amdhsa_memory_ordered 1
		.amdhsa_forward_progress 1
		.amdhsa_inst_pref_size 1
		.amdhsa_round_robin_scheduling 0
		.amdhsa_exception_fp_ieee_invalid_op 0
		.amdhsa_exception_fp_denorm_src 0
		.amdhsa_exception_fp_ieee_div_zero 0
		.amdhsa_exception_fp_ieee_overflow 0
		.amdhsa_exception_fp_ieee_underflow 0
		.amdhsa_exception_fp_ieee_inexact 0
		.amdhsa_exception_int_div_zero 0
	.end_amdhsa_kernel
	.section	.text._Z39paged_attention_ll4mi_QKV_mfma16_kernelIDF16_hLN4vllm18Fp8KVCacheDataTypeE1EhLi32ELi128ELi256ELb1ELi15EEvPKT_PKT0_S7_ifPKiS9_S9_iPKfiiiPfSC_PS2_PT2_iSB_SB_,"axG",@progbits,_Z39paged_attention_ll4mi_QKV_mfma16_kernelIDF16_hLN4vllm18Fp8KVCacheDataTypeE1EhLi32ELi128ELi256ELb1ELi15EEvPKT_PKT0_S7_ifPKiS9_S9_iPKfiiiPfSC_PS2_PT2_iSB_SB_,comdat
.Lfunc_end1024:
	.size	_Z39paged_attention_ll4mi_QKV_mfma16_kernelIDF16_hLN4vllm18Fp8KVCacheDataTypeE1EhLi32ELi128ELi256ELb1ELi15EEvPKT_PKT0_S7_ifPKiS9_S9_iPKfiiiPfSC_PS2_PT2_iSB_SB_, .Lfunc_end1024-_Z39paged_attention_ll4mi_QKV_mfma16_kernelIDF16_hLN4vllm18Fp8KVCacheDataTypeE1EhLi32ELi128ELi256ELb1ELi15EEvPKT_PKT0_S7_ifPKiS9_S9_iPKfiiiPfSC_PS2_PT2_iSB_SB_
                                        ; -- End function
	.set _Z39paged_attention_ll4mi_QKV_mfma16_kernelIDF16_hLN4vllm18Fp8KVCacheDataTypeE1EhLi32ELi128ELi256ELb1ELi15EEvPKT_PKT0_S7_ifPKiS9_S9_iPKfiiiPfSC_PS2_PT2_iSB_SB_.num_vgpr, max(3, .L__assert_fail.num_vgpr)
	.set _Z39paged_attention_ll4mi_QKV_mfma16_kernelIDF16_hLN4vllm18Fp8KVCacheDataTypeE1EhLi32ELi128ELi256ELb1ELi15EEvPKT_PKT0_S7_ifPKiS9_S9_iPKfiiiPfSC_PS2_PT2_iSB_SB_.num_agpr, max(0, .L__assert_fail.num_agpr)
	.set _Z39paged_attention_ll4mi_QKV_mfma16_kernelIDF16_hLN4vllm18Fp8KVCacheDataTypeE1EhLi32ELi128ELi256ELb1ELi15EEvPKT_PKT0_S7_ifPKiS9_S9_iPKfiiiPfSC_PS2_PT2_iSB_SB_.numbered_sgpr, max(33, .L__assert_fail.numbered_sgpr)
	.set _Z39paged_attention_ll4mi_QKV_mfma16_kernelIDF16_hLN4vllm18Fp8KVCacheDataTypeE1EhLi32ELi128ELi256ELb1ELi15EEvPKT_PKT0_S7_ifPKiS9_S9_iPKfiiiPfSC_PS2_PT2_iSB_SB_.num_named_barrier, max(0, .L__assert_fail.num_named_barrier)
	.set _Z39paged_attention_ll4mi_QKV_mfma16_kernelIDF16_hLN4vllm18Fp8KVCacheDataTypeE1EhLi32ELi128ELi256ELb1ELi15EEvPKT_PKT0_S7_ifPKiS9_S9_iPKfiiiPfSC_PS2_PT2_iSB_SB_.private_seg_size, 0+max(.L__assert_fail.private_seg_size)
	.set _Z39paged_attention_ll4mi_QKV_mfma16_kernelIDF16_hLN4vllm18Fp8KVCacheDataTypeE1EhLi32ELi128ELi256ELb1ELi15EEvPKT_PKT0_S7_ifPKiS9_S9_iPKfiiiPfSC_PS2_PT2_iSB_SB_.uses_vcc, or(1, .L__assert_fail.uses_vcc)
	.set _Z39paged_attention_ll4mi_QKV_mfma16_kernelIDF16_hLN4vllm18Fp8KVCacheDataTypeE1EhLi32ELi128ELi256ELb1ELi15EEvPKT_PKT0_S7_ifPKiS9_S9_iPKfiiiPfSC_PS2_PT2_iSB_SB_.uses_flat_scratch, or(0, .L__assert_fail.uses_flat_scratch)
	.set _Z39paged_attention_ll4mi_QKV_mfma16_kernelIDF16_hLN4vllm18Fp8KVCacheDataTypeE1EhLi32ELi128ELi256ELb1ELi15EEvPKT_PKT0_S7_ifPKiS9_S9_iPKfiiiPfSC_PS2_PT2_iSB_SB_.has_dyn_sized_stack, or(0, .L__assert_fail.has_dyn_sized_stack)
	.set _Z39paged_attention_ll4mi_QKV_mfma16_kernelIDF16_hLN4vllm18Fp8KVCacheDataTypeE1EhLi32ELi128ELi256ELb1ELi15EEvPKT_PKT0_S7_ifPKiS9_S9_iPKfiiiPfSC_PS2_PT2_iSB_SB_.has_recursion, or(0, .L__assert_fail.has_recursion)
	.set _Z39paged_attention_ll4mi_QKV_mfma16_kernelIDF16_hLN4vllm18Fp8KVCacheDataTypeE1EhLi32ELi128ELi256ELb1ELi15EEvPKT_PKT0_S7_ifPKiS9_S9_iPKfiiiPfSC_PS2_PT2_iSB_SB_.has_indirect_call, or(0, .L__assert_fail.has_indirect_call)
	.section	.AMDGPU.csdata,"",@progbits
; Kernel info:
; codeLenInByte = 68
; TotalNumSgprs: 36
; NumVgprs: 51
; ScratchSize: 64
; MemoryBound: 0
; FloatMode: 240
; IeeeMode: 1
; LDSByteSize: 0 bytes/workgroup (compile time only)
; SGPRBlocks: 0
; VGPRBlocks: 3
; NumSGPRsForWavesPerEU: 36
; NumVGPRsForWavesPerEU: 51
; NamedBarCnt: 0
; Occupancy: 16
; WaveLimiterHint : 1
; COMPUTE_PGM_RSRC2:SCRATCH_EN: 1
; COMPUTE_PGM_RSRC2:USER_SGPR: 2
; COMPUTE_PGM_RSRC2:TRAP_HANDLER: 0
; COMPUTE_PGM_RSRC2:TGID_X_EN: 1
; COMPUTE_PGM_RSRC2:TGID_Y_EN: 0
; COMPUTE_PGM_RSRC2:TGID_Z_EN: 0
; COMPUTE_PGM_RSRC2:TIDIG_COMP_CNT: 0
	.section	.text._Z39paged_attention_ll4mi_QKV_mfma16_kernelIDF16_hLN4vllm18Fp8KVCacheDataTypeE1EhLi32ELi128ELi256ELb1ELi16EEvPKT_PKT0_S7_ifPKiS9_S9_iPKfiiiPfSC_PS2_PT2_iSB_SB_,"axG",@progbits,_Z39paged_attention_ll4mi_QKV_mfma16_kernelIDF16_hLN4vllm18Fp8KVCacheDataTypeE1EhLi32ELi128ELi256ELb1ELi16EEvPKT_PKT0_S7_ifPKiS9_S9_iPKfiiiPfSC_PS2_PT2_iSB_SB_,comdat
	.protected	_Z39paged_attention_ll4mi_QKV_mfma16_kernelIDF16_hLN4vllm18Fp8KVCacheDataTypeE1EhLi32ELi128ELi256ELb1ELi16EEvPKT_PKT0_S7_ifPKiS9_S9_iPKfiiiPfSC_PS2_PT2_iSB_SB_ ; -- Begin function _Z39paged_attention_ll4mi_QKV_mfma16_kernelIDF16_hLN4vllm18Fp8KVCacheDataTypeE1EhLi32ELi128ELi256ELb1ELi16EEvPKT_PKT0_S7_ifPKiS9_S9_iPKfiiiPfSC_PS2_PT2_iSB_SB_
	.globl	_Z39paged_attention_ll4mi_QKV_mfma16_kernelIDF16_hLN4vllm18Fp8KVCacheDataTypeE1EhLi32ELi128ELi256ELb1ELi16EEvPKT_PKT0_S7_ifPKiS9_S9_iPKfiiiPfSC_PS2_PT2_iSB_SB_
	.p2align	8
	.type	_Z39paged_attention_ll4mi_QKV_mfma16_kernelIDF16_hLN4vllm18Fp8KVCacheDataTypeE1EhLi32ELi128ELi256ELb1ELi16EEvPKT_PKT0_S7_ifPKiS9_S9_iPKfiiiPfSC_PS2_PT2_iSB_SB_,@function
_Z39paged_attention_ll4mi_QKV_mfma16_kernelIDF16_hLN4vllm18Fp8KVCacheDataTypeE1EhLi32ELi128ELi256ELb1ELi16EEvPKT_PKT0_S7_ifPKiS9_S9_iPKfiiiPfSC_PS2_PT2_iSB_SB_: ; @_Z39paged_attention_ll4mi_QKV_mfma16_kernelIDF16_hLN4vllm18Fp8KVCacheDataTypeE1EhLi32ELi128ELi256ELb1ELi16EEvPKT_PKT0_S7_ifPKiS9_S9_iPKfiiiPfSC_PS2_PT2_iSB_SB_
; %bb.0:
	s_get_pc_i64 s[2:3]
	s_add_nc_u64 s[2:3], s[2:3], __PRETTY_FUNCTION__._Z39paged_attention_ll4mi_QKV_mfma16_kernelIDF16_hLN4vllm18Fp8KVCacheDataTypeE1EhLi32ELi128ELi256ELb1ELi16EEvPKT_PKT0_S7_ifPKiS9_S9_iPKfiiiPfSC_PS2_PT2_iSB_SB_@rel64+4
	s_delay_alu instid0(SALU_CYCLE_1)
	v_dual_mov_b32 v0, 0xbb3 :: v_dual_mov_b32 v1, s2
	v_mov_b32_e32 v2, s3
	s_add_nc_u64 s[8:9], s[0:1], 0x90
	s_get_pc_i64 s[0:1]
	s_add_nc_u64 s[0:1], s[0:1], __assert_fail@rel64+4
	s_mov_b32 s32, 0
	s_swap_pc_i64 s[30:31], s[0:1]
	.section	.rodata,"a",@progbits
	.p2align	6, 0x0
	.amdhsa_kernel _Z39paged_attention_ll4mi_QKV_mfma16_kernelIDF16_hLN4vllm18Fp8KVCacheDataTypeE1EhLi32ELi128ELi256ELb1ELi16EEvPKT_PKT0_S7_ifPKiS9_S9_iPKfiiiPfSC_PS2_PT2_iSB_SB_
		.amdhsa_group_segment_fixed_size 0
		.amdhsa_private_segment_fixed_size 64
		.amdhsa_kernarg_size 400
		.amdhsa_user_sgpr_count 2
		.amdhsa_user_sgpr_dispatch_ptr 0
		.amdhsa_user_sgpr_queue_ptr 0
		.amdhsa_user_sgpr_kernarg_segment_ptr 1
		.amdhsa_user_sgpr_dispatch_id 0
		.amdhsa_user_sgpr_kernarg_preload_length 0
		.amdhsa_user_sgpr_kernarg_preload_offset 0
		.amdhsa_user_sgpr_private_segment_size 0
		.amdhsa_wavefront_size32 1
		.amdhsa_uses_dynamic_stack 0
		.amdhsa_enable_private_segment 1
		.amdhsa_system_sgpr_workgroup_id_x 1
		.amdhsa_system_sgpr_workgroup_id_y 0
		.amdhsa_system_sgpr_workgroup_id_z 0
		.amdhsa_system_sgpr_workgroup_info 0
		.amdhsa_system_vgpr_workitem_id 0
		.amdhsa_next_free_vgpr 51
		.amdhsa_next_free_sgpr 34
		.amdhsa_named_barrier_count 0
		.amdhsa_reserve_vcc 1
		.amdhsa_float_round_mode_32 0
		.amdhsa_float_round_mode_16_64 0
		.amdhsa_float_denorm_mode_32 3
		.amdhsa_float_denorm_mode_16_64 3
		.amdhsa_fp16_overflow 0
		.amdhsa_memory_ordered 1
		.amdhsa_forward_progress 1
		.amdhsa_inst_pref_size 1
		.amdhsa_round_robin_scheduling 0
		.amdhsa_exception_fp_ieee_invalid_op 0
		.amdhsa_exception_fp_denorm_src 0
		.amdhsa_exception_fp_ieee_div_zero 0
		.amdhsa_exception_fp_ieee_overflow 0
		.amdhsa_exception_fp_ieee_underflow 0
		.amdhsa_exception_fp_ieee_inexact 0
		.amdhsa_exception_int_div_zero 0
	.end_amdhsa_kernel
	.section	.text._Z39paged_attention_ll4mi_QKV_mfma16_kernelIDF16_hLN4vllm18Fp8KVCacheDataTypeE1EhLi32ELi128ELi256ELb1ELi16EEvPKT_PKT0_S7_ifPKiS9_S9_iPKfiiiPfSC_PS2_PT2_iSB_SB_,"axG",@progbits,_Z39paged_attention_ll4mi_QKV_mfma16_kernelIDF16_hLN4vllm18Fp8KVCacheDataTypeE1EhLi32ELi128ELi256ELb1ELi16EEvPKT_PKT0_S7_ifPKiS9_S9_iPKfiiiPfSC_PS2_PT2_iSB_SB_,comdat
.Lfunc_end1025:
	.size	_Z39paged_attention_ll4mi_QKV_mfma16_kernelIDF16_hLN4vllm18Fp8KVCacheDataTypeE1EhLi32ELi128ELi256ELb1ELi16EEvPKT_PKT0_S7_ifPKiS9_S9_iPKfiiiPfSC_PS2_PT2_iSB_SB_, .Lfunc_end1025-_Z39paged_attention_ll4mi_QKV_mfma16_kernelIDF16_hLN4vllm18Fp8KVCacheDataTypeE1EhLi32ELi128ELi256ELb1ELi16EEvPKT_PKT0_S7_ifPKiS9_S9_iPKfiiiPfSC_PS2_PT2_iSB_SB_
                                        ; -- End function
	.set _Z39paged_attention_ll4mi_QKV_mfma16_kernelIDF16_hLN4vllm18Fp8KVCacheDataTypeE1EhLi32ELi128ELi256ELb1ELi16EEvPKT_PKT0_S7_ifPKiS9_S9_iPKfiiiPfSC_PS2_PT2_iSB_SB_.num_vgpr, max(3, .L__assert_fail.num_vgpr)
	.set _Z39paged_attention_ll4mi_QKV_mfma16_kernelIDF16_hLN4vllm18Fp8KVCacheDataTypeE1EhLi32ELi128ELi256ELb1ELi16EEvPKT_PKT0_S7_ifPKiS9_S9_iPKfiiiPfSC_PS2_PT2_iSB_SB_.num_agpr, max(0, .L__assert_fail.num_agpr)
	.set _Z39paged_attention_ll4mi_QKV_mfma16_kernelIDF16_hLN4vllm18Fp8KVCacheDataTypeE1EhLi32ELi128ELi256ELb1ELi16EEvPKT_PKT0_S7_ifPKiS9_S9_iPKfiiiPfSC_PS2_PT2_iSB_SB_.numbered_sgpr, max(33, .L__assert_fail.numbered_sgpr)
	.set _Z39paged_attention_ll4mi_QKV_mfma16_kernelIDF16_hLN4vllm18Fp8KVCacheDataTypeE1EhLi32ELi128ELi256ELb1ELi16EEvPKT_PKT0_S7_ifPKiS9_S9_iPKfiiiPfSC_PS2_PT2_iSB_SB_.num_named_barrier, max(0, .L__assert_fail.num_named_barrier)
	.set _Z39paged_attention_ll4mi_QKV_mfma16_kernelIDF16_hLN4vllm18Fp8KVCacheDataTypeE1EhLi32ELi128ELi256ELb1ELi16EEvPKT_PKT0_S7_ifPKiS9_S9_iPKfiiiPfSC_PS2_PT2_iSB_SB_.private_seg_size, 0+max(.L__assert_fail.private_seg_size)
	.set _Z39paged_attention_ll4mi_QKV_mfma16_kernelIDF16_hLN4vllm18Fp8KVCacheDataTypeE1EhLi32ELi128ELi256ELb1ELi16EEvPKT_PKT0_S7_ifPKiS9_S9_iPKfiiiPfSC_PS2_PT2_iSB_SB_.uses_vcc, or(1, .L__assert_fail.uses_vcc)
	.set _Z39paged_attention_ll4mi_QKV_mfma16_kernelIDF16_hLN4vllm18Fp8KVCacheDataTypeE1EhLi32ELi128ELi256ELb1ELi16EEvPKT_PKT0_S7_ifPKiS9_S9_iPKfiiiPfSC_PS2_PT2_iSB_SB_.uses_flat_scratch, or(0, .L__assert_fail.uses_flat_scratch)
	.set _Z39paged_attention_ll4mi_QKV_mfma16_kernelIDF16_hLN4vllm18Fp8KVCacheDataTypeE1EhLi32ELi128ELi256ELb1ELi16EEvPKT_PKT0_S7_ifPKiS9_S9_iPKfiiiPfSC_PS2_PT2_iSB_SB_.has_dyn_sized_stack, or(0, .L__assert_fail.has_dyn_sized_stack)
	.set _Z39paged_attention_ll4mi_QKV_mfma16_kernelIDF16_hLN4vllm18Fp8KVCacheDataTypeE1EhLi32ELi128ELi256ELb1ELi16EEvPKT_PKT0_S7_ifPKiS9_S9_iPKfiiiPfSC_PS2_PT2_iSB_SB_.has_recursion, or(0, .L__assert_fail.has_recursion)
	.set _Z39paged_attention_ll4mi_QKV_mfma16_kernelIDF16_hLN4vllm18Fp8KVCacheDataTypeE1EhLi32ELi128ELi256ELb1ELi16EEvPKT_PKT0_S7_ifPKiS9_S9_iPKfiiiPfSC_PS2_PT2_iSB_SB_.has_indirect_call, or(0, .L__assert_fail.has_indirect_call)
	.section	.AMDGPU.csdata,"",@progbits
; Kernel info:
; codeLenInByte = 68
; TotalNumSgprs: 36
; NumVgprs: 51
; ScratchSize: 64
; MemoryBound: 0
; FloatMode: 240
; IeeeMode: 1
; LDSByteSize: 0 bytes/workgroup (compile time only)
; SGPRBlocks: 0
; VGPRBlocks: 3
; NumSGPRsForWavesPerEU: 36
; NumVGPRsForWavesPerEU: 51
; NamedBarCnt: 0
; Occupancy: 16
; WaveLimiterHint : 1
; COMPUTE_PGM_RSRC2:SCRATCH_EN: 1
; COMPUTE_PGM_RSRC2:USER_SGPR: 2
; COMPUTE_PGM_RSRC2:TRAP_HANDLER: 0
; COMPUTE_PGM_RSRC2:TGID_X_EN: 1
; COMPUTE_PGM_RSRC2:TGID_Y_EN: 0
; COMPUTE_PGM_RSRC2:TGID_Z_EN: 0
; COMPUTE_PGM_RSRC2:TIDIG_COMP_CNT: 0
	.section	.text._Z39paged_attention_ll4mi_QKV_mfma16_kernelIDF16_hLN4vllm18Fp8KVCacheDataTypeE1EhLi32ELi128ELi256ELb1ELi1EEvPKT_PKT0_S7_ifPKiS9_S9_iPKfiiiPfSC_PS2_PT2_iSB_SB_,"axG",@progbits,_Z39paged_attention_ll4mi_QKV_mfma16_kernelIDF16_hLN4vllm18Fp8KVCacheDataTypeE1EhLi32ELi128ELi256ELb1ELi1EEvPKT_PKT0_S7_ifPKiS9_S9_iPKfiiiPfSC_PS2_PT2_iSB_SB_,comdat
	.protected	_Z39paged_attention_ll4mi_QKV_mfma16_kernelIDF16_hLN4vllm18Fp8KVCacheDataTypeE1EhLi32ELi128ELi256ELb1ELi1EEvPKT_PKT0_S7_ifPKiS9_S9_iPKfiiiPfSC_PS2_PT2_iSB_SB_ ; -- Begin function _Z39paged_attention_ll4mi_QKV_mfma16_kernelIDF16_hLN4vllm18Fp8KVCacheDataTypeE1EhLi32ELi128ELi256ELb1ELi1EEvPKT_PKT0_S7_ifPKiS9_S9_iPKfiiiPfSC_PS2_PT2_iSB_SB_
	.globl	_Z39paged_attention_ll4mi_QKV_mfma16_kernelIDF16_hLN4vllm18Fp8KVCacheDataTypeE1EhLi32ELi128ELi256ELb1ELi1EEvPKT_PKT0_S7_ifPKiS9_S9_iPKfiiiPfSC_PS2_PT2_iSB_SB_
	.p2align	8
	.type	_Z39paged_attention_ll4mi_QKV_mfma16_kernelIDF16_hLN4vllm18Fp8KVCacheDataTypeE1EhLi32ELi128ELi256ELb1ELi1EEvPKT_PKT0_S7_ifPKiS9_S9_iPKfiiiPfSC_PS2_PT2_iSB_SB_,@function
_Z39paged_attention_ll4mi_QKV_mfma16_kernelIDF16_hLN4vllm18Fp8KVCacheDataTypeE1EhLi32ELi128ELi256ELb1ELi1EEvPKT_PKT0_S7_ifPKiS9_S9_iPKfiiiPfSC_PS2_PT2_iSB_SB_: ; @_Z39paged_attention_ll4mi_QKV_mfma16_kernelIDF16_hLN4vllm18Fp8KVCacheDataTypeE1EhLi32ELi128ELi256ELb1ELi1EEvPKT_PKT0_S7_ifPKiS9_S9_iPKfiiiPfSC_PS2_PT2_iSB_SB_
; %bb.0:
	s_get_pc_i64 s[2:3]
	s_add_nc_u64 s[2:3], s[2:3], __PRETTY_FUNCTION__._Z39paged_attention_ll4mi_QKV_mfma16_kernelIDF16_hLN4vllm18Fp8KVCacheDataTypeE1EhLi32ELi128ELi256ELb1ELi1EEvPKT_PKT0_S7_ifPKiS9_S9_iPKfiiiPfSC_PS2_PT2_iSB_SB_@rel64+4
	s_delay_alu instid0(SALU_CYCLE_1)
	v_dual_mov_b32 v0, 0xbb3 :: v_dual_mov_b32 v1, s2
	v_mov_b32_e32 v2, s3
	s_add_nc_u64 s[8:9], s[0:1], 0x90
	s_get_pc_i64 s[0:1]
	s_add_nc_u64 s[0:1], s[0:1], __assert_fail@rel64+4
	s_mov_b32 s32, 0
	s_swap_pc_i64 s[30:31], s[0:1]
	.section	.rodata,"a",@progbits
	.p2align	6, 0x0
	.amdhsa_kernel _Z39paged_attention_ll4mi_QKV_mfma16_kernelIDF16_hLN4vllm18Fp8KVCacheDataTypeE1EhLi32ELi128ELi256ELb1ELi1EEvPKT_PKT0_S7_ifPKiS9_S9_iPKfiiiPfSC_PS2_PT2_iSB_SB_
		.amdhsa_group_segment_fixed_size 0
		.amdhsa_private_segment_fixed_size 64
		.amdhsa_kernarg_size 400
		.amdhsa_user_sgpr_count 2
		.amdhsa_user_sgpr_dispatch_ptr 0
		.amdhsa_user_sgpr_queue_ptr 0
		.amdhsa_user_sgpr_kernarg_segment_ptr 1
		.amdhsa_user_sgpr_dispatch_id 0
		.amdhsa_user_sgpr_kernarg_preload_length 0
		.amdhsa_user_sgpr_kernarg_preload_offset 0
		.amdhsa_user_sgpr_private_segment_size 0
		.amdhsa_wavefront_size32 1
		.amdhsa_uses_dynamic_stack 0
		.amdhsa_enable_private_segment 1
		.amdhsa_system_sgpr_workgroup_id_x 1
		.amdhsa_system_sgpr_workgroup_id_y 0
		.amdhsa_system_sgpr_workgroup_id_z 0
		.amdhsa_system_sgpr_workgroup_info 0
		.amdhsa_system_vgpr_workitem_id 0
		.amdhsa_next_free_vgpr 51
		.amdhsa_next_free_sgpr 34
		.amdhsa_named_barrier_count 0
		.amdhsa_reserve_vcc 1
		.amdhsa_float_round_mode_32 0
		.amdhsa_float_round_mode_16_64 0
		.amdhsa_float_denorm_mode_32 3
		.amdhsa_float_denorm_mode_16_64 3
		.amdhsa_fp16_overflow 0
		.amdhsa_memory_ordered 1
		.amdhsa_forward_progress 1
		.amdhsa_inst_pref_size 1
		.amdhsa_round_robin_scheduling 0
		.amdhsa_exception_fp_ieee_invalid_op 0
		.amdhsa_exception_fp_denorm_src 0
		.amdhsa_exception_fp_ieee_div_zero 0
		.amdhsa_exception_fp_ieee_overflow 0
		.amdhsa_exception_fp_ieee_underflow 0
		.amdhsa_exception_fp_ieee_inexact 0
		.amdhsa_exception_int_div_zero 0
	.end_amdhsa_kernel
	.section	.text._Z39paged_attention_ll4mi_QKV_mfma16_kernelIDF16_hLN4vllm18Fp8KVCacheDataTypeE1EhLi32ELi128ELi256ELb1ELi1EEvPKT_PKT0_S7_ifPKiS9_S9_iPKfiiiPfSC_PS2_PT2_iSB_SB_,"axG",@progbits,_Z39paged_attention_ll4mi_QKV_mfma16_kernelIDF16_hLN4vllm18Fp8KVCacheDataTypeE1EhLi32ELi128ELi256ELb1ELi1EEvPKT_PKT0_S7_ifPKiS9_S9_iPKfiiiPfSC_PS2_PT2_iSB_SB_,comdat
.Lfunc_end1026:
	.size	_Z39paged_attention_ll4mi_QKV_mfma16_kernelIDF16_hLN4vllm18Fp8KVCacheDataTypeE1EhLi32ELi128ELi256ELb1ELi1EEvPKT_PKT0_S7_ifPKiS9_S9_iPKfiiiPfSC_PS2_PT2_iSB_SB_, .Lfunc_end1026-_Z39paged_attention_ll4mi_QKV_mfma16_kernelIDF16_hLN4vllm18Fp8KVCacheDataTypeE1EhLi32ELi128ELi256ELb1ELi1EEvPKT_PKT0_S7_ifPKiS9_S9_iPKfiiiPfSC_PS2_PT2_iSB_SB_
                                        ; -- End function
	.set _Z39paged_attention_ll4mi_QKV_mfma16_kernelIDF16_hLN4vllm18Fp8KVCacheDataTypeE1EhLi32ELi128ELi256ELb1ELi1EEvPKT_PKT0_S7_ifPKiS9_S9_iPKfiiiPfSC_PS2_PT2_iSB_SB_.num_vgpr, max(3, .L__assert_fail.num_vgpr)
	.set _Z39paged_attention_ll4mi_QKV_mfma16_kernelIDF16_hLN4vllm18Fp8KVCacheDataTypeE1EhLi32ELi128ELi256ELb1ELi1EEvPKT_PKT0_S7_ifPKiS9_S9_iPKfiiiPfSC_PS2_PT2_iSB_SB_.num_agpr, max(0, .L__assert_fail.num_agpr)
	.set _Z39paged_attention_ll4mi_QKV_mfma16_kernelIDF16_hLN4vllm18Fp8KVCacheDataTypeE1EhLi32ELi128ELi256ELb1ELi1EEvPKT_PKT0_S7_ifPKiS9_S9_iPKfiiiPfSC_PS2_PT2_iSB_SB_.numbered_sgpr, max(33, .L__assert_fail.numbered_sgpr)
	.set _Z39paged_attention_ll4mi_QKV_mfma16_kernelIDF16_hLN4vllm18Fp8KVCacheDataTypeE1EhLi32ELi128ELi256ELb1ELi1EEvPKT_PKT0_S7_ifPKiS9_S9_iPKfiiiPfSC_PS2_PT2_iSB_SB_.num_named_barrier, max(0, .L__assert_fail.num_named_barrier)
	.set _Z39paged_attention_ll4mi_QKV_mfma16_kernelIDF16_hLN4vllm18Fp8KVCacheDataTypeE1EhLi32ELi128ELi256ELb1ELi1EEvPKT_PKT0_S7_ifPKiS9_S9_iPKfiiiPfSC_PS2_PT2_iSB_SB_.private_seg_size, 0+max(.L__assert_fail.private_seg_size)
	.set _Z39paged_attention_ll4mi_QKV_mfma16_kernelIDF16_hLN4vllm18Fp8KVCacheDataTypeE1EhLi32ELi128ELi256ELb1ELi1EEvPKT_PKT0_S7_ifPKiS9_S9_iPKfiiiPfSC_PS2_PT2_iSB_SB_.uses_vcc, or(1, .L__assert_fail.uses_vcc)
	.set _Z39paged_attention_ll4mi_QKV_mfma16_kernelIDF16_hLN4vllm18Fp8KVCacheDataTypeE1EhLi32ELi128ELi256ELb1ELi1EEvPKT_PKT0_S7_ifPKiS9_S9_iPKfiiiPfSC_PS2_PT2_iSB_SB_.uses_flat_scratch, or(0, .L__assert_fail.uses_flat_scratch)
	.set _Z39paged_attention_ll4mi_QKV_mfma16_kernelIDF16_hLN4vllm18Fp8KVCacheDataTypeE1EhLi32ELi128ELi256ELb1ELi1EEvPKT_PKT0_S7_ifPKiS9_S9_iPKfiiiPfSC_PS2_PT2_iSB_SB_.has_dyn_sized_stack, or(0, .L__assert_fail.has_dyn_sized_stack)
	.set _Z39paged_attention_ll4mi_QKV_mfma16_kernelIDF16_hLN4vllm18Fp8KVCacheDataTypeE1EhLi32ELi128ELi256ELb1ELi1EEvPKT_PKT0_S7_ifPKiS9_S9_iPKfiiiPfSC_PS2_PT2_iSB_SB_.has_recursion, or(0, .L__assert_fail.has_recursion)
	.set _Z39paged_attention_ll4mi_QKV_mfma16_kernelIDF16_hLN4vllm18Fp8KVCacheDataTypeE1EhLi32ELi128ELi256ELb1ELi1EEvPKT_PKT0_S7_ifPKiS9_S9_iPKfiiiPfSC_PS2_PT2_iSB_SB_.has_indirect_call, or(0, .L__assert_fail.has_indirect_call)
	.section	.AMDGPU.csdata,"",@progbits
; Kernel info:
; codeLenInByte = 68
; TotalNumSgprs: 36
; NumVgprs: 51
; ScratchSize: 64
; MemoryBound: 0
; FloatMode: 240
; IeeeMode: 1
; LDSByteSize: 0 bytes/workgroup (compile time only)
; SGPRBlocks: 0
; VGPRBlocks: 3
; NumSGPRsForWavesPerEU: 36
; NumVGPRsForWavesPerEU: 51
; NamedBarCnt: 0
; Occupancy: 16
; WaveLimiterHint : 1
; COMPUTE_PGM_RSRC2:SCRATCH_EN: 1
; COMPUTE_PGM_RSRC2:USER_SGPR: 2
; COMPUTE_PGM_RSRC2:TRAP_HANDLER: 0
; COMPUTE_PGM_RSRC2:TGID_X_EN: 1
; COMPUTE_PGM_RSRC2:TGID_Y_EN: 0
; COMPUTE_PGM_RSRC2:TGID_Z_EN: 0
; COMPUTE_PGM_RSRC2:TIDIG_COMP_CNT: 0
	.section	.text._Z39paged_attention_ll4mi_QKV_mfma16_kernelIDF16_hLN4vllm18Fp8KVCacheDataTypeE1EhLi32ELi128ELi256ELb1ELi2EEvPKT_PKT0_S7_ifPKiS9_S9_iPKfiiiPfSC_PS2_PT2_iSB_SB_,"axG",@progbits,_Z39paged_attention_ll4mi_QKV_mfma16_kernelIDF16_hLN4vllm18Fp8KVCacheDataTypeE1EhLi32ELi128ELi256ELb1ELi2EEvPKT_PKT0_S7_ifPKiS9_S9_iPKfiiiPfSC_PS2_PT2_iSB_SB_,comdat
	.protected	_Z39paged_attention_ll4mi_QKV_mfma16_kernelIDF16_hLN4vllm18Fp8KVCacheDataTypeE1EhLi32ELi128ELi256ELb1ELi2EEvPKT_PKT0_S7_ifPKiS9_S9_iPKfiiiPfSC_PS2_PT2_iSB_SB_ ; -- Begin function _Z39paged_attention_ll4mi_QKV_mfma16_kernelIDF16_hLN4vllm18Fp8KVCacheDataTypeE1EhLi32ELi128ELi256ELb1ELi2EEvPKT_PKT0_S7_ifPKiS9_S9_iPKfiiiPfSC_PS2_PT2_iSB_SB_
	.globl	_Z39paged_attention_ll4mi_QKV_mfma16_kernelIDF16_hLN4vllm18Fp8KVCacheDataTypeE1EhLi32ELi128ELi256ELb1ELi2EEvPKT_PKT0_S7_ifPKiS9_S9_iPKfiiiPfSC_PS2_PT2_iSB_SB_
	.p2align	8
	.type	_Z39paged_attention_ll4mi_QKV_mfma16_kernelIDF16_hLN4vllm18Fp8KVCacheDataTypeE1EhLi32ELi128ELi256ELb1ELi2EEvPKT_PKT0_S7_ifPKiS9_S9_iPKfiiiPfSC_PS2_PT2_iSB_SB_,@function
_Z39paged_attention_ll4mi_QKV_mfma16_kernelIDF16_hLN4vllm18Fp8KVCacheDataTypeE1EhLi32ELi128ELi256ELb1ELi2EEvPKT_PKT0_S7_ifPKiS9_S9_iPKfiiiPfSC_PS2_PT2_iSB_SB_: ; @_Z39paged_attention_ll4mi_QKV_mfma16_kernelIDF16_hLN4vllm18Fp8KVCacheDataTypeE1EhLi32ELi128ELi256ELb1ELi2EEvPKT_PKT0_S7_ifPKiS9_S9_iPKfiiiPfSC_PS2_PT2_iSB_SB_
; %bb.0:
	s_get_pc_i64 s[2:3]
	s_add_nc_u64 s[2:3], s[2:3], __PRETTY_FUNCTION__._Z39paged_attention_ll4mi_QKV_mfma16_kernelIDF16_hLN4vllm18Fp8KVCacheDataTypeE1EhLi32ELi128ELi256ELb1ELi2EEvPKT_PKT0_S7_ifPKiS9_S9_iPKfiiiPfSC_PS2_PT2_iSB_SB_@rel64+4
	s_delay_alu instid0(SALU_CYCLE_1)
	v_dual_mov_b32 v0, 0xbb3 :: v_dual_mov_b32 v1, s2
	v_mov_b32_e32 v2, s3
	s_add_nc_u64 s[8:9], s[0:1], 0x90
	s_get_pc_i64 s[0:1]
	s_add_nc_u64 s[0:1], s[0:1], __assert_fail@rel64+4
	s_mov_b32 s32, 0
	s_swap_pc_i64 s[30:31], s[0:1]
	.section	.rodata,"a",@progbits
	.p2align	6, 0x0
	.amdhsa_kernel _Z39paged_attention_ll4mi_QKV_mfma16_kernelIDF16_hLN4vllm18Fp8KVCacheDataTypeE1EhLi32ELi128ELi256ELb1ELi2EEvPKT_PKT0_S7_ifPKiS9_S9_iPKfiiiPfSC_PS2_PT2_iSB_SB_
		.amdhsa_group_segment_fixed_size 0
		.amdhsa_private_segment_fixed_size 64
		.amdhsa_kernarg_size 400
		.amdhsa_user_sgpr_count 2
		.amdhsa_user_sgpr_dispatch_ptr 0
		.amdhsa_user_sgpr_queue_ptr 0
		.amdhsa_user_sgpr_kernarg_segment_ptr 1
		.amdhsa_user_sgpr_dispatch_id 0
		.amdhsa_user_sgpr_kernarg_preload_length 0
		.amdhsa_user_sgpr_kernarg_preload_offset 0
		.amdhsa_user_sgpr_private_segment_size 0
		.amdhsa_wavefront_size32 1
		.amdhsa_uses_dynamic_stack 0
		.amdhsa_enable_private_segment 1
		.amdhsa_system_sgpr_workgroup_id_x 1
		.amdhsa_system_sgpr_workgroup_id_y 0
		.amdhsa_system_sgpr_workgroup_id_z 0
		.amdhsa_system_sgpr_workgroup_info 0
		.amdhsa_system_vgpr_workitem_id 0
		.amdhsa_next_free_vgpr 51
		.amdhsa_next_free_sgpr 34
		.amdhsa_named_barrier_count 0
		.amdhsa_reserve_vcc 1
		.amdhsa_float_round_mode_32 0
		.amdhsa_float_round_mode_16_64 0
		.amdhsa_float_denorm_mode_32 3
		.amdhsa_float_denorm_mode_16_64 3
		.amdhsa_fp16_overflow 0
		.amdhsa_memory_ordered 1
		.amdhsa_forward_progress 1
		.amdhsa_inst_pref_size 1
		.amdhsa_round_robin_scheduling 0
		.amdhsa_exception_fp_ieee_invalid_op 0
		.amdhsa_exception_fp_denorm_src 0
		.amdhsa_exception_fp_ieee_div_zero 0
		.amdhsa_exception_fp_ieee_overflow 0
		.amdhsa_exception_fp_ieee_underflow 0
		.amdhsa_exception_fp_ieee_inexact 0
		.amdhsa_exception_int_div_zero 0
	.end_amdhsa_kernel
	.section	.text._Z39paged_attention_ll4mi_QKV_mfma16_kernelIDF16_hLN4vllm18Fp8KVCacheDataTypeE1EhLi32ELi128ELi256ELb1ELi2EEvPKT_PKT0_S7_ifPKiS9_S9_iPKfiiiPfSC_PS2_PT2_iSB_SB_,"axG",@progbits,_Z39paged_attention_ll4mi_QKV_mfma16_kernelIDF16_hLN4vllm18Fp8KVCacheDataTypeE1EhLi32ELi128ELi256ELb1ELi2EEvPKT_PKT0_S7_ifPKiS9_S9_iPKfiiiPfSC_PS2_PT2_iSB_SB_,comdat
.Lfunc_end1027:
	.size	_Z39paged_attention_ll4mi_QKV_mfma16_kernelIDF16_hLN4vllm18Fp8KVCacheDataTypeE1EhLi32ELi128ELi256ELb1ELi2EEvPKT_PKT0_S7_ifPKiS9_S9_iPKfiiiPfSC_PS2_PT2_iSB_SB_, .Lfunc_end1027-_Z39paged_attention_ll4mi_QKV_mfma16_kernelIDF16_hLN4vllm18Fp8KVCacheDataTypeE1EhLi32ELi128ELi256ELb1ELi2EEvPKT_PKT0_S7_ifPKiS9_S9_iPKfiiiPfSC_PS2_PT2_iSB_SB_
                                        ; -- End function
	.set _Z39paged_attention_ll4mi_QKV_mfma16_kernelIDF16_hLN4vllm18Fp8KVCacheDataTypeE1EhLi32ELi128ELi256ELb1ELi2EEvPKT_PKT0_S7_ifPKiS9_S9_iPKfiiiPfSC_PS2_PT2_iSB_SB_.num_vgpr, max(3, .L__assert_fail.num_vgpr)
	.set _Z39paged_attention_ll4mi_QKV_mfma16_kernelIDF16_hLN4vllm18Fp8KVCacheDataTypeE1EhLi32ELi128ELi256ELb1ELi2EEvPKT_PKT0_S7_ifPKiS9_S9_iPKfiiiPfSC_PS2_PT2_iSB_SB_.num_agpr, max(0, .L__assert_fail.num_agpr)
	.set _Z39paged_attention_ll4mi_QKV_mfma16_kernelIDF16_hLN4vllm18Fp8KVCacheDataTypeE1EhLi32ELi128ELi256ELb1ELi2EEvPKT_PKT0_S7_ifPKiS9_S9_iPKfiiiPfSC_PS2_PT2_iSB_SB_.numbered_sgpr, max(33, .L__assert_fail.numbered_sgpr)
	.set _Z39paged_attention_ll4mi_QKV_mfma16_kernelIDF16_hLN4vllm18Fp8KVCacheDataTypeE1EhLi32ELi128ELi256ELb1ELi2EEvPKT_PKT0_S7_ifPKiS9_S9_iPKfiiiPfSC_PS2_PT2_iSB_SB_.num_named_barrier, max(0, .L__assert_fail.num_named_barrier)
	.set _Z39paged_attention_ll4mi_QKV_mfma16_kernelIDF16_hLN4vllm18Fp8KVCacheDataTypeE1EhLi32ELi128ELi256ELb1ELi2EEvPKT_PKT0_S7_ifPKiS9_S9_iPKfiiiPfSC_PS2_PT2_iSB_SB_.private_seg_size, 0+max(.L__assert_fail.private_seg_size)
	.set _Z39paged_attention_ll4mi_QKV_mfma16_kernelIDF16_hLN4vllm18Fp8KVCacheDataTypeE1EhLi32ELi128ELi256ELb1ELi2EEvPKT_PKT0_S7_ifPKiS9_S9_iPKfiiiPfSC_PS2_PT2_iSB_SB_.uses_vcc, or(1, .L__assert_fail.uses_vcc)
	.set _Z39paged_attention_ll4mi_QKV_mfma16_kernelIDF16_hLN4vllm18Fp8KVCacheDataTypeE1EhLi32ELi128ELi256ELb1ELi2EEvPKT_PKT0_S7_ifPKiS9_S9_iPKfiiiPfSC_PS2_PT2_iSB_SB_.uses_flat_scratch, or(0, .L__assert_fail.uses_flat_scratch)
	.set _Z39paged_attention_ll4mi_QKV_mfma16_kernelIDF16_hLN4vllm18Fp8KVCacheDataTypeE1EhLi32ELi128ELi256ELb1ELi2EEvPKT_PKT0_S7_ifPKiS9_S9_iPKfiiiPfSC_PS2_PT2_iSB_SB_.has_dyn_sized_stack, or(0, .L__assert_fail.has_dyn_sized_stack)
	.set _Z39paged_attention_ll4mi_QKV_mfma16_kernelIDF16_hLN4vllm18Fp8KVCacheDataTypeE1EhLi32ELi128ELi256ELb1ELi2EEvPKT_PKT0_S7_ifPKiS9_S9_iPKfiiiPfSC_PS2_PT2_iSB_SB_.has_recursion, or(0, .L__assert_fail.has_recursion)
	.set _Z39paged_attention_ll4mi_QKV_mfma16_kernelIDF16_hLN4vllm18Fp8KVCacheDataTypeE1EhLi32ELi128ELi256ELb1ELi2EEvPKT_PKT0_S7_ifPKiS9_S9_iPKfiiiPfSC_PS2_PT2_iSB_SB_.has_indirect_call, or(0, .L__assert_fail.has_indirect_call)
	.section	.AMDGPU.csdata,"",@progbits
; Kernel info:
; codeLenInByte = 68
; TotalNumSgprs: 36
; NumVgprs: 51
; ScratchSize: 64
; MemoryBound: 0
; FloatMode: 240
; IeeeMode: 1
; LDSByteSize: 0 bytes/workgroup (compile time only)
; SGPRBlocks: 0
; VGPRBlocks: 3
; NumSGPRsForWavesPerEU: 36
; NumVGPRsForWavesPerEU: 51
; NamedBarCnt: 0
; Occupancy: 16
; WaveLimiterHint : 1
; COMPUTE_PGM_RSRC2:SCRATCH_EN: 1
; COMPUTE_PGM_RSRC2:USER_SGPR: 2
; COMPUTE_PGM_RSRC2:TRAP_HANDLER: 0
; COMPUTE_PGM_RSRC2:TGID_X_EN: 1
; COMPUTE_PGM_RSRC2:TGID_Y_EN: 0
; COMPUTE_PGM_RSRC2:TGID_Z_EN: 0
; COMPUTE_PGM_RSRC2:TIDIG_COMP_CNT: 0
	.section	.text._Z39paged_attention_ll4mi_QKV_mfma16_kernelIDF16_hLN4vllm18Fp8KVCacheDataTypeE1EhLi32ELi128ELi256ELb1ELi3EEvPKT_PKT0_S7_ifPKiS9_S9_iPKfiiiPfSC_PS2_PT2_iSB_SB_,"axG",@progbits,_Z39paged_attention_ll4mi_QKV_mfma16_kernelIDF16_hLN4vllm18Fp8KVCacheDataTypeE1EhLi32ELi128ELi256ELb1ELi3EEvPKT_PKT0_S7_ifPKiS9_S9_iPKfiiiPfSC_PS2_PT2_iSB_SB_,comdat
	.protected	_Z39paged_attention_ll4mi_QKV_mfma16_kernelIDF16_hLN4vllm18Fp8KVCacheDataTypeE1EhLi32ELi128ELi256ELb1ELi3EEvPKT_PKT0_S7_ifPKiS9_S9_iPKfiiiPfSC_PS2_PT2_iSB_SB_ ; -- Begin function _Z39paged_attention_ll4mi_QKV_mfma16_kernelIDF16_hLN4vllm18Fp8KVCacheDataTypeE1EhLi32ELi128ELi256ELb1ELi3EEvPKT_PKT0_S7_ifPKiS9_S9_iPKfiiiPfSC_PS2_PT2_iSB_SB_
	.globl	_Z39paged_attention_ll4mi_QKV_mfma16_kernelIDF16_hLN4vllm18Fp8KVCacheDataTypeE1EhLi32ELi128ELi256ELb1ELi3EEvPKT_PKT0_S7_ifPKiS9_S9_iPKfiiiPfSC_PS2_PT2_iSB_SB_
	.p2align	8
	.type	_Z39paged_attention_ll4mi_QKV_mfma16_kernelIDF16_hLN4vllm18Fp8KVCacheDataTypeE1EhLi32ELi128ELi256ELb1ELi3EEvPKT_PKT0_S7_ifPKiS9_S9_iPKfiiiPfSC_PS2_PT2_iSB_SB_,@function
_Z39paged_attention_ll4mi_QKV_mfma16_kernelIDF16_hLN4vllm18Fp8KVCacheDataTypeE1EhLi32ELi128ELi256ELb1ELi3EEvPKT_PKT0_S7_ifPKiS9_S9_iPKfiiiPfSC_PS2_PT2_iSB_SB_: ; @_Z39paged_attention_ll4mi_QKV_mfma16_kernelIDF16_hLN4vllm18Fp8KVCacheDataTypeE1EhLi32ELi128ELi256ELb1ELi3EEvPKT_PKT0_S7_ifPKiS9_S9_iPKfiiiPfSC_PS2_PT2_iSB_SB_
; %bb.0:
	s_get_pc_i64 s[2:3]
	s_add_nc_u64 s[2:3], s[2:3], __PRETTY_FUNCTION__._Z39paged_attention_ll4mi_QKV_mfma16_kernelIDF16_hLN4vllm18Fp8KVCacheDataTypeE1EhLi32ELi128ELi256ELb1ELi3EEvPKT_PKT0_S7_ifPKiS9_S9_iPKfiiiPfSC_PS2_PT2_iSB_SB_@rel64+4
	s_delay_alu instid0(SALU_CYCLE_1)
	v_dual_mov_b32 v0, 0xbb3 :: v_dual_mov_b32 v1, s2
	v_mov_b32_e32 v2, s3
	s_add_nc_u64 s[8:9], s[0:1], 0x90
	s_get_pc_i64 s[0:1]
	s_add_nc_u64 s[0:1], s[0:1], __assert_fail@rel64+4
	s_mov_b32 s32, 0
	s_swap_pc_i64 s[30:31], s[0:1]
	.section	.rodata,"a",@progbits
	.p2align	6, 0x0
	.amdhsa_kernel _Z39paged_attention_ll4mi_QKV_mfma16_kernelIDF16_hLN4vllm18Fp8KVCacheDataTypeE1EhLi32ELi128ELi256ELb1ELi3EEvPKT_PKT0_S7_ifPKiS9_S9_iPKfiiiPfSC_PS2_PT2_iSB_SB_
		.amdhsa_group_segment_fixed_size 0
		.amdhsa_private_segment_fixed_size 64
		.amdhsa_kernarg_size 400
		.amdhsa_user_sgpr_count 2
		.amdhsa_user_sgpr_dispatch_ptr 0
		.amdhsa_user_sgpr_queue_ptr 0
		.amdhsa_user_sgpr_kernarg_segment_ptr 1
		.amdhsa_user_sgpr_dispatch_id 0
		.amdhsa_user_sgpr_kernarg_preload_length 0
		.amdhsa_user_sgpr_kernarg_preload_offset 0
		.amdhsa_user_sgpr_private_segment_size 0
		.amdhsa_wavefront_size32 1
		.amdhsa_uses_dynamic_stack 0
		.amdhsa_enable_private_segment 1
		.amdhsa_system_sgpr_workgroup_id_x 1
		.amdhsa_system_sgpr_workgroup_id_y 0
		.amdhsa_system_sgpr_workgroup_id_z 0
		.amdhsa_system_sgpr_workgroup_info 0
		.amdhsa_system_vgpr_workitem_id 0
		.amdhsa_next_free_vgpr 51
		.amdhsa_next_free_sgpr 34
		.amdhsa_named_barrier_count 0
		.amdhsa_reserve_vcc 1
		.amdhsa_float_round_mode_32 0
		.amdhsa_float_round_mode_16_64 0
		.amdhsa_float_denorm_mode_32 3
		.amdhsa_float_denorm_mode_16_64 3
		.amdhsa_fp16_overflow 0
		.amdhsa_memory_ordered 1
		.amdhsa_forward_progress 1
		.amdhsa_inst_pref_size 1
		.amdhsa_round_robin_scheduling 0
		.amdhsa_exception_fp_ieee_invalid_op 0
		.amdhsa_exception_fp_denorm_src 0
		.amdhsa_exception_fp_ieee_div_zero 0
		.amdhsa_exception_fp_ieee_overflow 0
		.amdhsa_exception_fp_ieee_underflow 0
		.amdhsa_exception_fp_ieee_inexact 0
		.amdhsa_exception_int_div_zero 0
	.end_amdhsa_kernel
	.section	.text._Z39paged_attention_ll4mi_QKV_mfma16_kernelIDF16_hLN4vllm18Fp8KVCacheDataTypeE1EhLi32ELi128ELi256ELb1ELi3EEvPKT_PKT0_S7_ifPKiS9_S9_iPKfiiiPfSC_PS2_PT2_iSB_SB_,"axG",@progbits,_Z39paged_attention_ll4mi_QKV_mfma16_kernelIDF16_hLN4vllm18Fp8KVCacheDataTypeE1EhLi32ELi128ELi256ELb1ELi3EEvPKT_PKT0_S7_ifPKiS9_S9_iPKfiiiPfSC_PS2_PT2_iSB_SB_,comdat
.Lfunc_end1028:
	.size	_Z39paged_attention_ll4mi_QKV_mfma16_kernelIDF16_hLN4vllm18Fp8KVCacheDataTypeE1EhLi32ELi128ELi256ELb1ELi3EEvPKT_PKT0_S7_ifPKiS9_S9_iPKfiiiPfSC_PS2_PT2_iSB_SB_, .Lfunc_end1028-_Z39paged_attention_ll4mi_QKV_mfma16_kernelIDF16_hLN4vllm18Fp8KVCacheDataTypeE1EhLi32ELi128ELi256ELb1ELi3EEvPKT_PKT0_S7_ifPKiS9_S9_iPKfiiiPfSC_PS2_PT2_iSB_SB_
                                        ; -- End function
	.set _Z39paged_attention_ll4mi_QKV_mfma16_kernelIDF16_hLN4vllm18Fp8KVCacheDataTypeE1EhLi32ELi128ELi256ELb1ELi3EEvPKT_PKT0_S7_ifPKiS9_S9_iPKfiiiPfSC_PS2_PT2_iSB_SB_.num_vgpr, max(3, .L__assert_fail.num_vgpr)
	.set _Z39paged_attention_ll4mi_QKV_mfma16_kernelIDF16_hLN4vllm18Fp8KVCacheDataTypeE1EhLi32ELi128ELi256ELb1ELi3EEvPKT_PKT0_S7_ifPKiS9_S9_iPKfiiiPfSC_PS2_PT2_iSB_SB_.num_agpr, max(0, .L__assert_fail.num_agpr)
	.set _Z39paged_attention_ll4mi_QKV_mfma16_kernelIDF16_hLN4vllm18Fp8KVCacheDataTypeE1EhLi32ELi128ELi256ELb1ELi3EEvPKT_PKT0_S7_ifPKiS9_S9_iPKfiiiPfSC_PS2_PT2_iSB_SB_.numbered_sgpr, max(33, .L__assert_fail.numbered_sgpr)
	.set _Z39paged_attention_ll4mi_QKV_mfma16_kernelIDF16_hLN4vllm18Fp8KVCacheDataTypeE1EhLi32ELi128ELi256ELb1ELi3EEvPKT_PKT0_S7_ifPKiS9_S9_iPKfiiiPfSC_PS2_PT2_iSB_SB_.num_named_barrier, max(0, .L__assert_fail.num_named_barrier)
	.set _Z39paged_attention_ll4mi_QKV_mfma16_kernelIDF16_hLN4vllm18Fp8KVCacheDataTypeE1EhLi32ELi128ELi256ELb1ELi3EEvPKT_PKT0_S7_ifPKiS9_S9_iPKfiiiPfSC_PS2_PT2_iSB_SB_.private_seg_size, 0+max(.L__assert_fail.private_seg_size)
	.set _Z39paged_attention_ll4mi_QKV_mfma16_kernelIDF16_hLN4vllm18Fp8KVCacheDataTypeE1EhLi32ELi128ELi256ELb1ELi3EEvPKT_PKT0_S7_ifPKiS9_S9_iPKfiiiPfSC_PS2_PT2_iSB_SB_.uses_vcc, or(1, .L__assert_fail.uses_vcc)
	.set _Z39paged_attention_ll4mi_QKV_mfma16_kernelIDF16_hLN4vllm18Fp8KVCacheDataTypeE1EhLi32ELi128ELi256ELb1ELi3EEvPKT_PKT0_S7_ifPKiS9_S9_iPKfiiiPfSC_PS2_PT2_iSB_SB_.uses_flat_scratch, or(0, .L__assert_fail.uses_flat_scratch)
	.set _Z39paged_attention_ll4mi_QKV_mfma16_kernelIDF16_hLN4vllm18Fp8KVCacheDataTypeE1EhLi32ELi128ELi256ELb1ELi3EEvPKT_PKT0_S7_ifPKiS9_S9_iPKfiiiPfSC_PS2_PT2_iSB_SB_.has_dyn_sized_stack, or(0, .L__assert_fail.has_dyn_sized_stack)
	.set _Z39paged_attention_ll4mi_QKV_mfma16_kernelIDF16_hLN4vllm18Fp8KVCacheDataTypeE1EhLi32ELi128ELi256ELb1ELi3EEvPKT_PKT0_S7_ifPKiS9_S9_iPKfiiiPfSC_PS2_PT2_iSB_SB_.has_recursion, or(0, .L__assert_fail.has_recursion)
	.set _Z39paged_attention_ll4mi_QKV_mfma16_kernelIDF16_hLN4vllm18Fp8KVCacheDataTypeE1EhLi32ELi128ELi256ELb1ELi3EEvPKT_PKT0_S7_ifPKiS9_S9_iPKfiiiPfSC_PS2_PT2_iSB_SB_.has_indirect_call, or(0, .L__assert_fail.has_indirect_call)
	.section	.AMDGPU.csdata,"",@progbits
; Kernel info:
; codeLenInByte = 68
; TotalNumSgprs: 36
; NumVgprs: 51
; ScratchSize: 64
; MemoryBound: 0
; FloatMode: 240
; IeeeMode: 1
; LDSByteSize: 0 bytes/workgroup (compile time only)
; SGPRBlocks: 0
; VGPRBlocks: 3
; NumSGPRsForWavesPerEU: 36
; NumVGPRsForWavesPerEU: 51
; NamedBarCnt: 0
; Occupancy: 16
; WaveLimiterHint : 1
; COMPUTE_PGM_RSRC2:SCRATCH_EN: 1
; COMPUTE_PGM_RSRC2:USER_SGPR: 2
; COMPUTE_PGM_RSRC2:TRAP_HANDLER: 0
; COMPUTE_PGM_RSRC2:TGID_X_EN: 1
; COMPUTE_PGM_RSRC2:TGID_Y_EN: 0
; COMPUTE_PGM_RSRC2:TGID_Z_EN: 0
; COMPUTE_PGM_RSRC2:TIDIG_COMP_CNT: 0
	.section	.text._Z39paged_attention_ll4mi_QKV_mfma16_kernelIDF16_hLN4vllm18Fp8KVCacheDataTypeE1EhLi32ELi128ELi256ELb1ELi4EEvPKT_PKT0_S7_ifPKiS9_S9_iPKfiiiPfSC_PS2_PT2_iSB_SB_,"axG",@progbits,_Z39paged_attention_ll4mi_QKV_mfma16_kernelIDF16_hLN4vllm18Fp8KVCacheDataTypeE1EhLi32ELi128ELi256ELb1ELi4EEvPKT_PKT0_S7_ifPKiS9_S9_iPKfiiiPfSC_PS2_PT2_iSB_SB_,comdat
	.protected	_Z39paged_attention_ll4mi_QKV_mfma16_kernelIDF16_hLN4vllm18Fp8KVCacheDataTypeE1EhLi32ELi128ELi256ELb1ELi4EEvPKT_PKT0_S7_ifPKiS9_S9_iPKfiiiPfSC_PS2_PT2_iSB_SB_ ; -- Begin function _Z39paged_attention_ll4mi_QKV_mfma16_kernelIDF16_hLN4vllm18Fp8KVCacheDataTypeE1EhLi32ELi128ELi256ELb1ELi4EEvPKT_PKT0_S7_ifPKiS9_S9_iPKfiiiPfSC_PS2_PT2_iSB_SB_
	.globl	_Z39paged_attention_ll4mi_QKV_mfma16_kernelIDF16_hLN4vllm18Fp8KVCacheDataTypeE1EhLi32ELi128ELi256ELb1ELi4EEvPKT_PKT0_S7_ifPKiS9_S9_iPKfiiiPfSC_PS2_PT2_iSB_SB_
	.p2align	8
	.type	_Z39paged_attention_ll4mi_QKV_mfma16_kernelIDF16_hLN4vllm18Fp8KVCacheDataTypeE1EhLi32ELi128ELi256ELb1ELi4EEvPKT_PKT0_S7_ifPKiS9_S9_iPKfiiiPfSC_PS2_PT2_iSB_SB_,@function
_Z39paged_attention_ll4mi_QKV_mfma16_kernelIDF16_hLN4vllm18Fp8KVCacheDataTypeE1EhLi32ELi128ELi256ELb1ELi4EEvPKT_PKT0_S7_ifPKiS9_S9_iPKfiiiPfSC_PS2_PT2_iSB_SB_: ; @_Z39paged_attention_ll4mi_QKV_mfma16_kernelIDF16_hLN4vllm18Fp8KVCacheDataTypeE1EhLi32ELi128ELi256ELb1ELi4EEvPKT_PKT0_S7_ifPKiS9_S9_iPKfiiiPfSC_PS2_PT2_iSB_SB_
; %bb.0:
	s_get_pc_i64 s[2:3]
	s_add_nc_u64 s[2:3], s[2:3], __PRETTY_FUNCTION__._Z39paged_attention_ll4mi_QKV_mfma16_kernelIDF16_hLN4vllm18Fp8KVCacheDataTypeE1EhLi32ELi128ELi256ELb1ELi4EEvPKT_PKT0_S7_ifPKiS9_S9_iPKfiiiPfSC_PS2_PT2_iSB_SB_@rel64+4
	s_delay_alu instid0(SALU_CYCLE_1)
	v_dual_mov_b32 v0, 0xbb3 :: v_dual_mov_b32 v1, s2
	v_mov_b32_e32 v2, s3
	s_add_nc_u64 s[8:9], s[0:1], 0x90
	s_get_pc_i64 s[0:1]
	s_add_nc_u64 s[0:1], s[0:1], __assert_fail@rel64+4
	s_mov_b32 s32, 0
	s_swap_pc_i64 s[30:31], s[0:1]
	.section	.rodata,"a",@progbits
	.p2align	6, 0x0
	.amdhsa_kernel _Z39paged_attention_ll4mi_QKV_mfma16_kernelIDF16_hLN4vllm18Fp8KVCacheDataTypeE1EhLi32ELi128ELi256ELb1ELi4EEvPKT_PKT0_S7_ifPKiS9_S9_iPKfiiiPfSC_PS2_PT2_iSB_SB_
		.amdhsa_group_segment_fixed_size 0
		.amdhsa_private_segment_fixed_size 64
		.amdhsa_kernarg_size 400
		.amdhsa_user_sgpr_count 2
		.amdhsa_user_sgpr_dispatch_ptr 0
		.amdhsa_user_sgpr_queue_ptr 0
		.amdhsa_user_sgpr_kernarg_segment_ptr 1
		.amdhsa_user_sgpr_dispatch_id 0
		.amdhsa_user_sgpr_kernarg_preload_length 0
		.amdhsa_user_sgpr_kernarg_preload_offset 0
		.amdhsa_user_sgpr_private_segment_size 0
		.amdhsa_wavefront_size32 1
		.amdhsa_uses_dynamic_stack 0
		.amdhsa_enable_private_segment 1
		.amdhsa_system_sgpr_workgroup_id_x 1
		.amdhsa_system_sgpr_workgroup_id_y 0
		.amdhsa_system_sgpr_workgroup_id_z 0
		.amdhsa_system_sgpr_workgroup_info 0
		.amdhsa_system_vgpr_workitem_id 0
		.amdhsa_next_free_vgpr 51
		.amdhsa_next_free_sgpr 34
		.amdhsa_named_barrier_count 0
		.amdhsa_reserve_vcc 1
		.amdhsa_float_round_mode_32 0
		.amdhsa_float_round_mode_16_64 0
		.amdhsa_float_denorm_mode_32 3
		.amdhsa_float_denorm_mode_16_64 3
		.amdhsa_fp16_overflow 0
		.amdhsa_memory_ordered 1
		.amdhsa_forward_progress 1
		.amdhsa_inst_pref_size 1
		.amdhsa_round_robin_scheduling 0
		.amdhsa_exception_fp_ieee_invalid_op 0
		.amdhsa_exception_fp_denorm_src 0
		.amdhsa_exception_fp_ieee_div_zero 0
		.amdhsa_exception_fp_ieee_overflow 0
		.amdhsa_exception_fp_ieee_underflow 0
		.amdhsa_exception_fp_ieee_inexact 0
		.amdhsa_exception_int_div_zero 0
	.end_amdhsa_kernel
	.section	.text._Z39paged_attention_ll4mi_QKV_mfma16_kernelIDF16_hLN4vllm18Fp8KVCacheDataTypeE1EhLi32ELi128ELi256ELb1ELi4EEvPKT_PKT0_S7_ifPKiS9_S9_iPKfiiiPfSC_PS2_PT2_iSB_SB_,"axG",@progbits,_Z39paged_attention_ll4mi_QKV_mfma16_kernelIDF16_hLN4vllm18Fp8KVCacheDataTypeE1EhLi32ELi128ELi256ELb1ELi4EEvPKT_PKT0_S7_ifPKiS9_S9_iPKfiiiPfSC_PS2_PT2_iSB_SB_,comdat
.Lfunc_end1029:
	.size	_Z39paged_attention_ll4mi_QKV_mfma16_kernelIDF16_hLN4vllm18Fp8KVCacheDataTypeE1EhLi32ELi128ELi256ELb1ELi4EEvPKT_PKT0_S7_ifPKiS9_S9_iPKfiiiPfSC_PS2_PT2_iSB_SB_, .Lfunc_end1029-_Z39paged_attention_ll4mi_QKV_mfma16_kernelIDF16_hLN4vllm18Fp8KVCacheDataTypeE1EhLi32ELi128ELi256ELb1ELi4EEvPKT_PKT0_S7_ifPKiS9_S9_iPKfiiiPfSC_PS2_PT2_iSB_SB_
                                        ; -- End function
	.set _Z39paged_attention_ll4mi_QKV_mfma16_kernelIDF16_hLN4vllm18Fp8KVCacheDataTypeE1EhLi32ELi128ELi256ELb1ELi4EEvPKT_PKT0_S7_ifPKiS9_S9_iPKfiiiPfSC_PS2_PT2_iSB_SB_.num_vgpr, max(3, .L__assert_fail.num_vgpr)
	.set _Z39paged_attention_ll4mi_QKV_mfma16_kernelIDF16_hLN4vllm18Fp8KVCacheDataTypeE1EhLi32ELi128ELi256ELb1ELi4EEvPKT_PKT0_S7_ifPKiS9_S9_iPKfiiiPfSC_PS2_PT2_iSB_SB_.num_agpr, max(0, .L__assert_fail.num_agpr)
	.set _Z39paged_attention_ll4mi_QKV_mfma16_kernelIDF16_hLN4vllm18Fp8KVCacheDataTypeE1EhLi32ELi128ELi256ELb1ELi4EEvPKT_PKT0_S7_ifPKiS9_S9_iPKfiiiPfSC_PS2_PT2_iSB_SB_.numbered_sgpr, max(33, .L__assert_fail.numbered_sgpr)
	.set _Z39paged_attention_ll4mi_QKV_mfma16_kernelIDF16_hLN4vllm18Fp8KVCacheDataTypeE1EhLi32ELi128ELi256ELb1ELi4EEvPKT_PKT0_S7_ifPKiS9_S9_iPKfiiiPfSC_PS2_PT2_iSB_SB_.num_named_barrier, max(0, .L__assert_fail.num_named_barrier)
	.set _Z39paged_attention_ll4mi_QKV_mfma16_kernelIDF16_hLN4vllm18Fp8KVCacheDataTypeE1EhLi32ELi128ELi256ELb1ELi4EEvPKT_PKT0_S7_ifPKiS9_S9_iPKfiiiPfSC_PS2_PT2_iSB_SB_.private_seg_size, 0+max(.L__assert_fail.private_seg_size)
	.set _Z39paged_attention_ll4mi_QKV_mfma16_kernelIDF16_hLN4vllm18Fp8KVCacheDataTypeE1EhLi32ELi128ELi256ELb1ELi4EEvPKT_PKT0_S7_ifPKiS9_S9_iPKfiiiPfSC_PS2_PT2_iSB_SB_.uses_vcc, or(1, .L__assert_fail.uses_vcc)
	.set _Z39paged_attention_ll4mi_QKV_mfma16_kernelIDF16_hLN4vllm18Fp8KVCacheDataTypeE1EhLi32ELi128ELi256ELb1ELi4EEvPKT_PKT0_S7_ifPKiS9_S9_iPKfiiiPfSC_PS2_PT2_iSB_SB_.uses_flat_scratch, or(0, .L__assert_fail.uses_flat_scratch)
	.set _Z39paged_attention_ll4mi_QKV_mfma16_kernelIDF16_hLN4vllm18Fp8KVCacheDataTypeE1EhLi32ELi128ELi256ELb1ELi4EEvPKT_PKT0_S7_ifPKiS9_S9_iPKfiiiPfSC_PS2_PT2_iSB_SB_.has_dyn_sized_stack, or(0, .L__assert_fail.has_dyn_sized_stack)
	.set _Z39paged_attention_ll4mi_QKV_mfma16_kernelIDF16_hLN4vllm18Fp8KVCacheDataTypeE1EhLi32ELi128ELi256ELb1ELi4EEvPKT_PKT0_S7_ifPKiS9_S9_iPKfiiiPfSC_PS2_PT2_iSB_SB_.has_recursion, or(0, .L__assert_fail.has_recursion)
	.set _Z39paged_attention_ll4mi_QKV_mfma16_kernelIDF16_hLN4vllm18Fp8KVCacheDataTypeE1EhLi32ELi128ELi256ELb1ELi4EEvPKT_PKT0_S7_ifPKiS9_S9_iPKfiiiPfSC_PS2_PT2_iSB_SB_.has_indirect_call, or(0, .L__assert_fail.has_indirect_call)
	.section	.AMDGPU.csdata,"",@progbits
; Kernel info:
; codeLenInByte = 68
; TotalNumSgprs: 36
; NumVgprs: 51
; ScratchSize: 64
; MemoryBound: 0
; FloatMode: 240
; IeeeMode: 1
; LDSByteSize: 0 bytes/workgroup (compile time only)
; SGPRBlocks: 0
; VGPRBlocks: 3
; NumSGPRsForWavesPerEU: 36
; NumVGPRsForWavesPerEU: 51
; NamedBarCnt: 0
; Occupancy: 16
; WaveLimiterHint : 1
; COMPUTE_PGM_RSRC2:SCRATCH_EN: 1
; COMPUTE_PGM_RSRC2:USER_SGPR: 2
; COMPUTE_PGM_RSRC2:TRAP_HANDLER: 0
; COMPUTE_PGM_RSRC2:TGID_X_EN: 1
; COMPUTE_PGM_RSRC2:TGID_Y_EN: 0
; COMPUTE_PGM_RSRC2:TGID_Z_EN: 0
; COMPUTE_PGM_RSRC2:TIDIG_COMP_CNT: 0
	.section	.text._Z38paged_attention_ll4mi_QKV_mfma4_kernelIDF16_hLN4vllm18Fp8KVCacheDataTypeE1EhLi32ELi128ELi256ELb0ELi1EEvPKT_PKT0_S7_ifPKiS9_S9_iPKfiiiPfSC_PS2_PT2_iSB_SB_,"axG",@progbits,_Z38paged_attention_ll4mi_QKV_mfma4_kernelIDF16_hLN4vllm18Fp8KVCacheDataTypeE1EhLi32ELi128ELi256ELb0ELi1EEvPKT_PKT0_S7_ifPKiS9_S9_iPKfiiiPfSC_PS2_PT2_iSB_SB_,comdat
	.protected	_Z38paged_attention_ll4mi_QKV_mfma4_kernelIDF16_hLN4vllm18Fp8KVCacheDataTypeE1EhLi32ELi128ELi256ELb0ELi1EEvPKT_PKT0_S7_ifPKiS9_S9_iPKfiiiPfSC_PS2_PT2_iSB_SB_ ; -- Begin function _Z38paged_attention_ll4mi_QKV_mfma4_kernelIDF16_hLN4vllm18Fp8KVCacheDataTypeE1EhLi32ELi128ELi256ELb0ELi1EEvPKT_PKT0_S7_ifPKiS9_S9_iPKfiiiPfSC_PS2_PT2_iSB_SB_
	.globl	_Z38paged_attention_ll4mi_QKV_mfma4_kernelIDF16_hLN4vllm18Fp8KVCacheDataTypeE1EhLi32ELi128ELi256ELb0ELi1EEvPKT_PKT0_S7_ifPKiS9_S9_iPKfiiiPfSC_PS2_PT2_iSB_SB_
	.p2align	8
	.type	_Z38paged_attention_ll4mi_QKV_mfma4_kernelIDF16_hLN4vllm18Fp8KVCacheDataTypeE1EhLi32ELi128ELi256ELb0ELi1EEvPKT_PKT0_S7_ifPKiS9_S9_iPKfiiiPfSC_PS2_PT2_iSB_SB_,@function
_Z38paged_attention_ll4mi_QKV_mfma4_kernelIDF16_hLN4vllm18Fp8KVCacheDataTypeE1EhLi32ELi128ELi256ELb0ELi1EEvPKT_PKT0_S7_ifPKiS9_S9_iPKfiiiPfSC_PS2_PT2_iSB_SB_: ; @_Z38paged_attention_ll4mi_QKV_mfma4_kernelIDF16_hLN4vllm18Fp8KVCacheDataTypeE1EhLi32ELi128ELi256ELb0ELi1EEvPKT_PKT0_S7_ifPKiS9_S9_iPKfiiiPfSC_PS2_PT2_iSB_SB_
; %bb.0:
	s_get_pc_i64 s[2:3]
	s_add_nc_u64 s[2:3], s[2:3], __PRETTY_FUNCTION__._Z38paged_attention_ll4mi_QKV_mfma4_kernelIDF16_hLN4vllm18Fp8KVCacheDataTypeE1EhLi32ELi128ELi256ELb0ELi1EEvPKT_PKT0_S7_ifPKiS9_S9_iPKfiiiPfSC_PS2_PT2_iSB_SB_@rel64+4
	s_delay_alu instid0(SALU_CYCLE_1)
	v_dual_mov_b32 v0, 0xbce :: v_dual_mov_b32 v1, s2
	v_mov_b32_e32 v2, s3
	s_add_nc_u64 s[8:9], s[0:1], 0x90
	s_get_pc_i64 s[0:1]
	s_add_nc_u64 s[0:1], s[0:1], __assert_fail@rel64+4
	s_mov_b32 s32, 0
	s_swap_pc_i64 s[30:31], s[0:1]
	.section	.rodata,"a",@progbits
	.p2align	6, 0x0
	.amdhsa_kernel _Z38paged_attention_ll4mi_QKV_mfma4_kernelIDF16_hLN4vllm18Fp8KVCacheDataTypeE1EhLi32ELi128ELi256ELb0ELi1EEvPKT_PKT0_S7_ifPKiS9_S9_iPKfiiiPfSC_PS2_PT2_iSB_SB_
		.amdhsa_group_segment_fixed_size 0
		.amdhsa_private_segment_fixed_size 64
		.amdhsa_kernarg_size 400
		.amdhsa_user_sgpr_count 2
		.amdhsa_user_sgpr_dispatch_ptr 0
		.amdhsa_user_sgpr_queue_ptr 0
		.amdhsa_user_sgpr_kernarg_segment_ptr 1
		.amdhsa_user_sgpr_dispatch_id 0
		.amdhsa_user_sgpr_kernarg_preload_length 0
		.amdhsa_user_sgpr_kernarg_preload_offset 0
		.amdhsa_user_sgpr_private_segment_size 0
		.amdhsa_wavefront_size32 1
		.amdhsa_uses_dynamic_stack 0
		.amdhsa_enable_private_segment 1
		.amdhsa_system_sgpr_workgroup_id_x 1
		.amdhsa_system_sgpr_workgroup_id_y 0
		.amdhsa_system_sgpr_workgroup_id_z 0
		.amdhsa_system_sgpr_workgroup_info 0
		.amdhsa_system_vgpr_workitem_id 0
		.amdhsa_next_free_vgpr 51
		.amdhsa_next_free_sgpr 34
		.amdhsa_named_barrier_count 0
		.amdhsa_reserve_vcc 1
		.amdhsa_float_round_mode_32 0
		.amdhsa_float_round_mode_16_64 0
		.amdhsa_float_denorm_mode_32 3
		.amdhsa_float_denorm_mode_16_64 3
		.amdhsa_fp16_overflow 0
		.amdhsa_memory_ordered 1
		.amdhsa_forward_progress 1
		.amdhsa_inst_pref_size 1
		.amdhsa_round_robin_scheduling 0
		.amdhsa_exception_fp_ieee_invalid_op 0
		.amdhsa_exception_fp_denorm_src 0
		.amdhsa_exception_fp_ieee_div_zero 0
		.amdhsa_exception_fp_ieee_overflow 0
		.amdhsa_exception_fp_ieee_underflow 0
		.amdhsa_exception_fp_ieee_inexact 0
		.amdhsa_exception_int_div_zero 0
	.end_amdhsa_kernel
	.section	.text._Z38paged_attention_ll4mi_QKV_mfma4_kernelIDF16_hLN4vllm18Fp8KVCacheDataTypeE1EhLi32ELi128ELi256ELb0ELi1EEvPKT_PKT0_S7_ifPKiS9_S9_iPKfiiiPfSC_PS2_PT2_iSB_SB_,"axG",@progbits,_Z38paged_attention_ll4mi_QKV_mfma4_kernelIDF16_hLN4vllm18Fp8KVCacheDataTypeE1EhLi32ELi128ELi256ELb0ELi1EEvPKT_PKT0_S7_ifPKiS9_S9_iPKfiiiPfSC_PS2_PT2_iSB_SB_,comdat
.Lfunc_end1030:
	.size	_Z38paged_attention_ll4mi_QKV_mfma4_kernelIDF16_hLN4vllm18Fp8KVCacheDataTypeE1EhLi32ELi128ELi256ELb0ELi1EEvPKT_PKT0_S7_ifPKiS9_S9_iPKfiiiPfSC_PS2_PT2_iSB_SB_, .Lfunc_end1030-_Z38paged_attention_ll4mi_QKV_mfma4_kernelIDF16_hLN4vllm18Fp8KVCacheDataTypeE1EhLi32ELi128ELi256ELb0ELi1EEvPKT_PKT0_S7_ifPKiS9_S9_iPKfiiiPfSC_PS2_PT2_iSB_SB_
                                        ; -- End function
	.set _Z38paged_attention_ll4mi_QKV_mfma4_kernelIDF16_hLN4vllm18Fp8KVCacheDataTypeE1EhLi32ELi128ELi256ELb0ELi1EEvPKT_PKT0_S7_ifPKiS9_S9_iPKfiiiPfSC_PS2_PT2_iSB_SB_.num_vgpr, max(3, .L__assert_fail.num_vgpr)
	.set _Z38paged_attention_ll4mi_QKV_mfma4_kernelIDF16_hLN4vllm18Fp8KVCacheDataTypeE1EhLi32ELi128ELi256ELb0ELi1EEvPKT_PKT0_S7_ifPKiS9_S9_iPKfiiiPfSC_PS2_PT2_iSB_SB_.num_agpr, max(0, .L__assert_fail.num_agpr)
	.set _Z38paged_attention_ll4mi_QKV_mfma4_kernelIDF16_hLN4vllm18Fp8KVCacheDataTypeE1EhLi32ELi128ELi256ELb0ELi1EEvPKT_PKT0_S7_ifPKiS9_S9_iPKfiiiPfSC_PS2_PT2_iSB_SB_.numbered_sgpr, max(33, .L__assert_fail.numbered_sgpr)
	.set _Z38paged_attention_ll4mi_QKV_mfma4_kernelIDF16_hLN4vllm18Fp8KVCacheDataTypeE1EhLi32ELi128ELi256ELb0ELi1EEvPKT_PKT0_S7_ifPKiS9_S9_iPKfiiiPfSC_PS2_PT2_iSB_SB_.num_named_barrier, max(0, .L__assert_fail.num_named_barrier)
	.set _Z38paged_attention_ll4mi_QKV_mfma4_kernelIDF16_hLN4vllm18Fp8KVCacheDataTypeE1EhLi32ELi128ELi256ELb0ELi1EEvPKT_PKT0_S7_ifPKiS9_S9_iPKfiiiPfSC_PS2_PT2_iSB_SB_.private_seg_size, 0+max(.L__assert_fail.private_seg_size)
	.set _Z38paged_attention_ll4mi_QKV_mfma4_kernelIDF16_hLN4vllm18Fp8KVCacheDataTypeE1EhLi32ELi128ELi256ELb0ELi1EEvPKT_PKT0_S7_ifPKiS9_S9_iPKfiiiPfSC_PS2_PT2_iSB_SB_.uses_vcc, or(1, .L__assert_fail.uses_vcc)
	.set _Z38paged_attention_ll4mi_QKV_mfma4_kernelIDF16_hLN4vllm18Fp8KVCacheDataTypeE1EhLi32ELi128ELi256ELb0ELi1EEvPKT_PKT0_S7_ifPKiS9_S9_iPKfiiiPfSC_PS2_PT2_iSB_SB_.uses_flat_scratch, or(0, .L__assert_fail.uses_flat_scratch)
	.set _Z38paged_attention_ll4mi_QKV_mfma4_kernelIDF16_hLN4vllm18Fp8KVCacheDataTypeE1EhLi32ELi128ELi256ELb0ELi1EEvPKT_PKT0_S7_ifPKiS9_S9_iPKfiiiPfSC_PS2_PT2_iSB_SB_.has_dyn_sized_stack, or(0, .L__assert_fail.has_dyn_sized_stack)
	.set _Z38paged_attention_ll4mi_QKV_mfma4_kernelIDF16_hLN4vllm18Fp8KVCacheDataTypeE1EhLi32ELi128ELi256ELb0ELi1EEvPKT_PKT0_S7_ifPKiS9_S9_iPKfiiiPfSC_PS2_PT2_iSB_SB_.has_recursion, or(0, .L__assert_fail.has_recursion)
	.set _Z38paged_attention_ll4mi_QKV_mfma4_kernelIDF16_hLN4vllm18Fp8KVCacheDataTypeE1EhLi32ELi128ELi256ELb0ELi1EEvPKT_PKT0_S7_ifPKiS9_S9_iPKfiiiPfSC_PS2_PT2_iSB_SB_.has_indirect_call, or(0, .L__assert_fail.has_indirect_call)
	.section	.AMDGPU.csdata,"",@progbits
; Kernel info:
; codeLenInByte = 68
; TotalNumSgprs: 36
; NumVgprs: 51
; ScratchSize: 64
; MemoryBound: 0
; FloatMode: 240
; IeeeMode: 1
; LDSByteSize: 0 bytes/workgroup (compile time only)
; SGPRBlocks: 0
; VGPRBlocks: 3
; NumSGPRsForWavesPerEU: 36
; NumVGPRsForWavesPerEU: 51
; NamedBarCnt: 0
; Occupancy: 16
; WaveLimiterHint : 1
; COMPUTE_PGM_RSRC2:SCRATCH_EN: 1
; COMPUTE_PGM_RSRC2:USER_SGPR: 2
; COMPUTE_PGM_RSRC2:TRAP_HANDLER: 0
; COMPUTE_PGM_RSRC2:TGID_X_EN: 1
; COMPUTE_PGM_RSRC2:TGID_Y_EN: 0
; COMPUTE_PGM_RSRC2:TGID_Z_EN: 0
; COMPUTE_PGM_RSRC2:TIDIG_COMP_CNT: 0
	.section	.text._Z38paged_attention_ll4mi_QKV_mfma4_kernelIDF16_hLN4vllm18Fp8KVCacheDataTypeE1EhLi32ELi128ELi256ELb0ELi2EEvPKT_PKT0_S7_ifPKiS9_S9_iPKfiiiPfSC_PS2_PT2_iSB_SB_,"axG",@progbits,_Z38paged_attention_ll4mi_QKV_mfma4_kernelIDF16_hLN4vllm18Fp8KVCacheDataTypeE1EhLi32ELi128ELi256ELb0ELi2EEvPKT_PKT0_S7_ifPKiS9_S9_iPKfiiiPfSC_PS2_PT2_iSB_SB_,comdat
	.protected	_Z38paged_attention_ll4mi_QKV_mfma4_kernelIDF16_hLN4vllm18Fp8KVCacheDataTypeE1EhLi32ELi128ELi256ELb0ELi2EEvPKT_PKT0_S7_ifPKiS9_S9_iPKfiiiPfSC_PS2_PT2_iSB_SB_ ; -- Begin function _Z38paged_attention_ll4mi_QKV_mfma4_kernelIDF16_hLN4vllm18Fp8KVCacheDataTypeE1EhLi32ELi128ELi256ELb0ELi2EEvPKT_PKT0_S7_ifPKiS9_S9_iPKfiiiPfSC_PS2_PT2_iSB_SB_
	.globl	_Z38paged_attention_ll4mi_QKV_mfma4_kernelIDF16_hLN4vllm18Fp8KVCacheDataTypeE1EhLi32ELi128ELi256ELb0ELi2EEvPKT_PKT0_S7_ifPKiS9_S9_iPKfiiiPfSC_PS2_PT2_iSB_SB_
	.p2align	8
	.type	_Z38paged_attention_ll4mi_QKV_mfma4_kernelIDF16_hLN4vllm18Fp8KVCacheDataTypeE1EhLi32ELi128ELi256ELb0ELi2EEvPKT_PKT0_S7_ifPKiS9_S9_iPKfiiiPfSC_PS2_PT2_iSB_SB_,@function
_Z38paged_attention_ll4mi_QKV_mfma4_kernelIDF16_hLN4vllm18Fp8KVCacheDataTypeE1EhLi32ELi128ELi256ELb0ELi2EEvPKT_PKT0_S7_ifPKiS9_S9_iPKfiiiPfSC_PS2_PT2_iSB_SB_: ; @_Z38paged_attention_ll4mi_QKV_mfma4_kernelIDF16_hLN4vllm18Fp8KVCacheDataTypeE1EhLi32ELi128ELi256ELb0ELi2EEvPKT_PKT0_S7_ifPKiS9_S9_iPKfiiiPfSC_PS2_PT2_iSB_SB_
; %bb.0:
	s_get_pc_i64 s[2:3]
	s_add_nc_u64 s[2:3], s[2:3], __PRETTY_FUNCTION__._Z38paged_attention_ll4mi_QKV_mfma4_kernelIDF16_hLN4vllm18Fp8KVCacheDataTypeE1EhLi32ELi128ELi256ELb0ELi2EEvPKT_PKT0_S7_ifPKiS9_S9_iPKfiiiPfSC_PS2_PT2_iSB_SB_@rel64+4
	s_delay_alu instid0(SALU_CYCLE_1)
	v_dual_mov_b32 v0, 0xbce :: v_dual_mov_b32 v1, s2
	v_mov_b32_e32 v2, s3
	s_add_nc_u64 s[8:9], s[0:1], 0x90
	s_get_pc_i64 s[0:1]
	s_add_nc_u64 s[0:1], s[0:1], __assert_fail@rel64+4
	s_mov_b32 s32, 0
	s_swap_pc_i64 s[30:31], s[0:1]
	.section	.rodata,"a",@progbits
	.p2align	6, 0x0
	.amdhsa_kernel _Z38paged_attention_ll4mi_QKV_mfma4_kernelIDF16_hLN4vllm18Fp8KVCacheDataTypeE1EhLi32ELi128ELi256ELb0ELi2EEvPKT_PKT0_S7_ifPKiS9_S9_iPKfiiiPfSC_PS2_PT2_iSB_SB_
		.amdhsa_group_segment_fixed_size 0
		.amdhsa_private_segment_fixed_size 64
		.amdhsa_kernarg_size 400
		.amdhsa_user_sgpr_count 2
		.amdhsa_user_sgpr_dispatch_ptr 0
		.amdhsa_user_sgpr_queue_ptr 0
		.amdhsa_user_sgpr_kernarg_segment_ptr 1
		.amdhsa_user_sgpr_dispatch_id 0
		.amdhsa_user_sgpr_kernarg_preload_length 0
		.amdhsa_user_sgpr_kernarg_preload_offset 0
		.amdhsa_user_sgpr_private_segment_size 0
		.amdhsa_wavefront_size32 1
		.amdhsa_uses_dynamic_stack 0
		.amdhsa_enable_private_segment 1
		.amdhsa_system_sgpr_workgroup_id_x 1
		.amdhsa_system_sgpr_workgroup_id_y 0
		.amdhsa_system_sgpr_workgroup_id_z 0
		.amdhsa_system_sgpr_workgroup_info 0
		.amdhsa_system_vgpr_workitem_id 0
		.amdhsa_next_free_vgpr 51
		.amdhsa_next_free_sgpr 34
		.amdhsa_named_barrier_count 0
		.amdhsa_reserve_vcc 1
		.amdhsa_float_round_mode_32 0
		.amdhsa_float_round_mode_16_64 0
		.amdhsa_float_denorm_mode_32 3
		.amdhsa_float_denorm_mode_16_64 3
		.amdhsa_fp16_overflow 0
		.amdhsa_memory_ordered 1
		.amdhsa_forward_progress 1
		.amdhsa_inst_pref_size 1
		.amdhsa_round_robin_scheduling 0
		.amdhsa_exception_fp_ieee_invalid_op 0
		.amdhsa_exception_fp_denorm_src 0
		.amdhsa_exception_fp_ieee_div_zero 0
		.amdhsa_exception_fp_ieee_overflow 0
		.amdhsa_exception_fp_ieee_underflow 0
		.amdhsa_exception_fp_ieee_inexact 0
		.amdhsa_exception_int_div_zero 0
	.end_amdhsa_kernel
	.section	.text._Z38paged_attention_ll4mi_QKV_mfma4_kernelIDF16_hLN4vllm18Fp8KVCacheDataTypeE1EhLi32ELi128ELi256ELb0ELi2EEvPKT_PKT0_S7_ifPKiS9_S9_iPKfiiiPfSC_PS2_PT2_iSB_SB_,"axG",@progbits,_Z38paged_attention_ll4mi_QKV_mfma4_kernelIDF16_hLN4vllm18Fp8KVCacheDataTypeE1EhLi32ELi128ELi256ELb0ELi2EEvPKT_PKT0_S7_ifPKiS9_S9_iPKfiiiPfSC_PS2_PT2_iSB_SB_,comdat
.Lfunc_end1031:
	.size	_Z38paged_attention_ll4mi_QKV_mfma4_kernelIDF16_hLN4vllm18Fp8KVCacheDataTypeE1EhLi32ELi128ELi256ELb0ELi2EEvPKT_PKT0_S7_ifPKiS9_S9_iPKfiiiPfSC_PS2_PT2_iSB_SB_, .Lfunc_end1031-_Z38paged_attention_ll4mi_QKV_mfma4_kernelIDF16_hLN4vllm18Fp8KVCacheDataTypeE1EhLi32ELi128ELi256ELb0ELi2EEvPKT_PKT0_S7_ifPKiS9_S9_iPKfiiiPfSC_PS2_PT2_iSB_SB_
                                        ; -- End function
	.set _Z38paged_attention_ll4mi_QKV_mfma4_kernelIDF16_hLN4vllm18Fp8KVCacheDataTypeE1EhLi32ELi128ELi256ELb0ELi2EEvPKT_PKT0_S7_ifPKiS9_S9_iPKfiiiPfSC_PS2_PT2_iSB_SB_.num_vgpr, max(3, .L__assert_fail.num_vgpr)
	.set _Z38paged_attention_ll4mi_QKV_mfma4_kernelIDF16_hLN4vllm18Fp8KVCacheDataTypeE1EhLi32ELi128ELi256ELb0ELi2EEvPKT_PKT0_S7_ifPKiS9_S9_iPKfiiiPfSC_PS2_PT2_iSB_SB_.num_agpr, max(0, .L__assert_fail.num_agpr)
	.set _Z38paged_attention_ll4mi_QKV_mfma4_kernelIDF16_hLN4vllm18Fp8KVCacheDataTypeE1EhLi32ELi128ELi256ELb0ELi2EEvPKT_PKT0_S7_ifPKiS9_S9_iPKfiiiPfSC_PS2_PT2_iSB_SB_.numbered_sgpr, max(33, .L__assert_fail.numbered_sgpr)
	.set _Z38paged_attention_ll4mi_QKV_mfma4_kernelIDF16_hLN4vllm18Fp8KVCacheDataTypeE1EhLi32ELi128ELi256ELb0ELi2EEvPKT_PKT0_S7_ifPKiS9_S9_iPKfiiiPfSC_PS2_PT2_iSB_SB_.num_named_barrier, max(0, .L__assert_fail.num_named_barrier)
	.set _Z38paged_attention_ll4mi_QKV_mfma4_kernelIDF16_hLN4vllm18Fp8KVCacheDataTypeE1EhLi32ELi128ELi256ELb0ELi2EEvPKT_PKT0_S7_ifPKiS9_S9_iPKfiiiPfSC_PS2_PT2_iSB_SB_.private_seg_size, 0+max(.L__assert_fail.private_seg_size)
	.set _Z38paged_attention_ll4mi_QKV_mfma4_kernelIDF16_hLN4vllm18Fp8KVCacheDataTypeE1EhLi32ELi128ELi256ELb0ELi2EEvPKT_PKT0_S7_ifPKiS9_S9_iPKfiiiPfSC_PS2_PT2_iSB_SB_.uses_vcc, or(1, .L__assert_fail.uses_vcc)
	.set _Z38paged_attention_ll4mi_QKV_mfma4_kernelIDF16_hLN4vllm18Fp8KVCacheDataTypeE1EhLi32ELi128ELi256ELb0ELi2EEvPKT_PKT0_S7_ifPKiS9_S9_iPKfiiiPfSC_PS2_PT2_iSB_SB_.uses_flat_scratch, or(0, .L__assert_fail.uses_flat_scratch)
	.set _Z38paged_attention_ll4mi_QKV_mfma4_kernelIDF16_hLN4vllm18Fp8KVCacheDataTypeE1EhLi32ELi128ELi256ELb0ELi2EEvPKT_PKT0_S7_ifPKiS9_S9_iPKfiiiPfSC_PS2_PT2_iSB_SB_.has_dyn_sized_stack, or(0, .L__assert_fail.has_dyn_sized_stack)
	.set _Z38paged_attention_ll4mi_QKV_mfma4_kernelIDF16_hLN4vllm18Fp8KVCacheDataTypeE1EhLi32ELi128ELi256ELb0ELi2EEvPKT_PKT0_S7_ifPKiS9_S9_iPKfiiiPfSC_PS2_PT2_iSB_SB_.has_recursion, or(0, .L__assert_fail.has_recursion)
	.set _Z38paged_attention_ll4mi_QKV_mfma4_kernelIDF16_hLN4vllm18Fp8KVCacheDataTypeE1EhLi32ELi128ELi256ELb0ELi2EEvPKT_PKT0_S7_ifPKiS9_S9_iPKfiiiPfSC_PS2_PT2_iSB_SB_.has_indirect_call, or(0, .L__assert_fail.has_indirect_call)
	.section	.AMDGPU.csdata,"",@progbits
; Kernel info:
; codeLenInByte = 68
; TotalNumSgprs: 36
; NumVgprs: 51
; ScratchSize: 64
; MemoryBound: 0
; FloatMode: 240
; IeeeMode: 1
; LDSByteSize: 0 bytes/workgroup (compile time only)
; SGPRBlocks: 0
; VGPRBlocks: 3
; NumSGPRsForWavesPerEU: 36
; NumVGPRsForWavesPerEU: 51
; NamedBarCnt: 0
; Occupancy: 16
; WaveLimiterHint : 1
; COMPUTE_PGM_RSRC2:SCRATCH_EN: 1
; COMPUTE_PGM_RSRC2:USER_SGPR: 2
; COMPUTE_PGM_RSRC2:TRAP_HANDLER: 0
; COMPUTE_PGM_RSRC2:TGID_X_EN: 1
; COMPUTE_PGM_RSRC2:TGID_Y_EN: 0
; COMPUTE_PGM_RSRC2:TGID_Z_EN: 0
; COMPUTE_PGM_RSRC2:TIDIG_COMP_CNT: 0
	.section	.text._Z38paged_attention_ll4mi_QKV_mfma4_kernelIDF16_hLN4vllm18Fp8KVCacheDataTypeE1EhLi32ELi128ELi256ELb0ELi3EEvPKT_PKT0_S7_ifPKiS9_S9_iPKfiiiPfSC_PS2_PT2_iSB_SB_,"axG",@progbits,_Z38paged_attention_ll4mi_QKV_mfma4_kernelIDF16_hLN4vllm18Fp8KVCacheDataTypeE1EhLi32ELi128ELi256ELb0ELi3EEvPKT_PKT0_S7_ifPKiS9_S9_iPKfiiiPfSC_PS2_PT2_iSB_SB_,comdat
	.protected	_Z38paged_attention_ll4mi_QKV_mfma4_kernelIDF16_hLN4vllm18Fp8KVCacheDataTypeE1EhLi32ELi128ELi256ELb0ELi3EEvPKT_PKT0_S7_ifPKiS9_S9_iPKfiiiPfSC_PS2_PT2_iSB_SB_ ; -- Begin function _Z38paged_attention_ll4mi_QKV_mfma4_kernelIDF16_hLN4vllm18Fp8KVCacheDataTypeE1EhLi32ELi128ELi256ELb0ELi3EEvPKT_PKT0_S7_ifPKiS9_S9_iPKfiiiPfSC_PS2_PT2_iSB_SB_
	.globl	_Z38paged_attention_ll4mi_QKV_mfma4_kernelIDF16_hLN4vllm18Fp8KVCacheDataTypeE1EhLi32ELi128ELi256ELb0ELi3EEvPKT_PKT0_S7_ifPKiS9_S9_iPKfiiiPfSC_PS2_PT2_iSB_SB_
	.p2align	8
	.type	_Z38paged_attention_ll4mi_QKV_mfma4_kernelIDF16_hLN4vllm18Fp8KVCacheDataTypeE1EhLi32ELi128ELi256ELb0ELi3EEvPKT_PKT0_S7_ifPKiS9_S9_iPKfiiiPfSC_PS2_PT2_iSB_SB_,@function
_Z38paged_attention_ll4mi_QKV_mfma4_kernelIDF16_hLN4vllm18Fp8KVCacheDataTypeE1EhLi32ELi128ELi256ELb0ELi3EEvPKT_PKT0_S7_ifPKiS9_S9_iPKfiiiPfSC_PS2_PT2_iSB_SB_: ; @_Z38paged_attention_ll4mi_QKV_mfma4_kernelIDF16_hLN4vllm18Fp8KVCacheDataTypeE1EhLi32ELi128ELi256ELb0ELi3EEvPKT_PKT0_S7_ifPKiS9_S9_iPKfiiiPfSC_PS2_PT2_iSB_SB_
; %bb.0:
	s_get_pc_i64 s[2:3]
	s_add_nc_u64 s[2:3], s[2:3], __PRETTY_FUNCTION__._Z38paged_attention_ll4mi_QKV_mfma4_kernelIDF16_hLN4vllm18Fp8KVCacheDataTypeE1EhLi32ELi128ELi256ELb0ELi3EEvPKT_PKT0_S7_ifPKiS9_S9_iPKfiiiPfSC_PS2_PT2_iSB_SB_@rel64+4
	s_delay_alu instid0(SALU_CYCLE_1)
	v_dual_mov_b32 v0, 0xbce :: v_dual_mov_b32 v1, s2
	v_mov_b32_e32 v2, s3
	s_add_nc_u64 s[8:9], s[0:1], 0x90
	s_get_pc_i64 s[0:1]
	s_add_nc_u64 s[0:1], s[0:1], __assert_fail@rel64+4
	s_mov_b32 s32, 0
	s_swap_pc_i64 s[30:31], s[0:1]
	.section	.rodata,"a",@progbits
	.p2align	6, 0x0
	.amdhsa_kernel _Z38paged_attention_ll4mi_QKV_mfma4_kernelIDF16_hLN4vllm18Fp8KVCacheDataTypeE1EhLi32ELi128ELi256ELb0ELi3EEvPKT_PKT0_S7_ifPKiS9_S9_iPKfiiiPfSC_PS2_PT2_iSB_SB_
		.amdhsa_group_segment_fixed_size 0
		.amdhsa_private_segment_fixed_size 64
		.amdhsa_kernarg_size 400
		.amdhsa_user_sgpr_count 2
		.amdhsa_user_sgpr_dispatch_ptr 0
		.amdhsa_user_sgpr_queue_ptr 0
		.amdhsa_user_sgpr_kernarg_segment_ptr 1
		.amdhsa_user_sgpr_dispatch_id 0
		.amdhsa_user_sgpr_kernarg_preload_length 0
		.amdhsa_user_sgpr_kernarg_preload_offset 0
		.amdhsa_user_sgpr_private_segment_size 0
		.amdhsa_wavefront_size32 1
		.amdhsa_uses_dynamic_stack 0
		.amdhsa_enable_private_segment 1
		.amdhsa_system_sgpr_workgroup_id_x 1
		.amdhsa_system_sgpr_workgroup_id_y 0
		.amdhsa_system_sgpr_workgroup_id_z 0
		.amdhsa_system_sgpr_workgroup_info 0
		.amdhsa_system_vgpr_workitem_id 0
		.amdhsa_next_free_vgpr 51
		.amdhsa_next_free_sgpr 34
		.amdhsa_named_barrier_count 0
		.amdhsa_reserve_vcc 1
		.amdhsa_float_round_mode_32 0
		.amdhsa_float_round_mode_16_64 0
		.amdhsa_float_denorm_mode_32 3
		.amdhsa_float_denorm_mode_16_64 3
		.amdhsa_fp16_overflow 0
		.amdhsa_memory_ordered 1
		.amdhsa_forward_progress 1
		.amdhsa_inst_pref_size 1
		.amdhsa_round_robin_scheduling 0
		.amdhsa_exception_fp_ieee_invalid_op 0
		.amdhsa_exception_fp_denorm_src 0
		.amdhsa_exception_fp_ieee_div_zero 0
		.amdhsa_exception_fp_ieee_overflow 0
		.amdhsa_exception_fp_ieee_underflow 0
		.amdhsa_exception_fp_ieee_inexact 0
		.amdhsa_exception_int_div_zero 0
	.end_amdhsa_kernel
	.section	.text._Z38paged_attention_ll4mi_QKV_mfma4_kernelIDF16_hLN4vllm18Fp8KVCacheDataTypeE1EhLi32ELi128ELi256ELb0ELi3EEvPKT_PKT0_S7_ifPKiS9_S9_iPKfiiiPfSC_PS2_PT2_iSB_SB_,"axG",@progbits,_Z38paged_attention_ll4mi_QKV_mfma4_kernelIDF16_hLN4vllm18Fp8KVCacheDataTypeE1EhLi32ELi128ELi256ELb0ELi3EEvPKT_PKT0_S7_ifPKiS9_S9_iPKfiiiPfSC_PS2_PT2_iSB_SB_,comdat
.Lfunc_end1032:
	.size	_Z38paged_attention_ll4mi_QKV_mfma4_kernelIDF16_hLN4vllm18Fp8KVCacheDataTypeE1EhLi32ELi128ELi256ELb0ELi3EEvPKT_PKT0_S7_ifPKiS9_S9_iPKfiiiPfSC_PS2_PT2_iSB_SB_, .Lfunc_end1032-_Z38paged_attention_ll4mi_QKV_mfma4_kernelIDF16_hLN4vllm18Fp8KVCacheDataTypeE1EhLi32ELi128ELi256ELb0ELi3EEvPKT_PKT0_S7_ifPKiS9_S9_iPKfiiiPfSC_PS2_PT2_iSB_SB_
                                        ; -- End function
	.set _Z38paged_attention_ll4mi_QKV_mfma4_kernelIDF16_hLN4vllm18Fp8KVCacheDataTypeE1EhLi32ELi128ELi256ELb0ELi3EEvPKT_PKT0_S7_ifPKiS9_S9_iPKfiiiPfSC_PS2_PT2_iSB_SB_.num_vgpr, max(3, .L__assert_fail.num_vgpr)
	.set _Z38paged_attention_ll4mi_QKV_mfma4_kernelIDF16_hLN4vllm18Fp8KVCacheDataTypeE1EhLi32ELi128ELi256ELb0ELi3EEvPKT_PKT0_S7_ifPKiS9_S9_iPKfiiiPfSC_PS2_PT2_iSB_SB_.num_agpr, max(0, .L__assert_fail.num_agpr)
	.set _Z38paged_attention_ll4mi_QKV_mfma4_kernelIDF16_hLN4vllm18Fp8KVCacheDataTypeE1EhLi32ELi128ELi256ELb0ELi3EEvPKT_PKT0_S7_ifPKiS9_S9_iPKfiiiPfSC_PS2_PT2_iSB_SB_.numbered_sgpr, max(33, .L__assert_fail.numbered_sgpr)
	.set _Z38paged_attention_ll4mi_QKV_mfma4_kernelIDF16_hLN4vllm18Fp8KVCacheDataTypeE1EhLi32ELi128ELi256ELb0ELi3EEvPKT_PKT0_S7_ifPKiS9_S9_iPKfiiiPfSC_PS2_PT2_iSB_SB_.num_named_barrier, max(0, .L__assert_fail.num_named_barrier)
	.set _Z38paged_attention_ll4mi_QKV_mfma4_kernelIDF16_hLN4vllm18Fp8KVCacheDataTypeE1EhLi32ELi128ELi256ELb0ELi3EEvPKT_PKT0_S7_ifPKiS9_S9_iPKfiiiPfSC_PS2_PT2_iSB_SB_.private_seg_size, 0+max(.L__assert_fail.private_seg_size)
	.set _Z38paged_attention_ll4mi_QKV_mfma4_kernelIDF16_hLN4vllm18Fp8KVCacheDataTypeE1EhLi32ELi128ELi256ELb0ELi3EEvPKT_PKT0_S7_ifPKiS9_S9_iPKfiiiPfSC_PS2_PT2_iSB_SB_.uses_vcc, or(1, .L__assert_fail.uses_vcc)
	.set _Z38paged_attention_ll4mi_QKV_mfma4_kernelIDF16_hLN4vllm18Fp8KVCacheDataTypeE1EhLi32ELi128ELi256ELb0ELi3EEvPKT_PKT0_S7_ifPKiS9_S9_iPKfiiiPfSC_PS2_PT2_iSB_SB_.uses_flat_scratch, or(0, .L__assert_fail.uses_flat_scratch)
	.set _Z38paged_attention_ll4mi_QKV_mfma4_kernelIDF16_hLN4vllm18Fp8KVCacheDataTypeE1EhLi32ELi128ELi256ELb0ELi3EEvPKT_PKT0_S7_ifPKiS9_S9_iPKfiiiPfSC_PS2_PT2_iSB_SB_.has_dyn_sized_stack, or(0, .L__assert_fail.has_dyn_sized_stack)
	.set _Z38paged_attention_ll4mi_QKV_mfma4_kernelIDF16_hLN4vllm18Fp8KVCacheDataTypeE1EhLi32ELi128ELi256ELb0ELi3EEvPKT_PKT0_S7_ifPKiS9_S9_iPKfiiiPfSC_PS2_PT2_iSB_SB_.has_recursion, or(0, .L__assert_fail.has_recursion)
	.set _Z38paged_attention_ll4mi_QKV_mfma4_kernelIDF16_hLN4vllm18Fp8KVCacheDataTypeE1EhLi32ELi128ELi256ELb0ELi3EEvPKT_PKT0_S7_ifPKiS9_S9_iPKfiiiPfSC_PS2_PT2_iSB_SB_.has_indirect_call, or(0, .L__assert_fail.has_indirect_call)
	.section	.AMDGPU.csdata,"",@progbits
; Kernel info:
; codeLenInByte = 68
; TotalNumSgprs: 36
; NumVgprs: 51
; ScratchSize: 64
; MemoryBound: 0
; FloatMode: 240
; IeeeMode: 1
; LDSByteSize: 0 bytes/workgroup (compile time only)
; SGPRBlocks: 0
; VGPRBlocks: 3
; NumSGPRsForWavesPerEU: 36
; NumVGPRsForWavesPerEU: 51
; NamedBarCnt: 0
; Occupancy: 16
; WaveLimiterHint : 1
; COMPUTE_PGM_RSRC2:SCRATCH_EN: 1
; COMPUTE_PGM_RSRC2:USER_SGPR: 2
; COMPUTE_PGM_RSRC2:TRAP_HANDLER: 0
; COMPUTE_PGM_RSRC2:TGID_X_EN: 1
; COMPUTE_PGM_RSRC2:TGID_Y_EN: 0
; COMPUTE_PGM_RSRC2:TGID_Z_EN: 0
; COMPUTE_PGM_RSRC2:TIDIG_COMP_CNT: 0
	.section	.text._Z38paged_attention_ll4mi_QKV_mfma4_kernelIDF16_hLN4vllm18Fp8KVCacheDataTypeE1EhLi32ELi128ELi256ELb0ELi4EEvPKT_PKT0_S7_ifPKiS9_S9_iPKfiiiPfSC_PS2_PT2_iSB_SB_,"axG",@progbits,_Z38paged_attention_ll4mi_QKV_mfma4_kernelIDF16_hLN4vllm18Fp8KVCacheDataTypeE1EhLi32ELi128ELi256ELb0ELi4EEvPKT_PKT0_S7_ifPKiS9_S9_iPKfiiiPfSC_PS2_PT2_iSB_SB_,comdat
	.protected	_Z38paged_attention_ll4mi_QKV_mfma4_kernelIDF16_hLN4vllm18Fp8KVCacheDataTypeE1EhLi32ELi128ELi256ELb0ELi4EEvPKT_PKT0_S7_ifPKiS9_S9_iPKfiiiPfSC_PS2_PT2_iSB_SB_ ; -- Begin function _Z38paged_attention_ll4mi_QKV_mfma4_kernelIDF16_hLN4vllm18Fp8KVCacheDataTypeE1EhLi32ELi128ELi256ELb0ELi4EEvPKT_PKT0_S7_ifPKiS9_S9_iPKfiiiPfSC_PS2_PT2_iSB_SB_
	.globl	_Z38paged_attention_ll4mi_QKV_mfma4_kernelIDF16_hLN4vllm18Fp8KVCacheDataTypeE1EhLi32ELi128ELi256ELb0ELi4EEvPKT_PKT0_S7_ifPKiS9_S9_iPKfiiiPfSC_PS2_PT2_iSB_SB_
	.p2align	8
	.type	_Z38paged_attention_ll4mi_QKV_mfma4_kernelIDF16_hLN4vllm18Fp8KVCacheDataTypeE1EhLi32ELi128ELi256ELb0ELi4EEvPKT_PKT0_S7_ifPKiS9_S9_iPKfiiiPfSC_PS2_PT2_iSB_SB_,@function
_Z38paged_attention_ll4mi_QKV_mfma4_kernelIDF16_hLN4vllm18Fp8KVCacheDataTypeE1EhLi32ELi128ELi256ELb0ELi4EEvPKT_PKT0_S7_ifPKiS9_S9_iPKfiiiPfSC_PS2_PT2_iSB_SB_: ; @_Z38paged_attention_ll4mi_QKV_mfma4_kernelIDF16_hLN4vllm18Fp8KVCacheDataTypeE1EhLi32ELi128ELi256ELb0ELi4EEvPKT_PKT0_S7_ifPKiS9_S9_iPKfiiiPfSC_PS2_PT2_iSB_SB_
; %bb.0:
	s_get_pc_i64 s[2:3]
	s_add_nc_u64 s[2:3], s[2:3], __PRETTY_FUNCTION__._Z38paged_attention_ll4mi_QKV_mfma4_kernelIDF16_hLN4vllm18Fp8KVCacheDataTypeE1EhLi32ELi128ELi256ELb0ELi4EEvPKT_PKT0_S7_ifPKiS9_S9_iPKfiiiPfSC_PS2_PT2_iSB_SB_@rel64+4
	s_delay_alu instid0(SALU_CYCLE_1)
	v_dual_mov_b32 v0, 0xbce :: v_dual_mov_b32 v1, s2
	v_mov_b32_e32 v2, s3
	s_add_nc_u64 s[8:9], s[0:1], 0x90
	s_get_pc_i64 s[0:1]
	s_add_nc_u64 s[0:1], s[0:1], __assert_fail@rel64+4
	s_mov_b32 s32, 0
	s_swap_pc_i64 s[30:31], s[0:1]
	.section	.rodata,"a",@progbits
	.p2align	6, 0x0
	.amdhsa_kernel _Z38paged_attention_ll4mi_QKV_mfma4_kernelIDF16_hLN4vllm18Fp8KVCacheDataTypeE1EhLi32ELi128ELi256ELb0ELi4EEvPKT_PKT0_S7_ifPKiS9_S9_iPKfiiiPfSC_PS2_PT2_iSB_SB_
		.amdhsa_group_segment_fixed_size 0
		.amdhsa_private_segment_fixed_size 64
		.amdhsa_kernarg_size 400
		.amdhsa_user_sgpr_count 2
		.amdhsa_user_sgpr_dispatch_ptr 0
		.amdhsa_user_sgpr_queue_ptr 0
		.amdhsa_user_sgpr_kernarg_segment_ptr 1
		.amdhsa_user_sgpr_dispatch_id 0
		.amdhsa_user_sgpr_kernarg_preload_length 0
		.amdhsa_user_sgpr_kernarg_preload_offset 0
		.amdhsa_user_sgpr_private_segment_size 0
		.amdhsa_wavefront_size32 1
		.amdhsa_uses_dynamic_stack 0
		.amdhsa_enable_private_segment 1
		.amdhsa_system_sgpr_workgroup_id_x 1
		.amdhsa_system_sgpr_workgroup_id_y 0
		.amdhsa_system_sgpr_workgroup_id_z 0
		.amdhsa_system_sgpr_workgroup_info 0
		.amdhsa_system_vgpr_workitem_id 0
		.amdhsa_next_free_vgpr 51
		.amdhsa_next_free_sgpr 34
		.amdhsa_named_barrier_count 0
		.amdhsa_reserve_vcc 1
		.amdhsa_float_round_mode_32 0
		.amdhsa_float_round_mode_16_64 0
		.amdhsa_float_denorm_mode_32 3
		.amdhsa_float_denorm_mode_16_64 3
		.amdhsa_fp16_overflow 0
		.amdhsa_memory_ordered 1
		.amdhsa_forward_progress 1
		.amdhsa_inst_pref_size 1
		.amdhsa_round_robin_scheduling 0
		.amdhsa_exception_fp_ieee_invalid_op 0
		.amdhsa_exception_fp_denorm_src 0
		.amdhsa_exception_fp_ieee_div_zero 0
		.amdhsa_exception_fp_ieee_overflow 0
		.amdhsa_exception_fp_ieee_underflow 0
		.amdhsa_exception_fp_ieee_inexact 0
		.amdhsa_exception_int_div_zero 0
	.end_amdhsa_kernel
	.section	.text._Z38paged_attention_ll4mi_QKV_mfma4_kernelIDF16_hLN4vllm18Fp8KVCacheDataTypeE1EhLi32ELi128ELi256ELb0ELi4EEvPKT_PKT0_S7_ifPKiS9_S9_iPKfiiiPfSC_PS2_PT2_iSB_SB_,"axG",@progbits,_Z38paged_attention_ll4mi_QKV_mfma4_kernelIDF16_hLN4vllm18Fp8KVCacheDataTypeE1EhLi32ELi128ELi256ELb0ELi4EEvPKT_PKT0_S7_ifPKiS9_S9_iPKfiiiPfSC_PS2_PT2_iSB_SB_,comdat
.Lfunc_end1033:
	.size	_Z38paged_attention_ll4mi_QKV_mfma4_kernelIDF16_hLN4vllm18Fp8KVCacheDataTypeE1EhLi32ELi128ELi256ELb0ELi4EEvPKT_PKT0_S7_ifPKiS9_S9_iPKfiiiPfSC_PS2_PT2_iSB_SB_, .Lfunc_end1033-_Z38paged_attention_ll4mi_QKV_mfma4_kernelIDF16_hLN4vllm18Fp8KVCacheDataTypeE1EhLi32ELi128ELi256ELb0ELi4EEvPKT_PKT0_S7_ifPKiS9_S9_iPKfiiiPfSC_PS2_PT2_iSB_SB_
                                        ; -- End function
	.set _Z38paged_attention_ll4mi_QKV_mfma4_kernelIDF16_hLN4vllm18Fp8KVCacheDataTypeE1EhLi32ELi128ELi256ELb0ELi4EEvPKT_PKT0_S7_ifPKiS9_S9_iPKfiiiPfSC_PS2_PT2_iSB_SB_.num_vgpr, max(3, .L__assert_fail.num_vgpr)
	.set _Z38paged_attention_ll4mi_QKV_mfma4_kernelIDF16_hLN4vllm18Fp8KVCacheDataTypeE1EhLi32ELi128ELi256ELb0ELi4EEvPKT_PKT0_S7_ifPKiS9_S9_iPKfiiiPfSC_PS2_PT2_iSB_SB_.num_agpr, max(0, .L__assert_fail.num_agpr)
	.set _Z38paged_attention_ll4mi_QKV_mfma4_kernelIDF16_hLN4vllm18Fp8KVCacheDataTypeE1EhLi32ELi128ELi256ELb0ELi4EEvPKT_PKT0_S7_ifPKiS9_S9_iPKfiiiPfSC_PS2_PT2_iSB_SB_.numbered_sgpr, max(33, .L__assert_fail.numbered_sgpr)
	.set _Z38paged_attention_ll4mi_QKV_mfma4_kernelIDF16_hLN4vllm18Fp8KVCacheDataTypeE1EhLi32ELi128ELi256ELb0ELi4EEvPKT_PKT0_S7_ifPKiS9_S9_iPKfiiiPfSC_PS2_PT2_iSB_SB_.num_named_barrier, max(0, .L__assert_fail.num_named_barrier)
	.set _Z38paged_attention_ll4mi_QKV_mfma4_kernelIDF16_hLN4vllm18Fp8KVCacheDataTypeE1EhLi32ELi128ELi256ELb0ELi4EEvPKT_PKT0_S7_ifPKiS9_S9_iPKfiiiPfSC_PS2_PT2_iSB_SB_.private_seg_size, 0+max(.L__assert_fail.private_seg_size)
	.set _Z38paged_attention_ll4mi_QKV_mfma4_kernelIDF16_hLN4vllm18Fp8KVCacheDataTypeE1EhLi32ELi128ELi256ELb0ELi4EEvPKT_PKT0_S7_ifPKiS9_S9_iPKfiiiPfSC_PS2_PT2_iSB_SB_.uses_vcc, or(1, .L__assert_fail.uses_vcc)
	.set _Z38paged_attention_ll4mi_QKV_mfma4_kernelIDF16_hLN4vllm18Fp8KVCacheDataTypeE1EhLi32ELi128ELi256ELb0ELi4EEvPKT_PKT0_S7_ifPKiS9_S9_iPKfiiiPfSC_PS2_PT2_iSB_SB_.uses_flat_scratch, or(0, .L__assert_fail.uses_flat_scratch)
	.set _Z38paged_attention_ll4mi_QKV_mfma4_kernelIDF16_hLN4vllm18Fp8KVCacheDataTypeE1EhLi32ELi128ELi256ELb0ELi4EEvPKT_PKT0_S7_ifPKiS9_S9_iPKfiiiPfSC_PS2_PT2_iSB_SB_.has_dyn_sized_stack, or(0, .L__assert_fail.has_dyn_sized_stack)
	.set _Z38paged_attention_ll4mi_QKV_mfma4_kernelIDF16_hLN4vllm18Fp8KVCacheDataTypeE1EhLi32ELi128ELi256ELb0ELi4EEvPKT_PKT0_S7_ifPKiS9_S9_iPKfiiiPfSC_PS2_PT2_iSB_SB_.has_recursion, or(0, .L__assert_fail.has_recursion)
	.set _Z38paged_attention_ll4mi_QKV_mfma4_kernelIDF16_hLN4vllm18Fp8KVCacheDataTypeE1EhLi32ELi128ELi256ELb0ELi4EEvPKT_PKT0_S7_ifPKiS9_S9_iPKfiiiPfSC_PS2_PT2_iSB_SB_.has_indirect_call, or(0, .L__assert_fail.has_indirect_call)
	.section	.AMDGPU.csdata,"",@progbits
; Kernel info:
; codeLenInByte = 68
; TotalNumSgprs: 36
; NumVgprs: 51
; ScratchSize: 64
; MemoryBound: 0
; FloatMode: 240
; IeeeMode: 1
; LDSByteSize: 0 bytes/workgroup (compile time only)
; SGPRBlocks: 0
; VGPRBlocks: 3
; NumSGPRsForWavesPerEU: 36
; NumVGPRsForWavesPerEU: 51
; NamedBarCnt: 0
; Occupancy: 16
; WaveLimiterHint : 1
; COMPUTE_PGM_RSRC2:SCRATCH_EN: 1
; COMPUTE_PGM_RSRC2:USER_SGPR: 2
; COMPUTE_PGM_RSRC2:TRAP_HANDLER: 0
; COMPUTE_PGM_RSRC2:TGID_X_EN: 1
; COMPUTE_PGM_RSRC2:TGID_Y_EN: 0
; COMPUTE_PGM_RSRC2:TGID_Z_EN: 0
; COMPUTE_PGM_RSRC2:TIDIG_COMP_CNT: 0
	.section	.text._Z39paged_attention_ll4mi_QKV_mfma16_kernelIDF16_hLN4vllm18Fp8KVCacheDataTypeE1EhLi32ELi128ELi256ELb0ELi5EEvPKT_PKT0_S7_ifPKiS9_S9_iPKfiiiPfSC_PS2_PT2_iSB_SB_,"axG",@progbits,_Z39paged_attention_ll4mi_QKV_mfma16_kernelIDF16_hLN4vllm18Fp8KVCacheDataTypeE1EhLi32ELi128ELi256ELb0ELi5EEvPKT_PKT0_S7_ifPKiS9_S9_iPKfiiiPfSC_PS2_PT2_iSB_SB_,comdat
	.protected	_Z39paged_attention_ll4mi_QKV_mfma16_kernelIDF16_hLN4vllm18Fp8KVCacheDataTypeE1EhLi32ELi128ELi256ELb0ELi5EEvPKT_PKT0_S7_ifPKiS9_S9_iPKfiiiPfSC_PS2_PT2_iSB_SB_ ; -- Begin function _Z39paged_attention_ll4mi_QKV_mfma16_kernelIDF16_hLN4vllm18Fp8KVCacheDataTypeE1EhLi32ELi128ELi256ELb0ELi5EEvPKT_PKT0_S7_ifPKiS9_S9_iPKfiiiPfSC_PS2_PT2_iSB_SB_
	.globl	_Z39paged_attention_ll4mi_QKV_mfma16_kernelIDF16_hLN4vllm18Fp8KVCacheDataTypeE1EhLi32ELi128ELi256ELb0ELi5EEvPKT_PKT0_S7_ifPKiS9_S9_iPKfiiiPfSC_PS2_PT2_iSB_SB_
	.p2align	8
	.type	_Z39paged_attention_ll4mi_QKV_mfma16_kernelIDF16_hLN4vllm18Fp8KVCacheDataTypeE1EhLi32ELi128ELi256ELb0ELi5EEvPKT_PKT0_S7_ifPKiS9_S9_iPKfiiiPfSC_PS2_PT2_iSB_SB_,@function
_Z39paged_attention_ll4mi_QKV_mfma16_kernelIDF16_hLN4vllm18Fp8KVCacheDataTypeE1EhLi32ELi128ELi256ELb0ELi5EEvPKT_PKT0_S7_ifPKiS9_S9_iPKfiiiPfSC_PS2_PT2_iSB_SB_: ; @_Z39paged_attention_ll4mi_QKV_mfma16_kernelIDF16_hLN4vllm18Fp8KVCacheDataTypeE1EhLi32ELi128ELi256ELb0ELi5EEvPKT_PKT0_S7_ifPKiS9_S9_iPKfiiiPfSC_PS2_PT2_iSB_SB_
; %bb.0:
	s_get_pc_i64 s[2:3]
	s_add_nc_u64 s[2:3], s[2:3], __PRETTY_FUNCTION__._Z39paged_attention_ll4mi_QKV_mfma16_kernelIDF16_hLN4vllm18Fp8KVCacheDataTypeE1EhLi32ELi128ELi256ELb0ELi5EEvPKT_PKT0_S7_ifPKiS9_S9_iPKfiiiPfSC_PS2_PT2_iSB_SB_@rel64+4
	s_delay_alu instid0(SALU_CYCLE_1)
	v_dual_mov_b32 v0, 0xbb3 :: v_dual_mov_b32 v1, s2
	v_mov_b32_e32 v2, s3
	s_add_nc_u64 s[8:9], s[0:1], 0x90
	s_get_pc_i64 s[0:1]
	s_add_nc_u64 s[0:1], s[0:1], __assert_fail@rel64+4
	s_mov_b32 s32, 0
	s_swap_pc_i64 s[30:31], s[0:1]
	.section	.rodata,"a",@progbits
	.p2align	6, 0x0
	.amdhsa_kernel _Z39paged_attention_ll4mi_QKV_mfma16_kernelIDF16_hLN4vllm18Fp8KVCacheDataTypeE1EhLi32ELi128ELi256ELb0ELi5EEvPKT_PKT0_S7_ifPKiS9_S9_iPKfiiiPfSC_PS2_PT2_iSB_SB_
		.amdhsa_group_segment_fixed_size 0
		.amdhsa_private_segment_fixed_size 64
		.amdhsa_kernarg_size 400
		.amdhsa_user_sgpr_count 2
		.amdhsa_user_sgpr_dispatch_ptr 0
		.amdhsa_user_sgpr_queue_ptr 0
		.amdhsa_user_sgpr_kernarg_segment_ptr 1
		.amdhsa_user_sgpr_dispatch_id 0
		.amdhsa_user_sgpr_kernarg_preload_length 0
		.amdhsa_user_sgpr_kernarg_preload_offset 0
		.amdhsa_user_sgpr_private_segment_size 0
		.amdhsa_wavefront_size32 1
		.amdhsa_uses_dynamic_stack 0
		.amdhsa_enable_private_segment 1
		.amdhsa_system_sgpr_workgroup_id_x 1
		.amdhsa_system_sgpr_workgroup_id_y 0
		.amdhsa_system_sgpr_workgroup_id_z 0
		.amdhsa_system_sgpr_workgroup_info 0
		.amdhsa_system_vgpr_workitem_id 0
		.amdhsa_next_free_vgpr 51
		.amdhsa_next_free_sgpr 34
		.amdhsa_named_barrier_count 0
		.amdhsa_reserve_vcc 1
		.amdhsa_float_round_mode_32 0
		.amdhsa_float_round_mode_16_64 0
		.amdhsa_float_denorm_mode_32 3
		.amdhsa_float_denorm_mode_16_64 3
		.amdhsa_fp16_overflow 0
		.amdhsa_memory_ordered 1
		.amdhsa_forward_progress 1
		.amdhsa_inst_pref_size 1
		.amdhsa_round_robin_scheduling 0
		.amdhsa_exception_fp_ieee_invalid_op 0
		.amdhsa_exception_fp_denorm_src 0
		.amdhsa_exception_fp_ieee_div_zero 0
		.amdhsa_exception_fp_ieee_overflow 0
		.amdhsa_exception_fp_ieee_underflow 0
		.amdhsa_exception_fp_ieee_inexact 0
		.amdhsa_exception_int_div_zero 0
	.end_amdhsa_kernel
	.section	.text._Z39paged_attention_ll4mi_QKV_mfma16_kernelIDF16_hLN4vllm18Fp8KVCacheDataTypeE1EhLi32ELi128ELi256ELb0ELi5EEvPKT_PKT0_S7_ifPKiS9_S9_iPKfiiiPfSC_PS2_PT2_iSB_SB_,"axG",@progbits,_Z39paged_attention_ll4mi_QKV_mfma16_kernelIDF16_hLN4vllm18Fp8KVCacheDataTypeE1EhLi32ELi128ELi256ELb0ELi5EEvPKT_PKT0_S7_ifPKiS9_S9_iPKfiiiPfSC_PS2_PT2_iSB_SB_,comdat
.Lfunc_end1034:
	.size	_Z39paged_attention_ll4mi_QKV_mfma16_kernelIDF16_hLN4vllm18Fp8KVCacheDataTypeE1EhLi32ELi128ELi256ELb0ELi5EEvPKT_PKT0_S7_ifPKiS9_S9_iPKfiiiPfSC_PS2_PT2_iSB_SB_, .Lfunc_end1034-_Z39paged_attention_ll4mi_QKV_mfma16_kernelIDF16_hLN4vllm18Fp8KVCacheDataTypeE1EhLi32ELi128ELi256ELb0ELi5EEvPKT_PKT0_S7_ifPKiS9_S9_iPKfiiiPfSC_PS2_PT2_iSB_SB_
                                        ; -- End function
	.set _Z39paged_attention_ll4mi_QKV_mfma16_kernelIDF16_hLN4vllm18Fp8KVCacheDataTypeE1EhLi32ELi128ELi256ELb0ELi5EEvPKT_PKT0_S7_ifPKiS9_S9_iPKfiiiPfSC_PS2_PT2_iSB_SB_.num_vgpr, max(3, .L__assert_fail.num_vgpr)
	.set _Z39paged_attention_ll4mi_QKV_mfma16_kernelIDF16_hLN4vllm18Fp8KVCacheDataTypeE1EhLi32ELi128ELi256ELb0ELi5EEvPKT_PKT0_S7_ifPKiS9_S9_iPKfiiiPfSC_PS2_PT2_iSB_SB_.num_agpr, max(0, .L__assert_fail.num_agpr)
	.set _Z39paged_attention_ll4mi_QKV_mfma16_kernelIDF16_hLN4vllm18Fp8KVCacheDataTypeE1EhLi32ELi128ELi256ELb0ELi5EEvPKT_PKT0_S7_ifPKiS9_S9_iPKfiiiPfSC_PS2_PT2_iSB_SB_.numbered_sgpr, max(33, .L__assert_fail.numbered_sgpr)
	.set _Z39paged_attention_ll4mi_QKV_mfma16_kernelIDF16_hLN4vllm18Fp8KVCacheDataTypeE1EhLi32ELi128ELi256ELb0ELi5EEvPKT_PKT0_S7_ifPKiS9_S9_iPKfiiiPfSC_PS2_PT2_iSB_SB_.num_named_barrier, max(0, .L__assert_fail.num_named_barrier)
	.set _Z39paged_attention_ll4mi_QKV_mfma16_kernelIDF16_hLN4vllm18Fp8KVCacheDataTypeE1EhLi32ELi128ELi256ELb0ELi5EEvPKT_PKT0_S7_ifPKiS9_S9_iPKfiiiPfSC_PS2_PT2_iSB_SB_.private_seg_size, 0+max(.L__assert_fail.private_seg_size)
	.set _Z39paged_attention_ll4mi_QKV_mfma16_kernelIDF16_hLN4vllm18Fp8KVCacheDataTypeE1EhLi32ELi128ELi256ELb0ELi5EEvPKT_PKT0_S7_ifPKiS9_S9_iPKfiiiPfSC_PS2_PT2_iSB_SB_.uses_vcc, or(1, .L__assert_fail.uses_vcc)
	.set _Z39paged_attention_ll4mi_QKV_mfma16_kernelIDF16_hLN4vllm18Fp8KVCacheDataTypeE1EhLi32ELi128ELi256ELb0ELi5EEvPKT_PKT0_S7_ifPKiS9_S9_iPKfiiiPfSC_PS2_PT2_iSB_SB_.uses_flat_scratch, or(0, .L__assert_fail.uses_flat_scratch)
	.set _Z39paged_attention_ll4mi_QKV_mfma16_kernelIDF16_hLN4vllm18Fp8KVCacheDataTypeE1EhLi32ELi128ELi256ELb0ELi5EEvPKT_PKT0_S7_ifPKiS9_S9_iPKfiiiPfSC_PS2_PT2_iSB_SB_.has_dyn_sized_stack, or(0, .L__assert_fail.has_dyn_sized_stack)
	.set _Z39paged_attention_ll4mi_QKV_mfma16_kernelIDF16_hLN4vllm18Fp8KVCacheDataTypeE1EhLi32ELi128ELi256ELb0ELi5EEvPKT_PKT0_S7_ifPKiS9_S9_iPKfiiiPfSC_PS2_PT2_iSB_SB_.has_recursion, or(0, .L__assert_fail.has_recursion)
	.set _Z39paged_attention_ll4mi_QKV_mfma16_kernelIDF16_hLN4vllm18Fp8KVCacheDataTypeE1EhLi32ELi128ELi256ELb0ELi5EEvPKT_PKT0_S7_ifPKiS9_S9_iPKfiiiPfSC_PS2_PT2_iSB_SB_.has_indirect_call, or(0, .L__assert_fail.has_indirect_call)
	.section	.AMDGPU.csdata,"",@progbits
; Kernel info:
; codeLenInByte = 68
; TotalNumSgprs: 36
; NumVgprs: 51
; ScratchSize: 64
; MemoryBound: 0
; FloatMode: 240
; IeeeMode: 1
; LDSByteSize: 0 bytes/workgroup (compile time only)
; SGPRBlocks: 0
; VGPRBlocks: 3
; NumSGPRsForWavesPerEU: 36
; NumVGPRsForWavesPerEU: 51
; NamedBarCnt: 0
; Occupancy: 16
; WaveLimiterHint : 1
; COMPUTE_PGM_RSRC2:SCRATCH_EN: 1
; COMPUTE_PGM_RSRC2:USER_SGPR: 2
; COMPUTE_PGM_RSRC2:TRAP_HANDLER: 0
; COMPUTE_PGM_RSRC2:TGID_X_EN: 1
; COMPUTE_PGM_RSRC2:TGID_Y_EN: 0
; COMPUTE_PGM_RSRC2:TGID_Z_EN: 0
; COMPUTE_PGM_RSRC2:TIDIG_COMP_CNT: 0
	.section	.text._Z39paged_attention_ll4mi_QKV_mfma16_kernelIDF16_hLN4vllm18Fp8KVCacheDataTypeE1EhLi32ELi128ELi256ELb0ELi6EEvPKT_PKT0_S7_ifPKiS9_S9_iPKfiiiPfSC_PS2_PT2_iSB_SB_,"axG",@progbits,_Z39paged_attention_ll4mi_QKV_mfma16_kernelIDF16_hLN4vllm18Fp8KVCacheDataTypeE1EhLi32ELi128ELi256ELb0ELi6EEvPKT_PKT0_S7_ifPKiS9_S9_iPKfiiiPfSC_PS2_PT2_iSB_SB_,comdat
	.protected	_Z39paged_attention_ll4mi_QKV_mfma16_kernelIDF16_hLN4vllm18Fp8KVCacheDataTypeE1EhLi32ELi128ELi256ELb0ELi6EEvPKT_PKT0_S7_ifPKiS9_S9_iPKfiiiPfSC_PS2_PT2_iSB_SB_ ; -- Begin function _Z39paged_attention_ll4mi_QKV_mfma16_kernelIDF16_hLN4vllm18Fp8KVCacheDataTypeE1EhLi32ELi128ELi256ELb0ELi6EEvPKT_PKT0_S7_ifPKiS9_S9_iPKfiiiPfSC_PS2_PT2_iSB_SB_
	.globl	_Z39paged_attention_ll4mi_QKV_mfma16_kernelIDF16_hLN4vllm18Fp8KVCacheDataTypeE1EhLi32ELi128ELi256ELb0ELi6EEvPKT_PKT0_S7_ifPKiS9_S9_iPKfiiiPfSC_PS2_PT2_iSB_SB_
	.p2align	8
	.type	_Z39paged_attention_ll4mi_QKV_mfma16_kernelIDF16_hLN4vllm18Fp8KVCacheDataTypeE1EhLi32ELi128ELi256ELb0ELi6EEvPKT_PKT0_S7_ifPKiS9_S9_iPKfiiiPfSC_PS2_PT2_iSB_SB_,@function
_Z39paged_attention_ll4mi_QKV_mfma16_kernelIDF16_hLN4vllm18Fp8KVCacheDataTypeE1EhLi32ELi128ELi256ELb0ELi6EEvPKT_PKT0_S7_ifPKiS9_S9_iPKfiiiPfSC_PS2_PT2_iSB_SB_: ; @_Z39paged_attention_ll4mi_QKV_mfma16_kernelIDF16_hLN4vllm18Fp8KVCacheDataTypeE1EhLi32ELi128ELi256ELb0ELi6EEvPKT_PKT0_S7_ifPKiS9_S9_iPKfiiiPfSC_PS2_PT2_iSB_SB_
; %bb.0:
	s_get_pc_i64 s[2:3]
	s_add_nc_u64 s[2:3], s[2:3], __PRETTY_FUNCTION__._Z39paged_attention_ll4mi_QKV_mfma16_kernelIDF16_hLN4vllm18Fp8KVCacheDataTypeE1EhLi32ELi128ELi256ELb0ELi6EEvPKT_PKT0_S7_ifPKiS9_S9_iPKfiiiPfSC_PS2_PT2_iSB_SB_@rel64+4
	s_delay_alu instid0(SALU_CYCLE_1)
	v_dual_mov_b32 v0, 0xbb3 :: v_dual_mov_b32 v1, s2
	v_mov_b32_e32 v2, s3
	s_add_nc_u64 s[8:9], s[0:1], 0x90
	s_get_pc_i64 s[0:1]
	s_add_nc_u64 s[0:1], s[0:1], __assert_fail@rel64+4
	s_mov_b32 s32, 0
	s_swap_pc_i64 s[30:31], s[0:1]
	.section	.rodata,"a",@progbits
	.p2align	6, 0x0
	.amdhsa_kernel _Z39paged_attention_ll4mi_QKV_mfma16_kernelIDF16_hLN4vllm18Fp8KVCacheDataTypeE1EhLi32ELi128ELi256ELb0ELi6EEvPKT_PKT0_S7_ifPKiS9_S9_iPKfiiiPfSC_PS2_PT2_iSB_SB_
		.amdhsa_group_segment_fixed_size 0
		.amdhsa_private_segment_fixed_size 64
		.amdhsa_kernarg_size 400
		.amdhsa_user_sgpr_count 2
		.amdhsa_user_sgpr_dispatch_ptr 0
		.amdhsa_user_sgpr_queue_ptr 0
		.amdhsa_user_sgpr_kernarg_segment_ptr 1
		.amdhsa_user_sgpr_dispatch_id 0
		.amdhsa_user_sgpr_kernarg_preload_length 0
		.amdhsa_user_sgpr_kernarg_preload_offset 0
		.amdhsa_user_sgpr_private_segment_size 0
		.amdhsa_wavefront_size32 1
		.amdhsa_uses_dynamic_stack 0
		.amdhsa_enable_private_segment 1
		.amdhsa_system_sgpr_workgroup_id_x 1
		.amdhsa_system_sgpr_workgroup_id_y 0
		.amdhsa_system_sgpr_workgroup_id_z 0
		.amdhsa_system_sgpr_workgroup_info 0
		.amdhsa_system_vgpr_workitem_id 0
		.amdhsa_next_free_vgpr 51
		.amdhsa_next_free_sgpr 34
		.amdhsa_named_barrier_count 0
		.amdhsa_reserve_vcc 1
		.amdhsa_float_round_mode_32 0
		.amdhsa_float_round_mode_16_64 0
		.amdhsa_float_denorm_mode_32 3
		.amdhsa_float_denorm_mode_16_64 3
		.amdhsa_fp16_overflow 0
		.amdhsa_memory_ordered 1
		.amdhsa_forward_progress 1
		.amdhsa_inst_pref_size 1
		.amdhsa_round_robin_scheduling 0
		.amdhsa_exception_fp_ieee_invalid_op 0
		.amdhsa_exception_fp_denorm_src 0
		.amdhsa_exception_fp_ieee_div_zero 0
		.amdhsa_exception_fp_ieee_overflow 0
		.amdhsa_exception_fp_ieee_underflow 0
		.amdhsa_exception_fp_ieee_inexact 0
		.amdhsa_exception_int_div_zero 0
	.end_amdhsa_kernel
	.section	.text._Z39paged_attention_ll4mi_QKV_mfma16_kernelIDF16_hLN4vllm18Fp8KVCacheDataTypeE1EhLi32ELi128ELi256ELb0ELi6EEvPKT_PKT0_S7_ifPKiS9_S9_iPKfiiiPfSC_PS2_PT2_iSB_SB_,"axG",@progbits,_Z39paged_attention_ll4mi_QKV_mfma16_kernelIDF16_hLN4vllm18Fp8KVCacheDataTypeE1EhLi32ELi128ELi256ELb0ELi6EEvPKT_PKT0_S7_ifPKiS9_S9_iPKfiiiPfSC_PS2_PT2_iSB_SB_,comdat
.Lfunc_end1035:
	.size	_Z39paged_attention_ll4mi_QKV_mfma16_kernelIDF16_hLN4vllm18Fp8KVCacheDataTypeE1EhLi32ELi128ELi256ELb0ELi6EEvPKT_PKT0_S7_ifPKiS9_S9_iPKfiiiPfSC_PS2_PT2_iSB_SB_, .Lfunc_end1035-_Z39paged_attention_ll4mi_QKV_mfma16_kernelIDF16_hLN4vllm18Fp8KVCacheDataTypeE1EhLi32ELi128ELi256ELb0ELi6EEvPKT_PKT0_S7_ifPKiS9_S9_iPKfiiiPfSC_PS2_PT2_iSB_SB_
                                        ; -- End function
	.set _Z39paged_attention_ll4mi_QKV_mfma16_kernelIDF16_hLN4vllm18Fp8KVCacheDataTypeE1EhLi32ELi128ELi256ELb0ELi6EEvPKT_PKT0_S7_ifPKiS9_S9_iPKfiiiPfSC_PS2_PT2_iSB_SB_.num_vgpr, max(3, .L__assert_fail.num_vgpr)
	.set _Z39paged_attention_ll4mi_QKV_mfma16_kernelIDF16_hLN4vllm18Fp8KVCacheDataTypeE1EhLi32ELi128ELi256ELb0ELi6EEvPKT_PKT0_S7_ifPKiS9_S9_iPKfiiiPfSC_PS2_PT2_iSB_SB_.num_agpr, max(0, .L__assert_fail.num_agpr)
	.set _Z39paged_attention_ll4mi_QKV_mfma16_kernelIDF16_hLN4vllm18Fp8KVCacheDataTypeE1EhLi32ELi128ELi256ELb0ELi6EEvPKT_PKT0_S7_ifPKiS9_S9_iPKfiiiPfSC_PS2_PT2_iSB_SB_.numbered_sgpr, max(33, .L__assert_fail.numbered_sgpr)
	.set _Z39paged_attention_ll4mi_QKV_mfma16_kernelIDF16_hLN4vllm18Fp8KVCacheDataTypeE1EhLi32ELi128ELi256ELb0ELi6EEvPKT_PKT0_S7_ifPKiS9_S9_iPKfiiiPfSC_PS2_PT2_iSB_SB_.num_named_barrier, max(0, .L__assert_fail.num_named_barrier)
	.set _Z39paged_attention_ll4mi_QKV_mfma16_kernelIDF16_hLN4vllm18Fp8KVCacheDataTypeE1EhLi32ELi128ELi256ELb0ELi6EEvPKT_PKT0_S7_ifPKiS9_S9_iPKfiiiPfSC_PS2_PT2_iSB_SB_.private_seg_size, 0+max(.L__assert_fail.private_seg_size)
	.set _Z39paged_attention_ll4mi_QKV_mfma16_kernelIDF16_hLN4vllm18Fp8KVCacheDataTypeE1EhLi32ELi128ELi256ELb0ELi6EEvPKT_PKT0_S7_ifPKiS9_S9_iPKfiiiPfSC_PS2_PT2_iSB_SB_.uses_vcc, or(1, .L__assert_fail.uses_vcc)
	.set _Z39paged_attention_ll4mi_QKV_mfma16_kernelIDF16_hLN4vllm18Fp8KVCacheDataTypeE1EhLi32ELi128ELi256ELb0ELi6EEvPKT_PKT0_S7_ifPKiS9_S9_iPKfiiiPfSC_PS2_PT2_iSB_SB_.uses_flat_scratch, or(0, .L__assert_fail.uses_flat_scratch)
	.set _Z39paged_attention_ll4mi_QKV_mfma16_kernelIDF16_hLN4vllm18Fp8KVCacheDataTypeE1EhLi32ELi128ELi256ELb0ELi6EEvPKT_PKT0_S7_ifPKiS9_S9_iPKfiiiPfSC_PS2_PT2_iSB_SB_.has_dyn_sized_stack, or(0, .L__assert_fail.has_dyn_sized_stack)
	.set _Z39paged_attention_ll4mi_QKV_mfma16_kernelIDF16_hLN4vllm18Fp8KVCacheDataTypeE1EhLi32ELi128ELi256ELb0ELi6EEvPKT_PKT0_S7_ifPKiS9_S9_iPKfiiiPfSC_PS2_PT2_iSB_SB_.has_recursion, or(0, .L__assert_fail.has_recursion)
	.set _Z39paged_attention_ll4mi_QKV_mfma16_kernelIDF16_hLN4vllm18Fp8KVCacheDataTypeE1EhLi32ELi128ELi256ELb0ELi6EEvPKT_PKT0_S7_ifPKiS9_S9_iPKfiiiPfSC_PS2_PT2_iSB_SB_.has_indirect_call, or(0, .L__assert_fail.has_indirect_call)
	.section	.AMDGPU.csdata,"",@progbits
; Kernel info:
; codeLenInByte = 68
; TotalNumSgprs: 36
; NumVgprs: 51
; ScratchSize: 64
; MemoryBound: 0
; FloatMode: 240
; IeeeMode: 1
; LDSByteSize: 0 bytes/workgroup (compile time only)
; SGPRBlocks: 0
; VGPRBlocks: 3
; NumSGPRsForWavesPerEU: 36
; NumVGPRsForWavesPerEU: 51
; NamedBarCnt: 0
; Occupancy: 16
; WaveLimiterHint : 1
; COMPUTE_PGM_RSRC2:SCRATCH_EN: 1
; COMPUTE_PGM_RSRC2:USER_SGPR: 2
; COMPUTE_PGM_RSRC2:TRAP_HANDLER: 0
; COMPUTE_PGM_RSRC2:TGID_X_EN: 1
; COMPUTE_PGM_RSRC2:TGID_Y_EN: 0
; COMPUTE_PGM_RSRC2:TGID_Z_EN: 0
; COMPUTE_PGM_RSRC2:TIDIG_COMP_CNT: 0
	.section	.text._Z39paged_attention_ll4mi_QKV_mfma16_kernelIDF16_hLN4vllm18Fp8KVCacheDataTypeE1EhLi32ELi128ELi256ELb0ELi7EEvPKT_PKT0_S7_ifPKiS9_S9_iPKfiiiPfSC_PS2_PT2_iSB_SB_,"axG",@progbits,_Z39paged_attention_ll4mi_QKV_mfma16_kernelIDF16_hLN4vllm18Fp8KVCacheDataTypeE1EhLi32ELi128ELi256ELb0ELi7EEvPKT_PKT0_S7_ifPKiS9_S9_iPKfiiiPfSC_PS2_PT2_iSB_SB_,comdat
	.protected	_Z39paged_attention_ll4mi_QKV_mfma16_kernelIDF16_hLN4vllm18Fp8KVCacheDataTypeE1EhLi32ELi128ELi256ELb0ELi7EEvPKT_PKT0_S7_ifPKiS9_S9_iPKfiiiPfSC_PS2_PT2_iSB_SB_ ; -- Begin function _Z39paged_attention_ll4mi_QKV_mfma16_kernelIDF16_hLN4vllm18Fp8KVCacheDataTypeE1EhLi32ELi128ELi256ELb0ELi7EEvPKT_PKT0_S7_ifPKiS9_S9_iPKfiiiPfSC_PS2_PT2_iSB_SB_
	.globl	_Z39paged_attention_ll4mi_QKV_mfma16_kernelIDF16_hLN4vllm18Fp8KVCacheDataTypeE1EhLi32ELi128ELi256ELb0ELi7EEvPKT_PKT0_S7_ifPKiS9_S9_iPKfiiiPfSC_PS2_PT2_iSB_SB_
	.p2align	8
	.type	_Z39paged_attention_ll4mi_QKV_mfma16_kernelIDF16_hLN4vllm18Fp8KVCacheDataTypeE1EhLi32ELi128ELi256ELb0ELi7EEvPKT_PKT0_S7_ifPKiS9_S9_iPKfiiiPfSC_PS2_PT2_iSB_SB_,@function
_Z39paged_attention_ll4mi_QKV_mfma16_kernelIDF16_hLN4vllm18Fp8KVCacheDataTypeE1EhLi32ELi128ELi256ELb0ELi7EEvPKT_PKT0_S7_ifPKiS9_S9_iPKfiiiPfSC_PS2_PT2_iSB_SB_: ; @_Z39paged_attention_ll4mi_QKV_mfma16_kernelIDF16_hLN4vllm18Fp8KVCacheDataTypeE1EhLi32ELi128ELi256ELb0ELi7EEvPKT_PKT0_S7_ifPKiS9_S9_iPKfiiiPfSC_PS2_PT2_iSB_SB_
; %bb.0:
	s_get_pc_i64 s[2:3]
	s_add_nc_u64 s[2:3], s[2:3], __PRETTY_FUNCTION__._Z39paged_attention_ll4mi_QKV_mfma16_kernelIDF16_hLN4vllm18Fp8KVCacheDataTypeE1EhLi32ELi128ELi256ELb0ELi7EEvPKT_PKT0_S7_ifPKiS9_S9_iPKfiiiPfSC_PS2_PT2_iSB_SB_@rel64+4
	s_delay_alu instid0(SALU_CYCLE_1)
	v_dual_mov_b32 v0, 0xbb3 :: v_dual_mov_b32 v1, s2
	v_mov_b32_e32 v2, s3
	s_add_nc_u64 s[8:9], s[0:1], 0x90
	s_get_pc_i64 s[0:1]
	s_add_nc_u64 s[0:1], s[0:1], __assert_fail@rel64+4
	s_mov_b32 s32, 0
	s_swap_pc_i64 s[30:31], s[0:1]
	.section	.rodata,"a",@progbits
	.p2align	6, 0x0
	.amdhsa_kernel _Z39paged_attention_ll4mi_QKV_mfma16_kernelIDF16_hLN4vllm18Fp8KVCacheDataTypeE1EhLi32ELi128ELi256ELb0ELi7EEvPKT_PKT0_S7_ifPKiS9_S9_iPKfiiiPfSC_PS2_PT2_iSB_SB_
		.amdhsa_group_segment_fixed_size 0
		.amdhsa_private_segment_fixed_size 64
		.amdhsa_kernarg_size 400
		.amdhsa_user_sgpr_count 2
		.amdhsa_user_sgpr_dispatch_ptr 0
		.amdhsa_user_sgpr_queue_ptr 0
		.amdhsa_user_sgpr_kernarg_segment_ptr 1
		.amdhsa_user_sgpr_dispatch_id 0
		.amdhsa_user_sgpr_kernarg_preload_length 0
		.amdhsa_user_sgpr_kernarg_preload_offset 0
		.amdhsa_user_sgpr_private_segment_size 0
		.amdhsa_wavefront_size32 1
		.amdhsa_uses_dynamic_stack 0
		.amdhsa_enable_private_segment 1
		.amdhsa_system_sgpr_workgroup_id_x 1
		.amdhsa_system_sgpr_workgroup_id_y 0
		.amdhsa_system_sgpr_workgroup_id_z 0
		.amdhsa_system_sgpr_workgroup_info 0
		.amdhsa_system_vgpr_workitem_id 0
		.amdhsa_next_free_vgpr 51
		.amdhsa_next_free_sgpr 34
		.amdhsa_named_barrier_count 0
		.amdhsa_reserve_vcc 1
		.amdhsa_float_round_mode_32 0
		.amdhsa_float_round_mode_16_64 0
		.amdhsa_float_denorm_mode_32 3
		.amdhsa_float_denorm_mode_16_64 3
		.amdhsa_fp16_overflow 0
		.amdhsa_memory_ordered 1
		.amdhsa_forward_progress 1
		.amdhsa_inst_pref_size 1
		.amdhsa_round_robin_scheduling 0
		.amdhsa_exception_fp_ieee_invalid_op 0
		.amdhsa_exception_fp_denorm_src 0
		.amdhsa_exception_fp_ieee_div_zero 0
		.amdhsa_exception_fp_ieee_overflow 0
		.amdhsa_exception_fp_ieee_underflow 0
		.amdhsa_exception_fp_ieee_inexact 0
		.amdhsa_exception_int_div_zero 0
	.end_amdhsa_kernel
	.section	.text._Z39paged_attention_ll4mi_QKV_mfma16_kernelIDF16_hLN4vllm18Fp8KVCacheDataTypeE1EhLi32ELi128ELi256ELb0ELi7EEvPKT_PKT0_S7_ifPKiS9_S9_iPKfiiiPfSC_PS2_PT2_iSB_SB_,"axG",@progbits,_Z39paged_attention_ll4mi_QKV_mfma16_kernelIDF16_hLN4vllm18Fp8KVCacheDataTypeE1EhLi32ELi128ELi256ELb0ELi7EEvPKT_PKT0_S7_ifPKiS9_S9_iPKfiiiPfSC_PS2_PT2_iSB_SB_,comdat
.Lfunc_end1036:
	.size	_Z39paged_attention_ll4mi_QKV_mfma16_kernelIDF16_hLN4vllm18Fp8KVCacheDataTypeE1EhLi32ELi128ELi256ELb0ELi7EEvPKT_PKT0_S7_ifPKiS9_S9_iPKfiiiPfSC_PS2_PT2_iSB_SB_, .Lfunc_end1036-_Z39paged_attention_ll4mi_QKV_mfma16_kernelIDF16_hLN4vllm18Fp8KVCacheDataTypeE1EhLi32ELi128ELi256ELb0ELi7EEvPKT_PKT0_S7_ifPKiS9_S9_iPKfiiiPfSC_PS2_PT2_iSB_SB_
                                        ; -- End function
	.set _Z39paged_attention_ll4mi_QKV_mfma16_kernelIDF16_hLN4vllm18Fp8KVCacheDataTypeE1EhLi32ELi128ELi256ELb0ELi7EEvPKT_PKT0_S7_ifPKiS9_S9_iPKfiiiPfSC_PS2_PT2_iSB_SB_.num_vgpr, max(3, .L__assert_fail.num_vgpr)
	.set _Z39paged_attention_ll4mi_QKV_mfma16_kernelIDF16_hLN4vllm18Fp8KVCacheDataTypeE1EhLi32ELi128ELi256ELb0ELi7EEvPKT_PKT0_S7_ifPKiS9_S9_iPKfiiiPfSC_PS2_PT2_iSB_SB_.num_agpr, max(0, .L__assert_fail.num_agpr)
	.set _Z39paged_attention_ll4mi_QKV_mfma16_kernelIDF16_hLN4vllm18Fp8KVCacheDataTypeE1EhLi32ELi128ELi256ELb0ELi7EEvPKT_PKT0_S7_ifPKiS9_S9_iPKfiiiPfSC_PS2_PT2_iSB_SB_.numbered_sgpr, max(33, .L__assert_fail.numbered_sgpr)
	.set _Z39paged_attention_ll4mi_QKV_mfma16_kernelIDF16_hLN4vllm18Fp8KVCacheDataTypeE1EhLi32ELi128ELi256ELb0ELi7EEvPKT_PKT0_S7_ifPKiS9_S9_iPKfiiiPfSC_PS2_PT2_iSB_SB_.num_named_barrier, max(0, .L__assert_fail.num_named_barrier)
	.set _Z39paged_attention_ll4mi_QKV_mfma16_kernelIDF16_hLN4vllm18Fp8KVCacheDataTypeE1EhLi32ELi128ELi256ELb0ELi7EEvPKT_PKT0_S7_ifPKiS9_S9_iPKfiiiPfSC_PS2_PT2_iSB_SB_.private_seg_size, 0+max(.L__assert_fail.private_seg_size)
	.set _Z39paged_attention_ll4mi_QKV_mfma16_kernelIDF16_hLN4vllm18Fp8KVCacheDataTypeE1EhLi32ELi128ELi256ELb0ELi7EEvPKT_PKT0_S7_ifPKiS9_S9_iPKfiiiPfSC_PS2_PT2_iSB_SB_.uses_vcc, or(1, .L__assert_fail.uses_vcc)
	.set _Z39paged_attention_ll4mi_QKV_mfma16_kernelIDF16_hLN4vllm18Fp8KVCacheDataTypeE1EhLi32ELi128ELi256ELb0ELi7EEvPKT_PKT0_S7_ifPKiS9_S9_iPKfiiiPfSC_PS2_PT2_iSB_SB_.uses_flat_scratch, or(0, .L__assert_fail.uses_flat_scratch)
	.set _Z39paged_attention_ll4mi_QKV_mfma16_kernelIDF16_hLN4vllm18Fp8KVCacheDataTypeE1EhLi32ELi128ELi256ELb0ELi7EEvPKT_PKT0_S7_ifPKiS9_S9_iPKfiiiPfSC_PS2_PT2_iSB_SB_.has_dyn_sized_stack, or(0, .L__assert_fail.has_dyn_sized_stack)
	.set _Z39paged_attention_ll4mi_QKV_mfma16_kernelIDF16_hLN4vllm18Fp8KVCacheDataTypeE1EhLi32ELi128ELi256ELb0ELi7EEvPKT_PKT0_S7_ifPKiS9_S9_iPKfiiiPfSC_PS2_PT2_iSB_SB_.has_recursion, or(0, .L__assert_fail.has_recursion)
	.set _Z39paged_attention_ll4mi_QKV_mfma16_kernelIDF16_hLN4vllm18Fp8KVCacheDataTypeE1EhLi32ELi128ELi256ELb0ELi7EEvPKT_PKT0_S7_ifPKiS9_S9_iPKfiiiPfSC_PS2_PT2_iSB_SB_.has_indirect_call, or(0, .L__assert_fail.has_indirect_call)
	.section	.AMDGPU.csdata,"",@progbits
; Kernel info:
; codeLenInByte = 68
; TotalNumSgprs: 36
; NumVgprs: 51
; ScratchSize: 64
; MemoryBound: 0
; FloatMode: 240
; IeeeMode: 1
; LDSByteSize: 0 bytes/workgroup (compile time only)
; SGPRBlocks: 0
; VGPRBlocks: 3
; NumSGPRsForWavesPerEU: 36
; NumVGPRsForWavesPerEU: 51
; NamedBarCnt: 0
; Occupancy: 16
; WaveLimiterHint : 1
; COMPUTE_PGM_RSRC2:SCRATCH_EN: 1
; COMPUTE_PGM_RSRC2:USER_SGPR: 2
; COMPUTE_PGM_RSRC2:TRAP_HANDLER: 0
; COMPUTE_PGM_RSRC2:TGID_X_EN: 1
; COMPUTE_PGM_RSRC2:TGID_Y_EN: 0
; COMPUTE_PGM_RSRC2:TGID_Z_EN: 0
; COMPUTE_PGM_RSRC2:TIDIG_COMP_CNT: 0
	.section	.text._Z39paged_attention_ll4mi_QKV_mfma16_kernelIDF16_hLN4vllm18Fp8KVCacheDataTypeE1EhLi32ELi128ELi256ELb0ELi8EEvPKT_PKT0_S7_ifPKiS9_S9_iPKfiiiPfSC_PS2_PT2_iSB_SB_,"axG",@progbits,_Z39paged_attention_ll4mi_QKV_mfma16_kernelIDF16_hLN4vllm18Fp8KVCacheDataTypeE1EhLi32ELi128ELi256ELb0ELi8EEvPKT_PKT0_S7_ifPKiS9_S9_iPKfiiiPfSC_PS2_PT2_iSB_SB_,comdat
	.protected	_Z39paged_attention_ll4mi_QKV_mfma16_kernelIDF16_hLN4vllm18Fp8KVCacheDataTypeE1EhLi32ELi128ELi256ELb0ELi8EEvPKT_PKT0_S7_ifPKiS9_S9_iPKfiiiPfSC_PS2_PT2_iSB_SB_ ; -- Begin function _Z39paged_attention_ll4mi_QKV_mfma16_kernelIDF16_hLN4vllm18Fp8KVCacheDataTypeE1EhLi32ELi128ELi256ELb0ELi8EEvPKT_PKT0_S7_ifPKiS9_S9_iPKfiiiPfSC_PS2_PT2_iSB_SB_
	.globl	_Z39paged_attention_ll4mi_QKV_mfma16_kernelIDF16_hLN4vllm18Fp8KVCacheDataTypeE1EhLi32ELi128ELi256ELb0ELi8EEvPKT_PKT0_S7_ifPKiS9_S9_iPKfiiiPfSC_PS2_PT2_iSB_SB_
	.p2align	8
	.type	_Z39paged_attention_ll4mi_QKV_mfma16_kernelIDF16_hLN4vllm18Fp8KVCacheDataTypeE1EhLi32ELi128ELi256ELb0ELi8EEvPKT_PKT0_S7_ifPKiS9_S9_iPKfiiiPfSC_PS2_PT2_iSB_SB_,@function
_Z39paged_attention_ll4mi_QKV_mfma16_kernelIDF16_hLN4vllm18Fp8KVCacheDataTypeE1EhLi32ELi128ELi256ELb0ELi8EEvPKT_PKT0_S7_ifPKiS9_S9_iPKfiiiPfSC_PS2_PT2_iSB_SB_: ; @_Z39paged_attention_ll4mi_QKV_mfma16_kernelIDF16_hLN4vllm18Fp8KVCacheDataTypeE1EhLi32ELi128ELi256ELb0ELi8EEvPKT_PKT0_S7_ifPKiS9_S9_iPKfiiiPfSC_PS2_PT2_iSB_SB_
; %bb.0:
	s_get_pc_i64 s[2:3]
	s_add_nc_u64 s[2:3], s[2:3], __PRETTY_FUNCTION__._Z39paged_attention_ll4mi_QKV_mfma16_kernelIDF16_hLN4vllm18Fp8KVCacheDataTypeE1EhLi32ELi128ELi256ELb0ELi8EEvPKT_PKT0_S7_ifPKiS9_S9_iPKfiiiPfSC_PS2_PT2_iSB_SB_@rel64+4
	s_delay_alu instid0(SALU_CYCLE_1)
	v_dual_mov_b32 v0, 0xbb3 :: v_dual_mov_b32 v1, s2
	v_mov_b32_e32 v2, s3
	s_add_nc_u64 s[8:9], s[0:1], 0x90
	s_get_pc_i64 s[0:1]
	s_add_nc_u64 s[0:1], s[0:1], __assert_fail@rel64+4
	s_mov_b32 s32, 0
	s_swap_pc_i64 s[30:31], s[0:1]
	.section	.rodata,"a",@progbits
	.p2align	6, 0x0
	.amdhsa_kernel _Z39paged_attention_ll4mi_QKV_mfma16_kernelIDF16_hLN4vllm18Fp8KVCacheDataTypeE1EhLi32ELi128ELi256ELb0ELi8EEvPKT_PKT0_S7_ifPKiS9_S9_iPKfiiiPfSC_PS2_PT2_iSB_SB_
		.amdhsa_group_segment_fixed_size 0
		.amdhsa_private_segment_fixed_size 64
		.amdhsa_kernarg_size 400
		.amdhsa_user_sgpr_count 2
		.amdhsa_user_sgpr_dispatch_ptr 0
		.amdhsa_user_sgpr_queue_ptr 0
		.amdhsa_user_sgpr_kernarg_segment_ptr 1
		.amdhsa_user_sgpr_dispatch_id 0
		.amdhsa_user_sgpr_kernarg_preload_length 0
		.amdhsa_user_sgpr_kernarg_preload_offset 0
		.amdhsa_user_sgpr_private_segment_size 0
		.amdhsa_wavefront_size32 1
		.amdhsa_uses_dynamic_stack 0
		.amdhsa_enable_private_segment 1
		.amdhsa_system_sgpr_workgroup_id_x 1
		.amdhsa_system_sgpr_workgroup_id_y 0
		.amdhsa_system_sgpr_workgroup_id_z 0
		.amdhsa_system_sgpr_workgroup_info 0
		.amdhsa_system_vgpr_workitem_id 0
		.amdhsa_next_free_vgpr 51
		.amdhsa_next_free_sgpr 34
		.amdhsa_named_barrier_count 0
		.amdhsa_reserve_vcc 1
		.amdhsa_float_round_mode_32 0
		.amdhsa_float_round_mode_16_64 0
		.amdhsa_float_denorm_mode_32 3
		.amdhsa_float_denorm_mode_16_64 3
		.amdhsa_fp16_overflow 0
		.amdhsa_memory_ordered 1
		.amdhsa_forward_progress 1
		.amdhsa_inst_pref_size 1
		.amdhsa_round_robin_scheduling 0
		.amdhsa_exception_fp_ieee_invalid_op 0
		.amdhsa_exception_fp_denorm_src 0
		.amdhsa_exception_fp_ieee_div_zero 0
		.amdhsa_exception_fp_ieee_overflow 0
		.amdhsa_exception_fp_ieee_underflow 0
		.amdhsa_exception_fp_ieee_inexact 0
		.amdhsa_exception_int_div_zero 0
	.end_amdhsa_kernel
	.section	.text._Z39paged_attention_ll4mi_QKV_mfma16_kernelIDF16_hLN4vllm18Fp8KVCacheDataTypeE1EhLi32ELi128ELi256ELb0ELi8EEvPKT_PKT0_S7_ifPKiS9_S9_iPKfiiiPfSC_PS2_PT2_iSB_SB_,"axG",@progbits,_Z39paged_attention_ll4mi_QKV_mfma16_kernelIDF16_hLN4vllm18Fp8KVCacheDataTypeE1EhLi32ELi128ELi256ELb0ELi8EEvPKT_PKT0_S7_ifPKiS9_S9_iPKfiiiPfSC_PS2_PT2_iSB_SB_,comdat
.Lfunc_end1037:
	.size	_Z39paged_attention_ll4mi_QKV_mfma16_kernelIDF16_hLN4vllm18Fp8KVCacheDataTypeE1EhLi32ELi128ELi256ELb0ELi8EEvPKT_PKT0_S7_ifPKiS9_S9_iPKfiiiPfSC_PS2_PT2_iSB_SB_, .Lfunc_end1037-_Z39paged_attention_ll4mi_QKV_mfma16_kernelIDF16_hLN4vllm18Fp8KVCacheDataTypeE1EhLi32ELi128ELi256ELb0ELi8EEvPKT_PKT0_S7_ifPKiS9_S9_iPKfiiiPfSC_PS2_PT2_iSB_SB_
                                        ; -- End function
	.set _Z39paged_attention_ll4mi_QKV_mfma16_kernelIDF16_hLN4vllm18Fp8KVCacheDataTypeE1EhLi32ELi128ELi256ELb0ELi8EEvPKT_PKT0_S7_ifPKiS9_S9_iPKfiiiPfSC_PS2_PT2_iSB_SB_.num_vgpr, max(3, .L__assert_fail.num_vgpr)
	.set _Z39paged_attention_ll4mi_QKV_mfma16_kernelIDF16_hLN4vllm18Fp8KVCacheDataTypeE1EhLi32ELi128ELi256ELb0ELi8EEvPKT_PKT0_S7_ifPKiS9_S9_iPKfiiiPfSC_PS2_PT2_iSB_SB_.num_agpr, max(0, .L__assert_fail.num_agpr)
	.set _Z39paged_attention_ll4mi_QKV_mfma16_kernelIDF16_hLN4vllm18Fp8KVCacheDataTypeE1EhLi32ELi128ELi256ELb0ELi8EEvPKT_PKT0_S7_ifPKiS9_S9_iPKfiiiPfSC_PS2_PT2_iSB_SB_.numbered_sgpr, max(33, .L__assert_fail.numbered_sgpr)
	.set _Z39paged_attention_ll4mi_QKV_mfma16_kernelIDF16_hLN4vllm18Fp8KVCacheDataTypeE1EhLi32ELi128ELi256ELb0ELi8EEvPKT_PKT0_S7_ifPKiS9_S9_iPKfiiiPfSC_PS2_PT2_iSB_SB_.num_named_barrier, max(0, .L__assert_fail.num_named_barrier)
	.set _Z39paged_attention_ll4mi_QKV_mfma16_kernelIDF16_hLN4vllm18Fp8KVCacheDataTypeE1EhLi32ELi128ELi256ELb0ELi8EEvPKT_PKT0_S7_ifPKiS9_S9_iPKfiiiPfSC_PS2_PT2_iSB_SB_.private_seg_size, 0+max(.L__assert_fail.private_seg_size)
	.set _Z39paged_attention_ll4mi_QKV_mfma16_kernelIDF16_hLN4vllm18Fp8KVCacheDataTypeE1EhLi32ELi128ELi256ELb0ELi8EEvPKT_PKT0_S7_ifPKiS9_S9_iPKfiiiPfSC_PS2_PT2_iSB_SB_.uses_vcc, or(1, .L__assert_fail.uses_vcc)
	.set _Z39paged_attention_ll4mi_QKV_mfma16_kernelIDF16_hLN4vllm18Fp8KVCacheDataTypeE1EhLi32ELi128ELi256ELb0ELi8EEvPKT_PKT0_S7_ifPKiS9_S9_iPKfiiiPfSC_PS2_PT2_iSB_SB_.uses_flat_scratch, or(0, .L__assert_fail.uses_flat_scratch)
	.set _Z39paged_attention_ll4mi_QKV_mfma16_kernelIDF16_hLN4vllm18Fp8KVCacheDataTypeE1EhLi32ELi128ELi256ELb0ELi8EEvPKT_PKT0_S7_ifPKiS9_S9_iPKfiiiPfSC_PS2_PT2_iSB_SB_.has_dyn_sized_stack, or(0, .L__assert_fail.has_dyn_sized_stack)
	.set _Z39paged_attention_ll4mi_QKV_mfma16_kernelIDF16_hLN4vllm18Fp8KVCacheDataTypeE1EhLi32ELi128ELi256ELb0ELi8EEvPKT_PKT0_S7_ifPKiS9_S9_iPKfiiiPfSC_PS2_PT2_iSB_SB_.has_recursion, or(0, .L__assert_fail.has_recursion)
	.set _Z39paged_attention_ll4mi_QKV_mfma16_kernelIDF16_hLN4vllm18Fp8KVCacheDataTypeE1EhLi32ELi128ELi256ELb0ELi8EEvPKT_PKT0_S7_ifPKiS9_S9_iPKfiiiPfSC_PS2_PT2_iSB_SB_.has_indirect_call, or(0, .L__assert_fail.has_indirect_call)
	.section	.AMDGPU.csdata,"",@progbits
; Kernel info:
; codeLenInByte = 68
; TotalNumSgprs: 36
; NumVgprs: 51
; ScratchSize: 64
; MemoryBound: 0
; FloatMode: 240
; IeeeMode: 1
; LDSByteSize: 0 bytes/workgroup (compile time only)
; SGPRBlocks: 0
; VGPRBlocks: 3
; NumSGPRsForWavesPerEU: 36
; NumVGPRsForWavesPerEU: 51
; NamedBarCnt: 0
; Occupancy: 16
; WaveLimiterHint : 1
; COMPUTE_PGM_RSRC2:SCRATCH_EN: 1
; COMPUTE_PGM_RSRC2:USER_SGPR: 2
; COMPUTE_PGM_RSRC2:TRAP_HANDLER: 0
; COMPUTE_PGM_RSRC2:TGID_X_EN: 1
; COMPUTE_PGM_RSRC2:TGID_Y_EN: 0
; COMPUTE_PGM_RSRC2:TGID_Z_EN: 0
; COMPUTE_PGM_RSRC2:TIDIG_COMP_CNT: 0
	.section	.text._Z39paged_attention_ll4mi_QKV_mfma16_kernelIDF16_hLN4vllm18Fp8KVCacheDataTypeE1EhLi32ELi128ELi256ELb0ELi9EEvPKT_PKT0_S7_ifPKiS9_S9_iPKfiiiPfSC_PS2_PT2_iSB_SB_,"axG",@progbits,_Z39paged_attention_ll4mi_QKV_mfma16_kernelIDF16_hLN4vllm18Fp8KVCacheDataTypeE1EhLi32ELi128ELi256ELb0ELi9EEvPKT_PKT0_S7_ifPKiS9_S9_iPKfiiiPfSC_PS2_PT2_iSB_SB_,comdat
	.protected	_Z39paged_attention_ll4mi_QKV_mfma16_kernelIDF16_hLN4vllm18Fp8KVCacheDataTypeE1EhLi32ELi128ELi256ELb0ELi9EEvPKT_PKT0_S7_ifPKiS9_S9_iPKfiiiPfSC_PS2_PT2_iSB_SB_ ; -- Begin function _Z39paged_attention_ll4mi_QKV_mfma16_kernelIDF16_hLN4vllm18Fp8KVCacheDataTypeE1EhLi32ELi128ELi256ELb0ELi9EEvPKT_PKT0_S7_ifPKiS9_S9_iPKfiiiPfSC_PS2_PT2_iSB_SB_
	.globl	_Z39paged_attention_ll4mi_QKV_mfma16_kernelIDF16_hLN4vllm18Fp8KVCacheDataTypeE1EhLi32ELi128ELi256ELb0ELi9EEvPKT_PKT0_S7_ifPKiS9_S9_iPKfiiiPfSC_PS2_PT2_iSB_SB_
	.p2align	8
	.type	_Z39paged_attention_ll4mi_QKV_mfma16_kernelIDF16_hLN4vllm18Fp8KVCacheDataTypeE1EhLi32ELi128ELi256ELb0ELi9EEvPKT_PKT0_S7_ifPKiS9_S9_iPKfiiiPfSC_PS2_PT2_iSB_SB_,@function
_Z39paged_attention_ll4mi_QKV_mfma16_kernelIDF16_hLN4vllm18Fp8KVCacheDataTypeE1EhLi32ELi128ELi256ELb0ELi9EEvPKT_PKT0_S7_ifPKiS9_S9_iPKfiiiPfSC_PS2_PT2_iSB_SB_: ; @_Z39paged_attention_ll4mi_QKV_mfma16_kernelIDF16_hLN4vllm18Fp8KVCacheDataTypeE1EhLi32ELi128ELi256ELb0ELi9EEvPKT_PKT0_S7_ifPKiS9_S9_iPKfiiiPfSC_PS2_PT2_iSB_SB_
; %bb.0:
	s_get_pc_i64 s[2:3]
	s_add_nc_u64 s[2:3], s[2:3], __PRETTY_FUNCTION__._Z39paged_attention_ll4mi_QKV_mfma16_kernelIDF16_hLN4vllm18Fp8KVCacheDataTypeE1EhLi32ELi128ELi256ELb0ELi9EEvPKT_PKT0_S7_ifPKiS9_S9_iPKfiiiPfSC_PS2_PT2_iSB_SB_@rel64+4
	s_delay_alu instid0(SALU_CYCLE_1)
	v_dual_mov_b32 v0, 0xbb3 :: v_dual_mov_b32 v1, s2
	v_mov_b32_e32 v2, s3
	s_add_nc_u64 s[8:9], s[0:1], 0x90
	s_get_pc_i64 s[0:1]
	s_add_nc_u64 s[0:1], s[0:1], __assert_fail@rel64+4
	s_mov_b32 s32, 0
	s_swap_pc_i64 s[30:31], s[0:1]
	.section	.rodata,"a",@progbits
	.p2align	6, 0x0
	.amdhsa_kernel _Z39paged_attention_ll4mi_QKV_mfma16_kernelIDF16_hLN4vllm18Fp8KVCacheDataTypeE1EhLi32ELi128ELi256ELb0ELi9EEvPKT_PKT0_S7_ifPKiS9_S9_iPKfiiiPfSC_PS2_PT2_iSB_SB_
		.amdhsa_group_segment_fixed_size 0
		.amdhsa_private_segment_fixed_size 64
		.amdhsa_kernarg_size 400
		.amdhsa_user_sgpr_count 2
		.amdhsa_user_sgpr_dispatch_ptr 0
		.amdhsa_user_sgpr_queue_ptr 0
		.amdhsa_user_sgpr_kernarg_segment_ptr 1
		.amdhsa_user_sgpr_dispatch_id 0
		.amdhsa_user_sgpr_kernarg_preload_length 0
		.amdhsa_user_sgpr_kernarg_preload_offset 0
		.amdhsa_user_sgpr_private_segment_size 0
		.amdhsa_wavefront_size32 1
		.amdhsa_uses_dynamic_stack 0
		.amdhsa_enable_private_segment 1
		.amdhsa_system_sgpr_workgroup_id_x 1
		.amdhsa_system_sgpr_workgroup_id_y 0
		.amdhsa_system_sgpr_workgroup_id_z 0
		.amdhsa_system_sgpr_workgroup_info 0
		.amdhsa_system_vgpr_workitem_id 0
		.amdhsa_next_free_vgpr 51
		.amdhsa_next_free_sgpr 34
		.amdhsa_named_barrier_count 0
		.amdhsa_reserve_vcc 1
		.amdhsa_float_round_mode_32 0
		.amdhsa_float_round_mode_16_64 0
		.amdhsa_float_denorm_mode_32 3
		.amdhsa_float_denorm_mode_16_64 3
		.amdhsa_fp16_overflow 0
		.amdhsa_memory_ordered 1
		.amdhsa_forward_progress 1
		.amdhsa_inst_pref_size 1
		.amdhsa_round_robin_scheduling 0
		.amdhsa_exception_fp_ieee_invalid_op 0
		.amdhsa_exception_fp_denorm_src 0
		.amdhsa_exception_fp_ieee_div_zero 0
		.amdhsa_exception_fp_ieee_overflow 0
		.amdhsa_exception_fp_ieee_underflow 0
		.amdhsa_exception_fp_ieee_inexact 0
		.amdhsa_exception_int_div_zero 0
	.end_amdhsa_kernel
	.section	.text._Z39paged_attention_ll4mi_QKV_mfma16_kernelIDF16_hLN4vllm18Fp8KVCacheDataTypeE1EhLi32ELi128ELi256ELb0ELi9EEvPKT_PKT0_S7_ifPKiS9_S9_iPKfiiiPfSC_PS2_PT2_iSB_SB_,"axG",@progbits,_Z39paged_attention_ll4mi_QKV_mfma16_kernelIDF16_hLN4vllm18Fp8KVCacheDataTypeE1EhLi32ELi128ELi256ELb0ELi9EEvPKT_PKT0_S7_ifPKiS9_S9_iPKfiiiPfSC_PS2_PT2_iSB_SB_,comdat
.Lfunc_end1038:
	.size	_Z39paged_attention_ll4mi_QKV_mfma16_kernelIDF16_hLN4vllm18Fp8KVCacheDataTypeE1EhLi32ELi128ELi256ELb0ELi9EEvPKT_PKT0_S7_ifPKiS9_S9_iPKfiiiPfSC_PS2_PT2_iSB_SB_, .Lfunc_end1038-_Z39paged_attention_ll4mi_QKV_mfma16_kernelIDF16_hLN4vllm18Fp8KVCacheDataTypeE1EhLi32ELi128ELi256ELb0ELi9EEvPKT_PKT0_S7_ifPKiS9_S9_iPKfiiiPfSC_PS2_PT2_iSB_SB_
                                        ; -- End function
	.set _Z39paged_attention_ll4mi_QKV_mfma16_kernelIDF16_hLN4vllm18Fp8KVCacheDataTypeE1EhLi32ELi128ELi256ELb0ELi9EEvPKT_PKT0_S7_ifPKiS9_S9_iPKfiiiPfSC_PS2_PT2_iSB_SB_.num_vgpr, max(3, .L__assert_fail.num_vgpr)
	.set _Z39paged_attention_ll4mi_QKV_mfma16_kernelIDF16_hLN4vllm18Fp8KVCacheDataTypeE1EhLi32ELi128ELi256ELb0ELi9EEvPKT_PKT0_S7_ifPKiS9_S9_iPKfiiiPfSC_PS2_PT2_iSB_SB_.num_agpr, max(0, .L__assert_fail.num_agpr)
	.set _Z39paged_attention_ll4mi_QKV_mfma16_kernelIDF16_hLN4vllm18Fp8KVCacheDataTypeE1EhLi32ELi128ELi256ELb0ELi9EEvPKT_PKT0_S7_ifPKiS9_S9_iPKfiiiPfSC_PS2_PT2_iSB_SB_.numbered_sgpr, max(33, .L__assert_fail.numbered_sgpr)
	.set _Z39paged_attention_ll4mi_QKV_mfma16_kernelIDF16_hLN4vllm18Fp8KVCacheDataTypeE1EhLi32ELi128ELi256ELb0ELi9EEvPKT_PKT0_S7_ifPKiS9_S9_iPKfiiiPfSC_PS2_PT2_iSB_SB_.num_named_barrier, max(0, .L__assert_fail.num_named_barrier)
	.set _Z39paged_attention_ll4mi_QKV_mfma16_kernelIDF16_hLN4vllm18Fp8KVCacheDataTypeE1EhLi32ELi128ELi256ELb0ELi9EEvPKT_PKT0_S7_ifPKiS9_S9_iPKfiiiPfSC_PS2_PT2_iSB_SB_.private_seg_size, 0+max(.L__assert_fail.private_seg_size)
	.set _Z39paged_attention_ll4mi_QKV_mfma16_kernelIDF16_hLN4vllm18Fp8KVCacheDataTypeE1EhLi32ELi128ELi256ELb0ELi9EEvPKT_PKT0_S7_ifPKiS9_S9_iPKfiiiPfSC_PS2_PT2_iSB_SB_.uses_vcc, or(1, .L__assert_fail.uses_vcc)
	.set _Z39paged_attention_ll4mi_QKV_mfma16_kernelIDF16_hLN4vllm18Fp8KVCacheDataTypeE1EhLi32ELi128ELi256ELb0ELi9EEvPKT_PKT0_S7_ifPKiS9_S9_iPKfiiiPfSC_PS2_PT2_iSB_SB_.uses_flat_scratch, or(0, .L__assert_fail.uses_flat_scratch)
	.set _Z39paged_attention_ll4mi_QKV_mfma16_kernelIDF16_hLN4vllm18Fp8KVCacheDataTypeE1EhLi32ELi128ELi256ELb0ELi9EEvPKT_PKT0_S7_ifPKiS9_S9_iPKfiiiPfSC_PS2_PT2_iSB_SB_.has_dyn_sized_stack, or(0, .L__assert_fail.has_dyn_sized_stack)
	.set _Z39paged_attention_ll4mi_QKV_mfma16_kernelIDF16_hLN4vllm18Fp8KVCacheDataTypeE1EhLi32ELi128ELi256ELb0ELi9EEvPKT_PKT0_S7_ifPKiS9_S9_iPKfiiiPfSC_PS2_PT2_iSB_SB_.has_recursion, or(0, .L__assert_fail.has_recursion)
	.set _Z39paged_attention_ll4mi_QKV_mfma16_kernelIDF16_hLN4vllm18Fp8KVCacheDataTypeE1EhLi32ELi128ELi256ELb0ELi9EEvPKT_PKT0_S7_ifPKiS9_S9_iPKfiiiPfSC_PS2_PT2_iSB_SB_.has_indirect_call, or(0, .L__assert_fail.has_indirect_call)
	.section	.AMDGPU.csdata,"",@progbits
; Kernel info:
; codeLenInByte = 68
; TotalNumSgprs: 36
; NumVgprs: 51
; ScratchSize: 64
; MemoryBound: 0
; FloatMode: 240
; IeeeMode: 1
; LDSByteSize: 0 bytes/workgroup (compile time only)
; SGPRBlocks: 0
; VGPRBlocks: 3
; NumSGPRsForWavesPerEU: 36
; NumVGPRsForWavesPerEU: 51
; NamedBarCnt: 0
; Occupancy: 16
; WaveLimiterHint : 1
; COMPUTE_PGM_RSRC2:SCRATCH_EN: 1
; COMPUTE_PGM_RSRC2:USER_SGPR: 2
; COMPUTE_PGM_RSRC2:TRAP_HANDLER: 0
; COMPUTE_PGM_RSRC2:TGID_X_EN: 1
; COMPUTE_PGM_RSRC2:TGID_Y_EN: 0
; COMPUTE_PGM_RSRC2:TGID_Z_EN: 0
; COMPUTE_PGM_RSRC2:TIDIG_COMP_CNT: 0
	.section	.text._Z39paged_attention_ll4mi_QKV_mfma16_kernelIDF16_hLN4vllm18Fp8KVCacheDataTypeE1EhLi32ELi128ELi256ELb0ELi10EEvPKT_PKT0_S7_ifPKiS9_S9_iPKfiiiPfSC_PS2_PT2_iSB_SB_,"axG",@progbits,_Z39paged_attention_ll4mi_QKV_mfma16_kernelIDF16_hLN4vllm18Fp8KVCacheDataTypeE1EhLi32ELi128ELi256ELb0ELi10EEvPKT_PKT0_S7_ifPKiS9_S9_iPKfiiiPfSC_PS2_PT2_iSB_SB_,comdat
	.protected	_Z39paged_attention_ll4mi_QKV_mfma16_kernelIDF16_hLN4vllm18Fp8KVCacheDataTypeE1EhLi32ELi128ELi256ELb0ELi10EEvPKT_PKT0_S7_ifPKiS9_S9_iPKfiiiPfSC_PS2_PT2_iSB_SB_ ; -- Begin function _Z39paged_attention_ll4mi_QKV_mfma16_kernelIDF16_hLN4vllm18Fp8KVCacheDataTypeE1EhLi32ELi128ELi256ELb0ELi10EEvPKT_PKT0_S7_ifPKiS9_S9_iPKfiiiPfSC_PS2_PT2_iSB_SB_
	.globl	_Z39paged_attention_ll4mi_QKV_mfma16_kernelIDF16_hLN4vllm18Fp8KVCacheDataTypeE1EhLi32ELi128ELi256ELb0ELi10EEvPKT_PKT0_S7_ifPKiS9_S9_iPKfiiiPfSC_PS2_PT2_iSB_SB_
	.p2align	8
	.type	_Z39paged_attention_ll4mi_QKV_mfma16_kernelIDF16_hLN4vllm18Fp8KVCacheDataTypeE1EhLi32ELi128ELi256ELb0ELi10EEvPKT_PKT0_S7_ifPKiS9_S9_iPKfiiiPfSC_PS2_PT2_iSB_SB_,@function
_Z39paged_attention_ll4mi_QKV_mfma16_kernelIDF16_hLN4vllm18Fp8KVCacheDataTypeE1EhLi32ELi128ELi256ELb0ELi10EEvPKT_PKT0_S7_ifPKiS9_S9_iPKfiiiPfSC_PS2_PT2_iSB_SB_: ; @_Z39paged_attention_ll4mi_QKV_mfma16_kernelIDF16_hLN4vllm18Fp8KVCacheDataTypeE1EhLi32ELi128ELi256ELb0ELi10EEvPKT_PKT0_S7_ifPKiS9_S9_iPKfiiiPfSC_PS2_PT2_iSB_SB_
; %bb.0:
	s_get_pc_i64 s[2:3]
	s_add_nc_u64 s[2:3], s[2:3], __PRETTY_FUNCTION__._Z39paged_attention_ll4mi_QKV_mfma16_kernelIDF16_hLN4vllm18Fp8KVCacheDataTypeE1EhLi32ELi128ELi256ELb0ELi10EEvPKT_PKT0_S7_ifPKiS9_S9_iPKfiiiPfSC_PS2_PT2_iSB_SB_@rel64+4
	s_delay_alu instid0(SALU_CYCLE_1)
	v_dual_mov_b32 v0, 0xbb3 :: v_dual_mov_b32 v1, s2
	v_mov_b32_e32 v2, s3
	s_add_nc_u64 s[8:9], s[0:1], 0x90
	s_get_pc_i64 s[0:1]
	s_add_nc_u64 s[0:1], s[0:1], __assert_fail@rel64+4
	s_mov_b32 s32, 0
	s_swap_pc_i64 s[30:31], s[0:1]
	.section	.rodata,"a",@progbits
	.p2align	6, 0x0
	.amdhsa_kernel _Z39paged_attention_ll4mi_QKV_mfma16_kernelIDF16_hLN4vllm18Fp8KVCacheDataTypeE1EhLi32ELi128ELi256ELb0ELi10EEvPKT_PKT0_S7_ifPKiS9_S9_iPKfiiiPfSC_PS2_PT2_iSB_SB_
		.amdhsa_group_segment_fixed_size 0
		.amdhsa_private_segment_fixed_size 64
		.amdhsa_kernarg_size 400
		.amdhsa_user_sgpr_count 2
		.amdhsa_user_sgpr_dispatch_ptr 0
		.amdhsa_user_sgpr_queue_ptr 0
		.amdhsa_user_sgpr_kernarg_segment_ptr 1
		.amdhsa_user_sgpr_dispatch_id 0
		.amdhsa_user_sgpr_kernarg_preload_length 0
		.amdhsa_user_sgpr_kernarg_preload_offset 0
		.amdhsa_user_sgpr_private_segment_size 0
		.amdhsa_wavefront_size32 1
		.amdhsa_uses_dynamic_stack 0
		.amdhsa_enable_private_segment 1
		.amdhsa_system_sgpr_workgroup_id_x 1
		.amdhsa_system_sgpr_workgroup_id_y 0
		.amdhsa_system_sgpr_workgroup_id_z 0
		.amdhsa_system_sgpr_workgroup_info 0
		.amdhsa_system_vgpr_workitem_id 0
		.amdhsa_next_free_vgpr 51
		.amdhsa_next_free_sgpr 34
		.amdhsa_named_barrier_count 0
		.amdhsa_reserve_vcc 1
		.amdhsa_float_round_mode_32 0
		.amdhsa_float_round_mode_16_64 0
		.amdhsa_float_denorm_mode_32 3
		.amdhsa_float_denorm_mode_16_64 3
		.amdhsa_fp16_overflow 0
		.amdhsa_memory_ordered 1
		.amdhsa_forward_progress 1
		.amdhsa_inst_pref_size 1
		.amdhsa_round_robin_scheduling 0
		.amdhsa_exception_fp_ieee_invalid_op 0
		.amdhsa_exception_fp_denorm_src 0
		.amdhsa_exception_fp_ieee_div_zero 0
		.amdhsa_exception_fp_ieee_overflow 0
		.amdhsa_exception_fp_ieee_underflow 0
		.amdhsa_exception_fp_ieee_inexact 0
		.amdhsa_exception_int_div_zero 0
	.end_amdhsa_kernel
	.section	.text._Z39paged_attention_ll4mi_QKV_mfma16_kernelIDF16_hLN4vllm18Fp8KVCacheDataTypeE1EhLi32ELi128ELi256ELb0ELi10EEvPKT_PKT0_S7_ifPKiS9_S9_iPKfiiiPfSC_PS2_PT2_iSB_SB_,"axG",@progbits,_Z39paged_attention_ll4mi_QKV_mfma16_kernelIDF16_hLN4vllm18Fp8KVCacheDataTypeE1EhLi32ELi128ELi256ELb0ELi10EEvPKT_PKT0_S7_ifPKiS9_S9_iPKfiiiPfSC_PS2_PT2_iSB_SB_,comdat
.Lfunc_end1039:
	.size	_Z39paged_attention_ll4mi_QKV_mfma16_kernelIDF16_hLN4vllm18Fp8KVCacheDataTypeE1EhLi32ELi128ELi256ELb0ELi10EEvPKT_PKT0_S7_ifPKiS9_S9_iPKfiiiPfSC_PS2_PT2_iSB_SB_, .Lfunc_end1039-_Z39paged_attention_ll4mi_QKV_mfma16_kernelIDF16_hLN4vllm18Fp8KVCacheDataTypeE1EhLi32ELi128ELi256ELb0ELi10EEvPKT_PKT0_S7_ifPKiS9_S9_iPKfiiiPfSC_PS2_PT2_iSB_SB_
                                        ; -- End function
	.set _Z39paged_attention_ll4mi_QKV_mfma16_kernelIDF16_hLN4vllm18Fp8KVCacheDataTypeE1EhLi32ELi128ELi256ELb0ELi10EEvPKT_PKT0_S7_ifPKiS9_S9_iPKfiiiPfSC_PS2_PT2_iSB_SB_.num_vgpr, max(3, .L__assert_fail.num_vgpr)
	.set _Z39paged_attention_ll4mi_QKV_mfma16_kernelIDF16_hLN4vllm18Fp8KVCacheDataTypeE1EhLi32ELi128ELi256ELb0ELi10EEvPKT_PKT0_S7_ifPKiS9_S9_iPKfiiiPfSC_PS2_PT2_iSB_SB_.num_agpr, max(0, .L__assert_fail.num_agpr)
	.set _Z39paged_attention_ll4mi_QKV_mfma16_kernelIDF16_hLN4vllm18Fp8KVCacheDataTypeE1EhLi32ELi128ELi256ELb0ELi10EEvPKT_PKT0_S7_ifPKiS9_S9_iPKfiiiPfSC_PS2_PT2_iSB_SB_.numbered_sgpr, max(33, .L__assert_fail.numbered_sgpr)
	.set _Z39paged_attention_ll4mi_QKV_mfma16_kernelIDF16_hLN4vllm18Fp8KVCacheDataTypeE1EhLi32ELi128ELi256ELb0ELi10EEvPKT_PKT0_S7_ifPKiS9_S9_iPKfiiiPfSC_PS2_PT2_iSB_SB_.num_named_barrier, max(0, .L__assert_fail.num_named_barrier)
	.set _Z39paged_attention_ll4mi_QKV_mfma16_kernelIDF16_hLN4vllm18Fp8KVCacheDataTypeE1EhLi32ELi128ELi256ELb0ELi10EEvPKT_PKT0_S7_ifPKiS9_S9_iPKfiiiPfSC_PS2_PT2_iSB_SB_.private_seg_size, 0+max(.L__assert_fail.private_seg_size)
	.set _Z39paged_attention_ll4mi_QKV_mfma16_kernelIDF16_hLN4vllm18Fp8KVCacheDataTypeE1EhLi32ELi128ELi256ELb0ELi10EEvPKT_PKT0_S7_ifPKiS9_S9_iPKfiiiPfSC_PS2_PT2_iSB_SB_.uses_vcc, or(1, .L__assert_fail.uses_vcc)
	.set _Z39paged_attention_ll4mi_QKV_mfma16_kernelIDF16_hLN4vllm18Fp8KVCacheDataTypeE1EhLi32ELi128ELi256ELb0ELi10EEvPKT_PKT0_S7_ifPKiS9_S9_iPKfiiiPfSC_PS2_PT2_iSB_SB_.uses_flat_scratch, or(0, .L__assert_fail.uses_flat_scratch)
	.set _Z39paged_attention_ll4mi_QKV_mfma16_kernelIDF16_hLN4vllm18Fp8KVCacheDataTypeE1EhLi32ELi128ELi256ELb0ELi10EEvPKT_PKT0_S7_ifPKiS9_S9_iPKfiiiPfSC_PS2_PT2_iSB_SB_.has_dyn_sized_stack, or(0, .L__assert_fail.has_dyn_sized_stack)
	.set _Z39paged_attention_ll4mi_QKV_mfma16_kernelIDF16_hLN4vllm18Fp8KVCacheDataTypeE1EhLi32ELi128ELi256ELb0ELi10EEvPKT_PKT0_S7_ifPKiS9_S9_iPKfiiiPfSC_PS2_PT2_iSB_SB_.has_recursion, or(0, .L__assert_fail.has_recursion)
	.set _Z39paged_attention_ll4mi_QKV_mfma16_kernelIDF16_hLN4vllm18Fp8KVCacheDataTypeE1EhLi32ELi128ELi256ELb0ELi10EEvPKT_PKT0_S7_ifPKiS9_S9_iPKfiiiPfSC_PS2_PT2_iSB_SB_.has_indirect_call, or(0, .L__assert_fail.has_indirect_call)
	.section	.AMDGPU.csdata,"",@progbits
; Kernel info:
; codeLenInByte = 68
; TotalNumSgprs: 36
; NumVgprs: 51
; ScratchSize: 64
; MemoryBound: 0
; FloatMode: 240
; IeeeMode: 1
; LDSByteSize: 0 bytes/workgroup (compile time only)
; SGPRBlocks: 0
; VGPRBlocks: 3
; NumSGPRsForWavesPerEU: 36
; NumVGPRsForWavesPerEU: 51
; NamedBarCnt: 0
; Occupancy: 16
; WaveLimiterHint : 1
; COMPUTE_PGM_RSRC2:SCRATCH_EN: 1
; COMPUTE_PGM_RSRC2:USER_SGPR: 2
; COMPUTE_PGM_RSRC2:TRAP_HANDLER: 0
; COMPUTE_PGM_RSRC2:TGID_X_EN: 1
; COMPUTE_PGM_RSRC2:TGID_Y_EN: 0
; COMPUTE_PGM_RSRC2:TGID_Z_EN: 0
; COMPUTE_PGM_RSRC2:TIDIG_COMP_CNT: 0
	.section	.text._Z39paged_attention_ll4mi_QKV_mfma16_kernelIDF16_hLN4vllm18Fp8KVCacheDataTypeE1EhLi32ELi128ELi256ELb0ELi11EEvPKT_PKT0_S7_ifPKiS9_S9_iPKfiiiPfSC_PS2_PT2_iSB_SB_,"axG",@progbits,_Z39paged_attention_ll4mi_QKV_mfma16_kernelIDF16_hLN4vllm18Fp8KVCacheDataTypeE1EhLi32ELi128ELi256ELb0ELi11EEvPKT_PKT0_S7_ifPKiS9_S9_iPKfiiiPfSC_PS2_PT2_iSB_SB_,comdat
	.protected	_Z39paged_attention_ll4mi_QKV_mfma16_kernelIDF16_hLN4vllm18Fp8KVCacheDataTypeE1EhLi32ELi128ELi256ELb0ELi11EEvPKT_PKT0_S7_ifPKiS9_S9_iPKfiiiPfSC_PS2_PT2_iSB_SB_ ; -- Begin function _Z39paged_attention_ll4mi_QKV_mfma16_kernelIDF16_hLN4vllm18Fp8KVCacheDataTypeE1EhLi32ELi128ELi256ELb0ELi11EEvPKT_PKT0_S7_ifPKiS9_S9_iPKfiiiPfSC_PS2_PT2_iSB_SB_
	.globl	_Z39paged_attention_ll4mi_QKV_mfma16_kernelIDF16_hLN4vllm18Fp8KVCacheDataTypeE1EhLi32ELi128ELi256ELb0ELi11EEvPKT_PKT0_S7_ifPKiS9_S9_iPKfiiiPfSC_PS2_PT2_iSB_SB_
	.p2align	8
	.type	_Z39paged_attention_ll4mi_QKV_mfma16_kernelIDF16_hLN4vllm18Fp8KVCacheDataTypeE1EhLi32ELi128ELi256ELb0ELi11EEvPKT_PKT0_S7_ifPKiS9_S9_iPKfiiiPfSC_PS2_PT2_iSB_SB_,@function
_Z39paged_attention_ll4mi_QKV_mfma16_kernelIDF16_hLN4vllm18Fp8KVCacheDataTypeE1EhLi32ELi128ELi256ELb0ELi11EEvPKT_PKT0_S7_ifPKiS9_S9_iPKfiiiPfSC_PS2_PT2_iSB_SB_: ; @_Z39paged_attention_ll4mi_QKV_mfma16_kernelIDF16_hLN4vllm18Fp8KVCacheDataTypeE1EhLi32ELi128ELi256ELb0ELi11EEvPKT_PKT0_S7_ifPKiS9_S9_iPKfiiiPfSC_PS2_PT2_iSB_SB_
; %bb.0:
	s_get_pc_i64 s[2:3]
	s_add_nc_u64 s[2:3], s[2:3], __PRETTY_FUNCTION__._Z39paged_attention_ll4mi_QKV_mfma16_kernelIDF16_hLN4vllm18Fp8KVCacheDataTypeE1EhLi32ELi128ELi256ELb0ELi11EEvPKT_PKT0_S7_ifPKiS9_S9_iPKfiiiPfSC_PS2_PT2_iSB_SB_@rel64+4
	s_delay_alu instid0(SALU_CYCLE_1)
	v_dual_mov_b32 v0, 0xbb3 :: v_dual_mov_b32 v1, s2
	v_mov_b32_e32 v2, s3
	s_add_nc_u64 s[8:9], s[0:1], 0x90
	s_get_pc_i64 s[0:1]
	s_add_nc_u64 s[0:1], s[0:1], __assert_fail@rel64+4
	s_mov_b32 s32, 0
	s_swap_pc_i64 s[30:31], s[0:1]
	.section	.rodata,"a",@progbits
	.p2align	6, 0x0
	.amdhsa_kernel _Z39paged_attention_ll4mi_QKV_mfma16_kernelIDF16_hLN4vllm18Fp8KVCacheDataTypeE1EhLi32ELi128ELi256ELb0ELi11EEvPKT_PKT0_S7_ifPKiS9_S9_iPKfiiiPfSC_PS2_PT2_iSB_SB_
		.amdhsa_group_segment_fixed_size 0
		.amdhsa_private_segment_fixed_size 64
		.amdhsa_kernarg_size 400
		.amdhsa_user_sgpr_count 2
		.amdhsa_user_sgpr_dispatch_ptr 0
		.amdhsa_user_sgpr_queue_ptr 0
		.amdhsa_user_sgpr_kernarg_segment_ptr 1
		.amdhsa_user_sgpr_dispatch_id 0
		.amdhsa_user_sgpr_kernarg_preload_length 0
		.amdhsa_user_sgpr_kernarg_preload_offset 0
		.amdhsa_user_sgpr_private_segment_size 0
		.amdhsa_wavefront_size32 1
		.amdhsa_uses_dynamic_stack 0
		.amdhsa_enable_private_segment 1
		.amdhsa_system_sgpr_workgroup_id_x 1
		.amdhsa_system_sgpr_workgroup_id_y 0
		.amdhsa_system_sgpr_workgroup_id_z 0
		.amdhsa_system_sgpr_workgroup_info 0
		.amdhsa_system_vgpr_workitem_id 0
		.amdhsa_next_free_vgpr 51
		.amdhsa_next_free_sgpr 34
		.amdhsa_named_barrier_count 0
		.amdhsa_reserve_vcc 1
		.amdhsa_float_round_mode_32 0
		.amdhsa_float_round_mode_16_64 0
		.amdhsa_float_denorm_mode_32 3
		.amdhsa_float_denorm_mode_16_64 3
		.amdhsa_fp16_overflow 0
		.amdhsa_memory_ordered 1
		.amdhsa_forward_progress 1
		.amdhsa_inst_pref_size 1
		.amdhsa_round_robin_scheduling 0
		.amdhsa_exception_fp_ieee_invalid_op 0
		.amdhsa_exception_fp_denorm_src 0
		.amdhsa_exception_fp_ieee_div_zero 0
		.amdhsa_exception_fp_ieee_overflow 0
		.amdhsa_exception_fp_ieee_underflow 0
		.amdhsa_exception_fp_ieee_inexact 0
		.amdhsa_exception_int_div_zero 0
	.end_amdhsa_kernel
	.section	.text._Z39paged_attention_ll4mi_QKV_mfma16_kernelIDF16_hLN4vllm18Fp8KVCacheDataTypeE1EhLi32ELi128ELi256ELb0ELi11EEvPKT_PKT0_S7_ifPKiS9_S9_iPKfiiiPfSC_PS2_PT2_iSB_SB_,"axG",@progbits,_Z39paged_attention_ll4mi_QKV_mfma16_kernelIDF16_hLN4vllm18Fp8KVCacheDataTypeE1EhLi32ELi128ELi256ELb0ELi11EEvPKT_PKT0_S7_ifPKiS9_S9_iPKfiiiPfSC_PS2_PT2_iSB_SB_,comdat
.Lfunc_end1040:
	.size	_Z39paged_attention_ll4mi_QKV_mfma16_kernelIDF16_hLN4vllm18Fp8KVCacheDataTypeE1EhLi32ELi128ELi256ELb0ELi11EEvPKT_PKT0_S7_ifPKiS9_S9_iPKfiiiPfSC_PS2_PT2_iSB_SB_, .Lfunc_end1040-_Z39paged_attention_ll4mi_QKV_mfma16_kernelIDF16_hLN4vllm18Fp8KVCacheDataTypeE1EhLi32ELi128ELi256ELb0ELi11EEvPKT_PKT0_S7_ifPKiS9_S9_iPKfiiiPfSC_PS2_PT2_iSB_SB_
                                        ; -- End function
	.set _Z39paged_attention_ll4mi_QKV_mfma16_kernelIDF16_hLN4vllm18Fp8KVCacheDataTypeE1EhLi32ELi128ELi256ELb0ELi11EEvPKT_PKT0_S7_ifPKiS9_S9_iPKfiiiPfSC_PS2_PT2_iSB_SB_.num_vgpr, max(3, .L__assert_fail.num_vgpr)
	.set _Z39paged_attention_ll4mi_QKV_mfma16_kernelIDF16_hLN4vllm18Fp8KVCacheDataTypeE1EhLi32ELi128ELi256ELb0ELi11EEvPKT_PKT0_S7_ifPKiS9_S9_iPKfiiiPfSC_PS2_PT2_iSB_SB_.num_agpr, max(0, .L__assert_fail.num_agpr)
	.set _Z39paged_attention_ll4mi_QKV_mfma16_kernelIDF16_hLN4vllm18Fp8KVCacheDataTypeE1EhLi32ELi128ELi256ELb0ELi11EEvPKT_PKT0_S7_ifPKiS9_S9_iPKfiiiPfSC_PS2_PT2_iSB_SB_.numbered_sgpr, max(33, .L__assert_fail.numbered_sgpr)
	.set _Z39paged_attention_ll4mi_QKV_mfma16_kernelIDF16_hLN4vllm18Fp8KVCacheDataTypeE1EhLi32ELi128ELi256ELb0ELi11EEvPKT_PKT0_S7_ifPKiS9_S9_iPKfiiiPfSC_PS2_PT2_iSB_SB_.num_named_barrier, max(0, .L__assert_fail.num_named_barrier)
	.set _Z39paged_attention_ll4mi_QKV_mfma16_kernelIDF16_hLN4vllm18Fp8KVCacheDataTypeE1EhLi32ELi128ELi256ELb0ELi11EEvPKT_PKT0_S7_ifPKiS9_S9_iPKfiiiPfSC_PS2_PT2_iSB_SB_.private_seg_size, 0+max(.L__assert_fail.private_seg_size)
	.set _Z39paged_attention_ll4mi_QKV_mfma16_kernelIDF16_hLN4vllm18Fp8KVCacheDataTypeE1EhLi32ELi128ELi256ELb0ELi11EEvPKT_PKT0_S7_ifPKiS9_S9_iPKfiiiPfSC_PS2_PT2_iSB_SB_.uses_vcc, or(1, .L__assert_fail.uses_vcc)
	.set _Z39paged_attention_ll4mi_QKV_mfma16_kernelIDF16_hLN4vllm18Fp8KVCacheDataTypeE1EhLi32ELi128ELi256ELb0ELi11EEvPKT_PKT0_S7_ifPKiS9_S9_iPKfiiiPfSC_PS2_PT2_iSB_SB_.uses_flat_scratch, or(0, .L__assert_fail.uses_flat_scratch)
	.set _Z39paged_attention_ll4mi_QKV_mfma16_kernelIDF16_hLN4vllm18Fp8KVCacheDataTypeE1EhLi32ELi128ELi256ELb0ELi11EEvPKT_PKT0_S7_ifPKiS9_S9_iPKfiiiPfSC_PS2_PT2_iSB_SB_.has_dyn_sized_stack, or(0, .L__assert_fail.has_dyn_sized_stack)
	.set _Z39paged_attention_ll4mi_QKV_mfma16_kernelIDF16_hLN4vllm18Fp8KVCacheDataTypeE1EhLi32ELi128ELi256ELb0ELi11EEvPKT_PKT0_S7_ifPKiS9_S9_iPKfiiiPfSC_PS2_PT2_iSB_SB_.has_recursion, or(0, .L__assert_fail.has_recursion)
	.set _Z39paged_attention_ll4mi_QKV_mfma16_kernelIDF16_hLN4vllm18Fp8KVCacheDataTypeE1EhLi32ELi128ELi256ELb0ELi11EEvPKT_PKT0_S7_ifPKiS9_S9_iPKfiiiPfSC_PS2_PT2_iSB_SB_.has_indirect_call, or(0, .L__assert_fail.has_indirect_call)
	.section	.AMDGPU.csdata,"",@progbits
; Kernel info:
; codeLenInByte = 68
; TotalNumSgprs: 36
; NumVgprs: 51
; ScratchSize: 64
; MemoryBound: 0
; FloatMode: 240
; IeeeMode: 1
; LDSByteSize: 0 bytes/workgroup (compile time only)
; SGPRBlocks: 0
; VGPRBlocks: 3
; NumSGPRsForWavesPerEU: 36
; NumVGPRsForWavesPerEU: 51
; NamedBarCnt: 0
; Occupancy: 16
; WaveLimiterHint : 1
; COMPUTE_PGM_RSRC2:SCRATCH_EN: 1
; COMPUTE_PGM_RSRC2:USER_SGPR: 2
; COMPUTE_PGM_RSRC2:TRAP_HANDLER: 0
; COMPUTE_PGM_RSRC2:TGID_X_EN: 1
; COMPUTE_PGM_RSRC2:TGID_Y_EN: 0
; COMPUTE_PGM_RSRC2:TGID_Z_EN: 0
; COMPUTE_PGM_RSRC2:TIDIG_COMP_CNT: 0
	.section	.text._Z39paged_attention_ll4mi_QKV_mfma16_kernelIDF16_hLN4vllm18Fp8KVCacheDataTypeE1EhLi32ELi128ELi256ELb0ELi12EEvPKT_PKT0_S7_ifPKiS9_S9_iPKfiiiPfSC_PS2_PT2_iSB_SB_,"axG",@progbits,_Z39paged_attention_ll4mi_QKV_mfma16_kernelIDF16_hLN4vllm18Fp8KVCacheDataTypeE1EhLi32ELi128ELi256ELb0ELi12EEvPKT_PKT0_S7_ifPKiS9_S9_iPKfiiiPfSC_PS2_PT2_iSB_SB_,comdat
	.protected	_Z39paged_attention_ll4mi_QKV_mfma16_kernelIDF16_hLN4vllm18Fp8KVCacheDataTypeE1EhLi32ELi128ELi256ELb0ELi12EEvPKT_PKT0_S7_ifPKiS9_S9_iPKfiiiPfSC_PS2_PT2_iSB_SB_ ; -- Begin function _Z39paged_attention_ll4mi_QKV_mfma16_kernelIDF16_hLN4vllm18Fp8KVCacheDataTypeE1EhLi32ELi128ELi256ELb0ELi12EEvPKT_PKT0_S7_ifPKiS9_S9_iPKfiiiPfSC_PS2_PT2_iSB_SB_
	.globl	_Z39paged_attention_ll4mi_QKV_mfma16_kernelIDF16_hLN4vllm18Fp8KVCacheDataTypeE1EhLi32ELi128ELi256ELb0ELi12EEvPKT_PKT0_S7_ifPKiS9_S9_iPKfiiiPfSC_PS2_PT2_iSB_SB_
	.p2align	8
	.type	_Z39paged_attention_ll4mi_QKV_mfma16_kernelIDF16_hLN4vllm18Fp8KVCacheDataTypeE1EhLi32ELi128ELi256ELb0ELi12EEvPKT_PKT0_S7_ifPKiS9_S9_iPKfiiiPfSC_PS2_PT2_iSB_SB_,@function
_Z39paged_attention_ll4mi_QKV_mfma16_kernelIDF16_hLN4vllm18Fp8KVCacheDataTypeE1EhLi32ELi128ELi256ELb0ELi12EEvPKT_PKT0_S7_ifPKiS9_S9_iPKfiiiPfSC_PS2_PT2_iSB_SB_: ; @_Z39paged_attention_ll4mi_QKV_mfma16_kernelIDF16_hLN4vllm18Fp8KVCacheDataTypeE1EhLi32ELi128ELi256ELb0ELi12EEvPKT_PKT0_S7_ifPKiS9_S9_iPKfiiiPfSC_PS2_PT2_iSB_SB_
; %bb.0:
	s_get_pc_i64 s[2:3]
	s_add_nc_u64 s[2:3], s[2:3], __PRETTY_FUNCTION__._Z39paged_attention_ll4mi_QKV_mfma16_kernelIDF16_hLN4vllm18Fp8KVCacheDataTypeE1EhLi32ELi128ELi256ELb0ELi12EEvPKT_PKT0_S7_ifPKiS9_S9_iPKfiiiPfSC_PS2_PT2_iSB_SB_@rel64+4
	s_delay_alu instid0(SALU_CYCLE_1)
	v_dual_mov_b32 v0, 0xbb3 :: v_dual_mov_b32 v1, s2
	v_mov_b32_e32 v2, s3
	s_add_nc_u64 s[8:9], s[0:1], 0x90
	s_get_pc_i64 s[0:1]
	s_add_nc_u64 s[0:1], s[0:1], __assert_fail@rel64+4
	s_mov_b32 s32, 0
	s_swap_pc_i64 s[30:31], s[0:1]
	.section	.rodata,"a",@progbits
	.p2align	6, 0x0
	.amdhsa_kernel _Z39paged_attention_ll4mi_QKV_mfma16_kernelIDF16_hLN4vllm18Fp8KVCacheDataTypeE1EhLi32ELi128ELi256ELb0ELi12EEvPKT_PKT0_S7_ifPKiS9_S9_iPKfiiiPfSC_PS2_PT2_iSB_SB_
		.amdhsa_group_segment_fixed_size 0
		.amdhsa_private_segment_fixed_size 64
		.amdhsa_kernarg_size 400
		.amdhsa_user_sgpr_count 2
		.amdhsa_user_sgpr_dispatch_ptr 0
		.amdhsa_user_sgpr_queue_ptr 0
		.amdhsa_user_sgpr_kernarg_segment_ptr 1
		.amdhsa_user_sgpr_dispatch_id 0
		.amdhsa_user_sgpr_kernarg_preload_length 0
		.amdhsa_user_sgpr_kernarg_preload_offset 0
		.amdhsa_user_sgpr_private_segment_size 0
		.amdhsa_wavefront_size32 1
		.amdhsa_uses_dynamic_stack 0
		.amdhsa_enable_private_segment 1
		.amdhsa_system_sgpr_workgroup_id_x 1
		.amdhsa_system_sgpr_workgroup_id_y 0
		.amdhsa_system_sgpr_workgroup_id_z 0
		.amdhsa_system_sgpr_workgroup_info 0
		.amdhsa_system_vgpr_workitem_id 0
		.amdhsa_next_free_vgpr 51
		.amdhsa_next_free_sgpr 34
		.amdhsa_named_barrier_count 0
		.amdhsa_reserve_vcc 1
		.amdhsa_float_round_mode_32 0
		.amdhsa_float_round_mode_16_64 0
		.amdhsa_float_denorm_mode_32 3
		.amdhsa_float_denorm_mode_16_64 3
		.amdhsa_fp16_overflow 0
		.amdhsa_memory_ordered 1
		.amdhsa_forward_progress 1
		.amdhsa_inst_pref_size 1
		.amdhsa_round_robin_scheduling 0
		.amdhsa_exception_fp_ieee_invalid_op 0
		.amdhsa_exception_fp_denorm_src 0
		.amdhsa_exception_fp_ieee_div_zero 0
		.amdhsa_exception_fp_ieee_overflow 0
		.amdhsa_exception_fp_ieee_underflow 0
		.amdhsa_exception_fp_ieee_inexact 0
		.amdhsa_exception_int_div_zero 0
	.end_amdhsa_kernel
	.section	.text._Z39paged_attention_ll4mi_QKV_mfma16_kernelIDF16_hLN4vllm18Fp8KVCacheDataTypeE1EhLi32ELi128ELi256ELb0ELi12EEvPKT_PKT0_S7_ifPKiS9_S9_iPKfiiiPfSC_PS2_PT2_iSB_SB_,"axG",@progbits,_Z39paged_attention_ll4mi_QKV_mfma16_kernelIDF16_hLN4vllm18Fp8KVCacheDataTypeE1EhLi32ELi128ELi256ELb0ELi12EEvPKT_PKT0_S7_ifPKiS9_S9_iPKfiiiPfSC_PS2_PT2_iSB_SB_,comdat
.Lfunc_end1041:
	.size	_Z39paged_attention_ll4mi_QKV_mfma16_kernelIDF16_hLN4vllm18Fp8KVCacheDataTypeE1EhLi32ELi128ELi256ELb0ELi12EEvPKT_PKT0_S7_ifPKiS9_S9_iPKfiiiPfSC_PS2_PT2_iSB_SB_, .Lfunc_end1041-_Z39paged_attention_ll4mi_QKV_mfma16_kernelIDF16_hLN4vllm18Fp8KVCacheDataTypeE1EhLi32ELi128ELi256ELb0ELi12EEvPKT_PKT0_S7_ifPKiS9_S9_iPKfiiiPfSC_PS2_PT2_iSB_SB_
                                        ; -- End function
	.set _Z39paged_attention_ll4mi_QKV_mfma16_kernelIDF16_hLN4vllm18Fp8KVCacheDataTypeE1EhLi32ELi128ELi256ELb0ELi12EEvPKT_PKT0_S7_ifPKiS9_S9_iPKfiiiPfSC_PS2_PT2_iSB_SB_.num_vgpr, max(3, .L__assert_fail.num_vgpr)
	.set _Z39paged_attention_ll4mi_QKV_mfma16_kernelIDF16_hLN4vllm18Fp8KVCacheDataTypeE1EhLi32ELi128ELi256ELb0ELi12EEvPKT_PKT0_S7_ifPKiS9_S9_iPKfiiiPfSC_PS2_PT2_iSB_SB_.num_agpr, max(0, .L__assert_fail.num_agpr)
	.set _Z39paged_attention_ll4mi_QKV_mfma16_kernelIDF16_hLN4vllm18Fp8KVCacheDataTypeE1EhLi32ELi128ELi256ELb0ELi12EEvPKT_PKT0_S7_ifPKiS9_S9_iPKfiiiPfSC_PS2_PT2_iSB_SB_.numbered_sgpr, max(33, .L__assert_fail.numbered_sgpr)
	.set _Z39paged_attention_ll4mi_QKV_mfma16_kernelIDF16_hLN4vllm18Fp8KVCacheDataTypeE1EhLi32ELi128ELi256ELb0ELi12EEvPKT_PKT0_S7_ifPKiS9_S9_iPKfiiiPfSC_PS2_PT2_iSB_SB_.num_named_barrier, max(0, .L__assert_fail.num_named_barrier)
	.set _Z39paged_attention_ll4mi_QKV_mfma16_kernelIDF16_hLN4vllm18Fp8KVCacheDataTypeE1EhLi32ELi128ELi256ELb0ELi12EEvPKT_PKT0_S7_ifPKiS9_S9_iPKfiiiPfSC_PS2_PT2_iSB_SB_.private_seg_size, 0+max(.L__assert_fail.private_seg_size)
	.set _Z39paged_attention_ll4mi_QKV_mfma16_kernelIDF16_hLN4vllm18Fp8KVCacheDataTypeE1EhLi32ELi128ELi256ELb0ELi12EEvPKT_PKT0_S7_ifPKiS9_S9_iPKfiiiPfSC_PS2_PT2_iSB_SB_.uses_vcc, or(1, .L__assert_fail.uses_vcc)
	.set _Z39paged_attention_ll4mi_QKV_mfma16_kernelIDF16_hLN4vllm18Fp8KVCacheDataTypeE1EhLi32ELi128ELi256ELb0ELi12EEvPKT_PKT0_S7_ifPKiS9_S9_iPKfiiiPfSC_PS2_PT2_iSB_SB_.uses_flat_scratch, or(0, .L__assert_fail.uses_flat_scratch)
	.set _Z39paged_attention_ll4mi_QKV_mfma16_kernelIDF16_hLN4vllm18Fp8KVCacheDataTypeE1EhLi32ELi128ELi256ELb0ELi12EEvPKT_PKT0_S7_ifPKiS9_S9_iPKfiiiPfSC_PS2_PT2_iSB_SB_.has_dyn_sized_stack, or(0, .L__assert_fail.has_dyn_sized_stack)
	.set _Z39paged_attention_ll4mi_QKV_mfma16_kernelIDF16_hLN4vllm18Fp8KVCacheDataTypeE1EhLi32ELi128ELi256ELb0ELi12EEvPKT_PKT0_S7_ifPKiS9_S9_iPKfiiiPfSC_PS2_PT2_iSB_SB_.has_recursion, or(0, .L__assert_fail.has_recursion)
	.set _Z39paged_attention_ll4mi_QKV_mfma16_kernelIDF16_hLN4vllm18Fp8KVCacheDataTypeE1EhLi32ELi128ELi256ELb0ELi12EEvPKT_PKT0_S7_ifPKiS9_S9_iPKfiiiPfSC_PS2_PT2_iSB_SB_.has_indirect_call, or(0, .L__assert_fail.has_indirect_call)
	.section	.AMDGPU.csdata,"",@progbits
; Kernel info:
; codeLenInByte = 68
; TotalNumSgprs: 36
; NumVgprs: 51
; ScratchSize: 64
; MemoryBound: 0
; FloatMode: 240
; IeeeMode: 1
; LDSByteSize: 0 bytes/workgroup (compile time only)
; SGPRBlocks: 0
; VGPRBlocks: 3
; NumSGPRsForWavesPerEU: 36
; NumVGPRsForWavesPerEU: 51
; NamedBarCnt: 0
; Occupancy: 16
; WaveLimiterHint : 1
; COMPUTE_PGM_RSRC2:SCRATCH_EN: 1
; COMPUTE_PGM_RSRC2:USER_SGPR: 2
; COMPUTE_PGM_RSRC2:TRAP_HANDLER: 0
; COMPUTE_PGM_RSRC2:TGID_X_EN: 1
; COMPUTE_PGM_RSRC2:TGID_Y_EN: 0
; COMPUTE_PGM_RSRC2:TGID_Z_EN: 0
; COMPUTE_PGM_RSRC2:TIDIG_COMP_CNT: 0
	.section	.text._Z39paged_attention_ll4mi_QKV_mfma16_kernelIDF16_hLN4vllm18Fp8KVCacheDataTypeE1EhLi32ELi128ELi256ELb0ELi13EEvPKT_PKT0_S7_ifPKiS9_S9_iPKfiiiPfSC_PS2_PT2_iSB_SB_,"axG",@progbits,_Z39paged_attention_ll4mi_QKV_mfma16_kernelIDF16_hLN4vllm18Fp8KVCacheDataTypeE1EhLi32ELi128ELi256ELb0ELi13EEvPKT_PKT0_S7_ifPKiS9_S9_iPKfiiiPfSC_PS2_PT2_iSB_SB_,comdat
	.protected	_Z39paged_attention_ll4mi_QKV_mfma16_kernelIDF16_hLN4vllm18Fp8KVCacheDataTypeE1EhLi32ELi128ELi256ELb0ELi13EEvPKT_PKT0_S7_ifPKiS9_S9_iPKfiiiPfSC_PS2_PT2_iSB_SB_ ; -- Begin function _Z39paged_attention_ll4mi_QKV_mfma16_kernelIDF16_hLN4vllm18Fp8KVCacheDataTypeE1EhLi32ELi128ELi256ELb0ELi13EEvPKT_PKT0_S7_ifPKiS9_S9_iPKfiiiPfSC_PS2_PT2_iSB_SB_
	.globl	_Z39paged_attention_ll4mi_QKV_mfma16_kernelIDF16_hLN4vllm18Fp8KVCacheDataTypeE1EhLi32ELi128ELi256ELb0ELi13EEvPKT_PKT0_S7_ifPKiS9_S9_iPKfiiiPfSC_PS2_PT2_iSB_SB_
	.p2align	8
	.type	_Z39paged_attention_ll4mi_QKV_mfma16_kernelIDF16_hLN4vllm18Fp8KVCacheDataTypeE1EhLi32ELi128ELi256ELb0ELi13EEvPKT_PKT0_S7_ifPKiS9_S9_iPKfiiiPfSC_PS2_PT2_iSB_SB_,@function
_Z39paged_attention_ll4mi_QKV_mfma16_kernelIDF16_hLN4vllm18Fp8KVCacheDataTypeE1EhLi32ELi128ELi256ELb0ELi13EEvPKT_PKT0_S7_ifPKiS9_S9_iPKfiiiPfSC_PS2_PT2_iSB_SB_: ; @_Z39paged_attention_ll4mi_QKV_mfma16_kernelIDF16_hLN4vllm18Fp8KVCacheDataTypeE1EhLi32ELi128ELi256ELb0ELi13EEvPKT_PKT0_S7_ifPKiS9_S9_iPKfiiiPfSC_PS2_PT2_iSB_SB_
; %bb.0:
	s_get_pc_i64 s[2:3]
	s_add_nc_u64 s[2:3], s[2:3], __PRETTY_FUNCTION__._Z39paged_attention_ll4mi_QKV_mfma16_kernelIDF16_hLN4vllm18Fp8KVCacheDataTypeE1EhLi32ELi128ELi256ELb0ELi13EEvPKT_PKT0_S7_ifPKiS9_S9_iPKfiiiPfSC_PS2_PT2_iSB_SB_@rel64+4
	s_delay_alu instid0(SALU_CYCLE_1)
	v_dual_mov_b32 v0, 0xbb3 :: v_dual_mov_b32 v1, s2
	v_mov_b32_e32 v2, s3
	s_add_nc_u64 s[8:9], s[0:1], 0x90
	s_get_pc_i64 s[0:1]
	s_add_nc_u64 s[0:1], s[0:1], __assert_fail@rel64+4
	s_mov_b32 s32, 0
	s_swap_pc_i64 s[30:31], s[0:1]
	.section	.rodata,"a",@progbits
	.p2align	6, 0x0
	.amdhsa_kernel _Z39paged_attention_ll4mi_QKV_mfma16_kernelIDF16_hLN4vllm18Fp8KVCacheDataTypeE1EhLi32ELi128ELi256ELb0ELi13EEvPKT_PKT0_S7_ifPKiS9_S9_iPKfiiiPfSC_PS2_PT2_iSB_SB_
		.amdhsa_group_segment_fixed_size 0
		.amdhsa_private_segment_fixed_size 64
		.amdhsa_kernarg_size 400
		.amdhsa_user_sgpr_count 2
		.amdhsa_user_sgpr_dispatch_ptr 0
		.amdhsa_user_sgpr_queue_ptr 0
		.amdhsa_user_sgpr_kernarg_segment_ptr 1
		.amdhsa_user_sgpr_dispatch_id 0
		.amdhsa_user_sgpr_kernarg_preload_length 0
		.amdhsa_user_sgpr_kernarg_preload_offset 0
		.amdhsa_user_sgpr_private_segment_size 0
		.amdhsa_wavefront_size32 1
		.amdhsa_uses_dynamic_stack 0
		.amdhsa_enable_private_segment 1
		.amdhsa_system_sgpr_workgroup_id_x 1
		.amdhsa_system_sgpr_workgroup_id_y 0
		.amdhsa_system_sgpr_workgroup_id_z 0
		.amdhsa_system_sgpr_workgroup_info 0
		.amdhsa_system_vgpr_workitem_id 0
		.amdhsa_next_free_vgpr 51
		.amdhsa_next_free_sgpr 34
		.amdhsa_named_barrier_count 0
		.amdhsa_reserve_vcc 1
		.amdhsa_float_round_mode_32 0
		.amdhsa_float_round_mode_16_64 0
		.amdhsa_float_denorm_mode_32 3
		.amdhsa_float_denorm_mode_16_64 3
		.amdhsa_fp16_overflow 0
		.amdhsa_memory_ordered 1
		.amdhsa_forward_progress 1
		.amdhsa_inst_pref_size 1
		.amdhsa_round_robin_scheduling 0
		.amdhsa_exception_fp_ieee_invalid_op 0
		.amdhsa_exception_fp_denorm_src 0
		.amdhsa_exception_fp_ieee_div_zero 0
		.amdhsa_exception_fp_ieee_overflow 0
		.amdhsa_exception_fp_ieee_underflow 0
		.amdhsa_exception_fp_ieee_inexact 0
		.amdhsa_exception_int_div_zero 0
	.end_amdhsa_kernel
	.section	.text._Z39paged_attention_ll4mi_QKV_mfma16_kernelIDF16_hLN4vllm18Fp8KVCacheDataTypeE1EhLi32ELi128ELi256ELb0ELi13EEvPKT_PKT0_S7_ifPKiS9_S9_iPKfiiiPfSC_PS2_PT2_iSB_SB_,"axG",@progbits,_Z39paged_attention_ll4mi_QKV_mfma16_kernelIDF16_hLN4vllm18Fp8KVCacheDataTypeE1EhLi32ELi128ELi256ELb0ELi13EEvPKT_PKT0_S7_ifPKiS9_S9_iPKfiiiPfSC_PS2_PT2_iSB_SB_,comdat
.Lfunc_end1042:
	.size	_Z39paged_attention_ll4mi_QKV_mfma16_kernelIDF16_hLN4vllm18Fp8KVCacheDataTypeE1EhLi32ELi128ELi256ELb0ELi13EEvPKT_PKT0_S7_ifPKiS9_S9_iPKfiiiPfSC_PS2_PT2_iSB_SB_, .Lfunc_end1042-_Z39paged_attention_ll4mi_QKV_mfma16_kernelIDF16_hLN4vllm18Fp8KVCacheDataTypeE1EhLi32ELi128ELi256ELb0ELi13EEvPKT_PKT0_S7_ifPKiS9_S9_iPKfiiiPfSC_PS2_PT2_iSB_SB_
                                        ; -- End function
	.set _Z39paged_attention_ll4mi_QKV_mfma16_kernelIDF16_hLN4vllm18Fp8KVCacheDataTypeE1EhLi32ELi128ELi256ELb0ELi13EEvPKT_PKT0_S7_ifPKiS9_S9_iPKfiiiPfSC_PS2_PT2_iSB_SB_.num_vgpr, max(3, .L__assert_fail.num_vgpr)
	.set _Z39paged_attention_ll4mi_QKV_mfma16_kernelIDF16_hLN4vllm18Fp8KVCacheDataTypeE1EhLi32ELi128ELi256ELb0ELi13EEvPKT_PKT0_S7_ifPKiS9_S9_iPKfiiiPfSC_PS2_PT2_iSB_SB_.num_agpr, max(0, .L__assert_fail.num_agpr)
	.set _Z39paged_attention_ll4mi_QKV_mfma16_kernelIDF16_hLN4vllm18Fp8KVCacheDataTypeE1EhLi32ELi128ELi256ELb0ELi13EEvPKT_PKT0_S7_ifPKiS9_S9_iPKfiiiPfSC_PS2_PT2_iSB_SB_.numbered_sgpr, max(33, .L__assert_fail.numbered_sgpr)
	.set _Z39paged_attention_ll4mi_QKV_mfma16_kernelIDF16_hLN4vllm18Fp8KVCacheDataTypeE1EhLi32ELi128ELi256ELb0ELi13EEvPKT_PKT0_S7_ifPKiS9_S9_iPKfiiiPfSC_PS2_PT2_iSB_SB_.num_named_barrier, max(0, .L__assert_fail.num_named_barrier)
	.set _Z39paged_attention_ll4mi_QKV_mfma16_kernelIDF16_hLN4vllm18Fp8KVCacheDataTypeE1EhLi32ELi128ELi256ELb0ELi13EEvPKT_PKT0_S7_ifPKiS9_S9_iPKfiiiPfSC_PS2_PT2_iSB_SB_.private_seg_size, 0+max(.L__assert_fail.private_seg_size)
	.set _Z39paged_attention_ll4mi_QKV_mfma16_kernelIDF16_hLN4vllm18Fp8KVCacheDataTypeE1EhLi32ELi128ELi256ELb0ELi13EEvPKT_PKT0_S7_ifPKiS9_S9_iPKfiiiPfSC_PS2_PT2_iSB_SB_.uses_vcc, or(1, .L__assert_fail.uses_vcc)
	.set _Z39paged_attention_ll4mi_QKV_mfma16_kernelIDF16_hLN4vllm18Fp8KVCacheDataTypeE1EhLi32ELi128ELi256ELb0ELi13EEvPKT_PKT0_S7_ifPKiS9_S9_iPKfiiiPfSC_PS2_PT2_iSB_SB_.uses_flat_scratch, or(0, .L__assert_fail.uses_flat_scratch)
	.set _Z39paged_attention_ll4mi_QKV_mfma16_kernelIDF16_hLN4vllm18Fp8KVCacheDataTypeE1EhLi32ELi128ELi256ELb0ELi13EEvPKT_PKT0_S7_ifPKiS9_S9_iPKfiiiPfSC_PS2_PT2_iSB_SB_.has_dyn_sized_stack, or(0, .L__assert_fail.has_dyn_sized_stack)
	.set _Z39paged_attention_ll4mi_QKV_mfma16_kernelIDF16_hLN4vllm18Fp8KVCacheDataTypeE1EhLi32ELi128ELi256ELb0ELi13EEvPKT_PKT0_S7_ifPKiS9_S9_iPKfiiiPfSC_PS2_PT2_iSB_SB_.has_recursion, or(0, .L__assert_fail.has_recursion)
	.set _Z39paged_attention_ll4mi_QKV_mfma16_kernelIDF16_hLN4vllm18Fp8KVCacheDataTypeE1EhLi32ELi128ELi256ELb0ELi13EEvPKT_PKT0_S7_ifPKiS9_S9_iPKfiiiPfSC_PS2_PT2_iSB_SB_.has_indirect_call, or(0, .L__assert_fail.has_indirect_call)
	.section	.AMDGPU.csdata,"",@progbits
; Kernel info:
; codeLenInByte = 68
; TotalNumSgprs: 36
; NumVgprs: 51
; ScratchSize: 64
; MemoryBound: 0
; FloatMode: 240
; IeeeMode: 1
; LDSByteSize: 0 bytes/workgroup (compile time only)
; SGPRBlocks: 0
; VGPRBlocks: 3
; NumSGPRsForWavesPerEU: 36
; NumVGPRsForWavesPerEU: 51
; NamedBarCnt: 0
; Occupancy: 16
; WaveLimiterHint : 1
; COMPUTE_PGM_RSRC2:SCRATCH_EN: 1
; COMPUTE_PGM_RSRC2:USER_SGPR: 2
; COMPUTE_PGM_RSRC2:TRAP_HANDLER: 0
; COMPUTE_PGM_RSRC2:TGID_X_EN: 1
; COMPUTE_PGM_RSRC2:TGID_Y_EN: 0
; COMPUTE_PGM_RSRC2:TGID_Z_EN: 0
; COMPUTE_PGM_RSRC2:TIDIG_COMP_CNT: 0
	.section	.text._Z39paged_attention_ll4mi_QKV_mfma16_kernelIDF16_hLN4vllm18Fp8KVCacheDataTypeE1EhLi32ELi128ELi256ELb0ELi14EEvPKT_PKT0_S7_ifPKiS9_S9_iPKfiiiPfSC_PS2_PT2_iSB_SB_,"axG",@progbits,_Z39paged_attention_ll4mi_QKV_mfma16_kernelIDF16_hLN4vllm18Fp8KVCacheDataTypeE1EhLi32ELi128ELi256ELb0ELi14EEvPKT_PKT0_S7_ifPKiS9_S9_iPKfiiiPfSC_PS2_PT2_iSB_SB_,comdat
	.protected	_Z39paged_attention_ll4mi_QKV_mfma16_kernelIDF16_hLN4vllm18Fp8KVCacheDataTypeE1EhLi32ELi128ELi256ELb0ELi14EEvPKT_PKT0_S7_ifPKiS9_S9_iPKfiiiPfSC_PS2_PT2_iSB_SB_ ; -- Begin function _Z39paged_attention_ll4mi_QKV_mfma16_kernelIDF16_hLN4vllm18Fp8KVCacheDataTypeE1EhLi32ELi128ELi256ELb0ELi14EEvPKT_PKT0_S7_ifPKiS9_S9_iPKfiiiPfSC_PS2_PT2_iSB_SB_
	.globl	_Z39paged_attention_ll4mi_QKV_mfma16_kernelIDF16_hLN4vllm18Fp8KVCacheDataTypeE1EhLi32ELi128ELi256ELb0ELi14EEvPKT_PKT0_S7_ifPKiS9_S9_iPKfiiiPfSC_PS2_PT2_iSB_SB_
	.p2align	8
	.type	_Z39paged_attention_ll4mi_QKV_mfma16_kernelIDF16_hLN4vllm18Fp8KVCacheDataTypeE1EhLi32ELi128ELi256ELb0ELi14EEvPKT_PKT0_S7_ifPKiS9_S9_iPKfiiiPfSC_PS2_PT2_iSB_SB_,@function
_Z39paged_attention_ll4mi_QKV_mfma16_kernelIDF16_hLN4vllm18Fp8KVCacheDataTypeE1EhLi32ELi128ELi256ELb0ELi14EEvPKT_PKT0_S7_ifPKiS9_S9_iPKfiiiPfSC_PS2_PT2_iSB_SB_: ; @_Z39paged_attention_ll4mi_QKV_mfma16_kernelIDF16_hLN4vllm18Fp8KVCacheDataTypeE1EhLi32ELi128ELi256ELb0ELi14EEvPKT_PKT0_S7_ifPKiS9_S9_iPKfiiiPfSC_PS2_PT2_iSB_SB_
; %bb.0:
	s_get_pc_i64 s[2:3]
	s_add_nc_u64 s[2:3], s[2:3], __PRETTY_FUNCTION__._Z39paged_attention_ll4mi_QKV_mfma16_kernelIDF16_hLN4vllm18Fp8KVCacheDataTypeE1EhLi32ELi128ELi256ELb0ELi14EEvPKT_PKT0_S7_ifPKiS9_S9_iPKfiiiPfSC_PS2_PT2_iSB_SB_@rel64+4
	s_delay_alu instid0(SALU_CYCLE_1)
	v_dual_mov_b32 v0, 0xbb3 :: v_dual_mov_b32 v1, s2
	v_mov_b32_e32 v2, s3
	s_add_nc_u64 s[8:9], s[0:1], 0x90
	s_get_pc_i64 s[0:1]
	s_add_nc_u64 s[0:1], s[0:1], __assert_fail@rel64+4
	s_mov_b32 s32, 0
	s_swap_pc_i64 s[30:31], s[0:1]
	.section	.rodata,"a",@progbits
	.p2align	6, 0x0
	.amdhsa_kernel _Z39paged_attention_ll4mi_QKV_mfma16_kernelIDF16_hLN4vllm18Fp8KVCacheDataTypeE1EhLi32ELi128ELi256ELb0ELi14EEvPKT_PKT0_S7_ifPKiS9_S9_iPKfiiiPfSC_PS2_PT2_iSB_SB_
		.amdhsa_group_segment_fixed_size 0
		.amdhsa_private_segment_fixed_size 64
		.amdhsa_kernarg_size 400
		.amdhsa_user_sgpr_count 2
		.amdhsa_user_sgpr_dispatch_ptr 0
		.amdhsa_user_sgpr_queue_ptr 0
		.amdhsa_user_sgpr_kernarg_segment_ptr 1
		.amdhsa_user_sgpr_dispatch_id 0
		.amdhsa_user_sgpr_kernarg_preload_length 0
		.amdhsa_user_sgpr_kernarg_preload_offset 0
		.amdhsa_user_sgpr_private_segment_size 0
		.amdhsa_wavefront_size32 1
		.amdhsa_uses_dynamic_stack 0
		.amdhsa_enable_private_segment 1
		.amdhsa_system_sgpr_workgroup_id_x 1
		.amdhsa_system_sgpr_workgroup_id_y 0
		.amdhsa_system_sgpr_workgroup_id_z 0
		.amdhsa_system_sgpr_workgroup_info 0
		.amdhsa_system_vgpr_workitem_id 0
		.amdhsa_next_free_vgpr 51
		.amdhsa_next_free_sgpr 34
		.amdhsa_named_barrier_count 0
		.amdhsa_reserve_vcc 1
		.amdhsa_float_round_mode_32 0
		.amdhsa_float_round_mode_16_64 0
		.amdhsa_float_denorm_mode_32 3
		.amdhsa_float_denorm_mode_16_64 3
		.amdhsa_fp16_overflow 0
		.amdhsa_memory_ordered 1
		.amdhsa_forward_progress 1
		.amdhsa_inst_pref_size 1
		.amdhsa_round_robin_scheduling 0
		.amdhsa_exception_fp_ieee_invalid_op 0
		.amdhsa_exception_fp_denorm_src 0
		.amdhsa_exception_fp_ieee_div_zero 0
		.amdhsa_exception_fp_ieee_overflow 0
		.amdhsa_exception_fp_ieee_underflow 0
		.amdhsa_exception_fp_ieee_inexact 0
		.amdhsa_exception_int_div_zero 0
	.end_amdhsa_kernel
	.section	.text._Z39paged_attention_ll4mi_QKV_mfma16_kernelIDF16_hLN4vllm18Fp8KVCacheDataTypeE1EhLi32ELi128ELi256ELb0ELi14EEvPKT_PKT0_S7_ifPKiS9_S9_iPKfiiiPfSC_PS2_PT2_iSB_SB_,"axG",@progbits,_Z39paged_attention_ll4mi_QKV_mfma16_kernelIDF16_hLN4vllm18Fp8KVCacheDataTypeE1EhLi32ELi128ELi256ELb0ELi14EEvPKT_PKT0_S7_ifPKiS9_S9_iPKfiiiPfSC_PS2_PT2_iSB_SB_,comdat
.Lfunc_end1043:
	.size	_Z39paged_attention_ll4mi_QKV_mfma16_kernelIDF16_hLN4vllm18Fp8KVCacheDataTypeE1EhLi32ELi128ELi256ELb0ELi14EEvPKT_PKT0_S7_ifPKiS9_S9_iPKfiiiPfSC_PS2_PT2_iSB_SB_, .Lfunc_end1043-_Z39paged_attention_ll4mi_QKV_mfma16_kernelIDF16_hLN4vllm18Fp8KVCacheDataTypeE1EhLi32ELi128ELi256ELb0ELi14EEvPKT_PKT0_S7_ifPKiS9_S9_iPKfiiiPfSC_PS2_PT2_iSB_SB_
                                        ; -- End function
	.set _Z39paged_attention_ll4mi_QKV_mfma16_kernelIDF16_hLN4vllm18Fp8KVCacheDataTypeE1EhLi32ELi128ELi256ELb0ELi14EEvPKT_PKT0_S7_ifPKiS9_S9_iPKfiiiPfSC_PS2_PT2_iSB_SB_.num_vgpr, max(3, .L__assert_fail.num_vgpr)
	.set _Z39paged_attention_ll4mi_QKV_mfma16_kernelIDF16_hLN4vllm18Fp8KVCacheDataTypeE1EhLi32ELi128ELi256ELb0ELi14EEvPKT_PKT0_S7_ifPKiS9_S9_iPKfiiiPfSC_PS2_PT2_iSB_SB_.num_agpr, max(0, .L__assert_fail.num_agpr)
	.set _Z39paged_attention_ll4mi_QKV_mfma16_kernelIDF16_hLN4vllm18Fp8KVCacheDataTypeE1EhLi32ELi128ELi256ELb0ELi14EEvPKT_PKT0_S7_ifPKiS9_S9_iPKfiiiPfSC_PS2_PT2_iSB_SB_.numbered_sgpr, max(33, .L__assert_fail.numbered_sgpr)
	.set _Z39paged_attention_ll4mi_QKV_mfma16_kernelIDF16_hLN4vllm18Fp8KVCacheDataTypeE1EhLi32ELi128ELi256ELb0ELi14EEvPKT_PKT0_S7_ifPKiS9_S9_iPKfiiiPfSC_PS2_PT2_iSB_SB_.num_named_barrier, max(0, .L__assert_fail.num_named_barrier)
	.set _Z39paged_attention_ll4mi_QKV_mfma16_kernelIDF16_hLN4vllm18Fp8KVCacheDataTypeE1EhLi32ELi128ELi256ELb0ELi14EEvPKT_PKT0_S7_ifPKiS9_S9_iPKfiiiPfSC_PS2_PT2_iSB_SB_.private_seg_size, 0+max(.L__assert_fail.private_seg_size)
	.set _Z39paged_attention_ll4mi_QKV_mfma16_kernelIDF16_hLN4vllm18Fp8KVCacheDataTypeE1EhLi32ELi128ELi256ELb0ELi14EEvPKT_PKT0_S7_ifPKiS9_S9_iPKfiiiPfSC_PS2_PT2_iSB_SB_.uses_vcc, or(1, .L__assert_fail.uses_vcc)
	.set _Z39paged_attention_ll4mi_QKV_mfma16_kernelIDF16_hLN4vllm18Fp8KVCacheDataTypeE1EhLi32ELi128ELi256ELb0ELi14EEvPKT_PKT0_S7_ifPKiS9_S9_iPKfiiiPfSC_PS2_PT2_iSB_SB_.uses_flat_scratch, or(0, .L__assert_fail.uses_flat_scratch)
	.set _Z39paged_attention_ll4mi_QKV_mfma16_kernelIDF16_hLN4vllm18Fp8KVCacheDataTypeE1EhLi32ELi128ELi256ELb0ELi14EEvPKT_PKT0_S7_ifPKiS9_S9_iPKfiiiPfSC_PS2_PT2_iSB_SB_.has_dyn_sized_stack, or(0, .L__assert_fail.has_dyn_sized_stack)
	.set _Z39paged_attention_ll4mi_QKV_mfma16_kernelIDF16_hLN4vllm18Fp8KVCacheDataTypeE1EhLi32ELi128ELi256ELb0ELi14EEvPKT_PKT0_S7_ifPKiS9_S9_iPKfiiiPfSC_PS2_PT2_iSB_SB_.has_recursion, or(0, .L__assert_fail.has_recursion)
	.set _Z39paged_attention_ll4mi_QKV_mfma16_kernelIDF16_hLN4vllm18Fp8KVCacheDataTypeE1EhLi32ELi128ELi256ELb0ELi14EEvPKT_PKT0_S7_ifPKiS9_S9_iPKfiiiPfSC_PS2_PT2_iSB_SB_.has_indirect_call, or(0, .L__assert_fail.has_indirect_call)
	.section	.AMDGPU.csdata,"",@progbits
; Kernel info:
; codeLenInByte = 68
; TotalNumSgprs: 36
; NumVgprs: 51
; ScratchSize: 64
; MemoryBound: 0
; FloatMode: 240
; IeeeMode: 1
; LDSByteSize: 0 bytes/workgroup (compile time only)
; SGPRBlocks: 0
; VGPRBlocks: 3
; NumSGPRsForWavesPerEU: 36
; NumVGPRsForWavesPerEU: 51
; NamedBarCnt: 0
; Occupancy: 16
; WaveLimiterHint : 1
; COMPUTE_PGM_RSRC2:SCRATCH_EN: 1
; COMPUTE_PGM_RSRC2:USER_SGPR: 2
; COMPUTE_PGM_RSRC2:TRAP_HANDLER: 0
; COMPUTE_PGM_RSRC2:TGID_X_EN: 1
; COMPUTE_PGM_RSRC2:TGID_Y_EN: 0
; COMPUTE_PGM_RSRC2:TGID_Z_EN: 0
; COMPUTE_PGM_RSRC2:TIDIG_COMP_CNT: 0
	.section	.text._Z39paged_attention_ll4mi_QKV_mfma16_kernelIDF16_hLN4vllm18Fp8KVCacheDataTypeE1EhLi32ELi128ELi256ELb0ELi15EEvPKT_PKT0_S7_ifPKiS9_S9_iPKfiiiPfSC_PS2_PT2_iSB_SB_,"axG",@progbits,_Z39paged_attention_ll4mi_QKV_mfma16_kernelIDF16_hLN4vllm18Fp8KVCacheDataTypeE1EhLi32ELi128ELi256ELb0ELi15EEvPKT_PKT0_S7_ifPKiS9_S9_iPKfiiiPfSC_PS2_PT2_iSB_SB_,comdat
	.protected	_Z39paged_attention_ll4mi_QKV_mfma16_kernelIDF16_hLN4vllm18Fp8KVCacheDataTypeE1EhLi32ELi128ELi256ELb0ELi15EEvPKT_PKT0_S7_ifPKiS9_S9_iPKfiiiPfSC_PS2_PT2_iSB_SB_ ; -- Begin function _Z39paged_attention_ll4mi_QKV_mfma16_kernelIDF16_hLN4vllm18Fp8KVCacheDataTypeE1EhLi32ELi128ELi256ELb0ELi15EEvPKT_PKT0_S7_ifPKiS9_S9_iPKfiiiPfSC_PS2_PT2_iSB_SB_
	.globl	_Z39paged_attention_ll4mi_QKV_mfma16_kernelIDF16_hLN4vllm18Fp8KVCacheDataTypeE1EhLi32ELi128ELi256ELb0ELi15EEvPKT_PKT0_S7_ifPKiS9_S9_iPKfiiiPfSC_PS2_PT2_iSB_SB_
	.p2align	8
	.type	_Z39paged_attention_ll4mi_QKV_mfma16_kernelIDF16_hLN4vllm18Fp8KVCacheDataTypeE1EhLi32ELi128ELi256ELb0ELi15EEvPKT_PKT0_S7_ifPKiS9_S9_iPKfiiiPfSC_PS2_PT2_iSB_SB_,@function
_Z39paged_attention_ll4mi_QKV_mfma16_kernelIDF16_hLN4vllm18Fp8KVCacheDataTypeE1EhLi32ELi128ELi256ELb0ELi15EEvPKT_PKT0_S7_ifPKiS9_S9_iPKfiiiPfSC_PS2_PT2_iSB_SB_: ; @_Z39paged_attention_ll4mi_QKV_mfma16_kernelIDF16_hLN4vllm18Fp8KVCacheDataTypeE1EhLi32ELi128ELi256ELb0ELi15EEvPKT_PKT0_S7_ifPKiS9_S9_iPKfiiiPfSC_PS2_PT2_iSB_SB_
; %bb.0:
	s_get_pc_i64 s[2:3]
	s_add_nc_u64 s[2:3], s[2:3], __PRETTY_FUNCTION__._Z39paged_attention_ll4mi_QKV_mfma16_kernelIDF16_hLN4vllm18Fp8KVCacheDataTypeE1EhLi32ELi128ELi256ELb0ELi15EEvPKT_PKT0_S7_ifPKiS9_S9_iPKfiiiPfSC_PS2_PT2_iSB_SB_@rel64+4
	s_delay_alu instid0(SALU_CYCLE_1)
	v_dual_mov_b32 v0, 0xbb3 :: v_dual_mov_b32 v1, s2
	v_mov_b32_e32 v2, s3
	s_add_nc_u64 s[8:9], s[0:1], 0x90
	s_get_pc_i64 s[0:1]
	s_add_nc_u64 s[0:1], s[0:1], __assert_fail@rel64+4
	s_mov_b32 s32, 0
	s_swap_pc_i64 s[30:31], s[0:1]
	.section	.rodata,"a",@progbits
	.p2align	6, 0x0
	.amdhsa_kernel _Z39paged_attention_ll4mi_QKV_mfma16_kernelIDF16_hLN4vllm18Fp8KVCacheDataTypeE1EhLi32ELi128ELi256ELb0ELi15EEvPKT_PKT0_S7_ifPKiS9_S9_iPKfiiiPfSC_PS2_PT2_iSB_SB_
		.amdhsa_group_segment_fixed_size 0
		.amdhsa_private_segment_fixed_size 64
		.amdhsa_kernarg_size 400
		.amdhsa_user_sgpr_count 2
		.amdhsa_user_sgpr_dispatch_ptr 0
		.amdhsa_user_sgpr_queue_ptr 0
		.amdhsa_user_sgpr_kernarg_segment_ptr 1
		.amdhsa_user_sgpr_dispatch_id 0
		.amdhsa_user_sgpr_kernarg_preload_length 0
		.amdhsa_user_sgpr_kernarg_preload_offset 0
		.amdhsa_user_sgpr_private_segment_size 0
		.amdhsa_wavefront_size32 1
		.amdhsa_uses_dynamic_stack 0
		.amdhsa_enable_private_segment 1
		.amdhsa_system_sgpr_workgroup_id_x 1
		.amdhsa_system_sgpr_workgroup_id_y 0
		.amdhsa_system_sgpr_workgroup_id_z 0
		.amdhsa_system_sgpr_workgroup_info 0
		.amdhsa_system_vgpr_workitem_id 0
		.amdhsa_next_free_vgpr 51
		.amdhsa_next_free_sgpr 34
		.amdhsa_named_barrier_count 0
		.amdhsa_reserve_vcc 1
		.amdhsa_float_round_mode_32 0
		.amdhsa_float_round_mode_16_64 0
		.amdhsa_float_denorm_mode_32 3
		.amdhsa_float_denorm_mode_16_64 3
		.amdhsa_fp16_overflow 0
		.amdhsa_memory_ordered 1
		.amdhsa_forward_progress 1
		.amdhsa_inst_pref_size 1
		.amdhsa_round_robin_scheduling 0
		.amdhsa_exception_fp_ieee_invalid_op 0
		.amdhsa_exception_fp_denorm_src 0
		.amdhsa_exception_fp_ieee_div_zero 0
		.amdhsa_exception_fp_ieee_overflow 0
		.amdhsa_exception_fp_ieee_underflow 0
		.amdhsa_exception_fp_ieee_inexact 0
		.amdhsa_exception_int_div_zero 0
	.end_amdhsa_kernel
	.section	.text._Z39paged_attention_ll4mi_QKV_mfma16_kernelIDF16_hLN4vllm18Fp8KVCacheDataTypeE1EhLi32ELi128ELi256ELb0ELi15EEvPKT_PKT0_S7_ifPKiS9_S9_iPKfiiiPfSC_PS2_PT2_iSB_SB_,"axG",@progbits,_Z39paged_attention_ll4mi_QKV_mfma16_kernelIDF16_hLN4vllm18Fp8KVCacheDataTypeE1EhLi32ELi128ELi256ELb0ELi15EEvPKT_PKT0_S7_ifPKiS9_S9_iPKfiiiPfSC_PS2_PT2_iSB_SB_,comdat
.Lfunc_end1044:
	.size	_Z39paged_attention_ll4mi_QKV_mfma16_kernelIDF16_hLN4vllm18Fp8KVCacheDataTypeE1EhLi32ELi128ELi256ELb0ELi15EEvPKT_PKT0_S7_ifPKiS9_S9_iPKfiiiPfSC_PS2_PT2_iSB_SB_, .Lfunc_end1044-_Z39paged_attention_ll4mi_QKV_mfma16_kernelIDF16_hLN4vllm18Fp8KVCacheDataTypeE1EhLi32ELi128ELi256ELb0ELi15EEvPKT_PKT0_S7_ifPKiS9_S9_iPKfiiiPfSC_PS2_PT2_iSB_SB_
                                        ; -- End function
	.set _Z39paged_attention_ll4mi_QKV_mfma16_kernelIDF16_hLN4vllm18Fp8KVCacheDataTypeE1EhLi32ELi128ELi256ELb0ELi15EEvPKT_PKT0_S7_ifPKiS9_S9_iPKfiiiPfSC_PS2_PT2_iSB_SB_.num_vgpr, max(3, .L__assert_fail.num_vgpr)
	.set _Z39paged_attention_ll4mi_QKV_mfma16_kernelIDF16_hLN4vllm18Fp8KVCacheDataTypeE1EhLi32ELi128ELi256ELb0ELi15EEvPKT_PKT0_S7_ifPKiS9_S9_iPKfiiiPfSC_PS2_PT2_iSB_SB_.num_agpr, max(0, .L__assert_fail.num_agpr)
	.set _Z39paged_attention_ll4mi_QKV_mfma16_kernelIDF16_hLN4vllm18Fp8KVCacheDataTypeE1EhLi32ELi128ELi256ELb0ELi15EEvPKT_PKT0_S7_ifPKiS9_S9_iPKfiiiPfSC_PS2_PT2_iSB_SB_.numbered_sgpr, max(33, .L__assert_fail.numbered_sgpr)
	.set _Z39paged_attention_ll4mi_QKV_mfma16_kernelIDF16_hLN4vllm18Fp8KVCacheDataTypeE1EhLi32ELi128ELi256ELb0ELi15EEvPKT_PKT0_S7_ifPKiS9_S9_iPKfiiiPfSC_PS2_PT2_iSB_SB_.num_named_barrier, max(0, .L__assert_fail.num_named_barrier)
	.set _Z39paged_attention_ll4mi_QKV_mfma16_kernelIDF16_hLN4vllm18Fp8KVCacheDataTypeE1EhLi32ELi128ELi256ELb0ELi15EEvPKT_PKT0_S7_ifPKiS9_S9_iPKfiiiPfSC_PS2_PT2_iSB_SB_.private_seg_size, 0+max(.L__assert_fail.private_seg_size)
	.set _Z39paged_attention_ll4mi_QKV_mfma16_kernelIDF16_hLN4vllm18Fp8KVCacheDataTypeE1EhLi32ELi128ELi256ELb0ELi15EEvPKT_PKT0_S7_ifPKiS9_S9_iPKfiiiPfSC_PS2_PT2_iSB_SB_.uses_vcc, or(1, .L__assert_fail.uses_vcc)
	.set _Z39paged_attention_ll4mi_QKV_mfma16_kernelIDF16_hLN4vllm18Fp8KVCacheDataTypeE1EhLi32ELi128ELi256ELb0ELi15EEvPKT_PKT0_S7_ifPKiS9_S9_iPKfiiiPfSC_PS2_PT2_iSB_SB_.uses_flat_scratch, or(0, .L__assert_fail.uses_flat_scratch)
	.set _Z39paged_attention_ll4mi_QKV_mfma16_kernelIDF16_hLN4vllm18Fp8KVCacheDataTypeE1EhLi32ELi128ELi256ELb0ELi15EEvPKT_PKT0_S7_ifPKiS9_S9_iPKfiiiPfSC_PS2_PT2_iSB_SB_.has_dyn_sized_stack, or(0, .L__assert_fail.has_dyn_sized_stack)
	.set _Z39paged_attention_ll4mi_QKV_mfma16_kernelIDF16_hLN4vllm18Fp8KVCacheDataTypeE1EhLi32ELi128ELi256ELb0ELi15EEvPKT_PKT0_S7_ifPKiS9_S9_iPKfiiiPfSC_PS2_PT2_iSB_SB_.has_recursion, or(0, .L__assert_fail.has_recursion)
	.set _Z39paged_attention_ll4mi_QKV_mfma16_kernelIDF16_hLN4vllm18Fp8KVCacheDataTypeE1EhLi32ELi128ELi256ELb0ELi15EEvPKT_PKT0_S7_ifPKiS9_S9_iPKfiiiPfSC_PS2_PT2_iSB_SB_.has_indirect_call, or(0, .L__assert_fail.has_indirect_call)
	.section	.AMDGPU.csdata,"",@progbits
; Kernel info:
; codeLenInByte = 68
; TotalNumSgprs: 36
; NumVgprs: 51
; ScratchSize: 64
; MemoryBound: 0
; FloatMode: 240
; IeeeMode: 1
; LDSByteSize: 0 bytes/workgroup (compile time only)
; SGPRBlocks: 0
; VGPRBlocks: 3
; NumSGPRsForWavesPerEU: 36
; NumVGPRsForWavesPerEU: 51
; NamedBarCnt: 0
; Occupancy: 16
; WaveLimiterHint : 1
; COMPUTE_PGM_RSRC2:SCRATCH_EN: 1
; COMPUTE_PGM_RSRC2:USER_SGPR: 2
; COMPUTE_PGM_RSRC2:TRAP_HANDLER: 0
; COMPUTE_PGM_RSRC2:TGID_X_EN: 1
; COMPUTE_PGM_RSRC2:TGID_Y_EN: 0
; COMPUTE_PGM_RSRC2:TGID_Z_EN: 0
; COMPUTE_PGM_RSRC2:TIDIG_COMP_CNT: 0
	.section	.text._Z39paged_attention_ll4mi_QKV_mfma16_kernelIDF16_hLN4vllm18Fp8KVCacheDataTypeE1EhLi32ELi128ELi256ELb0ELi16EEvPKT_PKT0_S7_ifPKiS9_S9_iPKfiiiPfSC_PS2_PT2_iSB_SB_,"axG",@progbits,_Z39paged_attention_ll4mi_QKV_mfma16_kernelIDF16_hLN4vllm18Fp8KVCacheDataTypeE1EhLi32ELi128ELi256ELb0ELi16EEvPKT_PKT0_S7_ifPKiS9_S9_iPKfiiiPfSC_PS2_PT2_iSB_SB_,comdat
	.protected	_Z39paged_attention_ll4mi_QKV_mfma16_kernelIDF16_hLN4vllm18Fp8KVCacheDataTypeE1EhLi32ELi128ELi256ELb0ELi16EEvPKT_PKT0_S7_ifPKiS9_S9_iPKfiiiPfSC_PS2_PT2_iSB_SB_ ; -- Begin function _Z39paged_attention_ll4mi_QKV_mfma16_kernelIDF16_hLN4vllm18Fp8KVCacheDataTypeE1EhLi32ELi128ELi256ELb0ELi16EEvPKT_PKT0_S7_ifPKiS9_S9_iPKfiiiPfSC_PS2_PT2_iSB_SB_
	.globl	_Z39paged_attention_ll4mi_QKV_mfma16_kernelIDF16_hLN4vllm18Fp8KVCacheDataTypeE1EhLi32ELi128ELi256ELb0ELi16EEvPKT_PKT0_S7_ifPKiS9_S9_iPKfiiiPfSC_PS2_PT2_iSB_SB_
	.p2align	8
	.type	_Z39paged_attention_ll4mi_QKV_mfma16_kernelIDF16_hLN4vllm18Fp8KVCacheDataTypeE1EhLi32ELi128ELi256ELb0ELi16EEvPKT_PKT0_S7_ifPKiS9_S9_iPKfiiiPfSC_PS2_PT2_iSB_SB_,@function
_Z39paged_attention_ll4mi_QKV_mfma16_kernelIDF16_hLN4vllm18Fp8KVCacheDataTypeE1EhLi32ELi128ELi256ELb0ELi16EEvPKT_PKT0_S7_ifPKiS9_S9_iPKfiiiPfSC_PS2_PT2_iSB_SB_: ; @_Z39paged_attention_ll4mi_QKV_mfma16_kernelIDF16_hLN4vllm18Fp8KVCacheDataTypeE1EhLi32ELi128ELi256ELb0ELi16EEvPKT_PKT0_S7_ifPKiS9_S9_iPKfiiiPfSC_PS2_PT2_iSB_SB_
; %bb.0:
	s_get_pc_i64 s[2:3]
	s_add_nc_u64 s[2:3], s[2:3], __PRETTY_FUNCTION__._Z39paged_attention_ll4mi_QKV_mfma16_kernelIDF16_hLN4vllm18Fp8KVCacheDataTypeE1EhLi32ELi128ELi256ELb0ELi16EEvPKT_PKT0_S7_ifPKiS9_S9_iPKfiiiPfSC_PS2_PT2_iSB_SB_@rel64+4
	s_delay_alu instid0(SALU_CYCLE_1)
	v_dual_mov_b32 v0, 0xbb3 :: v_dual_mov_b32 v1, s2
	v_mov_b32_e32 v2, s3
	s_add_nc_u64 s[8:9], s[0:1], 0x90
	s_get_pc_i64 s[0:1]
	s_add_nc_u64 s[0:1], s[0:1], __assert_fail@rel64+4
	s_mov_b32 s32, 0
	s_swap_pc_i64 s[30:31], s[0:1]
	.section	.rodata,"a",@progbits
	.p2align	6, 0x0
	.amdhsa_kernel _Z39paged_attention_ll4mi_QKV_mfma16_kernelIDF16_hLN4vllm18Fp8KVCacheDataTypeE1EhLi32ELi128ELi256ELb0ELi16EEvPKT_PKT0_S7_ifPKiS9_S9_iPKfiiiPfSC_PS2_PT2_iSB_SB_
		.amdhsa_group_segment_fixed_size 0
		.amdhsa_private_segment_fixed_size 64
		.amdhsa_kernarg_size 400
		.amdhsa_user_sgpr_count 2
		.amdhsa_user_sgpr_dispatch_ptr 0
		.amdhsa_user_sgpr_queue_ptr 0
		.amdhsa_user_sgpr_kernarg_segment_ptr 1
		.amdhsa_user_sgpr_dispatch_id 0
		.amdhsa_user_sgpr_kernarg_preload_length 0
		.amdhsa_user_sgpr_kernarg_preload_offset 0
		.amdhsa_user_sgpr_private_segment_size 0
		.amdhsa_wavefront_size32 1
		.amdhsa_uses_dynamic_stack 0
		.amdhsa_enable_private_segment 1
		.amdhsa_system_sgpr_workgroup_id_x 1
		.amdhsa_system_sgpr_workgroup_id_y 0
		.amdhsa_system_sgpr_workgroup_id_z 0
		.amdhsa_system_sgpr_workgroup_info 0
		.amdhsa_system_vgpr_workitem_id 0
		.amdhsa_next_free_vgpr 51
		.amdhsa_next_free_sgpr 34
		.amdhsa_named_barrier_count 0
		.amdhsa_reserve_vcc 1
		.amdhsa_float_round_mode_32 0
		.amdhsa_float_round_mode_16_64 0
		.amdhsa_float_denorm_mode_32 3
		.amdhsa_float_denorm_mode_16_64 3
		.amdhsa_fp16_overflow 0
		.amdhsa_memory_ordered 1
		.amdhsa_forward_progress 1
		.amdhsa_inst_pref_size 1
		.amdhsa_round_robin_scheduling 0
		.amdhsa_exception_fp_ieee_invalid_op 0
		.amdhsa_exception_fp_denorm_src 0
		.amdhsa_exception_fp_ieee_div_zero 0
		.amdhsa_exception_fp_ieee_overflow 0
		.amdhsa_exception_fp_ieee_underflow 0
		.amdhsa_exception_fp_ieee_inexact 0
		.amdhsa_exception_int_div_zero 0
	.end_amdhsa_kernel
	.section	.text._Z39paged_attention_ll4mi_QKV_mfma16_kernelIDF16_hLN4vllm18Fp8KVCacheDataTypeE1EhLi32ELi128ELi256ELb0ELi16EEvPKT_PKT0_S7_ifPKiS9_S9_iPKfiiiPfSC_PS2_PT2_iSB_SB_,"axG",@progbits,_Z39paged_attention_ll4mi_QKV_mfma16_kernelIDF16_hLN4vllm18Fp8KVCacheDataTypeE1EhLi32ELi128ELi256ELb0ELi16EEvPKT_PKT0_S7_ifPKiS9_S9_iPKfiiiPfSC_PS2_PT2_iSB_SB_,comdat
.Lfunc_end1045:
	.size	_Z39paged_attention_ll4mi_QKV_mfma16_kernelIDF16_hLN4vllm18Fp8KVCacheDataTypeE1EhLi32ELi128ELi256ELb0ELi16EEvPKT_PKT0_S7_ifPKiS9_S9_iPKfiiiPfSC_PS2_PT2_iSB_SB_, .Lfunc_end1045-_Z39paged_attention_ll4mi_QKV_mfma16_kernelIDF16_hLN4vllm18Fp8KVCacheDataTypeE1EhLi32ELi128ELi256ELb0ELi16EEvPKT_PKT0_S7_ifPKiS9_S9_iPKfiiiPfSC_PS2_PT2_iSB_SB_
                                        ; -- End function
	.set _Z39paged_attention_ll4mi_QKV_mfma16_kernelIDF16_hLN4vllm18Fp8KVCacheDataTypeE1EhLi32ELi128ELi256ELb0ELi16EEvPKT_PKT0_S7_ifPKiS9_S9_iPKfiiiPfSC_PS2_PT2_iSB_SB_.num_vgpr, max(3, .L__assert_fail.num_vgpr)
	.set _Z39paged_attention_ll4mi_QKV_mfma16_kernelIDF16_hLN4vllm18Fp8KVCacheDataTypeE1EhLi32ELi128ELi256ELb0ELi16EEvPKT_PKT0_S7_ifPKiS9_S9_iPKfiiiPfSC_PS2_PT2_iSB_SB_.num_agpr, max(0, .L__assert_fail.num_agpr)
	.set _Z39paged_attention_ll4mi_QKV_mfma16_kernelIDF16_hLN4vllm18Fp8KVCacheDataTypeE1EhLi32ELi128ELi256ELb0ELi16EEvPKT_PKT0_S7_ifPKiS9_S9_iPKfiiiPfSC_PS2_PT2_iSB_SB_.numbered_sgpr, max(33, .L__assert_fail.numbered_sgpr)
	.set _Z39paged_attention_ll4mi_QKV_mfma16_kernelIDF16_hLN4vllm18Fp8KVCacheDataTypeE1EhLi32ELi128ELi256ELb0ELi16EEvPKT_PKT0_S7_ifPKiS9_S9_iPKfiiiPfSC_PS2_PT2_iSB_SB_.num_named_barrier, max(0, .L__assert_fail.num_named_barrier)
	.set _Z39paged_attention_ll4mi_QKV_mfma16_kernelIDF16_hLN4vllm18Fp8KVCacheDataTypeE1EhLi32ELi128ELi256ELb0ELi16EEvPKT_PKT0_S7_ifPKiS9_S9_iPKfiiiPfSC_PS2_PT2_iSB_SB_.private_seg_size, 0+max(.L__assert_fail.private_seg_size)
	.set _Z39paged_attention_ll4mi_QKV_mfma16_kernelIDF16_hLN4vllm18Fp8KVCacheDataTypeE1EhLi32ELi128ELi256ELb0ELi16EEvPKT_PKT0_S7_ifPKiS9_S9_iPKfiiiPfSC_PS2_PT2_iSB_SB_.uses_vcc, or(1, .L__assert_fail.uses_vcc)
	.set _Z39paged_attention_ll4mi_QKV_mfma16_kernelIDF16_hLN4vllm18Fp8KVCacheDataTypeE1EhLi32ELi128ELi256ELb0ELi16EEvPKT_PKT0_S7_ifPKiS9_S9_iPKfiiiPfSC_PS2_PT2_iSB_SB_.uses_flat_scratch, or(0, .L__assert_fail.uses_flat_scratch)
	.set _Z39paged_attention_ll4mi_QKV_mfma16_kernelIDF16_hLN4vllm18Fp8KVCacheDataTypeE1EhLi32ELi128ELi256ELb0ELi16EEvPKT_PKT0_S7_ifPKiS9_S9_iPKfiiiPfSC_PS2_PT2_iSB_SB_.has_dyn_sized_stack, or(0, .L__assert_fail.has_dyn_sized_stack)
	.set _Z39paged_attention_ll4mi_QKV_mfma16_kernelIDF16_hLN4vllm18Fp8KVCacheDataTypeE1EhLi32ELi128ELi256ELb0ELi16EEvPKT_PKT0_S7_ifPKiS9_S9_iPKfiiiPfSC_PS2_PT2_iSB_SB_.has_recursion, or(0, .L__assert_fail.has_recursion)
	.set _Z39paged_attention_ll4mi_QKV_mfma16_kernelIDF16_hLN4vllm18Fp8KVCacheDataTypeE1EhLi32ELi128ELi256ELb0ELi16EEvPKT_PKT0_S7_ifPKiS9_S9_iPKfiiiPfSC_PS2_PT2_iSB_SB_.has_indirect_call, or(0, .L__assert_fail.has_indirect_call)
	.section	.AMDGPU.csdata,"",@progbits
; Kernel info:
; codeLenInByte = 68
; TotalNumSgprs: 36
; NumVgprs: 51
; ScratchSize: 64
; MemoryBound: 0
; FloatMode: 240
; IeeeMode: 1
; LDSByteSize: 0 bytes/workgroup (compile time only)
; SGPRBlocks: 0
; VGPRBlocks: 3
; NumSGPRsForWavesPerEU: 36
; NumVGPRsForWavesPerEU: 51
; NamedBarCnt: 0
; Occupancy: 16
; WaveLimiterHint : 1
; COMPUTE_PGM_RSRC2:SCRATCH_EN: 1
; COMPUTE_PGM_RSRC2:USER_SGPR: 2
; COMPUTE_PGM_RSRC2:TRAP_HANDLER: 0
; COMPUTE_PGM_RSRC2:TGID_X_EN: 1
; COMPUTE_PGM_RSRC2:TGID_Y_EN: 0
; COMPUTE_PGM_RSRC2:TGID_Z_EN: 0
; COMPUTE_PGM_RSRC2:TIDIG_COMP_CNT: 0
	.section	.text._Z39paged_attention_ll4mi_QKV_mfma16_kernelIDF16_hLN4vllm18Fp8KVCacheDataTypeE1EhLi32ELi128ELi256ELb0ELi1EEvPKT_PKT0_S7_ifPKiS9_S9_iPKfiiiPfSC_PS2_PT2_iSB_SB_,"axG",@progbits,_Z39paged_attention_ll4mi_QKV_mfma16_kernelIDF16_hLN4vllm18Fp8KVCacheDataTypeE1EhLi32ELi128ELi256ELb0ELi1EEvPKT_PKT0_S7_ifPKiS9_S9_iPKfiiiPfSC_PS2_PT2_iSB_SB_,comdat
	.protected	_Z39paged_attention_ll4mi_QKV_mfma16_kernelIDF16_hLN4vllm18Fp8KVCacheDataTypeE1EhLi32ELi128ELi256ELb0ELi1EEvPKT_PKT0_S7_ifPKiS9_S9_iPKfiiiPfSC_PS2_PT2_iSB_SB_ ; -- Begin function _Z39paged_attention_ll4mi_QKV_mfma16_kernelIDF16_hLN4vllm18Fp8KVCacheDataTypeE1EhLi32ELi128ELi256ELb0ELi1EEvPKT_PKT0_S7_ifPKiS9_S9_iPKfiiiPfSC_PS2_PT2_iSB_SB_
	.globl	_Z39paged_attention_ll4mi_QKV_mfma16_kernelIDF16_hLN4vllm18Fp8KVCacheDataTypeE1EhLi32ELi128ELi256ELb0ELi1EEvPKT_PKT0_S7_ifPKiS9_S9_iPKfiiiPfSC_PS2_PT2_iSB_SB_
	.p2align	8
	.type	_Z39paged_attention_ll4mi_QKV_mfma16_kernelIDF16_hLN4vllm18Fp8KVCacheDataTypeE1EhLi32ELi128ELi256ELb0ELi1EEvPKT_PKT0_S7_ifPKiS9_S9_iPKfiiiPfSC_PS2_PT2_iSB_SB_,@function
_Z39paged_attention_ll4mi_QKV_mfma16_kernelIDF16_hLN4vllm18Fp8KVCacheDataTypeE1EhLi32ELi128ELi256ELb0ELi1EEvPKT_PKT0_S7_ifPKiS9_S9_iPKfiiiPfSC_PS2_PT2_iSB_SB_: ; @_Z39paged_attention_ll4mi_QKV_mfma16_kernelIDF16_hLN4vllm18Fp8KVCacheDataTypeE1EhLi32ELi128ELi256ELb0ELi1EEvPKT_PKT0_S7_ifPKiS9_S9_iPKfiiiPfSC_PS2_PT2_iSB_SB_
; %bb.0:
	s_get_pc_i64 s[2:3]
	s_add_nc_u64 s[2:3], s[2:3], __PRETTY_FUNCTION__._Z39paged_attention_ll4mi_QKV_mfma16_kernelIDF16_hLN4vllm18Fp8KVCacheDataTypeE1EhLi32ELi128ELi256ELb0ELi1EEvPKT_PKT0_S7_ifPKiS9_S9_iPKfiiiPfSC_PS2_PT2_iSB_SB_@rel64+4
	s_delay_alu instid0(SALU_CYCLE_1)
	v_dual_mov_b32 v0, 0xbb3 :: v_dual_mov_b32 v1, s2
	v_mov_b32_e32 v2, s3
	s_add_nc_u64 s[8:9], s[0:1], 0x90
	s_get_pc_i64 s[0:1]
	s_add_nc_u64 s[0:1], s[0:1], __assert_fail@rel64+4
	s_mov_b32 s32, 0
	s_swap_pc_i64 s[30:31], s[0:1]
	.section	.rodata,"a",@progbits
	.p2align	6, 0x0
	.amdhsa_kernel _Z39paged_attention_ll4mi_QKV_mfma16_kernelIDF16_hLN4vllm18Fp8KVCacheDataTypeE1EhLi32ELi128ELi256ELb0ELi1EEvPKT_PKT0_S7_ifPKiS9_S9_iPKfiiiPfSC_PS2_PT2_iSB_SB_
		.amdhsa_group_segment_fixed_size 0
		.amdhsa_private_segment_fixed_size 64
		.amdhsa_kernarg_size 400
		.amdhsa_user_sgpr_count 2
		.amdhsa_user_sgpr_dispatch_ptr 0
		.amdhsa_user_sgpr_queue_ptr 0
		.amdhsa_user_sgpr_kernarg_segment_ptr 1
		.amdhsa_user_sgpr_dispatch_id 0
		.amdhsa_user_sgpr_kernarg_preload_length 0
		.amdhsa_user_sgpr_kernarg_preload_offset 0
		.amdhsa_user_sgpr_private_segment_size 0
		.amdhsa_wavefront_size32 1
		.amdhsa_uses_dynamic_stack 0
		.amdhsa_enable_private_segment 1
		.amdhsa_system_sgpr_workgroup_id_x 1
		.amdhsa_system_sgpr_workgroup_id_y 0
		.amdhsa_system_sgpr_workgroup_id_z 0
		.amdhsa_system_sgpr_workgroup_info 0
		.amdhsa_system_vgpr_workitem_id 0
		.amdhsa_next_free_vgpr 51
		.amdhsa_next_free_sgpr 34
		.amdhsa_named_barrier_count 0
		.amdhsa_reserve_vcc 1
		.amdhsa_float_round_mode_32 0
		.amdhsa_float_round_mode_16_64 0
		.amdhsa_float_denorm_mode_32 3
		.amdhsa_float_denorm_mode_16_64 3
		.amdhsa_fp16_overflow 0
		.amdhsa_memory_ordered 1
		.amdhsa_forward_progress 1
		.amdhsa_inst_pref_size 1
		.amdhsa_round_robin_scheduling 0
		.amdhsa_exception_fp_ieee_invalid_op 0
		.amdhsa_exception_fp_denorm_src 0
		.amdhsa_exception_fp_ieee_div_zero 0
		.amdhsa_exception_fp_ieee_overflow 0
		.amdhsa_exception_fp_ieee_underflow 0
		.amdhsa_exception_fp_ieee_inexact 0
		.amdhsa_exception_int_div_zero 0
	.end_amdhsa_kernel
	.section	.text._Z39paged_attention_ll4mi_QKV_mfma16_kernelIDF16_hLN4vllm18Fp8KVCacheDataTypeE1EhLi32ELi128ELi256ELb0ELi1EEvPKT_PKT0_S7_ifPKiS9_S9_iPKfiiiPfSC_PS2_PT2_iSB_SB_,"axG",@progbits,_Z39paged_attention_ll4mi_QKV_mfma16_kernelIDF16_hLN4vllm18Fp8KVCacheDataTypeE1EhLi32ELi128ELi256ELb0ELi1EEvPKT_PKT0_S7_ifPKiS9_S9_iPKfiiiPfSC_PS2_PT2_iSB_SB_,comdat
.Lfunc_end1046:
	.size	_Z39paged_attention_ll4mi_QKV_mfma16_kernelIDF16_hLN4vllm18Fp8KVCacheDataTypeE1EhLi32ELi128ELi256ELb0ELi1EEvPKT_PKT0_S7_ifPKiS9_S9_iPKfiiiPfSC_PS2_PT2_iSB_SB_, .Lfunc_end1046-_Z39paged_attention_ll4mi_QKV_mfma16_kernelIDF16_hLN4vllm18Fp8KVCacheDataTypeE1EhLi32ELi128ELi256ELb0ELi1EEvPKT_PKT0_S7_ifPKiS9_S9_iPKfiiiPfSC_PS2_PT2_iSB_SB_
                                        ; -- End function
	.set _Z39paged_attention_ll4mi_QKV_mfma16_kernelIDF16_hLN4vllm18Fp8KVCacheDataTypeE1EhLi32ELi128ELi256ELb0ELi1EEvPKT_PKT0_S7_ifPKiS9_S9_iPKfiiiPfSC_PS2_PT2_iSB_SB_.num_vgpr, max(3, .L__assert_fail.num_vgpr)
	.set _Z39paged_attention_ll4mi_QKV_mfma16_kernelIDF16_hLN4vllm18Fp8KVCacheDataTypeE1EhLi32ELi128ELi256ELb0ELi1EEvPKT_PKT0_S7_ifPKiS9_S9_iPKfiiiPfSC_PS2_PT2_iSB_SB_.num_agpr, max(0, .L__assert_fail.num_agpr)
	.set _Z39paged_attention_ll4mi_QKV_mfma16_kernelIDF16_hLN4vllm18Fp8KVCacheDataTypeE1EhLi32ELi128ELi256ELb0ELi1EEvPKT_PKT0_S7_ifPKiS9_S9_iPKfiiiPfSC_PS2_PT2_iSB_SB_.numbered_sgpr, max(33, .L__assert_fail.numbered_sgpr)
	.set _Z39paged_attention_ll4mi_QKV_mfma16_kernelIDF16_hLN4vllm18Fp8KVCacheDataTypeE1EhLi32ELi128ELi256ELb0ELi1EEvPKT_PKT0_S7_ifPKiS9_S9_iPKfiiiPfSC_PS2_PT2_iSB_SB_.num_named_barrier, max(0, .L__assert_fail.num_named_barrier)
	.set _Z39paged_attention_ll4mi_QKV_mfma16_kernelIDF16_hLN4vllm18Fp8KVCacheDataTypeE1EhLi32ELi128ELi256ELb0ELi1EEvPKT_PKT0_S7_ifPKiS9_S9_iPKfiiiPfSC_PS2_PT2_iSB_SB_.private_seg_size, 0+max(.L__assert_fail.private_seg_size)
	.set _Z39paged_attention_ll4mi_QKV_mfma16_kernelIDF16_hLN4vllm18Fp8KVCacheDataTypeE1EhLi32ELi128ELi256ELb0ELi1EEvPKT_PKT0_S7_ifPKiS9_S9_iPKfiiiPfSC_PS2_PT2_iSB_SB_.uses_vcc, or(1, .L__assert_fail.uses_vcc)
	.set _Z39paged_attention_ll4mi_QKV_mfma16_kernelIDF16_hLN4vllm18Fp8KVCacheDataTypeE1EhLi32ELi128ELi256ELb0ELi1EEvPKT_PKT0_S7_ifPKiS9_S9_iPKfiiiPfSC_PS2_PT2_iSB_SB_.uses_flat_scratch, or(0, .L__assert_fail.uses_flat_scratch)
	.set _Z39paged_attention_ll4mi_QKV_mfma16_kernelIDF16_hLN4vllm18Fp8KVCacheDataTypeE1EhLi32ELi128ELi256ELb0ELi1EEvPKT_PKT0_S7_ifPKiS9_S9_iPKfiiiPfSC_PS2_PT2_iSB_SB_.has_dyn_sized_stack, or(0, .L__assert_fail.has_dyn_sized_stack)
	.set _Z39paged_attention_ll4mi_QKV_mfma16_kernelIDF16_hLN4vllm18Fp8KVCacheDataTypeE1EhLi32ELi128ELi256ELb0ELi1EEvPKT_PKT0_S7_ifPKiS9_S9_iPKfiiiPfSC_PS2_PT2_iSB_SB_.has_recursion, or(0, .L__assert_fail.has_recursion)
	.set _Z39paged_attention_ll4mi_QKV_mfma16_kernelIDF16_hLN4vllm18Fp8KVCacheDataTypeE1EhLi32ELi128ELi256ELb0ELi1EEvPKT_PKT0_S7_ifPKiS9_S9_iPKfiiiPfSC_PS2_PT2_iSB_SB_.has_indirect_call, or(0, .L__assert_fail.has_indirect_call)
	.section	.AMDGPU.csdata,"",@progbits
; Kernel info:
; codeLenInByte = 68
; TotalNumSgprs: 36
; NumVgprs: 51
; ScratchSize: 64
; MemoryBound: 0
; FloatMode: 240
; IeeeMode: 1
; LDSByteSize: 0 bytes/workgroup (compile time only)
; SGPRBlocks: 0
; VGPRBlocks: 3
; NumSGPRsForWavesPerEU: 36
; NumVGPRsForWavesPerEU: 51
; NamedBarCnt: 0
; Occupancy: 16
; WaveLimiterHint : 1
; COMPUTE_PGM_RSRC2:SCRATCH_EN: 1
; COMPUTE_PGM_RSRC2:USER_SGPR: 2
; COMPUTE_PGM_RSRC2:TRAP_HANDLER: 0
; COMPUTE_PGM_RSRC2:TGID_X_EN: 1
; COMPUTE_PGM_RSRC2:TGID_Y_EN: 0
; COMPUTE_PGM_RSRC2:TGID_Z_EN: 0
; COMPUTE_PGM_RSRC2:TIDIG_COMP_CNT: 0
	.section	.text._Z39paged_attention_ll4mi_QKV_mfma16_kernelIDF16_hLN4vllm18Fp8KVCacheDataTypeE1EhLi32ELi128ELi256ELb0ELi2EEvPKT_PKT0_S7_ifPKiS9_S9_iPKfiiiPfSC_PS2_PT2_iSB_SB_,"axG",@progbits,_Z39paged_attention_ll4mi_QKV_mfma16_kernelIDF16_hLN4vllm18Fp8KVCacheDataTypeE1EhLi32ELi128ELi256ELb0ELi2EEvPKT_PKT0_S7_ifPKiS9_S9_iPKfiiiPfSC_PS2_PT2_iSB_SB_,comdat
	.protected	_Z39paged_attention_ll4mi_QKV_mfma16_kernelIDF16_hLN4vllm18Fp8KVCacheDataTypeE1EhLi32ELi128ELi256ELb0ELi2EEvPKT_PKT0_S7_ifPKiS9_S9_iPKfiiiPfSC_PS2_PT2_iSB_SB_ ; -- Begin function _Z39paged_attention_ll4mi_QKV_mfma16_kernelIDF16_hLN4vllm18Fp8KVCacheDataTypeE1EhLi32ELi128ELi256ELb0ELi2EEvPKT_PKT0_S7_ifPKiS9_S9_iPKfiiiPfSC_PS2_PT2_iSB_SB_
	.globl	_Z39paged_attention_ll4mi_QKV_mfma16_kernelIDF16_hLN4vllm18Fp8KVCacheDataTypeE1EhLi32ELi128ELi256ELb0ELi2EEvPKT_PKT0_S7_ifPKiS9_S9_iPKfiiiPfSC_PS2_PT2_iSB_SB_
	.p2align	8
	.type	_Z39paged_attention_ll4mi_QKV_mfma16_kernelIDF16_hLN4vllm18Fp8KVCacheDataTypeE1EhLi32ELi128ELi256ELb0ELi2EEvPKT_PKT0_S7_ifPKiS9_S9_iPKfiiiPfSC_PS2_PT2_iSB_SB_,@function
_Z39paged_attention_ll4mi_QKV_mfma16_kernelIDF16_hLN4vllm18Fp8KVCacheDataTypeE1EhLi32ELi128ELi256ELb0ELi2EEvPKT_PKT0_S7_ifPKiS9_S9_iPKfiiiPfSC_PS2_PT2_iSB_SB_: ; @_Z39paged_attention_ll4mi_QKV_mfma16_kernelIDF16_hLN4vllm18Fp8KVCacheDataTypeE1EhLi32ELi128ELi256ELb0ELi2EEvPKT_PKT0_S7_ifPKiS9_S9_iPKfiiiPfSC_PS2_PT2_iSB_SB_
; %bb.0:
	s_get_pc_i64 s[2:3]
	s_add_nc_u64 s[2:3], s[2:3], __PRETTY_FUNCTION__._Z39paged_attention_ll4mi_QKV_mfma16_kernelIDF16_hLN4vllm18Fp8KVCacheDataTypeE1EhLi32ELi128ELi256ELb0ELi2EEvPKT_PKT0_S7_ifPKiS9_S9_iPKfiiiPfSC_PS2_PT2_iSB_SB_@rel64+4
	s_delay_alu instid0(SALU_CYCLE_1)
	v_dual_mov_b32 v0, 0xbb3 :: v_dual_mov_b32 v1, s2
	v_mov_b32_e32 v2, s3
	s_add_nc_u64 s[8:9], s[0:1], 0x90
	s_get_pc_i64 s[0:1]
	s_add_nc_u64 s[0:1], s[0:1], __assert_fail@rel64+4
	s_mov_b32 s32, 0
	s_swap_pc_i64 s[30:31], s[0:1]
	.section	.rodata,"a",@progbits
	.p2align	6, 0x0
	.amdhsa_kernel _Z39paged_attention_ll4mi_QKV_mfma16_kernelIDF16_hLN4vllm18Fp8KVCacheDataTypeE1EhLi32ELi128ELi256ELb0ELi2EEvPKT_PKT0_S7_ifPKiS9_S9_iPKfiiiPfSC_PS2_PT2_iSB_SB_
		.amdhsa_group_segment_fixed_size 0
		.amdhsa_private_segment_fixed_size 64
		.amdhsa_kernarg_size 400
		.amdhsa_user_sgpr_count 2
		.amdhsa_user_sgpr_dispatch_ptr 0
		.amdhsa_user_sgpr_queue_ptr 0
		.amdhsa_user_sgpr_kernarg_segment_ptr 1
		.amdhsa_user_sgpr_dispatch_id 0
		.amdhsa_user_sgpr_kernarg_preload_length 0
		.amdhsa_user_sgpr_kernarg_preload_offset 0
		.amdhsa_user_sgpr_private_segment_size 0
		.amdhsa_wavefront_size32 1
		.amdhsa_uses_dynamic_stack 0
		.amdhsa_enable_private_segment 1
		.amdhsa_system_sgpr_workgroup_id_x 1
		.amdhsa_system_sgpr_workgroup_id_y 0
		.amdhsa_system_sgpr_workgroup_id_z 0
		.amdhsa_system_sgpr_workgroup_info 0
		.amdhsa_system_vgpr_workitem_id 0
		.amdhsa_next_free_vgpr 51
		.amdhsa_next_free_sgpr 34
		.amdhsa_named_barrier_count 0
		.amdhsa_reserve_vcc 1
		.amdhsa_float_round_mode_32 0
		.amdhsa_float_round_mode_16_64 0
		.amdhsa_float_denorm_mode_32 3
		.amdhsa_float_denorm_mode_16_64 3
		.amdhsa_fp16_overflow 0
		.amdhsa_memory_ordered 1
		.amdhsa_forward_progress 1
		.amdhsa_inst_pref_size 1
		.amdhsa_round_robin_scheduling 0
		.amdhsa_exception_fp_ieee_invalid_op 0
		.amdhsa_exception_fp_denorm_src 0
		.amdhsa_exception_fp_ieee_div_zero 0
		.amdhsa_exception_fp_ieee_overflow 0
		.amdhsa_exception_fp_ieee_underflow 0
		.amdhsa_exception_fp_ieee_inexact 0
		.amdhsa_exception_int_div_zero 0
	.end_amdhsa_kernel
	.section	.text._Z39paged_attention_ll4mi_QKV_mfma16_kernelIDF16_hLN4vllm18Fp8KVCacheDataTypeE1EhLi32ELi128ELi256ELb0ELi2EEvPKT_PKT0_S7_ifPKiS9_S9_iPKfiiiPfSC_PS2_PT2_iSB_SB_,"axG",@progbits,_Z39paged_attention_ll4mi_QKV_mfma16_kernelIDF16_hLN4vllm18Fp8KVCacheDataTypeE1EhLi32ELi128ELi256ELb0ELi2EEvPKT_PKT0_S7_ifPKiS9_S9_iPKfiiiPfSC_PS2_PT2_iSB_SB_,comdat
.Lfunc_end1047:
	.size	_Z39paged_attention_ll4mi_QKV_mfma16_kernelIDF16_hLN4vllm18Fp8KVCacheDataTypeE1EhLi32ELi128ELi256ELb0ELi2EEvPKT_PKT0_S7_ifPKiS9_S9_iPKfiiiPfSC_PS2_PT2_iSB_SB_, .Lfunc_end1047-_Z39paged_attention_ll4mi_QKV_mfma16_kernelIDF16_hLN4vllm18Fp8KVCacheDataTypeE1EhLi32ELi128ELi256ELb0ELi2EEvPKT_PKT0_S7_ifPKiS9_S9_iPKfiiiPfSC_PS2_PT2_iSB_SB_
                                        ; -- End function
	.set _Z39paged_attention_ll4mi_QKV_mfma16_kernelIDF16_hLN4vllm18Fp8KVCacheDataTypeE1EhLi32ELi128ELi256ELb0ELi2EEvPKT_PKT0_S7_ifPKiS9_S9_iPKfiiiPfSC_PS2_PT2_iSB_SB_.num_vgpr, max(3, .L__assert_fail.num_vgpr)
	.set _Z39paged_attention_ll4mi_QKV_mfma16_kernelIDF16_hLN4vllm18Fp8KVCacheDataTypeE1EhLi32ELi128ELi256ELb0ELi2EEvPKT_PKT0_S7_ifPKiS9_S9_iPKfiiiPfSC_PS2_PT2_iSB_SB_.num_agpr, max(0, .L__assert_fail.num_agpr)
	.set _Z39paged_attention_ll4mi_QKV_mfma16_kernelIDF16_hLN4vllm18Fp8KVCacheDataTypeE1EhLi32ELi128ELi256ELb0ELi2EEvPKT_PKT0_S7_ifPKiS9_S9_iPKfiiiPfSC_PS2_PT2_iSB_SB_.numbered_sgpr, max(33, .L__assert_fail.numbered_sgpr)
	.set _Z39paged_attention_ll4mi_QKV_mfma16_kernelIDF16_hLN4vllm18Fp8KVCacheDataTypeE1EhLi32ELi128ELi256ELb0ELi2EEvPKT_PKT0_S7_ifPKiS9_S9_iPKfiiiPfSC_PS2_PT2_iSB_SB_.num_named_barrier, max(0, .L__assert_fail.num_named_barrier)
	.set _Z39paged_attention_ll4mi_QKV_mfma16_kernelIDF16_hLN4vllm18Fp8KVCacheDataTypeE1EhLi32ELi128ELi256ELb0ELi2EEvPKT_PKT0_S7_ifPKiS9_S9_iPKfiiiPfSC_PS2_PT2_iSB_SB_.private_seg_size, 0+max(.L__assert_fail.private_seg_size)
	.set _Z39paged_attention_ll4mi_QKV_mfma16_kernelIDF16_hLN4vllm18Fp8KVCacheDataTypeE1EhLi32ELi128ELi256ELb0ELi2EEvPKT_PKT0_S7_ifPKiS9_S9_iPKfiiiPfSC_PS2_PT2_iSB_SB_.uses_vcc, or(1, .L__assert_fail.uses_vcc)
	.set _Z39paged_attention_ll4mi_QKV_mfma16_kernelIDF16_hLN4vllm18Fp8KVCacheDataTypeE1EhLi32ELi128ELi256ELb0ELi2EEvPKT_PKT0_S7_ifPKiS9_S9_iPKfiiiPfSC_PS2_PT2_iSB_SB_.uses_flat_scratch, or(0, .L__assert_fail.uses_flat_scratch)
	.set _Z39paged_attention_ll4mi_QKV_mfma16_kernelIDF16_hLN4vllm18Fp8KVCacheDataTypeE1EhLi32ELi128ELi256ELb0ELi2EEvPKT_PKT0_S7_ifPKiS9_S9_iPKfiiiPfSC_PS2_PT2_iSB_SB_.has_dyn_sized_stack, or(0, .L__assert_fail.has_dyn_sized_stack)
	.set _Z39paged_attention_ll4mi_QKV_mfma16_kernelIDF16_hLN4vllm18Fp8KVCacheDataTypeE1EhLi32ELi128ELi256ELb0ELi2EEvPKT_PKT0_S7_ifPKiS9_S9_iPKfiiiPfSC_PS2_PT2_iSB_SB_.has_recursion, or(0, .L__assert_fail.has_recursion)
	.set _Z39paged_attention_ll4mi_QKV_mfma16_kernelIDF16_hLN4vllm18Fp8KVCacheDataTypeE1EhLi32ELi128ELi256ELb0ELi2EEvPKT_PKT0_S7_ifPKiS9_S9_iPKfiiiPfSC_PS2_PT2_iSB_SB_.has_indirect_call, or(0, .L__assert_fail.has_indirect_call)
	.section	.AMDGPU.csdata,"",@progbits
; Kernel info:
; codeLenInByte = 68
; TotalNumSgprs: 36
; NumVgprs: 51
; ScratchSize: 64
; MemoryBound: 0
; FloatMode: 240
; IeeeMode: 1
; LDSByteSize: 0 bytes/workgroup (compile time only)
; SGPRBlocks: 0
; VGPRBlocks: 3
; NumSGPRsForWavesPerEU: 36
; NumVGPRsForWavesPerEU: 51
; NamedBarCnt: 0
; Occupancy: 16
; WaveLimiterHint : 1
; COMPUTE_PGM_RSRC2:SCRATCH_EN: 1
; COMPUTE_PGM_RSRC2:USER_SGPR: 2
; COMPUTE_PGM_RSRC2:TRAP_HANDLER: 0
; COMPUTE_PGM_RSRC2:TGID_X_EN: 1
; COMPUTE_PGM_RSRC2:TGID_Y_EN: 0
; COMPUTE_PGM_RSRC2:TGID_Z_EN: 0
; COMPUTE_PGM_RSRC2:TIDIG_COMP_CNT: 0
	.section	.text._Z39paged_attention_ll4mi_QKV_mfma16_kernelIDF16_hLN4vllm18Fp8KVCacheDataTypeE1EhLi32ELi128ELi256ELb0ELi3EEvPKT_PKT0_S7_ifPKiS9_S9_iPKfiiiPfSC_PS2_PT2_iSB_SB_,"axG",@progbits,_Z39paged_attention_ll4mi_QKV_mfma16_kernelIDF16_hLN4vllm18Fp8KVCacheDataTypeE1EhLi32ELi128ELi256ELb0ELi3EEvPKT_PKT0_S7_ifPKiS9_S9_iPKfiiiPfSC_PS2_PT2_iSB_SB_,comdat
	.protected	_Z39paged_attention_ll4mi_QKV_mfma16_kernelIDF16_hLN4vllm18Fp8KVCacheDataTypeE1EhLi32ELi128ELi256ELb0ELi3EEvPKT_PKT0_S7_ifPKiS9_S9_iPKfiiiPfSC_PS2_PT2_iSB_SB_ ; -- Begin function _Z39paged_attention_ll4mi_QKV_mfma16_kernelIDF16_hLN4vllm18Fp8KVCacheDataTypeE1EhLi32ELi128ELi256ELb0ELi3EEvPKT_PKT0_S7_ifPKiS9_S9_iPKfiiiPfSC_PS2_PT2_iSB_SB_
	.globl	_Z39paged_attention_ll4mi_QKV_mfma16_kernelIDF16_hLN4vllm18Fp8KVCacheDataTypeE1EhLi32ELi128ELi256ELb0ELi3EEvPKT_PKT0_S7_ifPKiS9_S9_iPKfiiiPfSC_PS2_PT2_iSB_SB_
	.p2align	8
	.type	_Z39paged_attention_ll4mi_QKV_mfma16_kernelIDF16_hLN4vllm18Fp8KVCacheDataTypeE1EhLi32ELi128ELi256ELb0ELi3EEvPKT_PKT0_S7_ifPKiS9_S9_iPKfiiiPfSC_PS2_PT2_iSB_SB_,@function
_Z39paged_attention_ll4mi_QKV_mfma16_kernelIDF16_hLN4vllm18Fp8KVCacheDataTypeE1EhLi32ELi128ELi256ELb0ELi3EEvPKT_PKT0_S7_ifPKiS9_S9_iPKfiiiPfSC_PS2_PT2_iSB_SB_: ; @_Z39paged_attention_ll4mi_QKV_mfma16_kernelIDF16_hLN4vllm18Fp8KVCacheDataTypeE1EhLi32ELi128ELi256ELb0ELi3EEvPKT_PKT0_S7_ifPKiS9_S9_iPKfiiiPfSC_PS2_PT2_iSB_SB_
; %bb.0:
	s_get_pc_i64 s[2:3]
	s_add_nc_u64 s[2:3], s[2:3], __PRETTY_FUNCTION__._Z39paged_attention_ll4mi_QKV_mfma16_kernelIDF16_hLN4vllm18Fp8KVCacheDataTypeE1EhLi32ELi128ELi256ELb0ELi3EEvPKT_PKT0_S7_ifPKiS9_S9_iPKfiiiPfSC_PS2_PT2_iSB_SB_@rel64+4
	s_delay_alu instid0(SALU_CYCLE_1)
	v_dual_mov_b32 v0, 0xbb3 :: v_dual_mov_b32 v1, s2
	v_mov_b32_e32 v2, s3
	s_add_nc_u64 s[8:9], s[0:1], 0x90
	s_get_pc_i64 s[0:1]
	s_add_nc_u64 s[0:1], s[0:1], __assert_fail@rel64+4
	s_mov_b32 s32, 0
	s_swap_pc_i64 s[30:31], s[0:1]
	.section	.rodata,"a",@progbits
	.p2align	6, 0x0
	.amdhsa_kernel _Z39paged_attention_ll4mi_QKV_mfma16_kernelIDF16_hLN4vllm18Fp8KVCacheDataTypeE1EhLi32ELi128ELi256ELb0ELi3EEvPKT_PKT0_S7_ifPKiS9_S9_iPKfiiiPfSC_PS2_PT2_iSB_SB_
		.amdhsa_group_segment_fixed_size 0
		.amdhsa_private_segment_fixed_size 64
		.amdhsa_kernarg_size 400
		.amdhsa_user_sgpr_count 2
		.amdhsa_user_sgpr_dispatch_ptr 0
		.amdhsa_user_sgpr_queue_ptr 0
		.amdhsa_user_sgpr_kernarg_segment_ptr 1
		.amdhsa_user_sgpr_dispatch_id 0
		.amdhsa_user_sgpr_kernarg_preload_length 0
		.amdhsa_user_sgpr_kernarg_preload_offset 0
		.amdhsa_user_sgpr_private_segment_size 0
		.amdhsa_wavefront_size32 1
		.amdhsa_uses_dynamic_stack 0
		.amdhsa_enable_private_segment 1
		.amdhsa_system_sgpr_workgroup_id_x 1
		.amdhsa_system_sgpr_workgroup_id_y 0
		.amdhsa_system_sgpr_workgroup_id_z 0
		.amdhsa_system_sgpr_workgroup_info 0
		.amdhsa_system_vgpr_workitem_id 0
		.amdhsa_next_free_vgpr 51
		.amdhsa_next_free_sgpr 34
		.amdhsa_named_barrier_count 0
		.amdhsa_reserve_vcc 1
		.amdhsa_float_round_mode_32 0
		.amdhsa_float_round_mode_16_64 0
		.amdhsa_float_denorm_mode_32 3
		.amdhsa_float_denorm_mode_16_64 3
		.amdhsa_fp16_overflow 0
		.amdhsa_memory_ordered 1
		.amdhsa_forward_progress 1
		.amdhsa_inst_pref_size 1
		.amdhsa_round_robin_scheduling 0
		.amdhsa_exception_fp_ieee_invalid_op 0
		.amdhsa_exception_fp_denorm_src 0
		.amdhsa_exception_fp_ieee_div_zero 0
		.amdhsa_exception_fp_ieee_overflow 0
		.amdhsa_exception_fp_ieee_underflow 0
		.amdhsa_exception_fp_ieee_inexact 0
		.amdhsa_exception_int_div_zero 0
	.end_amdhsa_kernel
	.section	.text._Z39paged_attention_ll4mi_QKV_mfma16_kernelIDF16_hLN4vllm18Fp8KVCacheDataTypeE1EhLi32ELi128ELi256ELb0ELi3EEvPKT_PKT0_S7_ifPKiS9_S9_iPKfiiiPfSC_PS2_PT2_iSB_SB_,"axG",@progbits,_Z39paged_attention_ll4mi_QKV_mfma16_kernelIDF16_hLN4vllm18Fp8KVCacheDataTypeE1EhLi32ELi128ELi256ELb0ELi3EEvPKT_PKT0_S7_ifPKiS9_S9_iPKfiiiPfSC_PS2_PT2_iSB_SB_,comdat
.Lfunc_end1048:
	.size	_Z39paged_attention_ll4mi_QKV_mfma16_kernelIDF16_hLN4vllm18Fp8KVCacheDataTypeE1EhLi32ELi128ELi256ELb0ELi3EEvPKT_PKT0_S7_ifPKiS9_S9_iPKfiiiPfSC_PS2_PT2_iSB_SB_, .Lfunc_end1048-_Z39paged_attention_ll4mi_QKV_mfma16_kernelIDF16_hLN4vllm18Fp8KVCacheDataTypeE1EhLi32ELi128ELi256ELb0ELi3EEvPKT_PKT0_S7_ifPKiS9_S9_iPKfiiiPfSC_PS2_PT2_iSB_SB_
                                        ; -- End function
	.set _Z39paged_attention_ll4mi_QKV_mfma16_kernelIDF16_hLN4vllm18Fp8KVCacheDataTypeE1EhLi32ELi128ELi256ELb0ELi3EEvPKT_PKT0_S7_ifPKiS9_S9_iPKfiiiPfSC_PS2_PT2_iSB_SB_.num_vgpr, max(3, .L__assert_fail.num_vgpr)
	.set _Z39paged_attention_ll4mi_QKV_mfma16_kernelIDF16_hLN4vllm18Fp8KVCacheDataTypeE1EhLi32ELi128ELi256ELb0ELi3EEvPKT_PKT0_S7_ifPKiS9_S9_iPKfiiiPfSC_PS2_PT2_iSB_SB_.num_agpr, max(0, .L__assert_fail.num_agpr)
	.set _Z39paged_attention_ll4mi_QKV_mfma16_kernelIDF16_hLN4vllm18Fp8KVCacheDataTypeE1EhLi32ELi128ELi256ELb0ELi3EEvPKT_PKT0_S7_ifPKiS9_S9_iPKfiiiPfSC_PS2_PT2_iSB_SB_.numbered_sgpr, max(33, .L__assert_fail.numbered_sgpr)
	.set _Z39paged_attention_ll4mi_QKV_mfma16_kernelIDF16_hLN4vllm18Fp8KVCacheDataTypeE1EhLi32ELi128ELi256ELb0ELi3EEvPKT_PKT0_S7_ifPKiS9_S9_iPKfiiiPfSC_PS2_PT2_iSB_SB_.num_named_barrier, max(0, .L__assert_fail.num_named_barrier)
	.set _Z39paged_attention_ll4mi_QKV_mfma16_kernelIDF16_hLN4vllm18Fp8KVCacheDataTypeE1EhLi32ELi128ELi256ELb0ELi3EEvPKT_PKT0_S7_ifPKiS9_S9_iPKfiiiPfSC_PS2_PT2_iSB_SB_.private_seg_size, 0+max(.L__assert_fail.private_seg_size)
	.set _Z39paged_attention_ll4mi_QKV_mfma16_kernelIDF16_hLN4vllm18Fp8KVCacheDataTypeE1EhLi32ELi128ELi256ELb0ELi3EEvPKT_PKT0_S7_ifPKiS9_S9_iPKfiiiPfSC_PS2_PT2_iSB_SB_.uses_vcc, or(1, .L__assert_fail.uses_vcc)
	.set _Z39paged_attention_ll4mi_QKV_mfma16_kernelIDF16_hLN4vllm18Fp8KVCacheDataTypeE1EhLi32ELi128ELi256ELb0ELi3EEvPKT_PKT0_S7_ifPKiS9_S9_iPKfiiiPfSC_PS2_PT2_iSB_SB_.uses_flat_scratch, or(0, .L__assert_fail.uses_flat_scratch)
	.set _Z39paged_attention_ll4mi_QKV_mfma16_kernelIDF16_hLN4vllm18Fp8KVCacheDataTypeE1EhLi32ELi128ELi256ELb0ELi3EEvPKT_PKT0_S7_ifPKiS9_S9_iPKfiiiPfSC_PS2_PT2_iSB_SB_.has_dyn_sized_stack, or(0, .L__assert_fail.has_dyn_sized_stack)
	.set _Z39paged_attention_ll4mi_QKV_mfma16_kernelIDF16_hLN4vllm18Fp8KVCacheDataTypeE1EhLi32ELi128ELi256ELb0ELi3EEvPKT_PKT0_S7_ifPKiS9_S9_iPKfiiiPfSC_PS2_PT2_iSB_SB_.has_recursion, or(0, .L__assert_fail.has_recursion)
	.set _Z39paged_attention_ll4mi_QKV_mfma16_kernelIDF16_hLN4vllm18Fp8KVCacheDataTypeE1EhLi32ELi128ELi256ELb0ELi3EEvPKT_PKT0_S7_ifPKiS9_S9_iPKfiiiPfSC_PS2_PT2_iSB_SB_.has_indirect_call, or(0, .L__assert_fail.has_indirect_call)
	.section	.AMDGPU.csdata,"",@progbits
; Kernel info:
; codeLenInByte = 68
; TotalNumSgprs: 36
; NumVgprs: 51
; ScratchSize: 64
; MemoryBound: 0
; FloatMode: 240
; IeeeMode: 1
; LDSByteSize: 0 bytes/workgroup (compile time only)
; SGPRBlocks: 0
; VGPRBlocks: 3
; NumSGPRsForWavesPerEU: 36
; NumVGPRsForWavesPerEU: 51
; NamedBarCnt: 0
; Occupancy: 16
; WaveLimiterHint : 1
; COMPUTE_PGM_RSRC2:SCRATCH_EN: 1
; COMPUTE_PGM_RSRC2:USER_SGPR: 2
; COMPUTE_PGM_RSRC2:TRAP_HANDLER: 0
; COMPUTE_PGM_RSRC2:TGID_X_EN: 1
; COMPUTE_PGM_RSRC2:TGID_Y_EN: 0
; COMPUTE_PGM_RSRC2:TGID_Z_EN: 0
; COMPUTE_PGM_RSRC2:TIDIG_COMP_CNT: 0
	.section	.text._Z39paged_attention_ll4mi_QKV_mfma16_kernelIDF16_hLN4vllm18Fp8KVCacheDataTypeE1EhLi32ELi128ELi256ELb0ELi4EEvPKT_PKT0_S7_ifPKiS9_S9_iPKfiiiPfSC_PS2_PT2_iSB_SB_,"axG",@progbits,_Z39paged_attention_ll4mi_QKV_mfma16_kernelIDF16_hLN4vllm18Fp8KVCacheDataTypeE1EhLi32ELi128ELi256ELb0ELi4EEvPKT_PKT0_S7_ifPKiS9_S9_iPKfiiiPfSC_PS2_PT2_iSB_SB_,comdat
	.protected	_Z39paged_attention_ll4mi_QKV_mfma16_kernelIDF16_hLN4vllm18Fp8KVCacheDataTypeE1EhLi32ELi128ELi256ELb0ELi4EEvPKT_PKT0_S7_ifPKiS9_S9_iPKfiiiPfSC_PS2_PT2_iSB_SB_ ; -- Begin function _Z39paged_attention_ll4mi_QKV_mfma16_kernelIDF16_hLN4vllm18Fp8KVCacheDataTypeE1EhLi32ELi128ELi256ELb0ELi4EEvPKT_PKT0_S7_ifPKiS9_S9_iPKfiiiPfSC_PS2_PT2_iSB_SB_
	.globl	_Z39paged_attention_ll4mi_QKV_mfma16_kernelIDF16_hLN4vllm18Fp8KVCacheDataTypeE1EhLi32ELi128ELi256ELb0ELi4EEvPKT_PKT0_S7_ifPKiS9_S9_iPKfiiiPfSC_PS2_PT2_iSB_SB_
	.p2align	8
	.type	_Z39paged_attention_ll4mi_QKV_mfma16_kernelIDF16_hLN4vllm18Fp8KVCacheDataTypeE1EhLi32ELi128ELi256ELb0ELi4EEvPKT_PKT0_S7_ifPKiS9_S9_iPKfiiiPfSC_PS2_PT2_iSB_SB_,@function
_Z39paged_attention_ll4mi_QKV_mfma16_kernelIDF16_hLN4vllm18Fp8KVCacheDataTypeE1EhLi32ELi128ELi256ELb0ELi4EEvPKT_PKT0_S7_ifPKiS9_S9_iPKfiiiPfSC_PS2_PT2_iSB_SB_: ; @_Z39paged_attention_ll4mi_QKV_mfma16_kernelIDF16_hLN4vllm18Fp8KVCacheDataTypeE1EhLi32ELi128ELi256ELb0ELi4EEvPKT_PKT0_S7_ifPKiS9_S9_iPKfiiiPfSC_PS2_PT2_iSB_SB_
; %bb.0:
	s_get_pc_i64 s[2:3]
	s_add_nc_u64 s[2:3], s[2:3], __PRETTY_FUNCTION__._Z39paged_attention_ll4mi_QKV_mfma16_kernelIDF16_hLN4vllm18Fp8KVCacheDataTypeE1EhLi32ELi128ELi256ELb0ELi4EEvPKT_PKT0_S7_ifPKiS9_S9_iPKfiiiPfSC_PS2_PT2_iSB_SB_@rel64+4
	s_delay_alu instid0(SALU_CYCLE_1)
	v_dual_mov_b32 v0, 0xbb3 :: v_dual_mov_b32 v1, s2
	v_mov_b32_e32 v2, s3
	s_add_nc_u64 s[8:9], s[0:1], 0x90
	s_get_pc_i64 s[0:1]
	s_add_nc_u64 s[0:1], s[0:1], __assert_fail@rel64+4
	s_mov_b32 s32, 0
	s_swap_pc_i64 s[30:31], s[0:1]
	.section	.rodata,"a",@progbits
	.p2align	6, 0x0
	.amdhsa_kernel _Z39paged_attention_ll4mi_QKV_mfma16_kernelIDF16_hLN4vllm18Fp8KVCacheDataTypeE1EhLi32ELi128ELi256ELb0ELi4EEvPKT_PKT0_S7_ifPKiS9_S9_iPKfiiiPfSC_PS2_PT2_iSB_SB_
		.amdhsa_group_segment_fixed_size 0
		.amdhsa_private_segment_fixed_size 64
		.amdhsa_kernarg_size 400
		.amdhsa_user_sgpr_count 2
		.amdhsa_user_sgpr_dispatch_ptr 0
		.amdhsa_user_sgpr_queue_ptr 0
		.amdhsa_user_sgpr_kernarg_segment_ptr 1
		.amdhsa_user_sgpr_dispatch_id 0
		.amdhsa_user_sgpr_kernarg_preload_length 0
		.amdhsa_user_sgpr_kernarg_preload_offset 0
		.amdhsa_user_sgpr_private_segment_size 0
		.amdhsa_wavefront_size32 1
		.amdhsa_uses_dynamic_stack 0
		.amdhsa_enable_private_segment 1
		.amdhsa_system_sgpr_workgroup_id_x 1
		.amdhsa_system_sgpr_workgroup_id_y 0
		.amdhsa_system_sgpr_workgroup_id_z 0
		.amdhsa_system_sgpr_workgroup_info 0
		.amdhsa_system_vgpr_workitem_id 0
		.amdhsa_next_free_vgpr 51
		.amdhsa_next_free_sgpr 34
		.amdhsa_named_barrier_count 0
		.amdhsa_reserve_vcc 1
		.amdhsa_float_round_mode_32 0
		.amdhsa_float_round_mode_16_64 0
		.amdhsa_float_denorm_mode_32 3
		.amdhsa_float_denorm_mode_16_64 3
		.amdhsa_fp16_overflow 0
		.amdhsa_memory_ordered 1
		.amdhsa_forward_progress 1
		.amdhsa_inst_pref_size 1
		.amdhsa_round_robin_scheduling 0
		.amdhsa_exception_fp_ieee_invalid_op 0
		.amdhsa_exception_fp_denorm_src 0
		.amdhsa_exception_fp_ieee_div_zero 0
		.amdhsa_exception_fp_ieee_overflow 0
		.amdhsa_exception_fp_ieee_underflow 0
		.amdhsa_exception_fp_ieee_inexact 0
		.amdhsa_exception_int_div_zero 0
	.end_amdhsa_kernel
	.section	.text._Z39paged_attention_ll4mi_QKV_mfma16_kernelIDF16_hLN4vllm18Fp8KVCacheDataTypeE1EhLi32ELi128ELi256ELb0ELi4EEvPKT_PKT0_S7_ifPKiS9_S9_iPKfiiiPfSC_PS2_PT2_iSB_SB_,"axG",@progbits,_Z39paged_attention_ll4mi_QKV_mfma16_kernelIDF16_hLN4vllm18Fp8KVCacheDataTypeE1EhLi32ELi128ELi256ELb0ELi4EEvPKT_PKT0_S7_ifPKiS9_S9_iPKfiiiPfSC_PS2_PT2_iSB_SB_,comdat
.Lfunc_end1049:
	.size	_Z39paged_attention_ll4mi_QKV_mfma16_kernelIDF16_hLN4vllm18Fp8KVCacheDataTypeE1EhLi32ELi128ELi256ELb0ELi4EEvPKT_PKT0_S7_ifPKiS9_S9_iPKfiiiPfSC_PS2_PT2_iSB_SB_, .Lfunc_end1049-_Z39paged_attention_ll4mi_QKV_mfma16_kernelIDF16_hLN4vllm18Fp8KVCacheDataTypeE1EhLi32ELi128ELi256ELb0ELi4EEvPKT_PKT0_S7_ifPKiS9_S9_iPKfiiiPfSC_PS2_PT2_iSB_SB_
                                        ; -- End function
	.set _Z39paged_attention_ll4mi_QKV_mfma16_kernelIDF16_hLN4vllm18Fp8KVCacheDataTypeE1EhLi32ELi128ELi256ELb0ELi4EEvPKT_PKT0_S7_ifPKiS9_S9_iPKfiiiPfSC_PS2_PT2_iSB_SB_.num_vgpr, max(3, .L__assert_fail.num_vgpr)
	.set _Z39paged_attention_ll4mi_QKV_mfma16_kernelIDF16_hLN4vllm18Fp8KVCacheDataTypeE1EhLi32ELi128ELi256ELb0ELi4EEvPKT_PKT0_S7_ifPKiS9_S9_iPKfiiiPfSC_PS2_PT2_iSB_SB_.num_agpr, max(0, .L__assert_fail.num_agpr)
	.set _Z39paged_attention_ll4mi_QKV_mfma16_kernelIDF16_hLN4vllm18Fp8KVCacheDataTypeE1EhLi32ELi128ELi256ELb0ELi4EEvPKT_PKT0_S7_ifPKiS9_S9_iPKfiiiPfSC_PS2_PT2_iSB_SB_.numbered_sgpr, max(33, .L__assert_fail.numbered_sgpr)
	.set _Z39paged_attention_ll4mi_QKV_mfma16_kernelIDF16_hLN4vllm18Fp8KVCacheDataTypeE1EhLi32ELi128ELi256ELb0ELi4EEvPKT_PKT0_S7_ifPKiS9_S9_iPKfiiiPfSC_PS2_PT2_iSB_SB_.num_named_barrier, max(0, .L__assert_fail.num_named_barrier)
	.set _Z39paged_attention_ll4mi_QKV_mfma16_kernelIDF16_hLN4vllm18Fp8KVCacheDataTypeE1EhLi32ELi128ELi256ELb0ELi4EEvPKT_PKT0_S7_ifPKiS9_S9_iPKfiiiPfSC_PS2_PT2_iSB_SB_.private_seg_size, 0+max(.L__assert_fail.private_seg_size)
	.set _Z39paged_attention_ll4mi_QKV_mfma16_kernelIDF16_hLN4vllm18Fp8KVCacheDataTypeE1EhLi32ELi128ELi256ELb0ELi4EEvPKT_PKT0_S7_ifPKiS9_S9_iPKfiiiPfSC_PS2_PT2_iSB_SB_.uses_vcc, or(1, .L__assert_fail.uses_vcc)
	.set _Z39paged_attention_ll4mi_QKV_mfma16_kernelIDF16_hLN4vllm18Fp8KVCacheDataTypeE1EhLi32ELi128ELi256ELb0ELi4EEvPKT_PKT0_S7_ifPKiS9_S9_iPKfiiiPfSC_PS2_PT2_iSB_SB_.uses_flat_scratch, or(0, .L__assert_fail.uses_flat_scratch)
	.set _Z39paged_attention_ll4mi_QKV_mfma16_kernelIDF16_hLN4vllm18Fp8KVCacheDataTypeE1EhLi32ELi128ELi256ELb0ELi4EEvPKT_PKT0_S7_ifPKiS9_S9_iPKfiiiPfSC_PS2_PT2_iSB_SB_.has_dyn_sized_stack, or(0, .L__assert_fail.has_dyn_sized_stack)
	.set _Z39paged_attention_ll4mi_QKV_mfma16_kernelIDF16_hLN4vllm18Fp8KVCacheDataTypeE1EhLi32ELi128ELi256ELb0ELi4EEvPKT_PKT0_S7_ifPKiS9_S9_iPKfiiiPfSC_PS2_PT2_iSB_SB_.has_recursion, or(0, .L__assert_fail.has_recursion)
	.set _Z39paged_attention_ll4mi_QKV_mfma16_kernelIDF16_hLN4vllm18Fp8KVCacheDataTypeE1EhLi32ELi128ELi256ELb0ELi4EEvPKT_PKT0_S7_ifPKiS9_S9_iPKfiiiPfSC_PS2_PT2_iSB_SB_.has_indirect_call, or(0, .L__assert_fail.has_indirect_call)
	.section	.AMDGPU.csdata,"",@progbits
; Kernel info:
; codeLenInByte = 68
; TotalNumSgprs: 36
; NumVgprs: 51
; ScratchSize: 64
; MemoryBound: 0
; FloatMode: 240
; IeeeMode: 1
; LDSByteSize: 0 bytes/workgroup (compile time only)
; SGPRBlocks: 0
; VGPRBlocks: 3
; NumSGPRsForWavesPerEU: 36
; NumVGPRsForWavesPerEU: 51
; NamedBarCnt: 0
; Occupancy: 16
; WaveLimiterHint : 1
; COMPUTE_PGM_RSRC2:SCRATCH_EN: 1
; COMPUTE_PGM_RSRC2:USER_SGPR: 2
; COMPUTE_PGM_RSRC2:TRAP_HANDLER: 0
; COMPUTE_PGM_RSRC2:TGID_X_EN: 1
; COMPUTE_PGM_RSRC2:TGID_Y_EN: 0
; COMPUTE_PGM_RSRC2:TGID_Z_EN: 0
; COMPUTE_PGM_RSRC2:TIDIG_COMP_CNT: 0
	.section	.text._Z38paged_attention_ll4mi_QKV_mfma4_kernelIDF16_hLN4vllm18Fp8KVCacheDataTypeE1EDF16_Li32ELi128ELi256ELb1ELi1EEvPKT_PKT0_S7_ifPKiS9_S9_iPKfiiiPfSC_PS2_PT2_iSB_SB_,"axG",@progbits,_Z38paged_attention_ll4mi_QKV_mfma4_kernelIDF16_hLN4vllm18Fp8KVCacheDataTypeE1EDF16_Li32ELi128ELi256ELb1ELi1EEvPKT_PKT0_S7_ifPKiS9_S9_iPKfiiiPfSC_PS2_PT2_iSB_SB_,comdat
	.protected	_Z38paged_attention_ll4mi_QKV_mfma4_kernelIDF16_hLN4vllm18Fp8KVCacheDataTypeE1EDF16_Li32ELi128ELi256ELb1ELi1EEvPKT_PKT0_S7_ifPKiS9_S9_iPKfiiiPfSC_PS2_PT2_iSB_SB_ ; -- Begin function _Z38paged_attention_ll4mi_QKV_mfma4_kernelIDF16_hLN4vllm18Fp8KVCacheDataTypeE1EDF16_Li32ELi128ELi256ELb1ELi1EEvPKT_PKT0_S7_ifPKiS9_S9_iPKfiiiPfSC_PS2_PT2_iSB_SB_
	.globl	_Z38paged_attention_ll4mi_QKV_mfma4_kernelIDF16_hLN4vllm18Fp8KVCacheDataTypeE1EDF16_Li32ELi128ELi256ELb1ELi1EEvPKT_PKT0_S7_ifPKiS9_S9_iPKfiiiPfSC_PS2_PT2_iSB_SB_
	.p2align	8
	.type	_Z38paged_attention_ll4mi_QKV_mfma4_kernelIDF16_hLN4vllm18Fp8KVCacheDataTypeE1EDF16_Li32ELi128ELi256ELb1ELi1EEvPKT_PKT0_S7_ifPKiS9_S9_iPKfiiiPfSC_PS2_PT2_iSB_SB_,@function
_Z38paged_attention_ll4mi_QKV_mfma4_kernelIDF16_hLN4vllm18Fp8KVCacheDataTypeE1EDF16_Li32ELi128ELi256ELb1ELi1EEvPKT_PKT0_S7_ifPKiS9_S9_iPKfiiiPfSC_PS2_PT2_iSB_SB_: ; @_Z38paged_attention_ll4mi_QKV_mfma4_kernelIDF16_hLN4vllm18Fp8KVCacheDataTypeE1EDF16_Li32ELi128ELi256ELb1ELi1EEvPKT_PKT0_S7_ifPKiS9_S9_iPKfiiiPfSC_PS2_PT2_iSB_SB_
; %bb.0:
	s_get_pc_i64 s[2:3]
	s_add_nc_u64 s[2:3], s[2:3], __PRETTY_FUNCTION__._Z38paged_attention_ll4mi_QKV_mfma4_kernelIDF16_hLN4vllm18Fp8KVCacheDataTypeE1EDF16_Li32ELi128ELi256ELb1ELi1EEvPKT_PKT0_S7_ifPKiS9_S9_iPKfiiiPfSC_PS2_PT2_iSB_SB_@rel64+4
	s_delay_alu instid0(SALU_CYCLE_1)
	v_dual_mov_b32 v0, 0xbce :: v_dual_mov_b32 v1, s2
	v_mov_b32_e32 v2, s3
	s_add_nc_u64 s[8:9], s[0:1], 0x90
	s_get_pc_i64 s[0:1]
	s_add_nc_u64 s[0:1], s[0:1], __assert_fail@rel64+4
	s_mov_b32 s32, 0
	s_swap_pc_i64 s[30:31], s[0:1]
	.section	.rodata,"a",@progbits
	.p2align	6, 0x0
	.amdhsa_kernel _Z38paged_attention_ll4mi_QKV_mfma4_kernelIDF16_hLN4vllm18Fp8KVCacheDataTypeE1EDF16_Li32ELi128ELi256ELb1ELi1EEvPKT_PKT0_S7_ifPKiS9_S9_iPKfiiiPfSC_PS2_PT2_iSB_SB_
		.amdhsa_group_segment_fixed_size 0
		.amdhsa_private_segment_fixed_size 64
		.amdhsa_kernarg_size 400
		.amdhsa_user_sgpr_count 2
		.amdhsa_user_sgpr_dispatch_ptr 0
		.amdhsa_user_sgpr_queue_ptr 0
		.amdhsa_user_sgpr_kernarg_segment_ptr 1
		.amdhsa_user_sgpr_dispatch_id 0
		.amdhsa_user_sgpr_kernarg_preload_length 0
		.amdhsa_user_sgpr_kernarg_preload_offset 0
		.amdhsa_user_sgpr_private_segment_size 0
		.amdhsa_wavefront_size32 1
		.amdhsa_uses_dynamic_stack 0
		.amdhsa_enable_private_segment 1
		.amdhsa_system_sgpr_workgroup_id_x 1
		.amdhsa_system_sgpr_workgroup_id_y 0
		.amdhsa_system_sgpr_workgroup_id_z 0
		.amdhsa_system_sgpr_workgroup_info 0
		.amdhsa_system_vgpr_workitem_id 0
		.amdhsa_next_free_vgpr 51
		.amdhsa_next_free_sgpr 34
		.amdhsa_named_barrier_count 0
		.amdhsa_reserve_vcc 1
		.amdhsa_float_round_mode_32 0
		.amdhsa_float_round_mode_16_64 0
		.amdhsa_float_denorm_mode_32 3
		.amdhsa_float_denorm_mode_16_64 3
		.amdhsa_fp16_overflow 0
		.amdhsa_memory_ordered 1
		.amdhsa_forward_progress 1
		.amdhsa_inst_pref_size 1
		.amdhsa_round_robin_scheduling 0
		.amdhsa_exception_fp_ieee_invalid_op 0
		.amdhsa_exception_fp_denorm_src 0
		.amdhsa_exception_fp_ieee_div_zero 0
		.amdhsa_exception_fp_ieee_overflow 0
		.amdhsa_exception_fp_ieee_underflow 0
		.amdhsa_exception_fp_ieee_inexact 0
		.amdhsa_exception_int_div_zero 0
	.end_amdhsa_kernel
	.section	.text._Z38paged_attention_ll4mi_QKV_mfma4_kernelIDF16_hLN4vllm18Fp8KVCacheDataTypeE1EDF16_Li32ELi128ELi256ELb1ELi1EEvPKT_PKT0_S7_ifPKiS9_S9_iPKfiiiPfSC_PS2_PT2_iSB_SB_,"axG",@progbits,_Z38paged_attention_ll4mi_QKV_mfma4_kernelIDF16_hLN4vllm18Fp8KVCacheDataTypeE1EDF16_Li32ELi128ELi256ELb1ELi1EEvPKT_PKT0_S7_ifPKiS9_S9_iPKfiiiPfSC_PS2_PT2_iSB_SB_,comdat
.Lfunc_end1050:
	.size	_Z38paged_attention_ll4mi_QKV_mfma4_kernelIDF16_hLN4vllm18Fp8KVCacheDataTypeE1EDF16_Li32ELi128ELi256ELb1ELi1EEvPKT_PKT0_S7_ifPKiS9_S9_iPKfiiiPfSC_PS2_PT2_iSB_SB_, .Lfunc_end1050-_Z38paged_attention_ll4mi_QKV_mfma4_kernelIDF16_hLN4vllm18Fp8KVCacheDataTypeE1EDF16_Li32ELi128ELi256ELb1ELi1EEvPKT_PKT0_S7_ifPKiS9_S9_iPKfiiiPfSC_PS2_PT2_iSB_SB_
                                        ; -- End function
	.set _Z38paged_attention_ll4mi_QKV_mfma4_kernelIDF16_hLN4vllm18Fp8KVCacheDataTypeE1EDF16_Li32ELi128ELi256ELb1ELi1EEvPKT_PKT0_S7_ifPKiS9_S9_iPKfiiiPfSC_PS2_PT2_iSB_SB_.num_vgpr, max(3, .L__assert_fail.num_vgpr)
	.set _Z38paged_attention_ll4mi_QKV_mfma4_kernelIDF16_hLN4vllm18Fp8KVCacheDataTypeE1EDF16_Li32ELi128ELi256ELb1ELi1EEvPKT_PKT0_S7_ifPKiS9_S9_iPKfiiiPfSC_PS2_PT2_iSB_SB_.num_agpr, max(0, .L__assert_fail.num_agpr)
	.set _Z38paged_attention_ll4mi_QKV_mfma4_kernelIDF16_hLN4vllm18Fp8KVCacheDataTypeE1EDF16_Li32ELi128ELi256ELb1ELi1EEvPKT_PKT0_S7_ifPKiS9_S9_iPKfiiiPfSC_PS2_PT2_iSB_SB_.numbered_sgpr, max(33, .L__assert_fail.numbered_sgpr)
	.set _Z38paged_attention_ll4mi_QKV_mfma4_kernelIDF16_hLN4vllm18Fp8KVCacheDataTypeE1EDF16_Li32ELi128ELi256ELb1ELi1EEvPKT_PKT0_S7_ifPKiS9_S9_iPKfiiiPfSC_PS2_PT2_iSB_SB_.num_named_barrier, max(0, .L__assert_fail.num_named_barrier)
	.set _Z38paged_attention_ll4mi_QKV_mfma4_kernelIDF16_hLN4vllm18Fp8KVCacheDataTypeE1EDF16_Li32ELi128ELi256ELb1ELi1EEvPKT_PKT0_S7_ifPKiS9_S9_iPKfiiiPfSC_PS2_PT2_iSB_SB_.private_seg_size, 0+max(.L__assert_fail.private_seg_size)
	.set _Z38paged_attention_ll4mi_QKV_mfma4_kernelIDF16_hLN4vllm18Fp8KVCacheDataTypeE1EDF16_Li32ELi128ELi256ELb1ELi1EEvPKT_PKT0_S7_ifPKiS9_S9_iPKfiiiPfSC_PS2_PT2_iSB_SB_.uses_vcc, or(1, .L__assert_fail.uses_vcc)
	.set _Z38paged_attention_ll4mi_QKV_mfma4_kernelIDF16_hLN4vllm18Fp8KVCacheDataTypeE1EDF16_Li32ELi128ELi256ELb1ELi1EEvPKT_PKT0_S7_ifPKiS9_S9_iPKfiiiPfSC_PS2_PT2_iSB_SB_.uses_flat_scratch, or(0, .L__assert_fail.uses_flat_scratch)
	.set _Z38paged_attention_ll4mi_QKV_mfma4_kernelIDF16_hLN4vllm18Fp8KVCacheDataTypeE1EDF16_Li32ELi128ELi256ELb1ELi1EEvPKT_PKT0_S7_ifPKiS9_S9_iPKfiiiPfSC_PS2_PT2_iSB_SB_.has_dyn_sized_stack, or(0, .L__assert_fail.has_dyn_sized_stack)
	.set _Z38paged_attention_ll4mi_QKV_mfma4_kernelIDF16_hLN4vllm18Fp8KVCacheDataTypeE1EDF16_Li32ELi128ELi256ELb1ELi1EEvPKT_PKT0_S7_ifPKiS9_S9_iPKfiiiPfSC_PS2_PT2_iSB_SB_.has_recursion, or(0, .L__assert_fail.has_recursion)
	.set _Z38paged_attention_ll4mi_QKV_mfma4_kernelIDF16_hLN4vllm18Fp8KVCacheDataTypeE1EDF16_Li32ELi128ELi256ELb1ELi1EEvPKT_PKT0_S7_ifPKiS9_S9_iPKfiiiPfSC_PS2_PT2_iSB_SB_.has_indirect_call, or(0, .L__assert_fail.has_indirect_call)
	.section	.AMDGPU.csdata,"",@progbits
; Kernel info:
; codeLenInByte = 68
; TotalNumSgprs: 36
; NumVgprs: 51
; ScratchSize: 64
; MemoryBound: 0
; FloatMode: 240
; IeeeMode: 1
; LDSByteSize: 0 bytes/workgroup (compile time only)
; SGPRBlocks: 0
; VGPRBlocks: 3
; NumSGPRsForWavesPerEU: 36
; NumVGPRsForWavesPerEU: 51
; NamedBarCnt: 0
; Occupancy: 16
; WaveLimiterHint : 1
; COMPUTE_PGM_RSRC2:SCRATCH_EN: 1
; COMPUTE_PGM_RSRC2:USER_SGPR: 2
; COMPUTE_PGM_RSRC2:TRAP_HANDLER: 0
; COMPUTE_PGM_RSRC2:TGID_X_EN: 1
; COMPUTE_PGM_RSRC2:TGID_Y_EN: 0
; COMPUTE_PGM_RSRC2:TGID_Z_EN: 0
; COMPUTE_PGM_RSRC2:TIDIG_COMP_CNT: 0
	.section	.text._Z38paged_attention_ll4mi_QKV_mfma4_kernelIDF16_hLN4vllm18Fp8KVCacheDataTypeE1EDF16_Li32ELi128ELi256ELb1ELi2EEvPKT_PKT0_S7_ifPKiS9_S9_iPKfiiiPfSC_PS2_PT2_iSB_SB_,"axG",@progbits,_Z38paged_attention_ll4mi_QKV_mfma4_kernelIDF16_hLN4vllm18Fp8KVCacheDataTypeE1EDF16_Li32ELi128ELi256ELb1ELi2EEvPKT_PKT0_S7_ifPKiS9_S9_iPKfiiiPfSC_PS2_PT2_iSB_SB_,comdat
	.protected	_Z38paged_attention_ll4mi_QKV_mfma4_kernelIDF16_hLN4vllm18Fp8KVCacheDataTypeE1EDF16_Li32ELi128ELi256ELb1ELi2EEvPKT_PKT0_S7_ifPKiS9_S9_iPKfiiiPfSC_PS2_PT2_iSB_SB_ ; -- Begin function _Z38paged_attention_ll4mi_QKV_mfma4_kernelIDF16_hLN4vllm18Fp8KVCacheDataTypeE1EDF16_Li32ELi128ELi256ELb1ELi2EEvPKT_PKT0_S7_ifPKiS9_S9_iPKfiiiPfSC_PS2_PT2_iSB_SB_
	.globl	_Z38paged_attention_ll4mi_QKV_mfma4_kernelIDF16_hLN4vllm18Fp8KVCacheDataTypeE1EDF16_Li32ELi128ELi256ELb1ELi2EEvPKT_PKT0_S7_ifPKiS9_S9_iPKfiiiPfSC_PS2_PT2_iSB_SB_
	.p2align	8
	.type	_Z38paged_attention_ll4mi_QKV_mfma4_kernelIDF16_hLN4vllm18Fp8KVCacheDataTypeE1EDF16_Li32ELi128ELi256ELb1ELi2EEvPKT_PKT0_S7_ifPKiS9_S9_iPKfiiiPfSC_PS2_PT2_iSB_SB_,@function
_Z38paged_attention_ll4mi_QKV_mfma4_kernelIDF16_hLN4vllm18Fp8KVCacheDataTypeE1EDF16_Li32ELi128ELi256ELb1ELi2EEvPKT_PKT0_S7_ifPKiS9_S9_iPKfiiiPfSC_PS2_PT2_iSB_SB_: ; @_Z38paged_attention_ll4mi_QKV_mfma4_kernelIDF16_hLN4vllm18Fp8KVCacheDataTypeE1EDF16_Li32ELi128ELi256ELb1ELi2EEvPKT_PKT0_S7_ifPKiS9_S9_iPKfiiiPfSC_PS2_PT2_iSB_SB_
; %bb.0:
	s_get_pc_i64 s[2:3]
	s_add_nc_u64 s[2:3], s[2:3], __PRETTY_FUNCTION__._Z38paged_attention_ll4mi_QKV_mfma4_kernelIDF16_hLN4vllm18Fp8KVCacheDataTypeE1EDF16_Li32ELi128ELi256ELb1ELi2EEvPKT_PKT0_S7_ifPKiS9_S9_iPKfiiiPfSC_PS2_PT2_iSB_SB_@rel64+4
	s_delay_alu instid0(SALU_CYCLE_1)
	v_dual_mov_b32 v0, 0xbce :: v_dual_mov_b32 v1, s2
	v_mov_b32_e32 v2, s3
	s_add_nc_u64 s[8:9], s[0:1], 0x90
	s_get_pc_i64 s[0:1]
	s_add_nc_u64 s[0:1], s[0:1], __assert_fail@rel64+4
	s_mov_b32 s32, 0
	s_swap_pc_i64 s[30:31], s[0:1]
	.section	.rodata,"a",@progbits
	.p2align	6, 0x0
	.amdhsa_kernel _Z38paged_attention_ll4mi_QKV_mfma4_kernelIDF16_hLN4vllm18Fp8KVCacheDataTypeE1EDF16_Li32ELi128ELi256ELb1ELi2EEvPKT_PKT0_S7_ifPKiS9_S9_iPKfiiiPfSC_PS2_PT2_iSB_SB_
		.amdhsa_group_segment_fixed_size 0
		.amdhsa_private_segment_fixed_size 64
		.amdhsa_kernarg_size 400
		.amdhsa_user_sgpr_count 2
		.amdhsa_user_sgpr_dispatch_ptr 0
		.amdhsa_user_sgpr_queue_ptr 0
		.amdhsa_user_sgpr_kernarg_segment_ptr 1
		.amdhsa_user_sgpr_dispatch_id 0
		.amdhsa_user_sgpr_kernarg_preload_length 0
		.amdhsa_user_sgpr_kernarg_preload_offset 0
		.amdhsa_user_sgpr_private_segment_size 0
		.amdhsa_wavefront_size32 1
		.amdhsa_uses_dynamic_stack 0
		.amdhsa_enable_private_segment 1
		.amdhsa_system_sgpr_workgroup_id_x 1
		.amdhsa_system_sgpr_workgroup_id_y 0
		.amdhsa_system_sgpr_workgroup_id_z 0
		.amdhsa_system_sgpr_workgroup_info 0
		.amdhsa_system_vgpr_workitem_id 0
		.amdhsa_next_free_vgpr 51
		.amdhsa_next_free_sgpr 34
		.amdhsa_named_barrier_count 0
		.amdhsa_reserve_vcc 1
		.amdhsa_float_round_mode_32 0
		.amdhsa_float_round_mode_16_64 0
		.amdhsa_float_denorm_mode_32 3
		.amdhsa_float_denorm_mode_16_64 3
		.amdhsa_fp16_overflow 0
		.amdhsa_memory_ordered 1
		.amdhsa_forward_progress 1
		.amdhsa_inst_pref_size 1
		.amdhsa_round_robin_scheduling 0
		.amdhsa_exception_fp_ieee_invalid_op 0
		.amdhsa_exception_fp_denorm_src 0
		.amdhsa_exception_fp_ieee_div_zero 0
		.amdhsa_exception_fp_ieee_overflow 0
		.amdhsa_exception_fp_ieee_underflow 0
		.amdhsa_exception_fp_ieee_inexact 0
		.amdhsa_exception_int_div_zero 0
	.end_amdhsa_kernel
	.section	.text._Z38paged_attention_ll4mi_QKV_mfma4_kernelIDF16_hLN4vllm18Fp8KVCacheDataTypeE1EDF16_Li32ELi128ELi256ELb1ELi2EEvPKT_PKT0_S7_ifPKiS9_S9_iPKfiiiPfSC_PS2_PT2_iSB_SB_,"axG",@progbits,_Z38paged_attention_ll4mi_QKV_mfma4_kernelIDF16_hLN4vllm18Fp8KVCacheDataTypeE1EDF16_Li32ELi128ELi256ELb1ELi2EEvPKT_PKT0_S7_ifPKiS9_S9_iPKfiiiPfSC_PS2_PT2_iSB_SB_,comdat
.Lfunc_end1051:
	.size	_Z38paged_attention_ll4mi_QKV_mfma4_kernelIDF16_hLN4vllm18Fp8KVCacheDataTypeE1EDF16_Li32ELi128ELi256ELb1ELi2EEvPKT_PKT0_S7_ifPKiS9_S9_iPKfiiiPfSC_PS2_PT2_iSB_SB_, .Lfunc_end1051-_Z38paged_attention_ll4mi_QKV_mfma4_kernelIDF16_hLN4vllm18Fp8KVCacheDataTypeE1EDF16_Li32ELi128ELi256ELb1ELi2EEvPKT_PKT0_S7_ifPKiS9_S9_iPKfiiiPfSC_PS2_PT2_iSB_SB_
                                        ; -- End function
	.set _Z38paged_attention_ll4mi_QKV_mfma4_kernelIDF16_hLN4vllm18Fp8KVCacheDataTypeE1EDF16_Li32ELi128ELi256ELb1ELi2EEvPKT_PKT0_S7_ifPKiS9_S9_iPKfiiiPfSC_PS2_PT2_iSB_SB_.num_vgpr, max(3, .L__assert_fail.num_vgpr)
	.set _Z38paged_attention_ll4mi_QKV_mfma4_kernelIDF16_hLN4vllm18Fp8KVCacheDataTypeE1EDF16_Li32ELi128ELi256ELb1ELi2EEvPKT_PKT0_S7_ifPKiS9_S9_iPKfiiiPfSC_PS2_PT2_iSB_SB_.num_agpr, max(0, .L__assert_fail.num_agpr)
	.set _Z38paged_attention_ll4mi_QKV_mfma4_kernelIDF16_hLN4vllm18Fp8KVCacheDataTypeE1EDF16_Li32ELi128ELi256ELb1ELi2EEvPKT_PKT0_S7_ifPKiS9_S9_iPKfiiiPfSC_PS2_PT2_iSB_SB_.numbered_sgpr, max(33, .L__assert_fail.numbered_sgpr)
	.set _Z38paged_attention_ll4mi_QKV_mfma4_kernelIDF16_hLN4vllm18Fp8KVCacheDataTypeE1EDF16_Li32ELi128ELi256ELb1ELi2EEvPKT_PKT0_S7_ifPKiS9_S9_iPKfiiiPfSC_PS2_PT2_iSB_SB_.num_named_barrier, max(0, .L__assert_fail.num_named_barrier)
	.set _Z38paged_attention_ll4mi_QKV_mfma4_kernelIDF16_hLN4vllm18Fp8KVCacheDataTypeE1EDF16_Li32ELi128ELi256ELb1ELi2EEvPKT_PKT0_S7_ifPKiS9_S9_iPKfiiiPfSC_PS2_PT2_iSB_SB_.private_seg_size, 0+max(.L__assert_fail.private_seg_size)
	.set _Z38paged_attention_ll4mi_QKV_mfma4_kernelIDF16_hLN4vllm18Fp8KVCacheDataTypeE1EDF16_Li32ELi128ELi256ELb1ELi2EEvPKT_PKT0_S7_ifPKiS9_S9_iPKfiiiPfSC_PS2_PT2_iSB_SB_.uses_vcc, or(1, .L__assert_fail.uses_vcc)
	.set _Z38paged_attention_ll4mi_QKV_mfma4_kernelIDF16_hLN4vllm18Fp8KVCacheDataTypeE1EDF16_Li32ELi128ELi256ELb1ELi2EEvPKT_PKT0_S7_ifPKiS9_S9_iPKfiiiPfSC_PS2_PT2_iSB_SB_.uses_flat_scratch, or(0, .L__assert_fail.uses_flat_scratch)
	.set _Z38paged_attention_ll4mi_QKV_mfma4_kernelIDF16_hLN4vllm18Fp8KVCacheDataTypeE1EDF16_Li32ELi128ELi256ELb1ELi2EEvPKT_PKT0_S7_ifPKiS9_S9_iPKfiiiPfSC_PS2_PT2_iSB_SB_.has_dyn_sized_stack, or(0, .L__assert_fail.has_dyn_sized_stack)
	.set _Z38paged_attention_ll4mi_QKV_mfma4_kernelIDF16_hLN4vllm18Fp8KVCacheDataTypeE1EDF16_Li32ELi128ELi256ELb1ELi2EEvPKT_PKT0_S7_ifPKiS9_S9_iPKfiiiPfSC_PS2_PT2_iSB_SB_.has_recursion, or(0, .L__assert_fail.has_recursion)
	.set _Z38paged_attention_ll4mi_QKV_mfma4_kernelIDF16_hLN4vllm18Fp8KVCacheDataTypeE1EDF16_Li32ELi128ELi256ELb1ELi2EEvPKT_PKT0_S7_ifPKiS9_S9_iPKfiiiPfSC_PS2_PT2_iSB_SB_.has_indirect_call, or(0, .L__assert_fail.has_indirect_call)
	.section	.AMDGPU.csdata,"",@progbits
; Kernel info:
; codeLenInByte = 68
; TotalNumSgprs: 36
; NumVgprs: 51
; ScratchSize: 64
; MemoryBound: 0
; FloatMode: 240
; IeeeMode: 1
; LDSByteSize: 0 bytes/workgroup (compile time only)
; SGPRBlocks: 0
; VGPRBlocks: 3
; NumSGPRsForWavesPerEU: 36
; NumVGPRsForWavesPerEU: 51
; NamedBarCnt: 0
; Occupancy: 16
; WaveLimiterHint : 1
; COMPUTE_PGM_RSRC2:SCRATCH_EN: 1
; COMPUTE_PGM_RSRC2:USER_SGPR: 2
; COMPUTE_PGM_RSRC2:TRAP_HANDLER: 0
; COMPUTE_PGM_RSRC2:TGID_X_EN: 1
; COMPUTE_PGM_RSRC2:TGID_Y_EN: 0
; COMPUTE_PGM_RSRC2:TGID_Z_EN: 0
; COMPUTE_PGM_RSRC2:TIDIG_COMP_CNT: 0
	.section	.text._Z38paged_attention_ll4mi_QKV_mfma4_kernelIDF16_hLN4vllm18Fp8KVCacheDataTypeE1EDF16_Li32ELi128ELi256ELb1ELi3EEvPKT_PKT0_S7_ifPKiS9_S9_iPKfiiiPfSC_PS2_PT2_iSB_SB_,"axG",@progbits,_Z38paged_attention_ll4mi_QKV_mfma4_kernelIDF16_hLN4vllm18Fp8KVCacheDataTypeE1EDF16_Li32ELi128ELi256ELb1ELi3EEvPKT_PKT0_S7_ifPKiS9_S9_iPKfiiiPfSC_PS2_PT2_iSB_SB_,comdat
	.protected	_Z38paged_attention_ll4mi_QKV_mfma4_kernelIDF16_hLN4vllm18Fp8KVCacheDataTypeE1EDF16_Li32ELi128ELi256ELb1ELi3EEvPKT_PKT0_S7_ifPKiS9_S9_iPKfiiiPfSC_PS2_PT2_iSB_SB_ ; -- Begin function _Z38paged_attention_ll4mi_QKV_mfma4_kernelIDF16_hLN4vllm18Fp8KVCacheDataTypeE1EDF16_Li32ELi128ELi256ELb1ELi3EEvPKT_PKT0_S7_ifPKiS9_S9_iPKfiiiPfSC_PS2_PT2_iSB_SB_
	.globl	_Z38paged_attention_ll4mi_QKV_mfma4_kernelIDF16_hLN4vllm18Fp8KVCacheDataTypeE1EDF16_Li32ELi128ELi256ELb1ELi3EEvPKT_PKT0_S7_ifPKiS9_S9_iPKfiiiPfSC_PS2_PT2_iSB_SB_
	.p2align	8
	.type	_Z38paged_attention_ll4mi_QKV_mfma4_kernelIDF16_hLN4vllm18Fp8KVCacheDataTypeE1EDF16_Li32ELi128ELi256ELb1ELi3EEvPKT_PKT0_S7_ifPKiS9_S9_iPKfiiiPfSC_PS2_PT2_iSB_SB_,@function
_Z38paged_attention_ll4mi_QKV_mfma4_kernelIDF16_hLN4vllm18Fp8KVCacheDataTypeE1EDF16_Li32ELi128ELi256ELb1ELi3EEvPKT_PKT0_S7_ifPKiS9_S9_iPKfiiiPfSC_PS2_PT2_iSB_SB_: ; @_Z38paged_attention_ll4mi_QKV_mfma4_kernelIDF16_hLN4vllm18Fp8KVCacheDataTypeE1EDF16_Li32ELi128ELi256ELb1ELi3EEvPKT_PKT0_S7_ifPKiS9_S9_iPKfiiiPfSC_PS2_PT2_iSB_SB_
; %bb.0:
	s_get_pc_i64 s[2:3]
	s_add_nc_u64 s[2:3], s[2:3], __PRETTY_FUNCTION__._Z38paged_attention_ll4mi_QKV_mfma4_kernelIDF16_hLN4vllm18Fp8KVCacheDataTypeE1EDF16_Li32ELi128ELi256ELb1ELi3EEvPKT_PKT0_S7_ifPKiS9_S9_iPKfiiiPfSC_PS2_PT2_iSB_SB_@rel64+4
	s_delay_alu instid0(SALU_CYCLE_1)
	v_dual_mov_b32 v0, 0xbce :: v_dual_mov_b32 v1, s2
	v_mov_b32_e32 v2, s3
	s_add_nc_u64 s[8:9], s[0:1], 0x90
	s_get_pc_i64 s[0:1]
	s_add_nc_u64 s[0:1], s[0:1], __assert_fail@rel64+4
	s_mov_b32 s32, 0
	s_swap_pc_i64 s[30:31], s[0:1]
	.section	.rodata,"a",@progbits
	.p2align	6, 0x0
	.amdhsa_kernel _Z38paged_attention_ll4mi_QKV_mfma4_kernelIDF16_hLN4vllm18Fp8KVCacheDataTypeE1EDF16_Li32ELi128ELi256ELb1ELi3EEvPKT_PKT0_S7_ifPKiS9_S9_iPKfiiiPfSC_PS2_PT2_iSB_SB_
		.amdhsa_group_segment_fixed_size 0
		.amdhsa_private_segment_fixed_size 64
		.amdhsa_kernarg_size 400
		.amdhsa_user_sgpr_count 2
		.amdhsa_user_sgpr_dispatch_ptr 0
		.amdhsa_user_sgpr_queue_ptr 0
		.amdhsa_user_sgpr_kernarg_segment_ptr 1
		.amdhsa_user_sgpr_dispatch_id 0
		.amdhsa_user_sgpr_kernarg_preload_length 0
		.amdhsa_user_sgpr_kernarg_preload_offset 0
		.amdhsa_user_sgpr_private_segment_size 0
		.amdhsa_wavefront_size32 1
		.amdhsa_uses_dynamic_stack 0
		.amdhsa_enable_private_segment 1
		.amdhsa_system_sgpr_workgroup_id_x 1
		.amdhsa_system_sgpr_workgroup_id_y 0
		.amdhsa_system_sgpr_workgroup_id_z 0
		.amdhsa_system_sgpr_workgroup_info 0
		.amdhsa_system_vgpr_workitem_id 0
		.amdhsa_next_free_vgpr 51
		.amdhsa_next_free_sgpr 34
		.amdhsa_named_barrier_count 0
		.amdhsa_reserve_vcc 1
		.amdhsa_float_round_mode_32 0
		.amdhsa_float_round_mode_16_64 0
		.amdhsa_float_denorm_mode_32 3
		.amdhsa_float_denorm_mode_16_64 3
		.amdhsa_fp16_overflow 0
		.amdhsa_memory_ordered 1
		.amdhsa_forward_progress 1
		.amdhsa_inst_pref_size 1
		.amdhsa_round_robin_scheduling 0
		.amdhsa_exception_fp_ieee_invalid_op 0
		.amdhsa_exception_fp_denorm_src 0
		.amdhsa_exception_fp_ieee_div_zero 0
		.amdhsa_exception_fp_ieee_overflow 0
		.amdhsa_exception_fp_ieee_underflow 0
		.amdhsa_exception_fp_ieee_inexact 0
		.amdhsa_exception_int_div_zero 0
	.end_amdhsa_kernel
	.section	.text._Z38paged_attention_ll4mi_QKV_mfma4_kernelIDF16_hLN4vllm18Fp8KVCacheDataTypeE1EDF16_Li32ELi128ELi256ELb1ELi3EEvPKT_PKT0_S7_ifPKiS9_S9_iPKfiiiPfSC_PS2_PT2_iSB_SB_,"axG",@progbits,_Z38paged_attention_ll4mi_QKV_mfma4_kernelIDF16_hLN4vllm18Fp8KVCacheDataTypeE1EDF16_Li32ELi128ELi256ELb1ELi3EEvPKT_PKT0_S7_ifPKiS9_S9_iPKfiiiPfSC_PS2_PT2_iSB_SB_,comdat
.Lfunc_end1052:
	.size	_Z38paged_attention_ll4mi_QKV_mfma4_kernelIDF16_hLN4vllm18Fp8KVCacheDataTypeE1EDF16_Li32ELi128ELi256ELb1ELi3EEvPKT_PKT0_S7_ifPKiS9_S9_iPKfiiiPfSC_PS2_PT2_iSB_SB_, .Lfunc_end1052-_Z38paged_attention_ll4mi_QKV_mfma4_kernelIDF16_hLN4vllm18Fp8KVCacheDataTypeE1EDF16_Li32ELi128ELi256ELb1ELi3EEvPKT_PKT0_S7_ifPKiS9_S9_iPKfiiiPfSC_PS2_PT2_iSB_SB_
                                        ; -- End function
	.set _Z38paged_attention_ll4mi_QKV_mfma4_kernelIDF16_hLN4vllm18Fp8KVCacheDataTypeE1EDF16_Li32ELi128ELi256ELb1ELi3EEvPKT_PKT0_S7_ifPKiS9_S9_iPKfiiiPfSC_PS2_PT2_iSB_SB_.num_vgpr, max(3, .L__assert_fail.num_vgpr)
	.set _Z38paged_attention_ll4mi_QKV_mfma4_kernelIDF16_hLN4vllm18Fp8KVCacheDataTypeE1EDF16_Li32ELi128ELi256ELb1ELi3EEvPKT_PKT0_S7_ifPKiS9_S9_iPKfiiiPfSC_PS2_PT2_iSB_SB_.num_agpr, max(0, .L__assert_fail.num_agpr)
	.set _Z38paged_attention_ll4mi_QKV_mfma4_kernelIDF16_hLN4vllm18Fp8KVCacheDataTypeE1EDF16_Li32ELi128ELi256ELb1ELi3EEvPKT_PKT0_S7_ifPKiS9_S9_iPKfiiiPfSC_PS2_PT2_iSB_SB_.numbered_sgpr, max(33, .L__assert_fail.numbered_sgpr)
	.set _Z38paged_attention_ll4mi_QKV_mfma4_kernelIDF16_hLN4vllm18Fp8KVCacheDataTypeE1EDF16_Li32ELi128ELi256ELb1ELi3EEvPKT_PKT0_S7_ifPKiS9_S9_iPKfiiiPfSC_PS2_PT2_iSB_SB_.num_named_barrier, max(0, .L__assert_fail.num_named_barrier)
	.set _Z38paged_attention_ll4mi_QKV_mfma4_kernelIDF16_hLN4vllm18Fp8KVCacheDataTypeE1EDF16_Li32ELi128ELi256ELb1ELi3EEvPKT_PKT0_S7_ifPKiS9_S9_iPKfiiiPfSC_PS2_PT2_iSB_SB_.private_seg_size, 0+max(.L__assert_fail.private_seg_size)
	.set _Z38paged_attention_ll4mi_QKV_mfma4_kernelIDF16_hLN4vllm18Fp8KVCacheDataTypeE1EDF16_Li32ELi128ELi256ELb1ELi3EEvPKT_PKT0_S7_ifPKiS9_S9_iPKfiiiPfSC_PS2_PT2_iSB_SB_.uses_vcc, or(1, .L__assert_fail.uses_vcc)
	.set _Z38paged_attention_ll4mi_QKV_mfma4_kernelIDF16_hLN4vllm18Fp8KVCacheDataTypeE1EDF16_Li32ELi128ELi256ELb1ELi3EEvPKT_PKT0_S7_ifPKiS9_S9_iPKfiiiPfSC_PS2_PT2_iSB_SB_.uses_flat_scratch, or(0, .L__assert_fail.uses_flat_scratch)
	.set _Z38paged_attention_ll4mi_QKV_mfma4_kernelIDF16_hLN4vllm18Fp8KVCacheDataTypeE1EDF16_Li32ELi128ELi256ELb1ELi3EEvPKT_PKT0_S7_ifPKiS9_S9_iPKfiiiPfSC_PS2_PT2_iSB_SB_.has_dyn_sized_stack, or(0, .L__assert_fail.has_dyn_sized_stack)
	.set _Z38paged_attention_ll4mi_QKV_mfma4_kernelIDF16_hLN4vllm18Fp8KVCacheDataTypeE1EDF16_Li32ELi128ELi256ELb1ELi3EEvPKT_PKT0_S7_ifPKiS9_S9_iPKfiiiPfSC_PS2_PT2_iSB_SB_.has_recursion, or(0, .L__assert_fail.has_recursion)
	.set _Z38paged_attention_ll4mi_QKV_mfma4_kernelIDF16_hLN4vllm18Fp8KVCacheDataTypeE1EDF16_Li32ELi128ELi256ELb1ELi3EEvPKT_PKT0_S7_ifPKiS9_S9_iPKfiiiPfSC_PS2_PT2_iSB_SB_.has_indirect_call, or(0, .L__assert_fail.has_indirect_call)
	.section	.AMDGPU.csdata,"",@progbits
; Kernel info:
; codeLenInByte = 68
; TotalNumSgprs: 36
; NumVgprs: 51
; ScratchSize: 64
; MemoryBound: 0
; FloatMode: 240
; IeeeMode: 1
; LDSByteSize: 0 bytes/workgroup (compile time only)
; SGPRBlocks: 0
; VGPRBlocks: 3
; NumSGPRsForWavesPerEU: 36
; NumVGPRsForWavesPerEU: 51
; NamedBarCnt: 0
; Occupancy: 16
; WaveLimiterHint : 1
; COMPUTE_PGM_RSRC2:SCRATCH_EN: 1
; COMPUTE_PGM_RSRC2:USER_SGPR: 2
; COMPUTE_PGM_RSRC2:TRAP_HANDLER: 0
; COMPUTE_PGM_RSRC2:TGID_X_EN: 1
; COMPUTE_PGM_RSRC2:TGID_Y_EN: 0
; COMPUTE_PGM_RSRC2:TGID_Z_EN: 0
; COMPUTE_PGM_RSRC2:TIDIG_COMP_CNT: 0
	.section	.text._Z38paged_attention_ll4mi_QKV_mfma4_kernelIDF16_hLN4vllm18Fp8KVCacheDataTypeE1EDF16_Li32ELi128ELi256ELb1ELi4EEvPKT_PKT0_S7_ifPKiS9_S9_iPKfiiiPfSC_PS2_PT2_iSB_SB_,"axG",@progbits,_Z38paged_attention_ll4mi_QKV_mfma4_kernelIDF16_hLN4vllm18Fp8KVCacheDataTypeE1EDF16_Li32ELi128ELi256ELb1ELi4EEvPKT_PKT0_S7_ifPKiS9_S9_iPKfiiiPfSC_PS2_PT2_iSB_SB_,comdat
	.protected	_Z38paged_attention_ll4mi_QKV_mfma4_kernelIDF16_hLN4vllm18Fp8KVCacheDataTypeE1EDF16_Li32ELi128ELi256ELb1ELi4EEvPKT_PKT0_S7_ifPKiS9_S9_iPKfiiiPfSC_PS2_PT2_iSB_SB_ ; -- Begin function _Z38paged_attention_ll4mi_QKV_mfma4_kernelIDF16_hLN4vllm18Fp8KVCacheDataTypeE1EDF16_Li32ELi128ELi256ELb1ELi4EEvPKT_PKT0_S7_ifPKiS9_S9_iPKfiiiPfSC_PS2_PT2_iSB_SB_
	.globl	_Z38paged_attention_ll4mi_QKV_mfma4_kernelIDF16_hLN4vllm18Fp8KVCacheDataTypeE1EDF16_Li32ELi128ELi256ELb1ELi4EEvPKT_PKT0_S7_ifPKiS9_S9_iPKfiiiPfSC_PS2_PT2_iSB_SB_
	.p2align	8
	.type	_Z38paged_attention_ll4mi_QKV_mfma4_kernelIDF16_hLN4vllm18Fp8KVCacheDataTypeE1EDF16_Li32ELi128ELi256ELb1ELi4EEvPKT_PKT0_S7_ifPKiS9_S9_iPKfiiiPfSC_PS2_PT2_iSB_SB_,@function
_Z38paged_attention_ll4mi_QKV_mfma4_kernelIDF16_hLN4vllm18Fp8KVCacheDataTypeE1EDF16_Li32ELi128ELi256ELb1ELi4EEvPKT_PKT0_S7_ifPKiS9_S9_iPKfiiiPfSC_PS2_PT2_iSB_SB_: ; @_Z38paged_attention_ll4mi_QKV_mfma4_kernelIDF16_hLN4vllm18Fp8KVCacheDataTypeE1EDF16_Li32ELi128ELi256ELb1ELi4EEvPKT_PKT0_S7_ifPKiS9_S9_iPKfiiiPfSC_PS2_PT2_iSB_SB_
; %bb.0:
	s_get_pc_i64 s[2:3]
	s_add_nc_u64 s[2:3], s[2:3], __PRETTY_FUNCTION__._Z38paged_attention_ll4mi_QKV_mfma4_kernelIDF16_hLN4vllm18Fp8KVCacheDataTypeE1EDF16_Li32ELi128ELi256ELb1ELi4EEvPKT_PKT0_S7_ifPKiS9_S9_iPKfiiiPfSC_PS2_PT2_iSB_SB_@rel64+4
	s_delay_alu instid0(SALU_CYCLE_1)
	v_dual_mov_b32 v0, 0xbce :: v_dual_mov_b32 v1, s2
	v_mov_b32_e32 v2, s3
	s_add_nc_u64 s[8:9], s[0:1], 0x90
	s_get_pc_i64 s[0:1]
	s_add_nc_u64 s[0:1], s[0:1], __assert_fail@rel64+4
	s_mov_b32 s32, 0
	s_swap_pc_i64 s[30:31], s[0:1]
	.section	.rodata,"a",@progbits
	.p2align	6, 0x0
	.amdhsa_kernel _Z38paged_attention_ll4mi_QKV_mfma4_kernelIDF16_hLN4vllm18Fp8KVCacheDataTypeE1EDF16_Li32ELi128ELi256ELb1ELi4EEvPKT_PKT0_S7_ifPKiS9_S9_iPKfiiiPfSC_PS2_PT2_iSB_SB_
		.amdhsa_group_segment_fixed_size 0
		.amdhsa_private_segment_fixed_size 64
		.amdhsa_kernarg_size 400
		.amdhsa_user_sgpr_count 2
		.amdhsa_user_sgpr_dispatch_ptr 0
		.amdhsa_user_sgpr_queue_ptr 0
		.amdhsa_user_sgpr_kernarg_segment_ptr 1
		.amdhsa_user_sgpr_dispatch_id 0
		.amdhsa_user_sgpr_kernarg_preload_length 0
		.amdhsa_user_sgpr_kernarg_preload_offset 0
		.amdhsa_user_sgpr_private_segment_size 0
		.amdhsa_wavefront_size32 1
		.amdhsa_uses_dynamic_stack 0
		.amdhsa_enable_private_segment 1
		.amdhsa_system_sgpr_workgroup_id_x 1
		.amdhsa_system_sgpr_workgroup_id_y 0
		.amdhsa_system_sgpr_workgroup_id_z 0
		.amdhsa_system_sgpr_workgroup_info 0
		.amdhsa_system_vgpr_workitem_id 0
		.amdhsa_next_free_vgpr 51
		.amdhsa_next_free_sgpr 34
		.amdhsa_named_barrier_count 0
		.amdhsa_reserve_vcc 1
		.amdhsa_float_round_mode_32 0
		.amdhsa_float_round_mode_16_64 0
		.amdhsa_float_denorm_mode_32 3
		.amdhsa_float_denorm_mode_16_64 3
		.amdhsa_fp16_overflow 0
		.amdhsa_memory_ordered 1
		.amdhsa_forward_progress 1
		.amdhsa_inst_pref_size 1
		.amdhsa_round_robin_scheduling 0
		.amdhsa_exception_fp_ieee_invalid_op 0
		.amdhsa_exception_fp_denorm_src 0
		.amdhsa_exception_fp_ieee_div_zero 0
		.amdhsa_exception_fp_ieee_overflow 0
		.amdhsa_exception_fp_ieee_underflow 0
		.amdhsa_exception_fp_ieee_inexact 0
		.amdhsa_exception_int_div_zero 0
	.end_amdhsa_kernel
	.section	.text._Z38paged_attention_ll4mi_QKV_mfma4_kernelIDF16_hLN4vllm18Fp8KVCacheDataTypeE1EDF16_Li32ELi128ELi256ELb1ELi4EEvPKT_PKT0_S7_ifPKiS9_S9_iPKfiiiPfSC_PS2_PT2_iSB_SB_,"axG",@progbits,_Z38paged_attention_ll4mi_QKV_mfma4_kernelIDF16_hLN4vllm18Fp8KVCacheDataTypeE1EDF16_Li32ELi128ELi256ELb1ELi4EEvPKT_PKT0_S7_ifPKiS9_S9_iPKfiiiPfSC_PS2_PT2_iSB_SB_,comdat
.Lfunc_end1053:
	.size	_Z38paged_attention_ll4mi_QKV_mfma4_kernelIDF16_hLN4vllm18Fp8KVCacheDataTypeE1EDF16_Li32ELi128ELi256ELb1ELi4EEvPKT_PKT0_S7_ifPKiS9_S9_iPKfiiiPfSC_PS2_PT2_iSB_SB_, .Lfunc_end1053-_Z38paged_attention_ll4mi_QKV_mfma4_kernelIDF16_hLN4vllm18Fp8KVCacheDataTypeE1EDF16_Li32ELi128ELi256ELb1ELi4EEvPKT_PKT0_S7_ifPKiS9_S9_iPKfiiiPfSC_PS2_PT2_iSB_SB_
                                        ; -- End function
	.set _Z38paged_attention_ll4mi_QKV_mfma4_kernelIDF16_hLN4vllm18Fp8KVCacheDataTypeE1EDF16_Li32ELi128ELi256ELb1ELi4EEvPKT_PKT0_S7_ifPKiS9_S9_iPKfiiiPfSC_PS2_PT2_iSB_SB_.num_vgpr, max(3, .L__assert_fail.num_vgpr)
	.set _Z38paged_attention_ll4mi_QKV_mfma4_kernelIDF16_hLN4vllm18Fp8KVCacheDataTypeE1EDF16_Li32ELi128ELi256ELb1ELi4EEvPKT_PKT0_S7_ifPKiS9_S9_iPKfiiiPfSC_PS2_PT2_iSB_SB_.num_agpr, max(0, .L__assert_fail.num_agpr)
	.set _Z38paged_attention_ll4mi_QKV_mfma4_kernelIDF16_hLN4vllm18Fp8KVCacheDataTypeE1EDF16_Li32ELi128ELi256ELb1ELi4EEvPKT_PKT0_S7_ifPKiS9_S9_iPKfiiiPfSC_PS2_PT2_iSB_SB_.numbered_sgpr, max(33, .L__assert_fail.numbered_sgpr)
	.set _Z38paged_attention_ll4mi_QKV_mfma4_kernelIDF16_hLN4vllm18Fp8KVCacheDataTypeE1EDF16_Li32ELi128ELi256ELb1ELi4EEvPKT_PKT0_S7_ifPKiS9_S9_iPKfiiiPfSC_PS2_PT2_iSB_SB_.num_named_barrier, max(0, .L__assert_fail.num_named_barrier)
	.set _Z38paged_attention_ll4mi_QKV_mfma4_kernelIDF16_hLN4vllm18Fp8KVCacheDataTypeE1EDF16_Li32ELi128ELi256ELb1ELi4EEvPKT_PKT0_S7_ifPKiS9_S9_iPKfiiiPfSC_PS2_PT2_iSB_SB_.private_seg_size, 0+max(.L__assert_fail.private_seg_size)
	.set _Z38paged_attention_ll4mi_QKV_mfma4_kernelIDF16_hLN4vllm18Fp8KVCacheDataTypeE1EDF16_Li32ELi128ELi256ELb1ELi4EEvPKT_PKT0_S7_ifPKiS9_S9_iPKfiiiPfSC_PS2_PT2_iSB_SB_.uses_vcc, or(1, .L__assert_fail.uses_vcc)
	.set _Z38paged_attention_ll4mi_QKV_mfma4_kernelIDF16_hLN4vllm18Fp8KVCacheDataTypeE1EDF16_Li32ELi128ELi256ELb1ELi4EEvPKT_PKT0_S7_ifPKiS9_S9_iPKfiiiPfSC_PS2_PT2_iSB_SB_.uses_flat_scratch, or(0, .L__assert_fail.uses_flat_scratch)
	.set _Z38paged_attention_ll4mi_QKV_mfma4_kernelIDF16_hLN4vllm18Fp8KVCacheDataTypeE1EDF16_Li32ELi128ELi256ELb1ELi4EEvPKT_PKT0_S7_ifPKiS9_S9_iPKfiiiPfSC_PS2_PT2_iSB_SB_.has_dyn_sized_stack, or(0, .L__assert_fail.has_dyn_sized_stack)
	.set _Z38paged_attention_ll4mi_QKV_mfma4_kernelIDF16_hLN4vllm18Fp8KVCacheDataTypeE1EDF16_Li32ELi128ELi256ELb1ELi4EEvPKT_PKT0_S7_ifPKiS9_S9_iPKfiiiPfSC_PS2_PT2_iSB_SB_.has_recursion, or(0, .L__assert_fail.has_recursion)
	.set _Z38paged_attention_ll4mi_QKV_mfma4_kernelIDF16_hLN4vllm18Fp8KVCacheDataTypeE1EDF16_Li32ELi128ELi256ELb1ELi4EEvPKT_PKT0_S7_ifPKiS9_S9_iPKfiiiPfSC_PS2_PT2_iSB_SB_.has_indirect_call, or(0, .L__assert_fail.has_indirect_call)
	.section	.AMDGPU.csdata,"",@progbits
; Kernel info:
; codeLenInByte = 68
; TotalNumSgprs: 36
; NumVgprs: 51
; ScratchSize: 64
; MemoryBound: 0
; FloatMode: 240
; IeeeMode: 1
; LDSByteSize: 0 bytes/workgroup (compile time only)
; SGPRBlocks: 0
; VGPRBlocks: 3
; NumSGPRsForWavesPerEU: 36
; NumVGPRsForWavesPerEU: 51
; NamedBarCnt: 0
; Occupancy: 16
; WaveLimiterHint : 1
; COMPUTE_PGM_RSRC2:SCRATCH_EN: 1
; COMPUTE_PGM_RSRC2:USER_SGPR: 2
; COMPUTE_PGM_RSRC2:TRAP_HANDLER: 0
; COMPUTE_PGM_RSRC2:TGID_X_EN: 1
; COMPUTE_PGM_RSRC2:TGID_Y_EN: 0
; COMPUTE_PGM_RSRC2:TGID_Z_EN: 0
; COMPUTE_PGM_RSRC2:TIDIG_COMP_CNT: 0
	.section	.text._Z39paged_attention_ll4mi_QKV_mfma16_kernelIDF16_hLN4vllm18Fp8KVCacheDataTypeE1EDF16_Li32ELi128ELi256ELb1ELi5EEvPKT_PKT0_S7_ifPKiS9_S9_iPKfiiiPfSC_PS2_PT2_iSB_SB_,"axG",@progbits,_Z39paged_attention_ll4mi_QKV_mfma16_kernelIDF16_hLN4vllm18Fp8KVCacheDataTypeE1EDF16_Li32ELi128ELi256ELb1ELi5EEvPKT_PKT0_S7_ifPKiS9_S9_iPKfiiiPfSC_PS2_PT2_iSB_SB_,comdat
	.protected	_Z39paged_attention_ll4mi_QKV_mfma16_kernelIDF16_hLN4vllm18Fp8KVCacheDataTypeE1EDF16_Li32ELi128ELi256ELb1ELi5EEvPKT_PKT0_S7_ifPKiS9_S9_iPKfiiiPfSC_PS2_PT2_iSB_SB_ ; -- Begin function _Z39paged_attention_ll4mi_QKV_mfma16_kernelIDF16_hLN4vllm18Fp8KVCacheDataTypeE1EDF16_Li32ELi128ELi256ELb1ELi5EEvPKT_PKT0_S7_ifPKiS9_S9_iPKfiiiPfSC_PS2_PT2_iSB_SB_
	.globl	_Z39paged_attention_ll4mi_QKV_mfma16_kernelIDF16_hLN4vllm18Fp8KVCacheDataTypeE1EDF16_Li32ELi128ELi256ELb1ELi5EEvPKT_PKT0_S7_ifPKiS9_S9_iPKfiiiPfSC_PS2_PT2_iSB_SB_
	.p2align	8
	.type	_Z39paged_attention_ll4mi_QKV_mfma16_kernelIDF16_hLN4vllm18Fp8KVCacheDataTypeE1EDF16_Li32ELi128ELi256ELb1ELi5EEvPKT_PKT0_S7_ifPKiS9_S9_iPKfiiiPfSC_PS2_PT2_iSB_SB_,@function
_Z39paged_attention_ll4mi_QKV_mfma16_kernelIDF16_hLN4vllm18Fp8KVCacheDataTypeE1EDF16_Li32ELi128ELi256ELb1ELi5EEvPKT_PKT0_S7_ifPKiS9_S9_iPKfiiiPfSC_PS2_PT2_iSB_SB_: ; @_Z39paged_attention_ll4mi_QKV_mfma16_kernelIDF16_hLN4vllm18Fp8KVCacheDataTypeE1EDF16_Li32ELi128ELi256ELb1ELi5EEvPKT_PKT0_S7_ifPKiS9_S9_iPKfiiiPfSC_PS2_PT2_iSB_SB_
; %bb.0:
	s_get_pc_i64 s[2:3]
	s_add_nc_u64 s[2:3], s[2:3], __PRETTY_FUNCTION__._Z39paged_attention_ll4mi_QKV_mfma16_kernelIDF16_hLN4vllm18Fp8KVCacheDataTypeE1EDF16_Li32ELi128ELi256ELb1ELi5EEvPKT_PKT0_S7_ifPKiS9_S9_iPKfiiiPfSC_PS2_PT2_iSB_SB_@rel64+4
	s_delay_alu instid0(SALU_CYCLE_1)
	v_dual_mov_b32 v0, 0xbb3 :: v_dual_mov_b32 v1, s2
	v_mov_b32_e32 v2, s3
	s_add_nc_u64 s[8:9], s[0:1], 0x90
	s_get_pc_i64 s[0:1]
	s_add_nc_u64 s[0:1], s[0:1], __assert_fail@rel64+4
	s_mov_b32 s32, 0
	s_swap_pc_i64 s[30:31], s[0:1]
	.section	.rodata,"a",@progbits
	.p2align	6, 0x0
	.amdhsa_kernel _Z39paged_attention_ll4mi_QKV_mfma16_kernelIDF16_hLN4vllm18Fp8KVCacheDataTypeE1EDF16_Li32ELi128ELi256ELb1ELi5EEvPKT_PKT0_S7_ifPKiS9_S9_iPKfiiiPfSC_PS2_PT2_iSB_SB_
		.amdhsa_group_segment_fixed_size 0
		.amdhsa_private_segment_fixed_size 64
		.amdhsa_kernarg_size 400
		.amdhsa_user_sgpr_count 2
		.amdhsa_user_sgpr_dispatch_ptr 0
		.amdhsa_user_sgpr_queue_ptr 0
		.amdhsa_user_sgpr_kernarg_segment_ptr 1
		.amdhsa_user_sgpr_dispatch_id 0
		.amdhsa_user_sgpr_kernarg_preload_length 0
		.amdhsa_user_sgpr_kernarg_preload_offset 0
		.amdhsa_user_sgpr_private_segment_size 0
		.amdhsa_wavefront_size32 1
		.amdhsa_uses_dynamic_stack 0
		.amdhsa_enable_private_segment 1
		.amdhsa_system_sgpr_workgroup_id_x 1
		.amdhsa_system_sgpr_workgroup_id_y 0
		.amdhsa_system_sgpr_workgroup_id_z 0
		.amdhsa_system_sgpr_workgroup_info 0
		.amdhsa_system_vgpr_workitem_id 0
		.amdhsa_next_free_vgpr 51
		.amdhsa_next_free_sgpr 34
		.amdhsa_named_barrier_count 0
		.amdhsa_reserve_vcc 1
		.amdhsa_float_round_mode_32 0
		.amdhsa_float_round_mode_16_64 0
		.amdhsa_float_denorm_mode_32 3
		.amdhsa_float_denorm_mode_16_64 3
		.amdhsa_fp16_overflow 0
		.amdhsa_memory_ordered 1
		.amdhsa_forward_progress 1
		.amdhsa_inst_pref_size 1
		.amdhsa_round_robin_scheduling 0
		.amdhsa_exception_fp_ieee_invalid_op 0
		.amdhsa_exception_fp_denorm_src 0
		.amdhsa_exception_fp_ieee_div_zero 0
		.amdhsa_exception_fp_ieee_overflow 0
		.amdhsa_exception_fp_ieee_underflow 0
		.amdhsa_exception_fp_ieee_inexact 0
		.amdhsa_exception_int_div_zero 0
	.end_amdhsa_kernel
	.section	.text._Z39paged_attention_ll4mi_QKV_mfma16_kernelIDF16_hLN4vllm18Fp8KVCacheDataTypeE1EDF16_Li32ELi128ELi256ELb1ELi5EEvPKT_PKT0_S7_ifPKiS9_S9_iPKfiiiPfSC_PS2_PT2_iSB_SB_,"axG",@progbits,_Z39paged_attention_ll4mi_QKV_mfma16_kernelIDF16_hLN4vllm18Fp8KVCacheDataTypeE1EDF16_Li32ELi128ELi256ELb1ELi5EEvPKT_PKT0_S7_ifPKiS9_S9_iPKfiiiPfSC_PS2_PT2_iSB_SB_,comdat
.Lfunc_end1054:
	.size	_Z39paged_attention_ll4mi_QKV_mfma16_kernelIDF16_hLN4vllm18Fp8KVCacheDataTypeE1EDF16_Li32ELi128ELi256ELb1ELi5EEvPKT_PKT0_S7_ifPKiS9_S9_iPKfiiiPfSC_PS2_PT2_iSB_SB_, .Lfunc_end1054-_Z39paged_attention_ll4mi_QKV_mfma16_kernelIDF16_hLN4vllm18Fp8KVCacheDataTypeE1EDF16_Li32ELi128ELi256ELb1ELi5EEvPKT_PKT0_S7_ifPKiS9_S9_iPKfiiiPfSC_PS2_PT2_iSB_SB_
                                        ; -- End function
	.set _Z39paged_attention_ll4mi_QKV_mfma16_kernelIDF16_hLN4vllm18Fp8KVCacheDataTypeE1EDF16_Li32ELi128ELi256ELb1ELi5EEvPKT_PKT0_S7_ifPKiS9_S9_iPKfiiiPfSC_PS2_PT2_iSB_SB_.num_vgpr, max(3, .L__assert_fail.num_vgpr)
	.set _Z39paged_attention_ll4mi_QKV_mfma16_kernelIDF16_hLN4vllm18Fp8KVCacheDataTypeE1EDF16_Li32ELi128ELi256ELb1ELi5EEvPKT_PKT0_S7_ifPKiS9_S9_iPKfiiiPfSC_PS2_PT2_iSB_SB_.num_agpr, max(0, .L__assert_fail.num_agpr)
	.set _Z39paged_attention_ll4mi_QKV_mfma16_kernelIDF16_hLN4vllm18Fp8KVCacheDataTypeE1EDF16_Li32ELi128ELi256ELb1ELi5EEvPKT_PKT0_S7_ifPKiS9_S9_iPKfiiiPfSC_PS2_PT2_iSB_SB_.numbered_sgpr, max(33, .L__assert_fail.numbered_sgpr)
	.set _Z39paged_attention_ll4mi_QKV_mfma16_kernelIDF16_hLN4vllm18Fp8KVCacheDataTypeE1EDF16_Li32ELi128ELi256ELb1ELi5EEvPKT_PKT0_S7_ifPKiS9_S9_iPKfiiiPfSC_PS2_PT2_iSB_SB_.num_named_barrier, max(0, .L__assert_fail.num_named_barrier)
	.set _Z39paged_attention_ll4mi_QKV_mfma16_kernelIDF16_hLN4vllm18Fp8KVCacheDataTypeE1EDF16_Li32ELi128ELi256ELb1ELi5EEvPKT_PKT0_S7_ifPKiS9_S9_iPKfiiiPfSC_PS2_PT2_iSB_SB_.private_seg_size, 0+max(.L__assert_fail.private_seg_size)
	.set _Z39paged_attention_ll4mi_QKV_mfma16_kernelIDF16_hLN4vllm18Fp8KVCacheDataTypeE1EDF16_Li32ELi128ELi256ELb1ELi5EEvPKT_PKT0_S7_ifPKiS9_S9_iPKfiiiPfSC_PS2_PT2_iSB_SB_.uses_vcc, or(1, .L__assert_fail.uses_vcc)
	.set _Z39paged_attention_ll4mi_QKV_mfma16_kernelIDF16_hLN4vllm18Fp8KVCacheDataTypeE1EDF16_Li32ELi128ELi256ELb1ELi5EEvPKT_PKT0_S7_ifPKiS9_S9_iPKfiiiPfSC_PS2_PT2_iSB_SB_.uses_flat_scratch, or(0, .L__assert_fail.uses_flat_scratch)
	.set _Z39paged_attention_ll4mi_QKV_mfma16_kernelIDF16_hLN4vllm18Fp8KVCacheDataTypeE1EDF16_Li32ELi128ELi256ELb1ELi5EEvPKT_PKT0_S7_ifPKiS9_S9_iPKfiiiPfSC_PS2_PT2_iSB_SB_.has_dyn_sized_stack, or(0, .L__assert_fail.has_dyn_sized_stack)
	.set _Z39paged_attention_ll4mi_QKV_mfma16_kernelIDF16_hLN4vllm18Fp8KVCacheDataTypeE1EDF16_Li32ELi128ELi256ELb1ELi5EEvPKT_PKT0_S7_ifPKiS9_S9_iPKfiiiPfSC_PS2_PT2_iSB_SB_.has_recursion, or(0, .L__assert_fail.has_recursion)
	.set _Z39paged_attention_ll4mi_QKV_mfma16_kernelIDF16_hLN4vllm18Fp8KVCacheDataTypeE1EDF16_Li32ELi128ELi256ELb1ELi5EEvPKT_PKT0_S7_ifPKiS9_S9_iPKfiiiPfSC_PS2_PT2_iSB_SB_.has_indirect_call, or(0, .L__assert_fail.has_indirect_call)
	.section	.AMDGPU.csdata,"",@progbits
; Kernel info:
; codeLenInByte = 68
; TotalNumSgprs: 36
; NumVgprs: 51
; ScratchSize: 64
; MemoryBound: 0
; FloatMode: 240
; IeeeMode: 1
; LDSByteSize: 0 bytes/workgroup (compile time only)
; SGPRBlocks: 0
; VGPRBlocks: 3
; NumSGPRsForWavesPerEU: 36
; NumVGPRsForWavesPerEU: 51
; NamedBarCnt: 0
; Occupancy: 16
; WaveLimiterHint : 1
; COMPUTE_PGM_RSRC2:SCRATCH_EN: 1
; COMPUTE_PGM_RSRC2:USER_SGPR: 2
; COMPUTE_PGM_RSRC2:TRAP_HANDLER: 0
; COMPUTE_PGM_RSRC2:TGID_X_EN: 1
; COMPUTE_PGM_RSRC2:TGID_Y_EN: 0
; COMPUTE_PGM_RSRC2:TGID_Z_EN: 0
; COMPUTE_PGM_RSRC2:TIDIG_COMP_CNT: 0
	.section	.text._Z39paged_attention_ll4mi_QKV_mfma16_kernelIDF16_hLN4vllm18Fp8KVCacheDataTypeE1EDF16_Li32ELi128ELi256ELb1ELi6EEvPKT_PKT0_S7_ifPKiS9_S9_iPKfiiiPfSC_PS2_PT2_iSB_SB_,"axG",@progbits,_Z39paged_attention_ll4mi_QKV_mfma16_kernelIDF16_hLN4vllm18Fp8KVCacheDataTypeE1EDF16_Li32ELi128ELi256ELb1ELi6EEvPKT_PKT0_S7_ifPKiS9_S9_iPKfiiiPfSC_PS2_PT2_iSB_SB_,comdat
	.protected	_Z39paged_attention_ll4mi_QKV_mfma16_kernelIDF16_hLN4vllm18Fp8KVCacheDataTypeE1EDF16_Li32ELi128ELi256ELb1ELi6EEvPKT_PKT0_S7_ifPKiS9_S9_iPKfiiiPfSC_PS2_PT2_iSB_SB_ ; -- Begin function _Z39paged_attention_ll4mi_QKV_mfma16_kernelIDF16_hLN4vllm18Fp8KVCacheDataTypeE1EDF16_Li32ELi128ELi256ELb1ELi6EEvPKT_PKT0_S7_ifPKiS9_S9_iPKfiiiPfSC_PS2_PT2_iSB_SB_
	.globl	_Z39paged_attention_ll4mi_QKV_mfma16_kernelIDF16_hLN4vllm18Fp8KVCacheDataTypeE1EDF16_Li32ELi128ELi256ELb1ELi6EEvPKT_PKT0_S7_ifPKiS9_S9_iPKfiiiPfSC_PS2_PT2_iSB_SB_
	.p2align	8
	.type	_Z39paged_attention_ll4mi_QKV_mfma16_kernelIDF16_hLN4vllm18Fp8KVCacheDataTypeE1EDF16_Li32ELi128ELi256ELb1ELi6EEvPKT_PKT0_S7_ifPKiS9_S9_iPKfiiiPfSC_PS2_PT2_iSB_SB_,@function
_Z39paged_attention_ll4mi_QKV_mfma16_kernelIDF16_hLN4vllm18Fp8KVCacheDataTypeE1EDF16_Li32ELi128ELi256ELb1ELi6EEvPKT_PKT0_S7_ifPKiS9_S9_iPKfiiiPfSC_PS2_PT2_iSB_SB_: ; @_Z39paged_attention_ll4mi_QKV_mfma16_kernelIDF16_hLN4vllm18Fp8KVCacheDataTypeE1EDF16_Li32ELi128ELi256ELb1ELi6EEvPKT_PKT0_S7_ifPKiS9_S9_iPKfiiiPfSC_PS2_PT2_iSB_SB_
; %bb.0:
	s_get_pc_i64 s[2:3]
	s_add_nc_u64 s[2:3], s[2:3], __PRETTY_FUNCTION__._Z39paged_attention_ll4mi_QKV_mfma16_kernelIDF16_hLN4vllm18Fp8KVCacheDataTypeE1EDF16_Li32ELi128ELi256ELb1ELi6EEvPKT_PKT0_S7_ifPKiS9_S9_iPKfiiiPfSC_PS2_PT2_iSB_SB_@rel64+4
	s_delay_alu instid0(SALU_CYCLE_1)
	v_dual_mov_b32 v0, 0xbb3 :: v_dual_mov_b32 v1, s2
	v_mov_b32_e32 v2, s3
	s_add_nc_u64 s[8:9], s[0:1], 0x90
	s_get_pc_i64 s[0:1]
	s_add_nc_u64 s[0:1], s[0:1], __assert_fail@rel64+4
	s_mov_b32 s32, 0
	s_swap_pc_i64 s[30:31], s[0:1]
	.section	.rodata,"a",@progbits
	.p2align	6, 0x0
	.amdhsa_kernel _Z39paged_attention_ll4mi_QKV_mfma16_kernelIDF16_hLN4vllm18Fp8KVCacheDataTypeE1EDF16_Li32ELi128ELi256ELb1ELi6EEvPKT_PKT0_S7_ifPKiS9_S9_iPKfiiiPfSC_PS2_PT2_iSB_SB_
		.amdhsa_group_segment_fixed_size 0
		.amdhsa_private_segment_fixed_size 64
		.amdhsa_kernarg_size 400
		.amdhsa_user_sgpr_count 2
		.amdhsa_user_sgpr_dispatch_ptr 0
		.amdhsa_user_sgpr_queue_ptr 0
		.amdhsa_user_sgpr_kernarg_segment_ptr 1
		.amdhsa_user_sgpr_dispatch_id 0
		.amdhsa_user_sgpr_kernarg_preload_length 0
		.amdhsa_user_sgpr_kernarg_preload_offset 0
		.amdhsa_user_sgpr_private_segment_size 0
		.amdhsa_wavefront_size32 1
		.amdhsa_uses_dynamic_stack 0
		.amdhsa_enable_private_segment 1
		.amdhsa_system_sgpr_workgroup_id_x 1
		.amdhsa_system_sgpr_workgroup_id_y 0
		.amdhsa_system_sgpr_workgroup_id_z 0
		.amdhsa_system_sgpr_workgroup_info 0
		.amdhsa_system_vgpr_workitem_id 0
		.amdhsa_next_free_vgpr 51
		.amdhsa_next_free_sgpr 34
		.amdhsa_named_barrier_count 0
		.amdhsa_reserve_vcc 1
		.amdhsa_float_round_mode_32 0
		.amdhsa_float_round_mode_16_64 0
		.amdhsa_float_denorm_mode_32 3
		.amdhsa_float_denorm_mode_16_64 3
		.amdhsa_fp16_overflow 0
		.amdhsa_memory_ordered 1
		.amdhsa_forward_progress 1
		.amdhsa_inst_pref_size 1
		.amdhsa_round_robin_scheduling 0
		.amdhsa_exception_fp_ieee_invalid_op 0
		.amdhsa_exception_fp_denorm_src 0
		.amdhsa_exception_fp_ieee_div_zero 0
		.amdhsa_exception_fp_ieee_overflow 0
		.amdhsa_exception_fp_ieee_underflow 0
		.amdhsa_exception_fp_ieee_inexact 0
		.amdhsa_exception_int_div_zero 0
	.end_amdhsa_kernel
	.section	.text._Z39paged_attention_ll4mi_QKV_mfma16_kernelIDF16_hLN4vllm18Fp8KVCacheDataTypeE1EDF16_Li32ELi128ELi256ELb1ELi6EEvPKT_PKT0_S7_ifPKiS9_S9_iPKfiiiPfSC_PS2_PT2_iSB_SB_,"axG",@progbits,_Z39paged_attention_ll4mi_QKV_mfma16_kernelIDF16_hLN4vllm18Fp8KVCacheDataTypeE1EDF16_Li32ELi128ELi256ELb1ELi6EEvPKT_PKT0_S7_ifPKiS9_S9_iPKfiiiPfSC_PS2_PT2_iSB_SB_,comdat
.Lfunc_end1055:
	.size	_Z39paged_attention_ll4mi_QKV_mfma16_kernelIDF16_hLN4vllm18Fp8KVCacheDataTypeE1EDF16_Li32ELi128ELi256ELb1ELi6EEvPKT_PKT0_S7_ifPKiS9_S9_iPKfiiiPfSC_PS2_PT2_iSB_SB_, .Lfunc_end1055-_Z39paged_attention_ll4mi_QKV_mfma16_kernelIDF16_hLN4vllm18Fp8KVCacheDataTypeE1EDF16_Li32ELi128ELi256ELb1ELi6EEvPKT_PKT0_S7_ifPKiS9_S9_iPKfiiiPfSC_PS2_PT2_iSB_SB_
                                        ; -- End function
	.set _Z39paged_attention_ll4mi_QKV_mfma16_kernelIDF16_hLN4vllm18Fp8KVCacheDataTypeE1EDF16_Li32ELi128ELi256ELb1ELi6EEvPKT_PKT0_S7_ifPKiS9_S9_iPKfiiiPfSC_PS2_PT2_iSB_SB_.num_vgpr, max(3, .L__assert_fail.num_vgpr)
	.set _Z39paged_attention_ll4mi_QKV_mfma16_kernelIDF16_hLN4vllm18Fp8KVCacheDataTypeE1EDF16_Li32ELi128ELi256ELb1ELi6EEvPKT_PKT0_S7_ifPKiS9_S9_iPKfiiiPfSC_PS2_PT2_iSB_SB_.num_agpr, max(0, .L__assert_fail.num_agpr)
	.set _Z39paged_attention_ll4mi_QKV_mfma16_kernelIDF16_hLN4vllm18Fp8KVCacheDataTypeE1EDF16_Li32ELi128ELi256ELb1ELi6EEvPKT_PKT0_S7_ifPKiS9_S9_iPKfiiiPfSC_PS2_PT2_iSB_SB_.numbered_sgpr, max(33, .L__assert_fail.numbered_sgpr)
	.set _Z39paged_attention_ll4mi_QKV_mfma16_kernelIDF16_hLN4vllm18Fp8KVCacheDataTypeE1EDF16_Li32ELi128ELi256ELb1ELi6EEvPKT_PKT0_S7_ifPKiS9_S9_iPKfiiiPfSC_PS2_PT2_iSB_SB_.num_named_barrier, max(0, .L__assert_fail.num_named_barrier)
	.set _Z39paged_attention_ll4mi_QKV_mfma16_kernelIDF16_hLN4vllm18Fp8KVCacheDataTypeE1EDF16_Li32ELi128ELi256ELb1ELi6EEvPKT_PKT0_S7_ifPKiS9_S9_iPKfiiiPfSC_PS2_PT2_iSB_SB_.private_seg_size, 0+max(.L__assert_fail.private_seg_size)
	.set _Z39paged_attention_ll4mi_QKV_mfma16_kernelIDF16_hLN4vllm18Fp8KVCacheDataTypeE1EDF16_Li32ELi128ELi256ELb1ELi6EEvPKT_PKT0_S7_ifPKiS9_S9_iPKfiiiPfSC_PS2_PT2_iSB_SB_.uses_vcc, or(1, .L__assert_fail.uses_vcc)
	.set _Z39paged_attention_ll4mi_QKV_mfma16_kernelIDF16_hLN4vllm18Fp8KVCacheDataTypeE1EDF16_Li32ELi128ELi256ELb1ELi6EEvPKT_PKT0_S7_ifPKiS9_S9_iPKfiiiPfSC_PS2_PT2_iSB_SB_.uses_flat_scratch, or(0, .L__assert_fail.uses_flat_scratch)
	.set _Z39paged_attention_ll4mi_QKV_mfma16_kernelIDF16_hLN4vllm18Fp8KVCacheDataTypeE1EDF16_Li32ELi128ELi256ELb1ELi6EEvPKT_PKT0_S7_ifPKiS9_S9_iPKfiiiPfSC_PS2_PT2_iSB_SB_.has_dyn_sized_stack, or(0, .L__assert_fail.has_dyn_sized_stack)
	.set _Z39paged_attention_ll4mi_QKV_mfma16_kernelIDF16_hLN4vllm18Fp8KVCacheDataTypeE1EDF16_Li32ELi128ELi256ELb1ELi6EEvPKT_PKT0_S7_ifPKiS9_S9_iPKfiiiPfSC_PS2_PT2_iSB_SB_.has_recursion, or(0, .L__assert_fail.has_recursion)
	.set _Z39paged_attention_ll4mi_QKV_mfma16_kernelIDF16_hLN4vllm18Fp8KVCacheDataTypeE1EDF16_Li32ELi128ELi256ELb1ELi6EEvPKT_PKT0_S7_ifPKiS9_S9_iPKfiiiPfSC_PS2_PT2_iSB_SB_.has_indirect_call, or(0, .L__assert_fail.has_indirect_call)
	.section	.AMDGPU.csdata,"",@progbits
; Kernel info:
; codeLenInByte = 68
; TotalNumSgprs: 36
; NumVgprs: 51
; ScratchSize: 64
; MemoryBound: 0
; FloatMode: 240
; IeeeMode: 1
; LDSByteSize: 0 bytes/workgroup (compile time only)
; SGPRBlocks: 0
; VGPRBlocks: 3
; NumSGPRsForWavesPerEU: 36
; NumVGPRsForWavesPerEU: 51
; NamedBarCnt: 0
; Occupancy: 16
; WaveLimiterHint : 1
; COMPUTE_PGM_RSRC2:SCRATCH_EN: 1
; COMPUTE_PGM_RSRC2:USER_SGPR: 2
; COMPUTE_PGM_RSRC2:TRAP_HANDLER: 0
; COMPUTE_PGM_RSRC2:TGID_X_EN: 1
; COMPUTE_PGM_RSRC2:TGID_Y_EN: 0
; COMPUTE_PGM_RSRC2:TGID_Z_EN: 0
; COMPUTE_PGM_RSRC2:TIDIG_COMP_CNT: 0
	.section	.text._Z39paged_attention_ll4mi_QKV_mfma16_kernelIDF16_hLN4vllm18Fp8KVCacheDataTypeE1EDF16_Li32ELi128ELi256ELb1ELi7EEvPKT_PKT0_S7_ifPKiS9_S9_iPKfiiiPfSC_PS2_PT2_iSB_SB_,"axG",@progbits,_Z39paged_attention_ll4mi_QKV_mfma16_kernelIDF16_hLN4vllm18Fp8KVCacheDataTypeE1EDF16_Li32ELi128ELi256ELb1ELi7EEvPKT_PKT0_S7_ifPKiS9_S9_iPKfiiiPfSC_PS2_PT2_iSB_SB_,comdat
	.protected	_Z39paged_attention_ll4mi_QKV_mfma16_kernelIDF16_hLN4vllm18Fp8KVCacheDataTypeE1EDF16_Li32ELi128ELi256ELb1ELi7EEvPKT_PKT0_S7_ifPKiS9_S9_iPKfiiiPfSC_PS2_PT2_iSB_SB_ ; -- Begin function _Z39paged_attention_ll4mi_QKV_mfma16_kernelIDF16_hLN4vllm18Fp8KVCacheDataTypeE1EDF16_Li32ELi128ELi256ELb1ELi7EEvPKT_PKT0_S7_ifPKiS9_S9_iPKfiiiPfSC_PS2_PT2_iSB_SB_
	.globl	_Z39paged_attention_ll4mi_QKV_mfma16_kernelIDF16_hLN4vllm18Fp8KVCacheDataTypeE1EDF16_Li32ELi128ELi256ELb1ELi7EEvPKT_PKT0_S7_ifPKiS9_S9_iPKfiiiPfSC_PS2_PT2_iSB_SB_
	.p2align	8
	.type	_Z39paged_attention_ll4mi_QKV_mfma16_kernelIDF16_hLN4vllm18Fp8KVCacheDataTypeE1EDF16_Li32ELi128ELi256ELb1ELi7EEvPKT_PKT0_S7_ifPKiS9_S9_iPKfiiiPfSC_PS2_PT2_iSB_SB_,@function
_Z39paged_attention_ll4mi_QKV_mfma16_kernelIDF16_hLN4vllm18Fp8KVCacheDataTypeE1EDF16_Li32ELi128ELi256ELb1ELi7EEvPKT_PKT0_S7_ifPKiS9_S9_iPKfiiiPfSC_PS2_PT2_iSB_SB_: ; @_Z39paged_attention_ll4mi_QKV_mfma16_kernelIDF16_hLN4vllm18Fp8KVCacheDataTypeE1EDF16_Li32ELi128ELi256ELb1ELi7EEvPKT_PKT0_S7_ifPKiS9_S9_iPKfiiiPfSC_PS2_PT2_iSB_SB_
; %bb.0:
	s_get_pc_i64 s[2:3]
	s_add_nc_u64 s[2:3], s[2:3], __PRETTY_FUNCTION__._Z39paged_attention_ll4mi_QKV_mfma16_kernelIDF16_hLN4vllm18Fp8KVCacheDataTypeE1EDF16_Li32ELi128ELi256ELb1ELi7EEvPKT_PKT0_S7_ifPKiS9_S9_iPKfiiiPfSC_PS2_PT2_iSB_SB_@rel64+4
	s_delay_alu instid0(SALU_CYCLE_1)
	v_dual_mov_b32 v0, 0xbb3 :: v_dual_mov_b32 v1, s2
	v_mov_b32_e32 v2, s3
	s_add_nc_u64 s[8:9], s[0:1], 0x90
	s_get_pc_i64 s[0:1]
	s_add_nc_u64 s[0:1], s[0:1], __assert_fail@rel64+4
	s_mov_b32 s32, 0
	s_swap_pc_i64 s[30:31], s[0:1]
	.section	.rodata,"a",@progbits
	.p2align	6, 0x0
	.amdhsa_kernel _Z39paged_attention_ll4mi_QKV_mfma16_kernelIDF16_hLN4vllm18Fp8KVCacheDataTypeE1EDF16_Li32ELi128ELi256ELb1ELi7EEvPKT_PKT0_S7_ifPKiS9_S9_iPKfiiiPfSC_PS2_PT2_iSB_SB_
		.amdhsa_group_segment_fixed_size 0
		.amdhsa_private_segment_fixed_size 64
		.amdhsa_kernarg_size 400
		.amdhsa_user_sgpr_count 2
		.amdhsa_user_sgpr_dispatch_ptr 0
		.amdhsa_user_sgpr_queue_ptr 0
		.amdhsa_user_sgpr_kernarg_segment_ptr 1
		.amdhsa_user_sgpr_dispatch_id 0
		.amdhsa_user_sgpr_kernarg_preload_length 0
		.amdhsa_user_sgpr_kernarg_preload_offset 0
		.amdhsa_user_sgpr_private_segment_size 0
		.amdhsa_wavefront_size32 1
		.amdhsa_uses_dynamic_stack 0
		.amdhsa_enable_private_segment 1
		.amdhsa_system_sgpr_workgroup_id_x 1
		.amdhsa_system_sgpr_workgroup_id_y 0
		.amdhsa_system_sgpr_workgroup_id_z 0
		.amdhsa_system_sgpr_workgroup_info 0
		.amdhsa_system_vgpr_workitem_id 0
		.amdhsa_next_free_vgpr 51
		.amdhsa_next_free_sgpr 34
		.amdhsa_named_barrier_count 0
		.amdhsa_reserve_vcc 1
		.amdhsa_float_round_mode_32 0
		.amdhsa_float_round_mode_16_64 0
		.amdhsa_float_denorm_mode_32 3
		.amdhsa_float_denorm_mode_16_64 3
		.amdhsa_fp16_overflow 0
		.amdhsa_memory_ordered 1
		.amdhsa_forward_progress 1
		.amdhsa_inst_pref_size 1
		.amdhsa_round_robin_scheduling 0
		.amdhsa_exception_fp_ieee_invalid_op 0
		.amdhsa_exception_fp_denorm_src 0
		.amdhsa_exception_fp_ieee_div_zero 0
		.amdhsa_exception_fp_ieee_overflow 0
		.amdhsa_exception_fp_ieee_underflow 0
		.amdhsa_exception_fp_ieee_inexact 0
		.amdhsa_exception_int_div_zero 0
	.end_amdhsa_kernel
	.section	.text._Z39paged_attention_ll4mi_QKV_mfma16_kernelIDF16_hLN4vllm18Fp8KVCacheDataTypeE1EDF16_Li32ELi128ELi256ELb1ELi7EEvPKT_PKT0_S7_ifPKiS9_S9_iPKfiiiPfSC_PS2_PT2_iSB_SB_,"axG",@progbits,_Z39paged_attention_ll4mi_QKV_mfma16_kernelIDF16_hLN4vllm18Fp8KVCacheDataTypeE1EDF16_Li32ELi128ELi256ELb1ELi7EEvPKT_PKT0_S7_ifPKiS9_S9_iPKfiiiPfSC_PS2_PT2_iSB_SB_,comdat
.Lfunc_end1056:
	.size	_Z39paged_attention_ll4mi_QKV_mfma16_kernelIDF16_hLN4vllm18Fp8KVCacheDataTypeE1EDF16_Li32ELi128ELi256ELb1ELi7EEvPKT_PKT0_S7_ifPKiS9_S9_iPKfiiiPfSC_PS2_PT2_iSB_SB_, .Lfunc_end1056-_Z39paged_attention_ll4mi_QKV_mfma16_kernelIDF16_hLN4vllm18Fp8KVCacheDataTypeE1EDF16_Li32ELi128ELi256ELb1ELi7EEvPKT_PKT0_S7_ifPKiS9_S9_iPKfiiiPfSC_PS2_PT2_iSB_SB_
                                        ; -- End function
	.set _Z39paged_attention_ll4mi_QKV_mfma16_kernelIDF16_hLN4vllm18Fp8KVCacheDataTypeE1EDF16_Li32ELi128ELi256ELb1ELi7EEvPKT_PKT0_S7_ifPKiS9_S9_iPKfiiiPfSC_PS2_PT2_iSB_SB_.num_vgpr, max(3, .L__assert_fail.num_vgpr)
	.set _Z39paged_attention_ll4mi_QKV_mfma16_kernelIDF16_hLN4vllm18Fp8KVCacheDataTypeE1EDF16_Li32ELi128ELi256ELb1ELi7EEvPKT_PKT0_S7_ifPKiS9_S9_iPKfiiiPfSC_PS2_PT2_iSB_SB_.num_agpr, max(0, .L__assert_fail.num_agpr)
	.set _Z39paged_attention_ll4mi_QKV_mfma16_kernelIDF16_hLN4vllm18Fp8KVCacheDataTypeE1EDF16_Li32ELi128ELi256ELb1ELi7EEvPKT_PKT0_S7_ifPKiS9_S9_iPKfiiiPfSC_PS2_PT2_iSB_SB_.numbered_sgpr, max(33, .L__assert_fail.numbered_sgpr)
	.set _Z39paged_attention_ll4mi_QKV_mfma16_kernelIDF16_hLN4vllm18Fp8KVCacheDataTypeE1EDF16_Li32ELi128ELi256ELb1ELi7EEvPKT_PKT0_S7_ifPKiS9_S9_iPKfiiiPfSC_PS2_PT2_iSB_SB_.num_named_barrier, max(0, .L__assert_fail.num_named_barrier)
	.set _Z39paged_attention_ll4mi_QKV_mfma16_kernelIDF16_hLN4vllm18Fp8KVCacheDataTypeE1EDF16_Li32ELi128ELi256ELb1ELi7EEvPKT_PKT0_S7_ifPKiS9_S9_iPKfiiiPfSC_PS2_PT2_iSB_SB_.private_seg_size, 0+max(.L__assert_fail.private_seg_size)
	.set _Z39paged_attention_ll4mi_QKV_mfma16_kernelIDF16_hLN4vllm18Fp8KVCacheDataTypeE1EDF16_Li32ELi128ELi256ELb1ELi7EEvPKT_PKT0_S7_ifPKiS9_S9_iPKfiiiPfSC_PS2_PT2_iSB_SB_.uses_vcc, or(1, .L__assert_fail.uses_vcc)
	.set _Z39paged_attention_ll4mi_QKV_mfma16_kernelIDF16_hLN4vllm18Fp8KVCacheDataTypeE1EDF16_Li32ELi128ELi256ELb1ELi7EEvPKT_PKT0_S7_ifPKiS9_S9_iPKfiiiPfSC_PS2_PT2_iSB_SB_.uses_flat_scratch, or(0, .L__assert_fail.uses_flat_scratch)
	.set _Z39paged_attention_ll4mi_QKV_mfma16_kernelIDF16_hLN4vllm18Fp8KVCacheDataTypeE1EDF16_Li32ELi128ELi256ELb1ELi7EEvPKT_PKT0_S7_ifPKiS9_S9_iPKfiiiPfSC_PS2_PT2_iSB_SB_.has_dyn_sized_stack, or(0, .L__assert_fail.has_dyn_sized_stack)
	.set _Z39paged_attention_ll4mi_QKV_mfma16_kernelIDF16_hLN4vllm18Fp8KVCacheDataTypeE1EDF16_Li32ELi128ELi256ELb1ELi7EEvPKT_PKT0_S7_ifPKiS9_S9_iPKfiiiPfSC_PS2_PT2_iSB_SB_.has_recursion, or(0, .L__assert_fail.has_recursion)
	.set _Z39paged_attention_ll4mi_QKV_mfma16_kernelIDF16_hLN4vllm18Fp8KVCacheDataTypeE1EDF16_Li32ELi128ELi256ELb1ELi7EEvPKT_PKT0_S7_ifPKiS9_S9_iPKfiiiPfSC_PS2_PT2_iSB_SB_.has_indirect_call, or(0, .L__assert_fail.has_indirect_call)
	.section	.AMDGPU.csdata,"",@progbits
; Kernel info:
; codeLenInByte = 68
; TotalNumSgprs: 36
; NumVgprs: 51
; ScratchSize: 64
; MemoryBound: 0
; FloatMode: 240
; IeeeMode: 1
; LDSByteSize: 0 bytes/workgroup (compile time only)
; SGPRBlocks: 0
; VGPRBlocks: 3
; NumSGPRsForWavesPerEU: 36
; NumVGPRsForWavesPerEU: 51
; NamedBarCnt: 0
; Occupancy: 16
; WaveLimiterHint : 1
; COMPUTE_PGM_RSRC2:SCRATCH_EN: 1
; COMPUTE_PGM_RSRC2:USER_SGPR: 2
; COMPUTE_PGM_RSRC2:TRAP_HANDLER: 0
; COMPUTE_PGM_RSRC2:TGID_X_EN: 1
; COMPUTE_PGM_RSRC2:TGID_Y_EN: 0
; COMPUTE_PGM_RSRC2:TGID_Z_EN: 0
; COMPUTE_PGM_RSRC2:TIDIG_COMP_CNT: 0
	.section	.text._Z39paged_attention_ll4mi_QKV_mfma16_kernelIDF16_hLN4vllm18Fp8KVCacheDataTypeE1EDF16_Li32ELi128ELi256ELb1ELi8EEvPKT_PKT0_S7_ifPKiS9_S9_iPKfiiiPfSC_PS2_PT2_iSB_SB_,"axG",@progbits,_Z39paged_attention_ll4mi_QKV_mfma16_kernelIDF16_hLN4vllm18Fp8KVCacheDataTypeE1EDF16_Li32ELi128ELi256ELb1ELi8EEvPKT_PKT0_S7_ifPKiS9_S9_iPKfiiiPfSC_PS2_PT2_iSB_SB_,comdat
	.protected	_Z39paged_attention_ll4mi_QKV_mfma16_kernelIDF16_hLN4vllm18Fp8KVCacheDataTypeE1EDF16_Li32ELi128ELi256ELb1ELi8EEvPKT_PKT0_S7_ifPKiS9_S9_iPKfiiiPfSC_PS2_PT2_iSB_SB_ ; -- Begin function _Z39paged_attention_ll4mi_QKV_mfma16_kernelIDF16_hLN4vllm18Fp8KVCacheDataTypeE1EDF16_Li32ELi128ELi256ELb1ELi8EEvPKT_PKT0_S7_ifPKiS9_S9_iPKfiiiPfSC_PS2_PT2_iSB_SB_
	.globl	_Z39paged_attention_ll4mi_QKV_mfma16_kernelIDF16_hLN4vllm18Fp8KVCacheDataTypeE1EDF16_Li32ELi128ELi256ELb1ELi8EEvPKT_PKT0_S7_ifPKiS9_S9_iPKfiiiPfSC_PS2_PT2_iSB_SB_
	.p2align	8
	.type	_Z39paged_attention_ll4mi_QKV_mfma16_kernelIDF16_hLN4vllm18Fp8KVCacheDataTypeE1EDF16_Li32ELi128ELi256ELb1ELi8EEvPKT_PKT0_S7_ifPKiS9_S9_iPKfiiiPfSC_PS2_PT2_iSB_SB_,@function
_Z39paged_attention_ll4mi_QKV_mfma16_kernelIDF16_hLN4vllm18Fp8KVCacheDataTypeE1EDF16_Li32ELi128ELi256ELb1ELi8EEvPKT_PKT0_S7_ifPKiS9_S9_iPKfiiiPfSC_PS2_PT2_iSB_SB_: ; @_Z39paged_attention_ll4mi_QKV_mfma16_kernelIDF16_hLN4vllm18Fp8KVCacheDataTypeE1EDF16_Li32ELi128ELi256ELb1ELi8EEvPKT_PKT0_S7_ifPKiS9_S9_iPKfiiiPfSC_PS2_PT2_iSB_SB_
; %bb.0:
	s_get_pc_i64 s[2:3]
	s_add_nc_u64 s[2:3], s[2:3], __PRETTY_FUNCTION__._Z39paged_attention_ll4mi_QKV_mfma16_kernelIDF16_hLN4vllm18Fp8KVCacheDataTypeE1EDF16_Li32ELi128ELi256ELb1ELi8EEvPKT_PKT0_S7_ifPKiS9_S9_iPKfiiiPfSC_PS2_PT2_iSB_SB_@rel64+4
	s_delay_alu instid0(SALU_CYCLE_1)
	v_dual_mov_b32 v0, 0xbb3 :: v_dual_mov_b32 v1, s2
	v_mov_b32_e32 v2, s3
	s_add_nc_u64 s[8:9], s[0:1], 0x90
	s_get_pc_i64 s[0:1]
	s_add_nc_u64 s[0:1], s[0:1], __assert_fail@rel64+4
	s_mov_b32 s32, 0
	s_swap_pc_i64 s[30:31], s[0:1]
	.section	.rodata,"a",@progbits
	.p2align	6, 0x0
	.amdhsa_kernel _Z39paged_attention_ll4mi_QKV_mfma16_kernelIDF16_hLN4vllm18Fp8KVCacheDataTypeE1EDF16_Li32ELi128ELi256ELb1ELi8EEvPKT_PKT0_S7_ifPKiS9_S9_iPKfiiiPfSC_PS2_PT2_iSB_SB_
		.amdhsa_group_segment_fixed_size 0
		.amdhsa_private_segment_fixed_size 64
		.amdhsa_kernarg_size 400
		.amdhsa_user_sgpr_count 2
		.amdhsa_user_sgpr_dispatch_ptr 0
		.amdhsa_user_sgpr_queue_ptr 0
		.amdhsa_user_sgpr_kernarg_segment_ptr 1
		.amdhsa_user_sgpr_dispatch_id 0
		.amdhsa_user_sgpr_kernarg_preload_length 0
		.amdhsa_user_sgpr_kernarg_preload_offset 0
		.amdhsa_user_sgpr_private_segment_size 0
		.amdhsa_wavefront_size32 1
		.amdhsa_uses_dynamic_stack 0
		.amdhsa_enable_private_segment 1
		.amdhsa_system_sgpr_workgroup_id_x 1
		.amdhsa_system_sgpr_workgroup_id_y 0
		.amdhsa_system_sgpr_workgroup_id_z 0
		.amdhsa_system_sgpr_workgroup_info 0
		.amdhsa_system_vgpr_workitem_id 0
		.amdhsa_next_free_vgpr 51
		.amdhsa_next_free_sgpr 34
		.amdhsa_named_barrier_count 0
		.amdhsa_reserve_vcc 1
		.amdhsa_float_round_mode_32 0
		.amdhsa_float_round_mode_16_64 0
		.amdhsa_float_denorm_mode_32 3
		.amdhsa_float_denorm_mode_16_64 3
		.amdhsa_fp16_overflow 0
		.amdhsa_memory_ordered 1
		.amdhsa_forward_progress 1
		.amdhsa_inst_pref_size 1
		.amdhsa_round_robin_scheduling 0
		.amdhsa_exception_fp_ieee_invalid_op 0
		.amdhsa_exception_fp_denorm_src 0
		.amdhsa_exception_fp_ieee_div_zero 0
		.amdhsa_exception_fp_ieee_overflow 0
		.amdhsa_exception_fp_ieee_underflow 0
		.amdhsa_exception_fp_ieee_inexact 0
		.amdhsa_exception_int_div_zero 0
	.end_amdhsa_kernel
	.section	.text._Z39paged_attention_ll4mi_QKV_mfma16_kernelIDF16_hLN4vllm18Fp8KVCacheDataTypeE1EDF16_Li32ELi128ELi256ELb1ELi8EEvPKT_PKT0_S7_ifPKiS9_S9_iPKfiiiPfSC_PS2_PT2_iSB_SB_,"axG",@progbits,_Z39paged_attention_ll4mi_QKV_mfma16_kernelIDF16_hLN4vllm18Fp8KVCacheDataTypeE1EDF16_Li32ELi128ELi256ELb1ELi8EEvPKT_PKT0_S7_ifPKiS9_S9_iPKfiiiPfSC_PS2_PT2_iSB_SB_,comdat
.Lfunc_end1057:
	.size	_Z39paged_attention_ll4mi_QKV_mfma16_kernelIDF16_hLN4vllm18Fp8KVCacheDataTypeE1EDF16_Li32ELi128ELi256ELb1ELi8EEvPKT_PKT0_S7_ifPKiS9_S9_iPKfiiiPfSC_PS2_PT2_iSB_SB_, .Lfunc_end1057-_Z39paged_attention_ll4mi_QKV_mfma16_kernelIDF16_hLN4vllm18Fp8KVCacheDataTypeE1EDF16_Li32ELi128ELi256ELb1ELi8EEvPKT_PKT0_S7_ifPKiS9_S9_iPKfiiiPfSC_PS2_PT2_iSB_SB_
                                        ; -- End function
	.set _Z39paged_attention_ll4mi_QKV_mfma16_kernelIDF16_hLN4vllm18Fp8KVCacheDataTypeE1EDF16_Li32ELi128ELi256ELb1ELi8EEvPKT_PKT0_S7_ifPKiS9_S9_iPKfiiiPfSC_PS2_PT2_iSB_SB_.num_vgpr, max(3, .L__assert_fail.num_vgpr)
	.set _Z39paged_attention_ll4mi_QKV_mfma16_kernelIDF16_hLN4vllm18Fp8KVCacheDataTypeE1EDF16_Li32ELi128ELi256ELb1ELi8EEvPKT_PKT0_S7_ifPKiS9_S9_iPKfiiiPfSC_PS2_PT2_iSB_SB_.num_agpr, max(0, .L__assert_fail.num_agpr)
	.set _Z39paged_attention_ll4mi_QKV_mfma16_kernelIDF16_hLN4vllm18Fp8KVCacheDataTypeE1EDF16_Li32ELi128ELi256ELb1ELi8EEvPKT_PKT0_S7_ifPKiS9_S9_iPKfiiiPfSC_PS2_PT2_iSB_SB_.numbered_sgpr, max(33, .L__assert_fail.numbered_sgpr)
	.set _Z39paged_attention_ll4mi_QKV_mfma16_kernelIDF16_hLN4vllm18Fp8KVCacheDataTypeE1EDF16_Li32ELi128ELi256ELb1ELi8EEvPKT_PKT0_S7_ifPKiS9_S9_iPKfiiiPfSC_PS2_PT2_iSB_SB_.num_named_barrier, max(0, .L__assert_fail.num_named_barrier)
	.set _Z39paged_attention_ll4mi_QKV_mfma16_kernelIDF16_hLN4vllm18Fp8KVCacheDataTypeE1EDF16_Li32ELi128ELi256ELb1ELi8EEvPKT_PKT0_S7_ifPKiS9_S9_iPKfiiiPfSC_PS2_PT2_iSB_SB_.private_seg_size, 0+max(.L__assert_fail.private_seg_size)
	.set _Z39paged_attention_ll4mi_QKV_mfma16_kernelIDF16_hLN4vllm18Fp8KVCacheDataTypeE1EDF16_Li32ELi128ELi256ELb1ELi8EEvPKT_PKT0_S7_ifPKiS9_S9_iPKfiiiPfSC_PS2_PT2_iSB_SB_.uses_vcc, or(1, .L__assert_fail.uses_vcc)
	.set _Z39paged_attention_ll4mi_QKV_mfma16_kernelIDF16_hLN4vllm18Fp8KVCacheDataTypeE1EDF16_Li32ELi128ELi256ELb1ELi8EEvPKT_PKT0_S7_ifPKiS9_S9_iPKfiiiPfSC_PS2_PT2_iSB_SB_.uses_flat_scratch, or(0, .L__assert_fail.uses_flat_scratch)
	.set _Z39paged_attention_ll4mi_QKV_mfma16_kernelIDF16_hLN4vllm18Fp8KVCacheDataTypeE1EDF16_Li32ELi128ELi256ELb1ELi8EEvPKT_PKT0_S7_ifPKiS9_S9_iPKfiiiPfSC_PS2_PT2_iSB_SB_.has_dyn_sized_stack, or(0, .L__assert_fail.has_dyn_sized_stack)
	.set _Z39paged_attention_ll4mi_QKV_mfma16_kernelIDF16_hLN4vllm18Fp8KVCacheDataTypeE1EDF16_Li32ELi128ELi256ELb1ELi8EEvPKT_PKT0_S7_ifPKiS9_S9_iPKfiiiPfSC_PS2_PT2_iSB_SB_.has_recursion, or(0, .L__assert_fail.has_recursion)
	.set _Z39paged_attention_ll4mi_QKV_mfma16_kernelIDF16_hLN4vllm18Fp8KVCacheDataTypeE1EDF16_Li32ELi128ELi256ELb1ELi8EEvPKT_PKT0_S7_ifPKiS9_S9_iPKfiiiPfSC_PS2_PT2_iSB_SB_.has_indirect_call, or(0, .L__assert_fail.has_indirect_call)
	.section	.AMDGPU.csdata,"",@progbits
; Kernel info:
; codeLenInByte = 68
; TotalNumSgprs: 36
; NumVgprs: 51
; ScratchSize: 64
; MemoryBound: 0
; FloatMode: 240
; IeeeMode: 1
; LDSByteSize: 0 bytes/workgroup (compile time only)
; SGPRBlocks: 0
; VGPRBlocks: 3
; NumSGPRsForWavesPerEU: 36
; NumVGPRsForWavesPerEU: 51
; NamedBarCnt: 0
; Occupancy: 16
; WaveLimiterHint : 1
; COMPUTE_PGM_RSRC2:SCRATCH_EN: 1
; COMPUTE_PGM_RSRC2:USER_SGPR: 2
; COMPUTE_PGM_RSRC2:TRAP_HANDLER: 0
; COMPUTE_PGM_RSRC2:TGID_X_EN: 1
; COMPUTE_PGM_RSRC2:TGID_Y_EN: 0
; COMPUTE_PGM_RSRC2:TGID_Z_EN: 0
; COMPUTE_PGM_RSRC2:TIDIG_COMP_CNT: 0
	.section	.text._Z39paged_attention_ll4mi_QKV_mfma16_kernelIDF16_hLN4vllm18Fp8KVCacheDataTypeE1EDF16_Li32ELi128ELi256ELb1ELi9EEvPKT_PKT0_S7_ifPKiS9_S9_iPKfiiiPfSC_PS2_PT2_iSB_SB_,"axG",@progbits,_Z39paged_attention_ll4mi_QKV_mfma16_kernelIDF16_hLN4vllm18Fp8KVCacheDataTypeE1EDF16_Li32ELi128ELi256ELb1ELi9EEvPKT_PKT0_S7_ifPKiS9_S9_iPKfiiiPfSC_PS2_PT2_iSB_SB_,comdat
	.protected	_Z39paged_attention_ll4mi_QKV_mfma16_kernelIDF16_hLN4vllm18Fp8KVCacheDataTypeE1EDF16_Li32ELi128ELi256ELb1ELi9EEvPKT_PKT0_S7_ifPKiS9_S9_iPKfiiiPfSC_PS2_PT2_iSB_SB_ ; -- Begin function _Z39paged_attention_ll4mi_QKV_mfma16_kernelIDF16_hLN4vllm18Fp8KVCacheDataTypeE1EDF16_Li32ELi128ELi256ELb1ELi9EEvPKT_PKT0_S7_ifPKiS9_S9_iPKfiiiPfSC_PS2_PT2_iSB_SB_
	.globl	_Z39paged_attention_ll4mi_QKV_mfma16_kernelIDF16_hLN4vllm18Fp8KVCacheDataTypeE1EDF16_Li32ELi128ELi256ELb1ELi9EEvPKT_PKT0_S7_ifPKiS9_S9_iPKfiiiPfSC_PS2_PT2_iSB_SB_
	.p2align	8
	.type	_Z39paged_attention_ll4mi_QKV_mfma16_kernelIDF16_hLN4vllm18Fp8KVCacheDataTypeE1EDF16_Li32ELi128ELi256ELb1ELi9EEvPKT_PKT0_S7_ifPKiS9_S9_iPKfiiiPfSC_PS2_PT2_iSB_SB_,@function
_Z39paged_attention_ll4mi_QKV_mfma16_kernelIDF16_hLN4vllm18Fp8KVCacheDataTypeE1EDF16_Li32ELi128ELi256ELb1ELi9EEvPKT_PKT0_S7_ifPKiS9_S9_iPKfiiiPfSC_PS2_PT2_iSB_SB_: ; @_Z39paged_attention_ll4mi_QKV_mfma16_kernelIDF16_hLN4vllm18Fp8KVCacheDataTypeE1EDF16_Li32ELi128ELi256ELb1ELi9EEvPKT_PKT0_S7_ifPKiS9_S9_iPKfiiiPfSC_PS2_PT2_iSB_SB_
; %bb.0:
	s_get_pc_i64 s[2:3]
	s_add_nc_u64 s[2:3], s[2:3], __PRETTY_FUNCTION__._Z39paged_attention_ll4mi_QKV_mfma16_kernelIDF16_hLN4vllm18Fp8KVCacheDataTypeE1EDF16_Li32ELi128ELi256ELb1ELi9EEvPKT_PKT0_S7_ifPKiS9_S9_iPKfiiiPfSC_PS2_PT2_iSB_SB_@rel64+4
	s_delay_alu instid0(SALU_CYCLE_1)
	v_dual_mov_b32 v0, 0xbb3 :: v_dual_mov_b32 v1, s2
	v_mov_b32_e32 v2, s3
	s_add_nc_u64 s[8:9], s[0:1], 0x90
	s_get_pc_i64 s[0:1]
	s_add_nc_u64 s[0:1], s[0:1], __assert_fail@rel64+4
	s_mov_b32 s32, 0
	s_swap_pc_i64 s[30:31], s[0:1]
	.section	.rodata,"a",@progbits
	.p2align	6, 0x0
	.amdhsa_kernel _Z39paged_attention_ll4mi_QKV_mfma16_kernelIDF16_hLN4vllm18Fp8KVCacheDataTypeE1EDF16_Li32ELi128ELi256ELb1ELi9EEvPKT_PKT0_S7_ifPKiS9_S9_iPKfiiiPfSC_PS2_PT2_iSB_SB_
		.amdhsa_group_segment_fixed_size 0
		.amdhsa_private_segment_fixed_size 64
		.amdhsa_kernarg_size 400
		.amdhsa_user_sgpr_count 2
		.amdhsa_user_sgpr_dispatch_ptr 0
		.amdhsa_user_sgpr_queue_ptr 0
		.amdhsa_user_sgpr_kernarg_segment_ptr 1
		.amdhsa_user_sgpr_dispatch_id 0
		.amdhsa_user_sgpr_kernarg_preload_length 0
		.amdhsa_user_sgpr_kernarg_preload_offset 0
		.amdhsa_user_sgpr_private_segment_size 0
		.amdhsa_wavefront_size32 1
		.amdhsa_uses_dynamic_stack 0
		.amdhsa_enable_private_segment 1
		.amdhsa_system_sgpr_workgroup_id_x 1
		.amdhsa_system_sgpr_workgroup_id_y 0
		.amdhsa_system_sgpr_workgroup_id_z 0
		.amdhsa_system_sgpr_workgroup_info 0
		.amdhsa_system_vgpr_workitem_id 0
		.amdhsa_next_free_vgpr 51
		.amdhsa_next_free_sgpr 34
		.amdhsa_named_barrier_count 0
		.amdhsa_reserve_vcc 1
		.amdhsa_float_round_mode_32 0
		.amdhsa_float_round_mode_16_64 0
		.amdhsa_float_denorm_mode_32 3
		.amdhsa_float_denorm_mode_16_64 3
		.amdhsa_fp16_overflow 0
		.amdhsa_memory_ordered 1
		.amdhsa_forward_progress 1
		.amdhsa_inst_pref_size 1
		.amdhsa_round_robin_scheduling 0
		.amdhsa_exception_fp_ieee_invalid_op 0
		.amdhsa_exception_fp_denorm_src 0
		.amdhsa_exception_fp_ieee_div_zero 0
		.amdhsa_exception_fp_ieee_overflow 0
		.amdhsa_exception_fp_ieee_underflow 0
		.amdhsa_exception_fp_ieee_inexact 0
		.amdhsa_exception_int_div_zero 0
	.end_amdhsa_kernel
	.section	.text._Z39paged_attention_ll4mi_QKV_mfma16_kernelIDF16_hLN4vllm18Fp8KVCacheDataTypeE1EDF16_Li32ELi128ELi256ELb1ELi9EEvPKT_PKT0_S7_ifPKiS9_S9_iPKfiiiPfSC_PS2_PT2_iSB_SB_,"axG",@progbits,_Z39paged_attention_ll4mi_QKV_mfma16_kernelIDF16_hLN4vllm18Fp8KVCacheDataTypeE1EDF16_Li32ELi128ELi256ELb1ELi9EEvPKT_PKT0_S7_ifPKiS9_S9_iPKfiiiPfSC_PS2_PT2_iSB_SB_,comdat
.Lfunc_end1058:
	.size	_Z39paged_attention_ll4mi_QKV_mfma16_kernelIDF16_hLN4vllm18Fp8KVCacheDataTypeE1EDF16_Li32ELi128ELi256ELb1ELi9EEvPKT_PKT0_S7_ifPKiS9_S9_iPKfiiiPfSC_PS2_PT2_iSB_SB_, .Lfunc_end1058-_Z39paged_attention_ll4mi_QKV_mfma16_kernelIDF16_hLN4vllm18Fp8KVCacheDataTypeE1EDF16_Li32ELi128ELi256ELb1ELi9EEvPKT_PKT0_S7_ifPKiS9_S9_iPKfiiiPfSC_PS2_PT2_iSB_SB_
                                        ; -- End function
	.set _Z39paged_attention_ll4mi_QKV_mfma16_kernelIDF16_hLN4vllm18Fp8KVCacheDataTypeE1EDF16_Li32ELi128ELi256ELb1ELi9EEvPKT_PKT0_S7_ifPKiS9_S9_iPKfiiiPfSC_PS2_PT2_iSB_SB_.num_vgpr, max(3, .L__assert_fail.num_vgpr)
	.set _Z39paged_attention_ll4mi_QKV_mfma16_kernelIDF16_hLN4vllm18Fp8KVCacheDataTypeE1EDF16_Li32ELi128ELi256ELb1ELi9EEvPKT_PKT0_S7_ifPKiS9_S9_iPKfiiiPfSC_PS2_PT2_iSB_SB_.num_agpr, max(0, .L__assert_fail.num_agpr)
	.set _Z39paged_attention_ll4mi_QKV_mfma16_kernelIDF16_hLN4vllm18Fp8KVCacheDataTypeE1EDF16_Li32ELi128ELi256ELb1ELi9EEvPKT_PKT0_S7_ifPKiS9_S9_iPKfiiiPfSC_PS2_PT2_iSB_SB_.numbered_sgpr, max(33, .L__assert_fail.numbered_sgpr)
	.set _Z39paged_attention_ll4mi_QKV_mfma16_kernelIDF16_hLN4vllm18Fp8KVCacheDataTypeE1EDF16_Li32ELi128ELi256ELb1ELi9EEvPKT_PKT0_S7_ifPKiS9_S9_iPKfiiiPfSC_PS2_PT2_iSB_SB_.num_named_barrier, max(0, .L__assert_fail.num_named_barrier)
	.set _Z39paged_attention_ll4mi_QKV_mfma16_kernelIDF16_hLN4vllm18Fp8KVCacheDataTypeE1EDF16_Li32ELi128ELi256ELb1ELi9EEvPKT_PKT0_S7_ifPKiS9_S9_iPKfiiiPfSC_PS2_PT2_iSB_SB_.private_seg_size, 0+max(.L__assert_fail.private_seg_size)
	.set _Z39paged_attention_ll4mi_QKV_mfma16_kernelIDF16_hLN4vllm18Fp8KVCacheDataTypeE1EDF16_Li32ELi128ELi256ELb1ELi9EEvPKT_PKT0_S7_ifPKiS9_S9_iPKfiiiPfSC_PS2_PT2_iSB_SB_.uses_vcc, or(1, .L__assert_fail.uses_vcc)
	.set _Z39paged_attention_ll4mi_QKV_mfma16_kernelIDF16_hLN4vllm18Fp8KVCacheDataTypeE1EDF16_Li32ELi128ELi256ELb1ELi9EEvPKT_PKT0_S7_ifPKiS9_S9_iPKfiiiPfSC_PS2_PT2_iSB_SB_.uses_flat_scratch, or(0, .L__assert_fail.uses_flat_scratch)
	.set _Z39paged_attention_ll4mi_QKV_mfma16_kernelIDF16_hLN4vllm18Fp8KVCacheDataTypeE1EDF16_Li32ELi128ELi256ELb1ELi9EEvPKT_PKT0_S7_ifPKiS9_S9_iPKfiiiPfSC_PS2_PT2_iSB_SB_.has_dyn_sized_stack, or(0, .L__assert_fail.has_dyn_sized_stack)
	.set _Z39paged_attention_ll4mi_QKV_mfma16_kernelIDF16_hLN4vllm18Fp8KVCacheDataTypeE1EDF16_Li32ELi128ELi256ELb1ELi9EEvPKT_PKT0_S7_ifPKiS9_S9_iPKfiiiPfSC_PS2_PT2_iSB_SB_.has_recursion, or(0, .L__assert_fail.has_recursion)
	.set _Z39paged_attention_ll4mi_QKV_mfma16_kernelIDF16_hLN4vllm18Fp8KVCacheDataTypeE1EDF16_Li32ELi128ELi256ELb1ELi9EEvPKT_PKT0_S7_ifPKiS9_S9_iPKfiiiPfSC_PS2_PT2_iSB_SB_.has_indirect_call, or(0, .L__assert_fail.has_indirect_call)
	.section	.AMDGPU.csdata,"",@progbits
; Kernel info:
; codeLenInByte = 68
; TotalNumSgprs: 36
; NumVgprs: 51
; ScratchSize: 64
; MemoryBound: 0
; FloatMode: 240
; IeeeMode: 1
; LDSByteSize: 0 bytes/workgroup (compile time only)
; SGPRBlocks: 0
; VGPRBlocks: 3
; NumSGPRsForWavesPerEU: 36
; NumVGPRsForWavesPerEU: 51
; NamedBarCnt: 0
; Occupancy: 16
; WaveLimiterHint : 1
; COMPUTE_PGM_RSRC2:SCRATCH_EN: 1
; COMPUTE_PGM_RSRC2:USER_SGPR: 2
; COMPUTE_PGM_RSRC2:TRAP_HANDLER: 0
; COMPUTE_PGM_RSRC2:TGID_X_EN: 1
; COMPUTE_PGM_RSRC2:TGID_Y_EN: 0
; COMPUTE_PGM_RSRC2:TGID_Z_EN: 0
; COMPUTE_PGM_RSRC2:TIDIG_COMP_CNT: 0
	.section	.text._Z39paged_attention_ll4mi_QKV_mfma16_kernelIDF16_hLN4vllm18Fp8KVCacheDataTypeE1EDF16_Li32ELi128ELi256ELb1ELi10EEvPKT_PKT0_S7_ifPKiS9_S9_iPKfiiiPfSC_PS2_PT2_iSB_SB_,"axG",@progbits,_Z39paged_attention_ll4mi_QKV_mfma16_kernelIDF16_hLN4vllm18Fp8KVCacheDataTypeE1EDF16_Li32ELi128ELi256ELb1ELi10EEvPKT_PKT0_S7_ifPKiS9_S9_iPKfiiiPfSC_PS2_PT2_iSB_SB_,comdat
	.protected	_Z39paged_attention_ll4mi_QKV_mfma16_kernelIDF16_hLN4vllm18Fp8KVCacheDataTypeE1EDF16_Li32ELi128ELi256ELb1ELi10EEvPKT_PKT0_S7_ifPKiS9_S9_iPKfiiiPfSC_PS2_PT2_iSB_SB_ ; -- Begin function _Z39paged_attention_ll4mi_QKV_mfma16_kernelIDF16_hLN4vllm18Fp8KVCacheDataTypeE1EDF16_Li32ELi128ELi256ELb1ELi10EEvPKT_PKT0_S7_ifPKiS9_S9_iPKfiiiPfSC_PS2_PT2_iSB_SB_
	.globl	_Z39paged_attention_ll4mi_QKV_mfma16_kernelIDF16_hLN4vllm18Fp8KVCacheDataTypeE1EDF16_Li32ELi128ELi256ELb1ELi10EEvPKT_PKT0_S7_ifPKiS9_S9_iPKfiiiPfSC_PS2_PT2_iSB_SB_
	.p2align	8
	.type	_Z39paged_attention_ll4mi_QKV_mfma16_kernelIDF16_hLN4vllm18Fp8KVCacheDataTypeE1EDF16_Li32ELi128ELi256ELb1ELi10EEvPKT_PKT0_S7_ifPKiS9_S9_iPKfiiiPfSC_PS2_PT2_iSB_SB_,@function
_Z39paged_attention_ll4mi_QKV_mfma16_kernelIDF16_hLN4vllm18Fp8KVCacheDataTypeE1EDF16_Li32ELi128ELi256ELb1ELi10EEvPKT_PKT0_S7_ifPKiS9_S9_iPKfiiiPfSC_PS2_PT2_iSB_SB_: ; @_Z39paged_attention_ll4mi_QKV_mfma16_kernelIDF16_hLN4vllm18Fp8KVCacheDataTypeE1EDF16_Li32ELi128ELi256ELb1ELi10EEvPKT_PKT0_S7_ifPKiS9_S9_iPKfiiiPfSC_PS2_PT2_iSB_SB_
; %bb.0:
	s_get_pc_i64 s[2:3]
	s_add_nc_u64 s[2:3], s[2:3], __PRETTY_FUNCTION__._Z39paged_attention_ll4mi_QKV_mfma16_kernelIDF16_hLN4vllm18Fp8KVCacheDataTypeE1EDF16_Li32ELi128ELi256ELb1ELi10EEvPKT_PKT0_S7_ifPKiS9_S9_iPKfiiiPfSC_PS2_PT2_iSB_SB_@rel64+4
	s_delay_alu instid0(SALU_CYCLE_1)
	v_dual_mov_b32 v0, 0xbb3 :: v_dual_mov_b32 v1, s2
	v_mov_b32_e32 v2, s3
	s_add_nc_u64 s[8:9], s[0:1], 0x90
	s_get_pc_i64 s[0:1]
	s_add_nc_u64 s[0:1], s[0:1], __assert_fail@rel64+4
	s_mov_b32 s32, 0
	s_swap_pc_i64 s[30:31], s[0:1]
	.section	.rodata,"a",@progbits
	.p2align	6, 0x0
	.amdhsa_kernel _Z39paged_attention_ll4mi_QKV_mfma16_kernelIDF16_hLN4vllm18Fp8KVCacheDataTypeE1EDF16_Li32ELi128ELi256ELb1ELi10EEvPKT_PKT0_S7_ifPKiS9_S9_iPKfiiiPfSC_PS2_PT2_iSB_SB_
		.amdhsa_group_segment_fixed_size 0
		.amdhsa_private_segment_fixed_size 64
		.amdhsa_kernarg_size 400
		.amdhsa_user_sgpr_count 2
		.amdhsa_user_sgpr_dispatch_ptr 0
		.amdhsa_user_sgpr_queue_ptr 0
		.amdhsa_user_sgpr_kernarg_segment_ptr 1
		.amdhsa_user_sgpr_dispatch_id 0
		.amdhsa_user_sgpr_kernarg_preload_length 0
		.amdhsa_user_sgpr_kernarg_preload_offset 0
		.amdhsa_user_sgpr_private_segment_size 0
		.amdhsa_wavefront_size32 1
		.amdhsa_uses_dynamic_stack 0
		.amdhsa_enable_private_segment 1
		.amdhsa_system_sgpr_workgroup_id_x 1
		.amdhsa_system_sgpr_workgroup_id_y 0
		.amdhsa_system_sgpr_workgroup_id_z 0
		.amdhsa_system_sgpr_workgroup_info 0
		.amdhsa_system_vgpr_workitem_id 0
		.amdhsa_next_free_vgpr 51
		.amdhsa_next_free_sgpr 34
		.amdhsa_named_barrier_count 0
		.amdhsa_reserve_vcc 1
		.amdhsa_float_round_mode_32 0
		.amdhsa_float_round_mode_16_64 0
		.amdhsa_float_denorm_mode_32 3
		.amdhsa_float_denorm_mode_16_64 3
		.amdhsa_fp16_overflow 0
		.amdhsa_memory_ordered 1
		.amdhsa_forward_progress 1
		.amdhsa_inst_pref_size 1
		.amdhsa_round_robin_scheduling 0
		.amdhsa_exception_fp_ieee_invalid_op 0
		.amdhsa_exception_fp_denorm_src 0
		.amdhsa_exception_fp_ieee_div_zero 0
		.amdhsa_exception_fp_ieee_overflow 0
		.amdhsa_exception_fp_ieee_underflow 0
		.amdhsa_exception_fp_ieee_inexact 0
		.amdhsa_exception_int_div_zero 0
	.end_amdhsa_kernel
	.section	.text._Z39paged_attention_ll4mi_QKV_mfma16_kernelIDF16_hLN4vllm18Fp8KVCacheDataTypeE1EDF16_Li32ELi128ELi256ELb1ELi10EEvPKT_PKT0_S7_ifPKiS9_S9_iPKfiiiPfSC_PS2_PT2_iSB_SB_,"axG",@progbits,_Z39paged_attention_ll4mi_QKV_mfma16_kernelIDF16_hLN4vllm18Fp8KVCacheDataTypeE1EDF16_Li32ELi128ELi256ELb1ELi10EEvPKT_PKT0_S7_ifPKiS9_S9_iPKfiiiPfSC_PS2_PT2_iSB_SB_,comdat
.Lfunc_end1059:
	.size	_Z39paged_attention_ll4mi_QKV_mfma16_kernelIDF16_hLN4vllm18Fp8KVCacheDataTypeE1EDF16_Li32ELi128ELi256ELb1ELi10EEvPKT_PKT0_S7_ifPKiS9_S9_iPKfiiiPfSC_PS2_PT2_iSB_SB_, .Lfunc_end1059-_Z39paged_attention_ll4mi_QKV_mfma16_kernelIDF16_hLN4vllm18Fp8KVCacheDataTypeE1EDF16_Li32ELi128ELi256ELb1ELi10EEvPKT_PKT0_S7_ifPKiS9_S9_iPKfiiiPfSC_PS2_PT2_iSB_SB_
                                        ; -- End function
	.set _Z39paged_attention_ll4mi_QKV_mfma16_kernelIDF16_hLN4vllm18Fp8KVCacheDataTypeE1EDF16_Li32ELi128ELi256ELb1ELi10EEvPKT_PKT0_S7_ifPKiS9_S9_iPKfiiiPfSC_PS2_PT2_iSB_SB_.num_vgpr, max(3, .L__assert_fail.num_vgpr)
	.set _Z39paged_attention_ll4mi_QKV_mfma16_kernelIDF16_hLN4vllm18Fp8KVCacheDataTypeE1EDF16_Li32ELi128ELi256ELb1ELi10EEvPKT_PKT0_S7_ifPKiS9_S9_iPKfiiiPfSC_PS2_PT2_iSB_SB_.num_agpr, max(0, .L__assert_fail.num_agpr)
	.set _Z39paged_attention_ll4mi_QKV_mfma16_kernelIDF16_hLN4vllm18Fp8KVCacheDataTypeE1EDF16_Li32ELi128ELi256ELb1ELi10EEvPKT_PKT0_S7_ifPKiS9_S9_iPKfiiiPfSC_PS2_PT2_iSB_SB_.numbered_sgpr, max(33, .L__assert_fail.numbered_sgpr)
	.set _Z39paged_attention_ll4mi_QKV_mfma16_kernelIDF16_hLN4vllm18Fp8KVCacheDataTypeE1EDF16_Li32ELi128ELi256ELb1ELi10EEvPKT_PKT0_S7_ifPKiS9_S9_iPKfiiiPfSC_PS2_PT2_iSB_SB_.num_named_barrier, max(0, .L__assert_fail.num_named_barrier)
	.set _Z39paged_attention_ll4mi_QKV_mfma16_kernelIDF16_hLN4vllm18Fp8KVCacheDataTypeE1EDF16_Li32ELi128ELi256ELb1ELi10EEvPKT_PKT0_S7_ifPKiS9_S9_iPKfiiiPfSC_PS2_PT2_iSB_SB_.private_seg_size, 0+max(.L__assert_fail.private_seg_size)
	.set _Z39paged_attention_ll4mi_QKV_mfma16_kernelIDF16_hLN4vllm18Fp8KVCacheDataTypeE1EDF16_Li32ELi128ELi256ELb1ELi10EEvPKT_PKT0_S7_ifPKiS9_S9_iPKfiiiPfSC_PS2_PT2_iSB_SB_.uses_vcc, or(1, .L__assert_fail.uses_vcc)
	.set _Z39paged_attention_ll4mi_QKV_mfma16_kernelIDF16_hLN4vllm18Fp8KVCacheDataTypeE1EDF16_Li32ELi128ELi256ELb1ELi10EEvPKT_PKT0_S7_ifPKiS9_S9_iPKfiiiPfSC_PS2_PT2_iSB_SB_.uses_flat_scratch, or(0, .L__assert_fail.uses_flat_scratch)
	.set _Z39paged_attention_ll4mi_QKV_mfma16_kernelIDF16_hLN4vllm18Fp8KVCacheDataTypeE1EDF16_Li32ELi128ELi256ELb1ELi10EEvPKT_PKT0_S7_ifPKiS9_S9_iPKfiiiPfSC_PS2_PT2_iSB_SB_.has_dyn_sized_stack, or(0, .L__assert_fail.has_dyn_sized_stack)
	.set _Z39paged_attention_ll4mi_QKV_mfma16_kernelIDF16_hLN4vllm18Fp8KVCacheDataTypeE1EDF16_Li32ELi128ELi256ELb1ELi10EEvPKT_PKT0_S7_ifPKiS9_S9_iPKfiiiPfSC_PS2_PT2_iSB_SB_.has_recursion, or(0, .L__assert_fail.has_recursion)
	.set _Z39paged_attention_ll4mi_QKV_mfma16_kernelIDF16_hLN4vllm18Fp8KVCacheDataTypeE1EDF16_Li32ELi128ELi256ELb1ELi10EEvPKT_PKT0_S7_ifPKiS9_S9_iPKfiiiPfSC_PS2_PT2_iSB_SB_.has_indirect_call, or(0, .L__assert_fail.has_indirect_call)
	.section	.AMDGPU.csdata,"",@progbits
; Kernel info:
; codeLenInByte = 68
; TotalNumSgprs: 36
; NumVgprs: 51
; ScratchSize: 64
; MemoryBound: 0
; FloatMode: 240
; IeeeMode: 1
; LDSByteSize: 0 bytes/workgroup (compile time only)
; SGPRBlocks: 0
; VGPRBlocks: 3
; NumSGPRsForWavesPerEU: 36
; NumVGPRsForWavesPerEU: 51
; NamedBarCnt: 0
; Occupancy: 16
; WaveLimiterHint : 1
; COMPUTE_PGM_RSRC2:SCRATCH_EN: 1
; COMPUTE_PGM_RSRC2:USER_SGPR: 2
; COMPUTE_PGM_RSRC2:TRAP_HANDLER: 0
; COMPUTE_PGM_RSRC2:TGID_X_EN: 1
; COMPUTE_PGM_RSRC2:TGID_Y_EN: 0
; COMPUTE_PGM_RSRC2:TGID_Z_EN: 0
; COMPUTE_PGM_RSRC2:TIDIG_COMP_CNT: 0
	.section	.text._Z39paged_attention_ll4mi_QKV_mfma16_kernelIDF16_hLN4vllm18Fp8KVCacheDataTypeE1EDF16_Li32ELi128ELi256ELb1ELi11EEvPKT_PKT0_S7_ifPKiS9_S9_iPKfiiiPfSC_PS2_PT2_iSB_SB_,"axG",@progbits,_Z39paged_attention_ll4mi_QKV_mfma16_kernelIDF16_hLN4vllm18Fp8KVCacheDataTypeE1EDF16_Li32ELi128ELi256ELb1ELi11EEvPKT_PKT0_S7_ifPKiS9_S9_iPKfiiiPfSC_PS2_PT2_iSB_SB_,comdat
	.protected	_Z39paged_attention_ll4mi_QKV_mfma16_kernelIDF16_hLN4vllm18Fp8KVCacheDataTypeE1EDF16_Li32ELi128ELi256ELb1ELi11EEvPKT_PKT0_S7_ifPKiS9_S9_iPKfiiiPfSC_PS2_PT2_iSB_SB_ ; -- Begin function _Z39paged_attention_ll4mi_QKV_mfma16_kernelIDF16_hLN4vllm18Fp8KVCacheDataTypeE1EDF16_Li32ELi128ELi256ELb1ELi11EEvPKT_PKT0_S7_ifPKiS9_S9_iPKfiiiPfSC_PS2_PT2_iSB_SB_
	.globl	_Z39paged_attention_ll4mi_QKV_mfma16_kernelIDF16_hLN4vllm18Fp8KVCacheDataTypeE1EDF16_Li32ELi128ELi256ELb1ELi11EEvPKT_PKT0_S7_ifPKiS9_S9_iPKfiiiPfSC_PS2_PT2_iSB_SB_
	.p2align	8
	.type	_Z39paged_attention_ll4mi_QKV_mfma16_kernelIDF16_hLN4vllm18Fp8KVCacheDataTypeE1EDF16_Li32ELi128ELi256ELb1ELi11EEvPKT_PKT0_S7_ifPKiS9_S9_iPKfiiiPfSC_PS2_PT2_iSB_SB_,@function
_Z39paged_attention_ll4mi_QKV_mfma16_kernelIDF16_hLN4vllm18Fp8KVCacheDataTypeE1EDF16_Li32ELi128ELi256ELb1ELi11EEvPKT_PKT0_S7_ifPKiS9_S9_iPKfiiiPfSC_PS2_PT2_iSB_SB_: ; @_Z39paged_attention_ll4mi_QKV_mfma16_kernelIDF16_hLN4vllm18Fp8KVCacheDataTypeE1EDF16_Li32ELi128ELi256ELb1ELi11EEvPKT_PKT0_S7_ifPKiS9_S9_iPKfiiiPfSC_PS2_PT2_iSB_SB_
; %bb.0:
	s_get_pc_i64 s[2:3]
	s_add_nc_u64 s[2:3], s[2:3], __PRETTY_FUNCTION__._Z39paged_attention_ll4mi_QKV_mfma16_kernelIDF16_hLN4vllm18Fp8KVCacheDataTypeE1EDF16_Li32ELi128ELi256ELb1ELi11EEvPKT_PKT0_S7_ifPKiS9_S9_iPKfiiiPfSC_PS2_PT2_iSB_SB_@rel64+4
	s_delay_alu instid0(SALU_CYCLE_1)
	v_dual_mov_b32 v0, 0xbb3 :: v_dual_mov_b32 v1, s2
	v_mov_b32_e32 v2, s3
	s_add_nc_u64 s[8:9], s[0:1], 0x90
	s_get_pc_i64 s[0:1]
	s_add_nc_u64 s[0:1], s[0:1], __assert_fail@rel64+4
	s_mov_b32 s32, 0
	s_swap_pc_i64 s[30:31], s[0:1]
	.section	.rodata,"a",@progbits
	.p2align	6, 0x0
	.amdhsa_kernel _Z39paged_attention_ll4mi_QKV_mfma16_kernelIDF16_hLN4vllm18Fp8KVCacheDataTypeE1EDF16_Li32ELi128ELi256ELb1ELi11EEvPKT_PKT0_S7_ifPKiS9_S9_iPKfiiiPfSC_PS2_PT2_iSB_SB_
		.amdhsa_group_segment_fixed_size 0
		.amdhsa_private_segment_fixed_size 64
		.amdhsa_kernarg_size 400
		.amdhsa_user_sgpr_count 2
		.amdhsa_user_sgpr_dispatch_ptr 0
		.amdhsa_user_sgpr_queue_ptr 0
		.amdhsa_user_sgpr_kernarg_segment_ptr 1
		.amdhsa_user_sgpr_dispatch_id 0
		.amdhsa_user_sgpr_kernarg_preload_length 0
		.amdhsa_user_sgpr_kernarg_preload_offset 0
		.amdhsa_user_sgpr_private_segment_size 0
		.amdhsa_wavefront_size32 1
		.amdhsa_uses_dynamic_stack 0
		.amdhsa_enable_private_segment 1
		.amdhsa_system_sgpr_workgroup_id_x 1
		.amdhsa_system_sgpr_workgroup_id_y 0
		.amdhsa_system_sgpr_workgroup_id_z 0
		.amdhsa_system_sgpr_workgroup_info 0
		.amdhsa_system_vgpr_workitem_id 0
		.amdhsa_next_free_vgpr 51
		.amdhsa_next_free_sgpr 34
		.amdhsa_named_barrier_count 0
		.amdhsa_reserve_vcc 1
		.amdhsa_float_round_mode_32 0
		.amdhsa_float_round_mode_16_64 0
		.amdhsa_float_denorm_mode_32 3
		.amdhsa_float_denorm_mode_16_64 3
		.amdhsa_fp16_overflow 0
		.amdhsa_memory_ordered 1
		.amdhsa_forward_progress 1
		.amdhsa_inst_pref_size 1
		.amdhsa_round_robin_scheduling 0
		.amdhsa_exception_fp_ieee_invalid_op 0
		.amdhsa_exception_fp_denorm_src 0
		.amdhsa_exception_fp_ieee_div_zero 0
		.amdhsa_exception_fp_ieee_overflow 0
		.amdhsa_exception_fp_ieee_underflow 0
		.amdhsa_exception_fp_ieee_inexact 0
		.amdhsa_exception_int_div_zero 0
	.end_amdhsa_kernel
	.section	.text._Z39paged_attention_ll4mi_QKV_mfma16_kernelIDF16_hLN4vllm18Fp8KVCacheDataTypeE1EDF16_Li32ELi128ELi256ELb1ELi11EEvPKT_PKT0_S7_ifPKiS9_S9_iPKfiiiPfSC_PS2_PT2_iSB_SB_,"axG",@progbits,_Z39paged_attention_ll4mi_QKV_mfma16_kernelIDF16_hLN4vllm18Fp8KVCacheDataTypeE1EDF16_Li32ELi128ELi256ELb1ELi11EEvPKT_PKT0_S7_ifPKiS9_S9_iPKfiiiPfSC_PS2_PT2_iSB_SB_,comdat
.Lfunc_end1060:
	.size	_Z39paged_attention_ll4mi_QKV_mfma16_kernelIDF16_hLN4vllm18Fp8KVCacheDataTypeE1EDF16_Li32ELi128ELi256ELb1ELi11EEvPKT_PKT0_S7_ifPKiS9_S9_iPKfiiiPfSC_PS2_PT2_iSB_SB_, .Lfunc_end1060-_Z39paged_attention_ll4mi_QKV_mfma16_kernelIDF16_hLN4vllm18Fp8KVCacheDataTypeE1EDF16_Li32ELi128ELi256ELb1ELi11EEvPKT_PKT0_S7_ifPKiS9_S9_iPKfiiiPfSC_PS2_PT2_iSB_SB_
                                        ; -- End function
	.set _Z39paged_attention_ll4mi_QKV_mfma16_kernelIDF16_hLN4vllm18Fp8KVCacheDataTypeE1EDF16_Li32ELi128ELi256ELb1ELi11EEvPKT_PKT0_S7_ifPKiS9_S9_iPKfiiiPfSC_PS2_PT2_iSB_SB_.num_vgpr, max(3, .L__assert_fail.num_vgpr)
	.set _Z39paged_attention_ll4mi_QKV_mfma16_kernelIDF16_hLN4vllm18Fp8KVCacheDataTypeE1EDF16_Li32ELi128ELi256ELb1ELi11EEvPKT_PKT0_S7_ifPKiS9_S9_iPKfiiiPfSC_PS2_PT2_iSB_SB_.num_agpr, max(0, .L__assert_fail.num_agpr)
	.set _Z39paged_attention_ll4mi_QKV_mfma16_kernelIDF16_hLN4vllm18Fp8KVCacheDataTypeE1EDF16_Li32ELi128ELi256ELb1ELi11EEvPKT_PKT0_S7_ifPKiS9_S9_iPKfiiiPfSC_PS2_PT2_iSB_SB_.numbered_sgpr, max(33, .L__assert_fail.numbered_sgpr)
	.set _Z39paged_attention_ll4mi_QKV_mfma16_kernelIDF16_hLN4vllm18Fp8KVCacheDataTypeE1EDF16_Li32ELi128ELi256ELb1ELi11EEvPKT_PKT0_S7_ifPKiS9_S9_iPKfiiiPfSC_PS2_PT2_iSB_SB_.num_named_barrier, max(0, .L__assert_fail.num_named_barrier)
	.set _Z39paged_attention_ll4mi_QKV_mfma16_kernelIDF16_hLN4vllm18Fp8KVCacheDataTypeE1EDF16_Li32ELi128ELi256ELb1ELi11EEvPKT_PKT0_S7_ifPKiS9_S9_iPKfiiiPfSC_PS2_PT2_iSB_SB_.private_seg_size, 0+max(.L__assert_fail.private_seg_size)
	.set _Z39paged_attention_ll4mi_QKV_mfma16_kernelIDF16_hLN4vllm18Fp8KVCacheDataTypeE1EDF16_Li32ELi128ELi256ELb1ELi11EEvPKT_PKT0_S7_ifPKiS9_S9_iPKfiiiPfSC_PS2_PT2_iSB_SB_.uses_vcc, or(1, .L__assert_fail.uses_vcc)
	.set _Z39paged_attention_ll4mi_QKV_mfma16_kernelIDF16_hLN4vllm18Fp8KVCacheDataTypeE1EDF16_Li32ELi128ELi256ELb1ELi11EEvPKT_PKT0_S7_ifPKiS9_S9_iPKfiiiPfSC_PS2_PT2_iSB_SB_.uses_flat_scratch, or(0, .L__assert_fail.uses_flat_scratch)
	.set _Z39paged_attention_ll4mi_QKV_mfma16_kernelIDF16_hLN4vllm18Fp8KVCacheDataTypeE1EDF16_Li32ELi128ELi256ELb1ELi11EEvPKT_PKT0_S7_ifPKiS9_S9_iPKfiiiPfSC_PS2_PT2_iSB_SB_.has_dyn_sized_stack, or(0, .L__assert_fail.has_dyn_sized_stack)
	.set _Z39paged_attention_ll4mi_QKV_mfma16_kernelIDF16_hLN4vllm18Fp8KVCacheDataTypeE1EDF16_Li32ELi128ELi256ELb1ELi11EEvPKT_PKT0_S7_ifPKiS9_S9_iPKfiiiPfSC_PS2_PT2_iSB_SB_.has_recursion, or(0, .L__assert_fail.has_recursion)
	.set _Z39paged_attention_ll4mi_QKV_mfma16_kernelIDF16_hLN4vllm18Fp8KVCacheDataTypeE1EDF16_Li32ELi128ELi256ELb1ELi11EEvPKT_PKT0_S7_ifPKiS9_S9_iPKfiiiPfSC_PS2_PT2_iSB_SB_.has_indirect_call, or(0, .L__assert_fail.has_indirect_call)
	.section	.AMDGPU.csdata,"",@progbits
; Kernel info:
; codeLenInByte = 68
; TotalNumSgprs: 36
; NumVgprs: 51
; ScratchSize: 64
; MemoryBound: 0
; FloatMode: 240
; IeeeMode: 1
; LDSByteSize: 0 bytes/workgroup (compile time only)
; SGPRBlocks: 0
; VGPRBlocks: 3
; NumSGPRsForWavesPerEU: 36
; NumVGPRsForWavesPerEU: 51
; NamedBarCnt: 0
; Occupancy: 16
; WaveLimiterHint : 1
; COMPUTE_PGM_RSRC2:SCRATCH_EN: 1
; COMPUTE_PGM_RSRC2:USER_SGPR: 2
; COMPUTE_PGM_RSRC2:TRAP_HANDLER: 0
; COMPUTE_PGM_RSRC2:TGID_X_EN: 1
; COMPUTE_PGM_RSRC2:TGID_Y_EN: 0
; COMPUTE_PGM_RSRC2:TGID_Z_EN: 0
; COMPUTE_PGM_RSRC2:TIDIG_COMP_CNT: 0
	.section	.text._Z39paged_attention_ll4mi_QKV_mfma16_kernelIDF16_hLN4vllm18Fp8KVCacheDataTypeE1EDF16_Li32ELi128ELi256ELb1ELi12EEvPKT_PKT0_S7_ifPKiS9_S9_iPKfiiiPfSC_PS2_PT2_iSB_SB_,"axG",@progbits,_Z39paged_attention_ll4mi_QKV_mfma16_kernelIDF16_hLN4vllm18Fp8KVCacheDataTypeE1EDF16_Li32ELi128ELi256ELb1ELi12EEvPKT_PKT0_S7_ifPKiS9_S9_iPKfiiiPfSC_PS2_PT2_iSB_SB_,comdat
	.protected	_Z39paged_attention_ll4mi_QKV_mfma16_kernelIDF16_hLN4vllm18Fp8KVCacheDataTypeE1EDF16_Li32ELi128ELi256ELb1ELi12EEvPKT_PKT0_S7_ifPKiS9_S9_iPKfiiiPfSC_PS2_PT2_iSB_SB_ ; -- Begin function _Z39paged_attention_ll4mi_QKV_mfma16_kernelIDF16_hLN4vllm18Fp8KVCacheDataTypeE1EDF16_Li32ELi128ELi256ELb1ELi12EEvPKT_PKT0_S7_ifPKiS9_S9_iPKfiiiPfSC_PS2_PT2_iSB_SB_
	.globl	_Z39paged_attention_ll4mi_QKV_mfma16_kernelIDF16_hLN4vllm18Fp8KVCacheDataTypeE1EDF16_Li32ELi128ELi256ELb1ELi12EEvPKT_PKT0_S7_ifPKiS9_S9_iPKfiiiPfSC_PS2_PT2_iSB_SB_
	.p2align	8
	.type	_Z39paged_attention_ll4mi_QKV_mfma16_kernelIDF16_hLN4vllm18Fp8KVCacheDataTypeE1EDF16_Li32ELi128ELi256ELb1ELi12EEvPKT_PKT0_S7_ifPKiS9_S9_iPKfiiiPfSC_PS2_PT2_iSB_SB_,@function
_Z39paged_attention_ll4mi_QKV_mfma16_kernelIDF16_hLN4vllm18Fp8KVCacheDataTypeE1EDF16_Li32ELi128ELi256ELb1ELi12EEvPKT_PKT0_S7_ifPKiS9_S9_iPKfiiiPfSC_PS2_PT2_iSB_SB_: ; @_Z39paged_attention_ll4mi_QKV_mfma16_kernelIDF16_hLN4vllm18Fp8KVCacheDataTypeE1EDF16_Li32ELi128ELi256ELb1ELi12EEvPKT_PKT0_S7_ifPKiS9_S9_iPKfiiiPfSC_PS2_PT2_iSB_SB_
; %bb.0:
	s_get_pc_i64 s[2:3]
	s_add_nc_u64 s[2:3], s[2:3], __PRETTY_FUNCTION__._Z39paged_attention_ll4mi_QKV_mfma16_kernelIDF16_hLN4vllm18Fp8KVCacheDataTypeE1EDF16_Li32ELi128ELi256ELb1ELi12EEvPKT_PKT0_S7_ifPKiS9_S9_iPKfiiiPfSC_PS2_PT2_iSB_SB_@rel64+4
	s_delay_alu instid0(SALU_CYCLE_1)
	v_dual_mov_b32 v0, 0xbb3 :: v_dual_mov_b32 v1, s2
	v_mov_b32_e32 v2, s3
	s_add_nc_u64 s[8:9], s[0:1], 0x90
	s_get_pc_i64 s[0:1]
	s_add_nc_u64 s[0:1], s[0:1], __assert_fail@rel64+4
	s_mov_b32 s32, 0
	s_swap_pc_i64 s[30:31], s[0:1]
	.section	.rodata,"a",@progbits
	.p2align	6, 0x0
	.amdhsa_kernel _Z39paged_attention_ll4mi_QKV_mfma16_kernelIDF16_hLN4vllm18Fp8KVCacheDataTypeE1EDF16_Li32ELi128ELi256ELb1ELi12EEvPKT_PKT0_S7_ifPKiS9_S9_iPKfiiiPfSC_PS2_PT2_iSB_SB_
		.amdhsa_group_segment_fixed_size 0
		.amdhsa_private_segment_fixed_size 64
		.amdhsa_kernarg_size 400
		.amdhsa_user_sgpr_count 2
		.amdhsa_user_sgpr_dispatch_ptr 0
		.amdhsa_user_sgpr_queue_ptr 0
		.amdhsa_user_sgpr_kernarg_segment_ptr 1
		.amdhsa_user_sgpr_dispatch_id 0
		.amdhsa_user_sgpr_kernarg_preload_length 0
		.amdhsa_user_sgpr_kernarg_preload_offset 0
		.amdhsa_user_sgpr_private_segment_size 0
		.amdhsa_wavefront_size32 1
		.amdhsa_uses_dynamic_stack 0
		.amdhsa_enable_private_segment 1
		.amdhsa_system_sgpr_workgroup_id_x 1
		.amdhsa_system_sgpr_workgroup_id_y 0
		.amdhsa_system_sgpr_workgroup_id_z 0
		.amdhsa_system_sgpr_workgroup_info 0
		.amdhsa_system_vgpr_workitem_id 0
		.amdhsa_next_free_vgpr 51
		.amdhsa_next_free_sgpr 34
		.amdhsa_named_barrier_count 0
		.amdhsa_reserve_vcc 1
		.amdhsa_float_round_mode_32 0
		.amdhsa_float_round_mode_16_64 0
		.amdhsa_float_denorm_mode_32 3
		.amdhsa_float_denorm_mode_16_64 3
		.amdhsa_fp16_overflow 0
		.amdhsa_memory_ordered 1
		.amdhsa_forward_progress 1
		.amdhsa_inst_pref_size 1
		.amdhsa_round_robin_scheduling 0
		.amdhsa_exception_fp_ieee_invalid_op 0
		.amdhsa_exception_fp_denorm_src 0
		.amdhsa_exception_fp_ieee_div_zero 0
		.amdhsa_exception_fp_ieee_overflow 0
		.amdhsa_exception_fp_ieee_underflow 0
		.amdhsa_exception_fp_ieee_inexact 0
		.amdhsa_exception_int_div_zero 0
	.end_amdhsa_kernel
	.section	.text._Z39paged_attention_ll4mi_QKV_mfma16_kernelIDF16_hLN4vllm18Fp8KVCacheDataTypeE1EDF16_Li32ELi128ELi256ELb1ELi12EEvPKT_PKT0_S7_ifPKiS9_S9_iPKfiiiPfSC_PS2_PT2_iSB_SB_,"axG",@progbits,_Z39paged_attention_ll4mi_QKV_mfma16_kernelIDF16_hLN4vllm18Fp8KVCacheDataTypeE1EDF16_Li32ELi128ELi256ELb1ELi12EEvPKT_PKT0_S7_ifPKiS9_S9_iPKfiiiPfSC_PS2_PT2_iSB_SB_,comdat
.Lfunc_end1061:
	.size	_Z39paged_attention_ll4mi_QKV_mfma16_kernelIDF16_hLN4vllm18Fp8KVCacheDataTypeE1EDF16_Li32ELi128ELi256ELb1ELi12EEvPKT_PKT0_S7_ifPKiS9_S9_iPKfiiiPfSC_PS2_PT2_iSB_SB_, .Lfunc_end1061-_Z39paged_attention_ll4mi_QKV_mfma16_kernelIDF16_hLN4vllm18Fp8KVCacheDataTypeE1EDF16_Li32ELi128ELi256ELb1ELi12EEvPKT_PKT0_S7_ifPKiS9_S9_iPKfiiiPfSC_PS2_PT2_iSB_SB_
                                        ; -- End function
	.set _Z39paged_attention_ll4mi_QKV_mfma16_kernelIDF16_hLN4vllm18Fp8KVCacheDataTypeE1EDF16_Li32ELi128ELi256ELb1ELi12EEvPKT_PKT0_S7_ifPKiS9_S9_iPKfiiiPfSC_PS2_PT2_iSB_SB_.num_vgpr, max(3, .L__assert_fail.num_vgpr)
	.set _Z39paged_attention_ll4mi_QKV_mfma16_kernelIDF16_hLN4vllm18Fp8KVCacheDataTypeE1EDF16_Li32ELi128ELi256ELb1ELi12EEvPKT_PKT0_S7_ifPKiS9_S9_iPKfiiiPfSC_PS2_PT2_iSB_SB_.num_agpr, max(0, .L__assert_fail.num_agpr)
	.set _Z39paged_attention_ll4mi_QKV_mfma16_kernelIDF16_hLN4vllm18Fp8KVCacheDataTypeE1EDF16_Li32ELi128ELi256ELb1ELi12EEvPKT_PKT0_S7_ifPKiS9_S9_iPKfiiiPfSC_PS2_PT2_iSB_SB_.numbered_sgpr, max(33, .L__assert_fail.numbered_sgpr)
	.set _Z39paged_attention_ll4mi_QKV_mfma16_kernelIDF16_hLN4vllm18Fp8KVCacheDataTypeE1EDF16_Li32ELi128ELi256ELb1ELi12EEvPKT_PKT0_S7_ifPKiS9_S9_iPKfiiiPfSC_PS2_PT2_iSB_SB_.num_named_barrier, max(0, .L__assert_fail.num_named_barrier)
	.set _Z39paged_attention_ll4mi_QKV_mfma16_kernelIDF16_hLN4vllm18Fp8KVCacheDataTypeE1EDF16_Li32ELi128ELi256ELb1ELi12EEvPKT_PKT0_S7_ifPKiS9_S9_iPKfiiiPfSC_PS2_PT2_iSB_SB_.private_seg_size, 0+max(.L__assert_fail.private_seg_size)
	.set _Z39paged_attention_ll4mi_QKV_mfma16_kernelIDF16_hLN4vllm18Fp8KVCacheDataTypeE1EDF16_Li32ELi128ELi256ELb1ELi12EEvPKT_PKT0_S7_ifPKiS9_S9_iPKfiiiPfSC_PS2_PT2_iSB_SB_.uses_vcc, or(1, .L__assert_fail.uses_vcc)
	.set _Z39paged_attention_ll4mi_QKV_mfma16_kernelIDF16_hLN4vllm18Fp8KVCacheDataTypeE1EDF16_Li32ELi128ELi256ELb1ELi12EEvPKT_PKT0_S7_ifPKiS9_S9_iPKfiiiPfSC_PS2_PT2_iSB_SB_.uses_flat_scratch, or(0, .L__assert_fail.uses_flat_scratch)
	.set _Z39paged_attention_ll4mi_QKV_mfma16_kernelIDF16_hLN4vllm18Fp8KVCacheDataTypeE1EDF16_Li32ELi128ELi256ELb1ELi12EEvPKT_PKT0_S7_ifPKiS9_S9_iPKfiiiPfSC_PS2_PT2_iSB_SB_.has_dyn_sized_stack, or(0, .L__assert_fail.has_dyn_sized_stack)
	.set _Z39paged_attention_ll4mi_QKV_mfma16_kernelIDF16_hLN4vllm18Fp8KVCacheDataTypeE1EDF16_Li32ELi128ELi256ELb1ELi12EEvPKT_PKT0_S7_ifPKiS9_S9_iPKfiiiPfSC_PS2_PT2_iSB_SB_.has_recursion, or(0, .L__assert_fail.has_recursion)
	.set _Z39paged_attention_ll4mi_QKV_mfma16_kernelIDF16_hLN4vllm18Fp8KVCacheDataTypeE1EDF16_Li32ELi128ELi256ELb1ELi12EEvPKT_PKT0_S7_ifPKiS9_S9_iPKfiiiPfSC_PS2_PT2_iSB_SB_.has_indirect_call, or(0, .L__assert_fail.has_indirect_call)
	.section	.AMDGPU.csdata,"",@progbits
; Kernel info:
; codeLenInByte = 68
; TotalNumSgprs: 36
; NumVgprs: 51
; ScratchSize: 64
; MemoryBound: 0
; FloatMode: 240
; IeeeMode: 1
; LDSByteSize: 0 bytes/workgroup (compile time only)
; SGPRBlocks: 0
; VGPRBlocks: 3
; NumSGPRsForWavesPerEU: 36
; NumVGPRsForWavesPerEU: 51
; NamedBarCnt: 0
; Occupancy: 16
; WaveLimiterHint : 1
; COMPUTE_PGM_RSRC2:SCRATCH_EN: 1
; COMPUTE_PGM_RSRC2:USER_SGPR: 2
; COMPUTE_PGM_RSRC2:TRAP_HANDLER: 0
; COMPUTE_PGM_RSRC2:TGID_X_EN: 1
; COMPUTE_PGM_RSRC2:TGID_Y_EN: 0
; COMPUTE_PGM_RSRC2:TGID_Z_EN: 0
; COMPUTE_PGM_RSRC2:TIDIG_COMP_CNT: 0
	.section	.text._Z39paged_attention_ll4mi_QKV_mfma16_kernelIDF16_hLN4vllm18Fp8KVCacheDataTypeE1EDF16_Li32ELi128ELi256ELb1ELi13EEvPKT_PKT0_S7_ifPKiS9_S9_iPKfiiiPfSC_PS2_PT2_iSB_SB_,"axG",@progbits,_Z39paged_attention_ll4mi_QKV_mfma16_kernelIDF16_hLN4vllm18Fp8KVCacheDataTypeE1EDF16_Li32ELi128ELi256ELb1ELi13EEvPKT_PKT0_S7_ifPKiS9_S9_iPKfiiiPfSC_PS2_PT2_iSB_SB_,comdat
	.protected	_Z39paged_attention_ll4mi_QKV_mfma16_kernelIDF16_hLN4vllm18Fp8KVCacheDataTypeE1EDF16_Li32ELi128ELi256ELb1ELi13EEvPKT_PKT0_S7_ifPKiS9_S9_iPKfiiiPfSC_PS2_PT2_iSB_SB_ ; -- Begin function _Z39paged_attention_ll4mi_QKV_mfma16_kernelIDF16_hLN4vllm18Fp8KVCacheDataTypeE1EDF16_Li32ELi128ELi256ELb1ELi13EEvPKT_PKT0_S7_ifPKiS9_S9_iPKfiiiPfSC_PS2_PT2_iSB_SB_
	.globl	_Z39paged_attention_ll4mi_QKV_mfma16_kernelIDF16_hLN4vllm18Fp8KVCacheDataTypeE1EDF16_Li32ELi128ELi256ELb1ELi13EEvPKT_PKT0_S7_ifPKiS9_S9_iPKfiiiPfSC_PS2_PT2_iSB_SB_
	.p2align	8
	.type	_Z39paged_attention_ll4mi_QKV_mfma16_kernelIDF16_hLN4vllm18Fp8KVCacheDataTypeE1EDF16_Li32ELi128ELi256ELb1ELi13EEvPKT_PKT0_S7_ifPKiS9_S9_iPKfiiiPfSC_PS2_PT2_iSB_SB_,@function
_Z39paged_attention_ll4mi_QKV_mfma16_kernelIDF16_hLN4vllm18Fp8KVCacheDataTypeE1EDF16_Li32ELi128ELi256ELb1ELi13EEvPKT_PKT0_S7_ifPKiS9_S9_iPKfiiiPfSC_PS2_PT2_iSB_SB_: ; @_Z39paged_attention_ll4mi_QKV_mfma16_kernelIDF16_hLN4vllm18Fp8KVCacheDataTypeE1EDF16_Li32ELi128ELi256ELb1ELi13EEvPKT_PKT0_S7_ifPKiS9_S9_iPKfiiiPfSC_PS2_PT2_iSB_SB_
; %bb.0:
	s_get_pc_i64 s[2:3]
	s_add_nc_u64 s[2:3], s[2:3], __PRETTY_FUNCTION__._Z39paged_attention_ll4mi_QKV_mfma16_kernelIDF16_hLN4vllm18Fp8KVCacheDataTypeE1EDF16_Li32ELi128ELi256ELb1ELi13EEvPKT_PKT0_S7_ifPKiS9_S9_iPKfiiiPfSC_PS2_PT2_iSB_SB_@rel64+4
	s_delay_alu instid0(SALU_CYCLE_1)
	v_dual_mov_b32 v0, 0xbb3 :: v_dual_mov_b32 v1, s2
	v_mov_b32_e32 v2, s3
	s_add_nc_u64 s[8:9], s[0:1], 0x90
	s_get_pc_i64 s[0:1]
	s_add_nc_u64 s[0:1], s[0:1], __assert_fail@rel64+4
	s_mov_b32 s32, 0
	s_swap_pc_i64 s[30:31], s[0:1]
	.section	.rodata,"a",@progbits
	.p2align	6, 0x0
	.amdhsa_kernel _Z39paged_attention_ll4mi_QKV_mfma16_kernelIDF16_hLN4vllm18Fp8KVCacheDataTypeE1EDF16_Li32ELi128ELi256ELb1ELi13EEvPKT_PKT0_S7_ifPKiS9_S9_iPKfiiiPfSC_PS2_PT2_iSB_SB_
		.amdhsa_group_segment_fixed_size 0
		.amdhsa_private_segment_fixed_size 64
		.amdhsa_kernarg_size 400
		.amdhsa_user_sgpr_count 2
		.amdhsa_user_sgpr_dispatch_ptr 0
		.amdhsa_user_sgpr_queue_ptr 0
		.amdhsa_user_sgpr_kernarg_segment_ptr 1
		.amdhsa_user_sgpr_dispatch_id 0
		.amdhsa_user_sgpr_kernarg_preload_length 0
		.amdhsa_user_sgpr_kernarg_preload_offset 0
		.amdhsa_user_sgpr_private_segment_size 0
		.amdhsa_wavefront_size32 1
		.amdhsa_uses_dynamic_stack 0
		.amdhsa_enable_private_segment 1
		.amdhsa_system_sgpr_workgroup_id_x 1
		.amdhsa_system_sgpr_workgroup_id_y 0
		.amdhsa_system_sgpr_workgroup_id_z 0
		.amdhsa_system_sgpr_workgroup_info 0
		.amdhsa_system_vgpr_workitem_id 0
		.amdhsa_next_free_vgpr 51
		.amdhsa_next_free_sgpr 34
		.amdhsa_named_barrier_count 0
		.amdhsa_reserve_vcc 1
		.amdhsa_float_round_mode_32 0
		.amdhsa_float_round_mode_16_64 0
		.amdhsa_float_denorm_mode_32 3
		.amdhsa_float_denorm_mode_16_64 3
		.amdhsa_fp16_overflow 0
		.amdhsa_memory_ordered 1
		.amdhsa_forward_progress 1
		.amdhsa_inst_pref_size 1
		.amdhsa_round_robin_scheduling 0
		.amdhsa_exception_fp_ieee_invalid_op 0
		.amdhsa_exception_fp_denorm_src 0
		.amdhsa_exception_fp_ieee_div_zero 0
		.amdhsa_exception_fp_ieee_overflow 0
		.amdhsa_exception_fp_ieee_underflow 0
		.amdhsa_exception_fp_ieee_inexact 0
		.amdhsa_exception_int_div_zero 0
	.end_amdhsa_kernel
	.section	.text._Z39paged_attention_ll4mi_QKV_mfma16_kernelIDF16_hLN4vllm18Fp8KVCacheDataTypeE1EDF16_Li32ELi128ELi256ELb1ELi13EEvPKT_PKT0_S7_ifPKiS9_S9_iPKfiiiPfSC_PS2_PT2_iSB_SB_,"axG",@progbits,_Z39paged_attention_ll4mi_QKV_mfma16_kernelIDF16_hLN4vllm18Fp8KVCacheDataTypeE1EDF16_Li32ELi128ELi256ELb1ELi13EEvPKT_PKT0_S7_ifPKiS9_S9_iPKfiiiPfSC_PS2_PT2_iSB_SB_,comdat
.Lfunc_end1062:
	.size	_Z39paged_attention_ll4mi_QKV_mfma16_kernelIDF16_hLN4vllm18Fp8KVCacheDataTypeE1EDF16_Li32ELi128ELi256ELb1ELi13EEvPKT_PKT0_S7_ifPKiS9_S9_iPKfiiiPfSC_PS2_PT2_iSB_SB_, .Lfunc_end1062-_Z39paged_attention_ll4mi_QKV_mfma16_kernelIDF16_hLN4vllm18Fp8KVCacheDataTypeE1EDF16_Li32ELi128ELi256ELb1ELi13EEvPKT_PKT0_S7_ifPKiS9_S9_iPKfiiiPfSC_PS2_PT2_iSB_SB_
                                        ; -- End function
	.set _Z39paged_attention_ll4mi_QKV_mfma16_kernelIDF16_hLN4vllm18Fp8KVCacheDataTypeE1EDF16_Li32ELi128ELi256ELb1ELi13EEvPKT_PKT0_S7_ifPKiS9_S9_iPKfiiiPfSC_PS2_PT2_iSB_SB_.num_vgpr, max(3, .L__assert_fail.num_vgpr)
	.set _Z39paged_attention_ll4mi_QKV_mfma16_kernelIDF16_hLN4vllm18Fp8KVCacheDataTypeE1EDF16_Li32ELi128ELi256ELb1ELi13EEvPKT_PKT0_S7_ifPKiS9_S9_iPKfiiiPfSC_PS2_PT2_iSB_SB_.num_agpr, max(0, .L__assert_fail.num_agpr)
	.set _Z39paged_attention_ll4mi_QKV_mfma16_kernelIDF16_hLN4vllm18Fp8KVCacheDataTypeE1EDF16_Li32ELi128ELi256ELb1ELi13EEvPKT_PKT0_S7_ifPKiS9_S9_iPKfiiiPfSC_PS2_PT2_iSB_SB_.numbered_sgpr, max(33, .L__assert_fail.numbered_sgpr)
	.set _Z39paged_attention_ll4mi_QKV_mfma16_kernelIDF16_hLN4vllm18Fp8KVCacheDataTypeE1EDF16_Li32ELi128ELi256ELb1ELi13EEvPKT_PKT0_S7_ifPKiS9_S9_iPKfiiiPfSC_PS2_PT2_iSB_SB_.num_named_barrier, max(0, .L__assert_fail.num_named_barrier)
	.set _Z39paged_attention_ll4mi_QKV_mfma16_kernelIDF16_hLN4vllm18Fp8KVCacheDataTypeE1EDF16_Li32ELi128ELi256ELb1ELi13EEvPKT_PKT0_S7_ifPKiS9_S9_iPKfiiiPfSC_PS2_PT2_iSB_SB_.private_seg_size, 0+max(.L__assert_fail.private_seg_size)
	.set _Z39paged_attention_ll4mi_QKV_mfma16_kernelIDF16_hLN4vllm18Fp8KVCacheDataTypeE1EDF16_Li32ELi128ELi256ELb1ELi13EEvPKT_PKT0_S7_ifPKiS9_S9_iPKfiiiPfSC_PS2_PT2_iSB_SB_.uses_vcc, or(1, .L__assert_fail.uses_vcc)
	.set _Z39paged_attention_ll4mi_QKV_mfma16_kernelIDF16_hLN4vllm18Fp8KVCacheDataTypeE1EDF16_Li32ELi128ELi256ELb1ELi13EEvPKT_PKT0_S7_ifPKiS9_S9_iPKfiiiPfSC_PS2_PT2_iSB_SB_.uses_flat_scratch, or(0, .L__assert_fail.uses_flat_scratch)
	.set _Z39paged_attention_ll4mi_QKV_mfma16_kernelIDF16_hLN4vllm18Fp8KVCacheDataTypeE1EDF16_Li32ELi128ELi256ELb1ELi13EEvPKT_PKT0_S7_ifPKiS9_S9_iPKfiiiPfSC_PS2_PT2_iSB_SB_.has_dyn_sized_stack, or(0, .L__assert_fail.has_dyn_sized_stack)
	.set _Z39paged_attention_ll4mi_QKV_mfma16_kernelIDF16_hLN4vllm18Fp8KVCacheDataTypeE1EDF16_Li32ELi128ELi256ELb1ELi13EEvPKT_PKT0_S7_ifPKiS9_S9_iPKfiiiPfSC_PS2_PT2_iSB_SB_.has_recursion, or(0, .L__assert_fail.has_recursion)
	.set _Z39paged_attention_ll4mi_QKV_mfma16_kernelIDF16_hLN4vllm18Fp8KVCacheDataTypeE1EDF16_Li32ELi128ELi256ELb1ELi13EEvPKT_PKT0_S7_ifPKiS9_S9_iPKfiiiPfSC_PS2_PT2_iSB_SB_.has_indirect_call, or(0, .L__assert_fail.has_indirect_call)
	.section	.AMDGPU.csdata,"",@progbits
; Kernel info:
; codeLenInByte = 68
; TotalNumSgprs: 36
; NumVgprs: 51
; ScratchSize: 64
; MemoryBound: 0
; FloatMode: 240
; IeeeMode: 1
; LDSByteSize: 0 bytes/workgroup (compile time only)
; SGPRBlocks: 0
; VGPRBlocks: 3
; NumSGPRsForWavesPerEU: 36
; NumVGPRsForWavesPerEU: 51
; NamedBarCnt: 0
; Occupancy: 16
; WaveLimiterHint : 1
; COMPUTE_PGM_RSRC2:SCRATCH_EN: 1
; COMPUTE_PGM_RSRC2:USER_SGPR: 2
; COMPUTE_PGM_RSRC2:TRAP_HANDLER: 0
; COMPUTE_PGM_RSRC2:TGID_X_EN: 1
; COMPUTE_PGM_RSRC2:TGID_Y_EN: 0
; COMPUTE_PGM_RSRC2:TGID_Z_EN: 0
; COMPUTE_PGM_RSRC2:TIDIG_COMP_CNT: 0
	.section	.text._Z39paged_attention_ll4mi_QKV_mfma16_kernelIDF16_hLN4vllm18Fp8KVCacheDataTypeE1EDF16_Li32ELi128ELi256ELb1ELi14EEvPKT_PKT0_S7_ifPKiS9_S9_iPKfiiiPfSC_PS2_PT2_iSB_SB_,"axG",@progbits,_Z39paged_attention_ll4mi_QKV_mfma16_kernelIDF16_hLN4vllm18Fp8KVCacheDataTypeE1EDF16_Li32ELi128ELi256ELb1ELi14EEvPKT_PKT0_S7_ifPKiS9_S9_iPKfiiiPfSC_PS2_PT2_iSB_SB_,comdat
	.protected	_Z39paged_attention_ll4mi_QKV_mfma16_kernelIDF16_hLN4vllm18Fp8KVCacheDataTypeE1EDF16_Li32ELi128ELi256ELb1ELi14EEvPKT_PKT0_S7_ifPKiS9_S9_iPKfiiiPfSC_PS2_PT2_iSB_SB_ ; -- Begin function _Z39paged_attention_ll4mi_QKV_mfma16_kernelIDF16_hLN4vllm18Fp8KVCacheDataTypeE1EDF16_Li32ELi128ELi256ELb1ELi14EEvPKT_PKT0_S7_ifPKiS9_S9_iPKfiiiPfSC_PS2_PT2_iSB_SB_
	.globl	_Z39paged_attention_ll4mi_QKV_mfma16_kernelIDF16_hLN4vllm18Fp8KVCacheDataTypeE1EDF16_Li32ELi128ELi256ELb1ELi14EEvPKT_PKT0_S7_ifPKiS9_S9_iPKfiiiPfSC_PS2_PT2_iSB_SB_
	.p2align	8
	.type	_Z39paged_attention_ll4mi_QKV_mfma16_kernelIDF16_hLN4vllm18Fp8KVCacheDataTypeE1EDF16_Li32ELi128ELi256ELb1ELi14EEvPKT_PKT0_S7_ifPKiS9_S9_iPKfiiiPfSC_PS2_PT2_iSB_SB_,@function
_Z39paged_attention_ll4mi_QKV_mfma16_kernelIDF16_hLN4vllm18Fp8KVCacheDataTypeE1EDF16_Li32ELi128ELi256ELb1ELi14EEvPKT_PKT0_S7_ifPKiS9_S9_iPKfiiiPfSC_PS2_PT2_iSB_SB_: ; @_Z39paged_attention_ll4mi_QKV_mfma16_kernelIDF16_hLN4vllm18Fp8KVCacheDataTypeE1EDF16_Li32ELi128ELi256ELb1ELi14EEvPKT_PKT0_S7_ifPKiS9_S9_iPKfiiiPfSC_PS2_PT2_iSB_SB_
; %bb.0:
	s_get_pc_i64 s[2:3]
	s_add_nc_u64 s[2:3], s[2:3], __PRETTY_FUNCTION__._Z39paged_attention_ll4mi_QKV_mfma16_kernelIDF16_hLN4vllm18Fp8KVCacheDataTypeE1EDF16_Li32ELi128ELi256ELb1ELi14EEvPKT_PKT0_S7_ifPKiS9_S9_iPKfiiiPfSC_PS2_PT2_iSB_SB_@rel64+4
	s_delay_alu instid0(SALU_CYCLE_1)
	v_dual_mov_b32 v0, 0xbb3 :: v_dual_mov_b32 v1, s2
	v_mov_b32_e32 v2, s3
	s_add_nc_u64 s[8:9], s[0:1], 0x90
	s_get_pc_i64 s[0:1]
	s_add_nc_u64 s[0:1], s[0:1], __assert_fail@rel64+4
	s_mov_b32 s32, 0
	s_swap_pc_i64 s[30:31], s[0:1]
	.section	.rodata,"a",@progbits
	.p2align	6, 0x0
	.amdhsa_kernel _Z39paged_attention_ll4mi_QKV_mfma16_kernelIDF16_hLN4vllm18Fp8KVCacheDataTypeE1EDF16_Li32ELi128ELi256ELb1ELi14EEvPKT_PKT0_S7_ifPKiS9_S9_iPKfiiiPfSC_PS2_PT2_iSB_SB_
		.amdhsa_group_segment_fixed_size 0
		.amdhsa_private_segment_fixed_size 64
		.amdhsa_kernarg_size 400
		.amdhsa_user_sgpr_count 2
		.amdhsa_user_sgpr_dispatch_ptr 0
		.amdhsa_user_sgpr_queue_ptr 0
		.amdhsa_user_sgpr_kernarg_segment_ptr 1
		.amdhsa_user_sgpr_dispatch_id 0
		.amdhsa_user_sgpr_kernarg_preload_length 0
		.amdhsa_user_sgpr_kernarg_preload_offset 0
		.amdhsa_user_sgpr_private_segment_size 0
		.amdhsa_wavefront_size32 1
		.amdhsa_uses_dynamic_stack 0
		.amdhsa_enable_private_segment 1
		.amdhsa_system_sgpr_workgroup_id_x 1
		.amdhsa_system_sgpr_workgroup_id_y 0
		.amdhsa_system_sgpr_workgroup_id_z 0
		.amdhsa_system_sgpr_workgroup_info 0
		.amdhsa_system_vgpr_workitem_id 0
		.amdhsa_next_free_vgpr 51
		.amdhsa_next_free_sgpr 34
		.amdhsa_named_barrier_count 0
		.amdhsa_reserve_vcc 1
		.amdhsa_float_round_mode_32 0
		.amdhsa_float_round_mode_16_64 0
		.amdhsa_float_denorm_mode_32 3
		.amdhsa_float_denorm_mode_16_64 3
		.amdhsa_fp16_overflow 0
		.amdhsa_memory_ordered 1
		.amdhsa_forward_progress 1
		.amdhsa_inst_pref_size 1
		.amdhsa_round_robin_scheduling 0
		.amdhsa_exception_fp_ieee_invalid_op 0
		.amdhsa_exception_fp_denorm_src 0
		.amdhsa_exception_fp_ieee_div_zero 0
		.amdhsa_exception_fp_ieee_overflow 0
		.amdhsa_exception_fp_ieee_underflow 0
		.amdhsa_exception_fp_ieee_inexact 0
		.amdhsa_exception_int_div_zero 0
	.end_amdhsa_kernel
	.section	.text._Z39paged_attention_ll4mi_QKV_mfma16_kernelIDF16_hLN4vllm18Fp8KVCacheDataTypeE1EDF16_Li32ELi128ELi256ELb1ELi14EEvPKT_PKT0_S7_ifPKiS9_S9_iPKfiiiPfSC_PS2_PT2_iSB_SB_,"axG",@progbits,_Z39paged_attention_ll4mi_QKV_mfma16_kernelIDF16_hLN4vllm18Fp8KVCacheDataTypeE1EDF16_Li32ELi128ELi256ELb1ELi14EEvPKT_PKT0_S7_ifPKiS9_S9_iPKfiiiPfSC_PS2_PT2_iSB_SB_,comdat
.Lfunc_end1063:
	.size	_Z39paged_attention_ll4mi_QKV_mfma16_kernelIDF16_hLN4vllm18Fp8KVCacheDataTypeE1EDF16_Li32ELi128ELi256ELb1ELi14EEvPKT_PKT0_S7_ifPKiS9_S9_iPKfiiiPfSC_PS2_PT2_iSB_SB_, .Lfunc_end1063-_Z39paged_attention_ll4mi_QKV_mfma16_kernelIDF16_hLN4vllm18Fp8KVCacheDataTypeE1EDF16_Li32ELi128ELi256ELb1ELi14EEvPKT_PKT0_S7_ifPKiS9_S9_iPKfiiiPfSC_PS2_PT2_iSB_SB_
                                        ; -- End function
	.set _Z39paged_attention_ll4mi_QKV_mfma16_kernelIDF16_hLN4vllm18Fp8KVCacheDataTypeE1EDF16_Li32ELi128ELi256ELb1ELi14EEvPKT_PKT0_S7_ifPKiS9_S9_iPKfiiiPfSC_PS2_PT2_iSB_SB_.num_vgpr, max(3, .L__assert_fail.num_vgpr)
	.set _Z39paged_attention_ll4mi_QKV_mfma16_kernelIDF16_hLN4vllm18Fp8KVCacheDataTypeE1EDF16_Li32ELi128ELi256ELb1ELi14EEvPKT_PKT0_S7_ifPKiS9_S9_iPKfiiiPfSC_PS2_PT2_iSB_SB_.num_agpr, max(0, .L__assert_fail.num_agpr)
	.set _Z39paged_attention_ll4mi_QKV_mfma16_kernelIDF16_hLN4vllm18Fp8KVCacheDataTypeE1EDF16_Li32ELi128ELi256ELb1ELi14EEvPKT_PKT0_S7_ifPKiS9_S9_iPKfiiiPfSC_PS2_PT2_iSB_SB_.numbered_sgpr, max(33, .L__assert_fail.numbered_sgpr)
	.set _Z39paged_attention_ll4mi_QKV_mfma16_kernelIDF16_hLN4vllm18Fp8KVCacheDataTypeE1EDF16_Li32ELi128ELi256ELb1ELi14EEvPKT_PKT0_S7_ifPKiS9_S9_iPKfiiiPfSC_PS2_PT2_iSB_SB_.num_named_barrier, max(0, .L__assert_fail.num_named_barrier)
	.set _Z39paged_attention_ll4mi_QKV_mfma16_kernelIDF16_hLN4vllm18Fp8KVCacheDataTypeE1EDF16_Li32ELi128ELi256ELb1ELi14EEvPKT_PKT0_S7_ifPKiS9_S9_iPKfiiiPfSC_PS2_PT2_iSB_SB_.private_seg_size, 0+max(.L__assert_fail.private_seg_size)
	.set _Z39paged_attention_ll4mi_QKV_mfma16_kernelIDF16_hLN4vllm18Fp8KVCacheDataTypeE1EDF16_Li32ELi128ELi256ELb1ELi14EEvPKT_PKT0_S7_ifPKiS9_S9_iPKfiiiPfSC_PS2_PT2_iSB_SB_.uses_vcc, or(1, .L__assert_fail.uses_vcc)
	.set _Z39paged_attention_ll4mi_QKV_mfma16_kernelIDF16_hLN4vllm18Fp8KVCacheDataTypeE1EDF16_Li32ELi128ELi256ELb1ELi14EEvPKT_PKT0_S7_ifPKiS9_S9_iPKfiiiPfSC_PS2_PT2_iSB_SB_.uses_flat_scratch, or(0, .L__assert_fail.uses_flat_scratch)
	.set _Z39paged_attention_ll4mi_QKV_mfma16_kernelIDF16_hLN4vllm18Fp8KVCacheDataTypeE1EDF16_Li32ELi128ELi256ELb1ELi14EEvPKT_PKT0_S7_ifPKiS9_S9_iPKfiiiPfSC_PS2_PT2_iSB_SB_.has_dyn_sized_stack, or(0, .L__assert_fail.has_dyn_sized_stack)
	.set _Z39paged_attention_ll4mi_QKV_mfma16_kernelIDF16_hLN4vllm18Fp8KVCacheDataTypeE1EDF16_Li32ELi128ELi256ELb1ELi14EEvPKT_PKT0_S7_ifPKiS9_S9_iPKfiiiPfSC_PS2_PT2_iSB_SB_.has_recursion, or(0, .L__assert_fail.has_recursion)
	.set _Z39paged_attention_ll4mi_QKV_mfma16_kernelIDF16_hLN4vllm18Fp8KVCacheDataTypeE1EDF16_Li32ELi128ELi256ELb1ELi14EEvPKT_PKT0_S7_ifPKiS9_S9_iPKfiiiPfSC_PS2_PT2_iSB_SB_.has_indirect_call, or(0, .L__assert_fail.has_indirect_call)
	.section	.AMDGPU.csdata,"",@progbits
; Kernel info:
; codeLenInByte = 68
; TotalNumSgprs: 36
; NumVgprs: 51
; ScratchSize: 64
; MemoryBound: 0
; FloatMode: 240
; IeeeMode: 1
; LDSByteSize: 0 bytes/workgroup (compile time only)
; SGPRBlocks: 0
; VGPRBlocks: 3
; NumSGPRsForWavesPerEU: 36
; NumVGPRsForWavesPerEU: 51
; NamedBarCnt: 0
; Occupancy: 16
; WaveLimiterHint : 1
; COMPUTE_PGM_RSRC2:SCRATCH_EN: 1
; COMPUTE_PGM_RSRC2:USER_SGPR: 2
; COMPUTE_PGM_RSRC2:TRAP_HANDLER: 0
; COMPUTE_PGM_RSRC2:TGID_X_EN: 1
; COMPUTE_PGM_RSRC2:TGID_Y_EN: 0
; COMPUTE_PGM_RSRC2:TGID_Z_EN: 0
; COMPUTE_PGM_RSRC2:TIDIG_COMP_CNT: 0
	.section	.text._Z39paged_attention_ll4mi_QKV_mfma16_kernelIDF16_hLN4vllm18Fp8KVCacheDataTypeE1EDF16_Li32ELi128ELi256ELb1ELi15EEvPKT_PKT0_S7_ifPKiS9_S9_iPKfiiiPfSC_PS2_PT2_iSB_SB_,"axG",@progbits,_Z39paged_attention_ll4mi_QKV_mfma16_kernelIDF16_hLN4vllm18Fp8KVCacheDataTypeE1EDF16_Li32ELi128ELi256ELb1ELi15EEvPKT_PKT0_S7_ifPKiS9_S9_iPKfiiiPfSC_PS2_PT2_iSB_SB_,comdat
	.protected	_Z39paged_attention_ll4mi_QKV_mfma16_kernelIDF16_hLN4vllm18Fp8KVCacheDataTypeE1EDF16_Li32ELi128ELi256ELb1ELi15EEvPKT_PKT0_S7_ifPKiS9_S9_iPKfiiiPfSC_PS2_PT2_iSB_SB_ ; -- Begin function _Z39paged_attention_ll4mi_QKV_mfma16_kernelIDF16_hLN4vllm18Fp8KVCacheDataTypeE1EDF16_Li32ELi128ELi256ELb1ELi15EEvPKT_PKT0_S7_ifPKiS9_S9_iPKfiiiPfSC_PS2_PT2_iSB_SB_
	.globl	_Z39paged_attention_ll4mi_QKV_mfma16_kernelIDF16_hLN4vllm18Fp8KVCacheDataTypeE1EDF16_Li32ELi128ELi256ELb1ELi15EEvPKT_PKT0_S7_ifPKiS9_S9_iPKfiiiPfSC_PS2_PT2_iSB_SB_
	.p2align	8
	.type	_Z39paged_attention_ll4mi_QKV_mfma16_kernelIDF16_hLN4vllm18Fp8KVCacheDataTypeE1EDF16_Li32ELi128ELi256ELb1ELi15EEvPKT_PKT0_S7_ifPKiS9_S9_iPKfiiiPfSC_PS2_PT2_iSB_SB_,@function
_Z39paged_attention_ll4mi_QKV_mfma16_kernelIDF16_hLN4vllm18Fp8KVCacheDataTypeE1EDF16_Li32ELi128ELi256ELb1ELi15EEvPKT_PKT0_S7_ifPKiS9_S9_iPKfiiiPfSC_PS2_PT2_iSB_SB_: ; @_Z39paged_attention_ll4mi_QKV_mfma16_kernelIDF16_hLN4vllm18Fp8KVCacheDataTypeE1EDF16_Li32ELi128ELi256ELb1ELi15EEvPKT_PKT0_S7_ifPKiS9_S9_iPKfiiiPfSC_PS2_PT2_iSB_SB_
; %bb.0:
	s_get_pc_i64 s[2:3]
	s_add_nc_u64 s[2:3], s[2:3], __PRETTY_FUNCTION__._Z39paged_attention_ll4mi_QKV_mfma16_kernelIDF16_hLN4vllm18Fp8KVCacheDataTypeE1EDF16_Li32ELi128ELi256ELb1ELi15EEvPKT_PKT0_S7_ifPKiS9_S9_iPKfiiiPfSC_PS2_PT2_iSB_SB_@rel64+4
	s_delay_alu instid0(SALU_CYCLE_1)
	v_dual_mov_b32 v0, 0xbb3 :: v_dual_mov_b32 v1, s2
	v_mov_b32_e32 v2, s3
	s_add_nc_u64 s[8:9], s[0:1], 0x90
	s_get_pc_i64 s[0:1]
	s_add_nc_u64 s[0:1], s[0:1], __assert_fail@rel64+4
	s_mov_b32 s32, 0
	s_swap_pc_i64 s[30:31], s[0:1]
	.section	.rodata,"a",@progbits
	.p2align	6, 0x0
	.amdhsa_kernel _Z39paged_attention_ll4mi_QKV_mfma16_kernelIDF16_hLN4vllm18Fp8KVCacheDataTypeE1EDF16_Li32ELi128ELi256ELb1ELi15EEvPKT_PKT0_S7_ifPKiS9_S9_iPKfiiiPfSC_PS2_PT2_iSB_SB_
		.amdhsa_group_segment_fixed_size 0
		.amdhsa_private_segment_fixed_size 64
		.amdhsa_kernarg_size 400
		.amdhsa_user_sgpr_count 2
		.amdhsa_user_sgpr_dispatch_ptr 0
		.amdhsa_user_sgpr_queue_ptr 0
		.amdhsa_user_sgpr_kernarg_segment_ptr 1
		.amdhsa_user_sgpr_dispatch_id 0
		.amdhsa_user_sgpr_kernarg_preload_length 0
		.amdhsa_user_sgpr_kernarg_preload_offset 0
		.amdhsa_user_sgpr_private_segment_size 0
		.amdhsa_wavefront_size32 1
		.amdhsa_uses_dynamic_stack 0
		.amdhsa_enable_private_segment 1
		.amdhsa_system_sgpr_workgroup_id_x 1
		.amdhsa_system_sgpr_workgroup_id_y 0
		.amdhsa_system_sgpr_workgroup_id_z 0
		.amdhsa_system_sgpr_workgroup_info 0
		.amdhsa_system_vgpr_workitem_id 0
		.amdhsa_next_free_vgpr 51
		.amdhsa_next_free_sgpr 34
		.amdhsa_named_barrier_count 0
		.amdhsa_reserve_vcc 1
		.amdhsa_float_round_mode_32 0
		.amdhsa_float_round_mode_16_64 0
		.amdhsa_float_denorm_mode_32 3
		.amdhsa_float_denorm_mode_16_64 3
		.amdhsa_fp16_overflow 0
		.amdhsa_memory_ordered 1
		.amdhsa_forward_progress 1
		.amdhsa_inst_pref_size 1
		.amdhsa_round_robin_scheduling 0
		.amdhsa_exception_fp_ieee_invalid_op 0
		.amdhsa_exception_fp_denorm_src 0
		.amdhsa_exception_fp_ieee_div_zero 0
		.amdhsa_exception_fp_ieee_overflow 0
		.amdhsa_exception_fp_ieee_underflow 0
		.amdhsa_exception_fp_ieee_inexact 0
		.amdhsa_exception_int_div_zero 0
	.end_amdhsa_kernel
	.section	.text._Z39paged_attention_ll4mi_QKV_mfma16_kernelIDF16_hLN4vllm18Fp8KVCacheDataTypeE1EDF16_Li32ELi128ELi256ELb1ELi15EEvPKT_PKT0_S7_ifPKiS9_S9_iPKfiiiPfSC_PS2_PT2_iSB_SB_,"axG",@progbits,_Z39paged_attention_ll4mi_QKV_mfma16_kernelIDF16_hLN4vllm18Fp8KVCacheDataTypeE1EDF16_Li32ELi128ELi256ELb1ELi15EEvPKT_PKT0_S7_ifPKiS9_S9_iPKfiiiPfSC_PS2_PT2_iSB_SB_,comdat
.Lfunc_end1064:
	.size	_Z39paged_attention_ll4mi_QKV_mfma16_kernelIDF16_hLN4vllm18Fp8KVCacheDataTypeE1EDF16_Li32ELi128ELi256ELb1ELi15EEvPKT_PKT0_S7_ifPKiS9_S9_iPKfiiiPfSC_PS2_PT2_iSB_SB_, .Lfunc_end1064-_Z39paged_attention_ll4mi_QKV_mfma16_kernelIDF16_hLN4vllm18Fp8KVCacheDataTypeE1EDF16_Li32ELi128ELi256ELb1ELi15EEvPKT_PKT0_S7_ifPKiS9_S9_iPKfiiiPfSC_PS2_PT2_iSB_SB_
                                        ; -- End function
	.set _Z39paged_attention_ll4mi_QKV_mfma16_kernelIDF16_hLN4vllm18Fp8KVCacheDataTypeE1EDF16_Li32ELi128ELi256ELb1ELi15EEvPKT_PKT0_S7_ifPKiS9_S9_iPKfiiiPfSC_PS2_PT2_iSB_SB_.num_vgpr, max(3, .L__assert_fail.num_vgpr)
	.set _Z39paged_attention_ll4mi_QKV_mfma16_kernelIDF16_hLN4vllm18Fp8KVCacheDataTypeE1EDF16_Li32ELi128ELi256ELb1ELi15EEvPKT_PKT0_S7_ifPKiS9_S9_iPKfiiiPfSC_PS2_PT2_iSB_SB_.num_agpr, max(0, .L__assert_fail.num_agpr)
	.set _Z39paged_attention_ll4mi_QKV_mfma16_kernelIDF16_hLN4vllm18Fp8KVCacheDataTypeE1EDF16_Li32ELi128ELi256ELb1ELi15EEvPKT_PKT0_S7_ifPKiS9_S9_iPKfiiiPfSC_PS2_PT2_iSB_SB_.numbered_sgpr, max(33, .L__assert_fail.numbered_sgpr)
	.set _Z39paged_attention_ll4mi_QKV_mfma16_kernelIDF16_hLN4vllm18Fp8KVCacheDataTypeE1EDF16_Li32ELi128ELi256ELb1ELi15EEvPKT_PKT0_S7_ifPKiS9_S9_iPKfiiiPfSC_PS2_PT2_iSB_SB_.num_named_barrier, max(0, .L__assert_fail.num_named_barrier)
	.set _Z39paged_attention_ll4mi_QKV_mfma16_kernelIDF16_hLN4vllm18Fp8KVCacheDataTypeE1EDF16_Li32ELi128ELi256ELb1ELi15EEvPKT_PKT0_S7_ifPKiS9_S9_iPKfiiiPfSC_PS2_PT2_iSB_SB_.private_seg_size, 0+max(.L__assert_fail.private_seg_size)
	.set _Z39paged_attention_ll4mi_QKV_mfma16_kernelIDF16_hLN4vllm18Fp8KVCacheDataTypeE1EDF16_Li32ELi128ELi256ELb1ELi15EEvPKT_PKT0_S7_ifPKiS9_S9_iPKfiiiPfSC_PS2_PT2_iSB_SB_.uses_vcc, or(1, .L__assert_fail.uses_vcc)
	.set _Z39paged_attention_ll4mi_QKV_mfma16_kernelIDF16_hLN4vllm18Fp8KVCacheDataTypeE1EDF16_Li32ELi128ELi256ELb1ELi15EEvPKT_PKT0_S7_ifPKiS9_S9_iPKfiiiPfSC_PS2_PT2_iSB_SB_.uses_flat_scratch, or(0, .L__assert_fail.uses_flat_scratch)
	.set _Z39paged_attention_ll4mi_QKV_mfma16_kernelIDF16_hLN4vllm18Fp8KVCacheDataTypeE1EDF16_Li32ELi128ELi256ELb1ELi15EEvPKT_PKT0_S7_ifPKiS9_S9_iPKfiiiPfSC_PS2_PT2_iSB_SB_.has_dyn_sized_stack, or(0, .L__assert_fail.has_dyn_sized_stack)
	.set _Z39paged_attention_ll4mi_QKV_mfma16_kernelIDF16_hLN4vllm18Fp8KVCacheDataTypeE1EDF16_Li32ELi128ELi256ELb1ELi15EEvPKT_PKT0_S7_ifPKiS9_S9_iPKfiiiPfSC_PS2_PT2_iSB_SB_.has_recursion, or(0, .L__assert_fail.has_recursion)
	.set _Z39paged_attention_ll4mi_QKV_mfma16_kernelIDF16_hLN4vllm18Fp8KVCacheDataTypeE1EDF16_Li32ELi128ELi256ELb1ELi15EEvPKT_PKT0_S7_ifPKiS9_S9_iPKfiiiPfSC_PS2_PT2_iSB_SB_.has_indirect_call, or(0, .L__assert_fail.has_indirect_call)
	.section	.AMDGPU.csdata,"",@progbits
; Kernel info:
; codeLenInByte = 68
; TotalNumSgprs: 36
; NumVgprs: 51
; ScratchSize: 64
; MemoryBound: 0
; FloatMode: 240
; IeeeMode: 1
; LDSByteSize: 0 bytes/workgroup (compile time only)
; SGPRBlocks: 0
; VGPRBlocks: 3
; NumSGPRsForWavesPerEU: 36
; NumVGPRsForWavesPerEU: 51
; NamedBarCnt: 0
; Occupancy: 16
; WaveLimiterHint : 1
; COMPUTE_PGM_RSRC2:SCRATCH_EN: 1
; COMPUTE_PGM_RSRC2:USER_SGPR: 2
; COMPUTE_PGM_RSRC2:TRAP_HANDLER: 0
; COMPUTE_PGM_RSRC2:TGID_X_EN: 1
; COMPUTE_PGM_RSRC2:TGID_Y_EN: 0
; COMPUTE_PGM_RSRC2:TGID_Z_EN: 0
; COMPUTE_PGM_RSRC2:TIDIG_COMP_CNT: 0
	.section	.text._Z39paged_attention_ll4mi_QKV_mfma16_kernelIDF16_hLN4vllm18Fp8KVCacheDataTypeE1EDF16_Li32ELi128ELi256ELb1ELi16EEvPKT_PKT0_S7_ifPKiS9_S9_iPKfiiiPfSC_PS2_PT2_iSB_SB_,"axG",@progbits,_Z39paged_attention_ll4mi_QKV_mfma16_kernelIDF16_hLN4vllm18Fp8KVCacheDataTypeE1EDF16_Li32ELi128ELi256ELb1ELi16EEvPKT_PKT0_S7_ifPKiS9_S9_iPKfiiiPfSC_PS2_PT2_iSB_SB_,comdat
	.protected	_Z39paged_attention_ll4mi_QKV_mfma16_kernelIDF16_hLN4vllm18Fp8KVCacheDataTypeE1EDF16_Li32ELi128ELi256ELb1ELi16EEvPKT_PKT0_S7_ifPKiS9_S9_iPKfiiiPfSC_PS2_PT2_iSB_SB_ ; -- Begin function _Z39paged_attention_ll4mi_QKV_mfma16_kernelIDF16_hLN4vllm18Fp8KVCacheDataTypeE1EDF16_Li32ELi128ELi256ELb1ELi16EEvPKT_PKT0_S7_ifPKiS9_S9_iPKfiiiPfSC_PS2_PT2_iSB_SB_
	.globl	_Z39paged_attention_ll4mi_QKV_mfma16_kernelIDF16_hLN4vllm18Fp8KVCacheDataTypeE1EDF16_Li32ELi128ELi256ELb1ELi16EEvPKT_PKT0_S7_ifPKiS9_S9_iPKfiiiPfSC_PS2_PT2_iSB_SB_
	.p2align	8
	.type	_Z39paged_attention_ll4mi_QKV_mfma16_kernelIDF16_hLN4vllm18Fp8KVCacheDataTypeE1EDF16_Li32ELi128ELi256ELb1ELi16EEvPKT_PKT0_S7_ifPKiS9_S9_iPKfiiiPfSC_PS2_PT2_iSB_SB_,@function
_Z39paged_attention_ll4mi_QKV_mfma16_kernelIDF16_hLN4vllm18Fp8KVCacheDataTypeE1EDF16_Li32ELi128ELi256ELb1ELi16EEvPKT_PKT0_S7_ifPKiS9_S9_iPKfiiiPfSC_PS2_PT2_iSB_SB_: ; @_Z39paged_attention_ll4mi_QKV_mfma16_kernelIDF16_hLN4vllm18Fp8KVCacheDataTypeE1EDF16_Li32ELi128ELi256ELb1ELi16EEvPKT_PKT0_S7_ifPKiS9_S9_iPKfiiiPfSC_PS2_PT2_iSB_SB_
; %bb.0:
	s_get_pc_i64 s[2:3]
	s_add_nc_u64 s[2:3], s[2:3], __PRETTY_FUNCTION__._Z39paged_attention_ll4mi_QKV_mfma16_kernelIDF16_hLN4vllm18Fp8KVCacheDataTypeE1EDF16_Li32ELi128ELi256ELb1ELi16EEvPKT_PKT0_S7_ifPKiS9_S9_iPKfiiiPfSC_PS2_PT2_iSB_SB_@rel64+4
	s_delay_alu instid0(SALU_CYCLE_1)
	v_dual_mov_b32 v0, 0xbb3 :: v_dual_mov_b32 v1, s2
	v_mov_b32_e32 v2, s3
	s_add_nc_u64 s[8:9], s[0:1], 0x90
	s_get_pc_i64 s[0:1]
	s_add_nc_u64 s[0:1], s[0:1], __assert_fail@rel64+4
	s_mov_b32 s32, 0
	s_swap_pc_i64 s[30:31], s[0:1]
	.section	.rodata,"a",@progbits
	.p2align	6, 0x0
	.amdhsa_kernel _Z39paged_attention_ll4mi_QKV_mfma16_kernelIDF16_hLN4vllm18Fp8KVCacheDataTypeE1EDF16_Li32ELi128ELi256ELb1ELi16EEvPKT_PKT0_S7_ifPKiS9_S9_iPKfiiiPfSC_PS2_PT2_iSB_SB_
		.amdhsa_group_segment_fixed_size 0
		.amdhsa_private_segment_fixed_size 64
		.amdhsa_kernarg_size 400
		.amdhsa_user_sgpr_count 2
		.amdhsa_user_sgpr_dispatch_ptr 0
		.amdhsa_user_sgpr_queue_ptr 0
		.amdhsa_user_sgpr_kernarg_segment_ptr 1
		.amdhsa_user_sgpr_dispatch_id 0
		.amdhsa_user_sgpr_kernarg_preload_length 0
		.amdhsa_user_sgpr_kernarg_preload_offset 0
		.amdhsa_user_sgpr_private_segment_size 0
		.amdhsa_wavefront_size32 1
		.amdhsa_uses_dynamic_stack 0
		.amdhsa_enable_private_segment 1
		.amdhsa_system_sgpr_workgroup_id_x 1
		.amdhsa_system_sgpr_workgroup_id_y 0
		.amdhsa_system_sgpr_workgroup_id_z 0
		.amdhsa_system_sgpr_workgroup_info 0
		.amdhsa_system_vgpr_workitem_id 0
		.amdhsa_next_free_vgpr 51
		.amdhsa_next_free_sgpr 34
		.amdhsa_named_barrier_count 0
		.amdhsa_reserve_vcc 1
		.amdhsa_float_round_mode_32 0
		.amdhsa_float_round_mode_16_64 0
		.amdhsa_float_denorm_mode_32 3
		.amdhsa_float_denorm_mode_16_64 3
		.amdhsa_fp16_overflow 0
		.amdhsa_memory_ordered 1
		.amdhsa_forward_progress 1
		.amdhsa_inst_pref_size 1
		.amdhsa_round_robin_scheduling 0
		.amdhsa_exception_fp_ieee_invalid_op 0
		.amdhsa_exception_fp_denorm_src 0
		.amdhsa_exception_fp_ieee_div_zero 0
		.amdhsa_exception_fp_ieee_overflow 0
		.amdhsa_exception_fp_ieee_underflow 0
		.amdhsa_exception_fp_ieee_inexact 0
		.amdhsa_exception_int_div_zero 0
	.end_amdhsa_kernel
	.section	.text._Z39paged_attention_ll4mi_QKV_mfma16_kernelIDF16_hLN4vllm18Fp8KVCacheDataTypeE1EDF16_Li32ELi128ELi256ELb1ELi16EEvPKT_PKT0_S7_ifPKiS9_S9_iPKfiiiPfSC_PS2_PT2_iSB_SB_,"axG",@progbits,_Z39paged_attention_ll4mi_QKV_mfma16_kernelIDF16_hLN4vllm18Fp8KVCacheDataTypeE1EDF16_Li32ELi128ELi256ELb1ELi16EEvPKT_PKT0_S7_ifPKiS9_S9_iPKfiiiPfSC_PS2_PT2_iSB_SB_,comdat
.Lfunc_end1065:
	.size	_Z39paged_attention_ll4mi_QKV_mfma16_kernelIDF16_hLN4vllm18Fp8KVCacheDataTypeE1EDF16_Li32ELi128ELi256ELb1ELi16EEvPKT_PKT0_S7_ifPKiS9_S9_iPKfiiiPfSC_PS2_PT2_iSB_SB_, .Lfunc_end1065-_Z39paged_attention_ll4mi_QKV_mfma16_kernelIDF16_hLN4vllm18Fp8KVCacheDataTypeE1EDF16_Li32ELi128ELi256ELb1ELi16EEvPKT_PKT0_S7_ifPKiS9_S9_iPKfiiiPfSC_PS2_PT2_iSB_SB_
                                        ; -- End function
	.set _Z39paged_attention_ll4mi_QKV_mfma16_kernelIDF16_hLN4vllm18Fp8KVCacheDataTypeE1EDF16_Li32ELi128ELi256ELb1ELi16EEvPKT_PKT0_S7_ifPKiS9_S9_iPKfiiiPfSC_PS2_PT2_iSB_SB_.num_vgpr, max(3, .L__assert_fail.num_vgpr)
	.set _Z39paged_attention_ll4mi_QKV_mfma16_kernelIDF16_hLN4vllm18Fp8KVCacheDataTypeE1EDF16_Li32ELi128ELi256ELb1ELi16EEvPKT_PKT0_S7_ifPKiS9_S9_iPKfiiiPfSC_PS2_PT2_iSB_SB_.num_agpr, max(0, .L__assert_fail.num_agpr)
	.set _Z39paged_attention_ll4mi_QKV_mfma16_kernelIDF16_hLN4vllm18Fp8KVCacheDataTypeE1EDF16_Li32ELi128ELi256ELb1ELi16EEvPKT_PKT0_S7_ifPKiS9_S9_iPKfiiiPfSC_PS2_PT2_iSB_SB_.numbered_sgpr, max(33, .L__assert_fail.numbered_sgpr)
	.set _Z39paged_attention_ll4mi_QKV_mfma16_kernelIDF16_hLN4vllm18Fp8KVCacheDataTypeE1EDF16_Li32ELi128ELi256ELb1ELi16EEvPKT_PKT0_S7_ifPKiS9_S9_iPKfiiiPfSC_PS2_PT2_iSB_SB_.num_named_barrier, max(0, .L__assert_fail.num_named_barrier)
	.set _Z39paged_attention_ll4mi_QKV_mfma16_kernelIDF16_hLN4vllm18Fp8KVCacheDataTypeE1EDF16_Li32ELi128ELi256ELb1ELi16EEvPKT_PKT0_S7_ifPKiS9_S9_iPKfiiiPfSC_PS2_PT2_iSB_SB_.private_seg_size, 0+max(.L__assert_fail.private_seg_size)
	.set _Z39paged_attention_ll4mi_QKV_mfma16_kernelIDF16_hLN4vllm18Fp8KVCacheDataTypeE1EDF16_Li32ELi128ELi256ELb1ELi16EEvPKT_PKT0_S7_ifPKiS9_S9_iPKfiiiPfSC_PS2_PT2_iSB_SB_.uses_vcc, or(1, .L__assert_fail.uses_vcc)
	.set _Z39paged_attention_ll4mi_QKV_mfma16_kernelIDF16_hLN4vllm18Fp8KVCacheDataTypeE1EDF16_Li32ELi128ELi256ELb1ELi16EEvPKT_PKT0_S7_ifPKiS9_S9_iPKfiiiPfSC_PS2_PT2_iSB_SB_.uses_flat_scratch, or(0, .L__assert_fail.uses_flat_scratch)
	.set _Z39paged_attention_ll4mi_QKV_mfma16_kernelIDF16_hLN4vllm18Fp8KVCacheDataTypeE1EDF16_Li32ELi128ELi256ELb1ELi16EEvPKT_PKT0_S7_ifPKiS9_S9_iPKfiiiPfSC_PS2_PT2_iSB_SB_.has_dyn_sized_stack, or(0, .L__assert_fail.has_dyn_sized_stack)
	.set _Z39paged_attention_ll4mi_QKV_mfma16_kernelIDF16_hLN4vllm18Fp8KVCacheDataTypeE1EDF16_Li32ELi128ELi256ELb1ELi16EEvPKT_PKT0_S7_ifPKiS9_S9_iPKfiiiPfSC_PS2_PT2_iSB_SB_.has_recursion, or(0, .L__assert_fail.has_recursion)
	.set _Z39paged_attention_ll4mi_QKV_mfma16_kernelIDF16_hLN4vllm18Fp8KVCacheDataTypeE1EDF16_Li32ELi128ELi256ELb1ELi16EEvPKT_PKT0_S7_ifPKiS9_S9_iPKfiiiPfSC_PS2_PT2_iSB_SB_.has_indirect_call, or(0, .L__assert_fail.has_indirect_call)
	.section	.AMDGPU.csdata,"",@progbits
; Kernel info:
; codeLenInByte = 68
; TotalNumSgprs: 36
; NumVgprs: 51
; ScratchSize: 64
; MemoryBound: 0
; FloatMode: 240
; IeeeMode: 1
; LDSByteSize: 0 bytes/workgroup (compile time only)
; SGPRBlocks: 0
; VGPRBlocks: 3
; NumSGPRsForWavesPerEU: 36
; NumVGPRsForWavesPerEU: 51
; NamedBarCnt: 0
; Occupancy: 16
; WaveLimiterHint : 1
; COMPUTE_PGM_RSRC2:SCRATCH_EN: 1
; COMPUTE_PGM_RSRC2:USER_SGPR: 2
; COMPUTE_PGM_RSRC2:TRAP_HANDLER: 0
; COMPUTE_PGM_RSRC2:TGID_X_EN: 1
; COMPUTE_PGM_RSRC2:TGID_Y_EN: 0
; COMPUTE_PGM_RSRC2:TGID_Z_EN: 0
; COMPUTE_PGM_RSRC2:TIDIG_COMP_CNT: 0
	.section	.text._Z39paged_attention_ll4mi_QKV_mfma16_kernelIDF16_hLN4vllm18Fp8KVCacheDataTypeE1EDF16_Li32ELi128ELi256ELb1ELi1EEvPKT_PKT0_S7_ifPKiS9_S9_iPKfiiiPfSC_PS2_PT2_iSB_SB_,"axG",@progbits,_Z39paged_attention_ll4mi_QKV_mfma16_kernelIDF16_hLN4vllm18Fp8KVCacheDataTypeE1EDF16_Li32ELi128ELi256ELb1ELi1EEvPKT_PKT0_S7_ifPKiS9_S9_iPKfiiiPfSC_PS2_PT2_iSB_SB_,comdat
	.protected	_Z39paged_attention_ll4mi_QKV_mfma16_kernelIDF16_hLN4vllm18Fp8KVCacheDataTypeE1EDF16_Li32ELi128ELi256ELb1ELi1EEvPKT_PKT0_S7_ifPKiS9_S9_iPKfiiiPfSC_PS2_PT2_iSB_SB_ ; -- Begin function _Z39paged_attention_ll4mi_QKV_mfma16_kernelIDF16_hLN4vllm18Fp8KVCacheDataTypeE1EDF16_Li32ELi128ELi256ELb1ELi1EEvPKT_PKT0_S7_ifPKiS9_S9_iPKfiiiPfSC_PS2_PT2_iSB_SB_
	.globl	_Z39paged_attention_ll4mi_QKV_mfma16_kernelIDF16_hLN4vllm18Fp8KVCacheDataTypeE1EDF16_Li32ELi128ELi256ELb1ELi1EEvPKT_PKT0_S7_ifPKiS9_S9_iPKfiiiPfSC_PS2_PT2_iSB_SB_
	.p2align	8
	.type	_Z39paged_attention_ll4mi_QKV_mfma16_kernelIDF16_hLN4vllm18Fp8KVCacheDataTypeE1EDF16_Li32ELi128ELi256ELb1ELi1EEvPKT_PKT0_S7_ifPKiS9_S9_iPKfiiiPfSC_PS2_PT2_iSB_SB_,@function
_Z39paged_attention_ll4mi_QKV_mfma16_kernelIDF16_hLN4vllm18Fp8KVCacheDataTypeE1EDF16_Li32ELi128ELi256ELb1ELi1EEvPKT_PKT0_S7_ifPKiS9_S9_iPKfiiiPfSC_PS2_PT2_iSB_SB_: ; @_Z39paged_attention_ll4mi_QKV_mfma16_kernelIDF16_hLN4vllm18Fp8KVCacheDataTypeE1EDF16_Li32ELi128ELi256ELb1ELi1EEvPKT_PKT0_S7_ifPKiS9_S9_iPKfiiiPfSC_PS2_PT2_iSB_SB_
; %bb.0:
	s_get_pc_i64 s[2:3]
	s_add_nc_u64 s[2:3], s[2:3], __PRETTY_FUNCTION__._Z39paged_attention_ll4mi_QKV_mfma16_kernelIDF16_hLN4vllm18Fp8KVCacheDataTypeE1EDF16_Li32ELi128ELi256ELb1ELi1EEvPKT_PKT0_S7_ifPKiS9_S9_iPKfiiiPfSC_PS2_PT2_iSB_SB_@rel64+4
	s_delay_alu instid0(SALU_CYCLE_1)
	v_dual_mov_b32 v0, 0xbb3 :: v_dual_mov_b32 v1, s2
	v_mov_b32_e32 v2, s3
	s_add_nc_u64 s[8:9], s[0:1], 0x90
	s_get_pc_i64 s[0:1]
	s_add_nc_u64 s[0:1], s[0:1], __assert_fail@rel64+4
	s_mov_b32 s32, 0
	s_swap_pc_i64 s[30:31], s[0:1]
	.section	.rodata,"a",@progbits
	.p2align	6, 0x0
	.amdhsa_kernel _Z39paged_attention_ll4mi_QKV_mfma16_kernelIDF16_hLN4vllm18Fp8KVCacheDataTypeE1EDF16_Li32ELi128ELi256ELb1ELi1EEvPKT_PKT0_S7_ifPKiS9_S9_iPKfiiiPfSC_PS2_PT2_iSB_SB_
		.amdhsa_group_segment_fixed_size 0
		.amdhsa_private_segment_fixed_size 64
		.amdhsa_kernarg_size 400
		.amdhsa_user_sgpr_count 2
		.amdhsa_user_sgpr_dispatch_ptr 0
		.amdhsa_user_sgpr_queue_ptr 0
		.amdhsa_user_sgpr_kernarg_segment_ptr 1
		.amdhsa_user_sgpr_dispatch_id 0
		.amdhsa_user_sgpr_kernarg_preload_length 0
		.amdhsa_user_sgpr_kernarg_preload_offset 0
		.amdhsa_user_sgpr_private_segment_size 0
		.amdhsa_wavefront_size32 1
		.amdhsa_uses_dynamic_stack 0
		.amdhsa_enable_private_segment 1
		.amdhsa_system_sgpr_workgroup_id_x 1
		.amdhsa_system_sgpr_workgroup_id_y 0
		.amdhsa_system_sgpr_workgroup_id_z 0
		.amdhsa_system_sgpr_workgroup_info 0
		.amdhsa_system_vgpr_workitem_id 0
		.amdhsa_next_free_vgpr 51
		.amdhsa_next_free_sgpr 34
		.amdhsa_named_barrier_count 0
		.amdhsa_reserve_vcc 1
		.amdhsa_float_round_mode_32 0
		.amdhsa_float_round_mode_16_64 0
		.amdhsa_float_denorm_mode_32 3
		.amdhsa_float_denorm_mode_16_64 3
		.amdhsa_fp16_overflow 0
		.amdhsa_memory_ordered 1
		.amdhsa_forward_progress 1
		.amdhsa_inst_pref_size 1
		.amdhsa_round_robin_scheduling 0
		.amdhsa_exception_fp_ieee_invalid_op 0
		.amdhsa_exception_fp_denorm_src 0
		.amdhsa_exception_fp_ieee_div_zero 0
		.amdhsa_exception_fp_ieee_overflow 0
		.amdhsa_exception_fp_ieee_underflow 0
		.amdhsa_exception_fp_ieee_inexact 0
		.amdhsa_exception_int_div_zero 0
	.end_amdhsa_kernel
	.section	.text._Z39paged_attention_ll4mi_QKV_mfma16_kernelIDF16_hLN4vllm18Fp8KVCacheDataTypeE1EDF16_Li32ELi128ELi256ELb1ELi1EEvPKT_PKT0_S7_ifPKiS9_S9_iPKfiiiPfSC_PS2_PT2_iSB_SB_,"axG",@progbits,_Z39paged_attention_ll4mi_QKV_mfma16_kernelIDF16_hLN4vllm18Fp8KVCacheDataTypeE1EDF16_Li32ELi128ELi256ELb1ELi1EEvPKT_PKT0_S7_ifPKiS9_S9_iPKfiiiPfSC_PS2_PT2_iSB_SB_,comdat
.Lfunc_end1066:
	.size	_Z39paged_attention_ll4mi_QKV_mfma16_kernelIDF16_hLN4vllm18Fp8KVCacheDataTypeE1EDF16_Li32ELi128ELi256ELb1ELi1EEvPKT_PKT0_S7_ifPKiS9_S9_iPKfiiiPfSC_PS2_PT2_iSB_SB_, .Lfunc_end1066-_Z39paged_attention_ll4mi_QKV_mfma16_kernelIDF16_hLN4vllm18Fp8KVCacheDataTypeE1EDF16_Li32ELi128ELi256ELb1ELi1EEvPKT_PKT0_S7_ifPKiS9_S9_iPKfiiiPfSC_PS2_PT2_iSB_SB_
                                        ; -- End function
	.set _Z39paged_attention_ll4mi_QKV_mfma16_kernelIDF16_hLN4vllm18Fp8KVCacheDataTypeE1EDF16_Li32ELi128ELi256ELb1ELi1EEvPKT_PKT0_S7_ifPKiS9_S9_iPKfiiiPfSC_PS2_PT2_iSB_SB_.num_vgpr, max(3, .L__assert_fail.num_vgpr)
	.set _Z39paged_attention_ll4mi_QKV_mfma16_kernelIDF16_hLN4vllm18Fp8KVCacheDataTypeE1EDF16_Li32ELi128ELi256ELb1ELi1EEvPKT_PKT0_S7_ifPKiS9_S9_iPKfiiiPfSC_PS2_PT2_iSB_SB_.num_agpr, max(0, .L__assert_fail.num_agpr)
	.set _Z39paged_attention_ll4mi_QKV_mfma16_kernelIDF16_hLN4vllm18Fp8KVCacheDataTypeE1EDF16_Li32ELi128ELi256ELb1ELi1EEvPKT_PKT0_S7_ifPKiS9_S9_iPKfiiiPfSC_PS2_PT2_iSB_SB_.numbered_sgpr, max(33, .L__assert_fail.numbered_sgpr)
	.set _Z39paged_attention_ll4mi_QKV_mfma16_kernelIDF16_hLN4vllm18Fp8KVCacheDataTypeE1EDF16_Li32ELi128ELi256ELb1ELi1EEvPKT_PKT0_S7_ifPKiS9_S9_iPKfiiiPfSC_PS2_PT2_iSB_SB_.num_named_barrier, max(0, .L__assert_fail.num_named_barrier)
	.set _Z39paged_attention_ll4mi_QKV_mfma16_kernelIDF16_hLN4vllm18Fp8KVCacheDataTypeE1EDF16_Li32ELi128ELi256ELb1ELi1EEvPKT_PKT0_S7_ifPKiS9_S9_iPKfiiiPfSC_PS2_PT2_iSB_SB_.private_seg_size, 0+max(.L__assert_fail.private_seg_size)
	.set _Z39paged_attention_ll4mi_QKV_mfma16_kernelIDF16_hLN4vllm18Fp8KVCacheDataTypeE1EDF16_Li32ELi128ELi256ELb1ELi1EEvPKT_PKT0_S7_ifPKiS9_S9_iPKfiiiPfSC_PS2_PT2_iSB_SB_.uses_vcc, or(1, .L__assert_fail.uses_vcc)
	.set _Z39paged_attention_ll4mi_QKV_mfma16_kernelIDF16_hLN4vllm18Fp8KVCacheDataTypeE1EDF16_Li32ELi128ELi256ELb1ELi1EEvPKT_PKT0_S7_ifPKiS9_S9_iPKfiiiPfSC_PS2_PT2_iSB_SB_.uses_flat_scratch, or(0, .L__assert_fail.uses_flat_scratch)
	.set _Z39paged_attention_ll4mi_QKV_mfma16_kernelIDF16_hLN4vllm18Fp8KVCacheDataTypeE1EDF16_Li32ELi128ELi256ELb1ELi1EEvPKT_PKT0_S7_ifPKiS9_S9_iPKfiiiPfSC_PS2_PT2_iSB_SB_.has_dyn_sized_stack, or(0, .L__assert_fail.has_dyn_sized_stack)
	.set _Z39paged_attention_ll4mi_QKV_mfma16_kernelIDF16_hLN4vllm18Fp8KVCacheDataTypeE1EDF16_Li32ELi128ELi256ELb1ELi1EEvPKT_PKT0_S7_ifPKiS9_S9_iPKfiiiPfSC_PS2_PT2_iSB_SB_.has_recursion, or(0, .L__assert_fail.has_recursion)
	.set _Z39paged_attention_ll4mi_QKV_mfma16_kernelIDF16_hLN4vllm18Fp8KVCacheDataTypeE1EDF16_Li32ELi128ELi256ELb1ELi1EEvPKT_PKT0_S7_ifPKiS9_S9_iPKfiiiPfSC_PS2_PT2_iSB_SB_.has_indirect_call, or(0, .L__assert_fail.has_indirect_call)
	.section	.AMDGPU.csdata,"",@progbits
; Kernel info:
; codeLenInByte = 68
; TotalNumSgprs: 36
; NumVgprs: 51
; ScratchSize: 64
; MemoryBound: 0
; FloatMode: 240
; IeeeMode: 1
; LDSByteSize: 0 bytes/workgroup (compile time only)
; SGPRBlocks: 0
; VGPRBlocks: 3
; NumSGPRsForWavesPerEU: 36
; NumVGPRsForWavesPerEU: 51
; NamedBarCnt: 0
; Occupancy: 16
; WaveLimiterHint : 1
; COMPUTE_PGM_RSRC2:SCRATCH_EN: 1
; COMPUTE_PGM_RSRC2:USER_SGPR: 2
; COMPUTE_PGM_RSRC2:TRAP_HANDLER: 0
; COMPUTE_PGM_RSRC2:TGID_X_EN: 1
; COMPUTE_PGM_RSRC2:TGID_Y_EN: 0
; COMPUTE_PGM_RSRC2:TGID_Z_EN: 0
; COMPUTE_PGM_RSRC2:TIDIG_COMP_CNT: 0
	.section	.text._Z39paged_attention_ll4mi_QKV_mfma16_kernelIDF16_hLN4vllm18Fp8KVCacheDataTypeE1EDF16_Li32ELi128ELi256ELb1ELi2EEvPKT_PKT0_S7_ifPKiS9_S9_iPKfiiiPfSC_PS2_PT2_iSB_SB_,"axG",@progbits,_Z39paged_attention_ll4mi_QKV_mfma16_kernelIDF16_hLN4vllm18Fp8KVCacheDataTypeE1EDF16_Li32ELi128ELi256ELb1ELi2EEvPKT_PKT0_S7_ifPKiS9_S9_iPKfiiiPfSC_PS2_PT2_iSB_SB_,comdat
	.protected	_Z39paged_attention_ll4mi_QKV_mfma16_kernelIDF16_hLN4vllm18Fp8KVCacheDataTypeE1EDF16_Li32ELi128ELi256ELb1ELi2EEvPKT_PKT0_S7_ifPKiS9_S9_iPKfiiiPfSC_PS2_PT2_iSB_SB_ ; -- Begin function _Z39paged_attention_ll4mi_QKV_mfma16_kernelIDF16_hLN4vllm18Fp8KVCacheDataTypeE1EDF16_Li32ELi128ELi256ELb1ELi2EEvPKT_PKT0_S7_ifPKiS9_S9_iPKfiiiPfSC_PS2_PT2_iSB_SB_
	.globl	_Z39paged_attention_ll4mi_QKV_mfma16_kernelIDF16_hLN4vllm18Fp8KVCacheDataTypeE1EDF16_Li32ELi128ELi256ELb1ELi2EEvPKT_PKT0_S7_ifPKiS9_S9_iPKfiiiPfSC_PS2_PT2_iSB_SB_
	.p2align	8
	.type	_Z39paged_attention_ll4mi_QKV_mfma16_kernelIDF16_hLN4vllm18Fp8KVCacheDataTypeE1EDF16_Li32ELi128ELi256ELb1ELi2EEvPKT_PKT0_S7_ifPKiS9_S9_iPKfiiiPfSC_PS2_PT2_iSB_SB_,@function
_Z39paged_attention_ll4mi_QKV_mfma16_kernelIDF16_hLN4vllm18Fp8KVCacheDataTypeE1EDF16_Li32ELi128ELi256ELb1ELi2EEvPKT_PKT0_S7_ifPKiS9_S9_iPKfiiiPfSC_PS2_PT2_iSB_SB_: ; @_Z39paged_attention_ll4mi_QKV_mfma16_kernelIDF16_hLN4vllm18Fp8KVCacheDataTypeE1EDF16_Li32ELi128ELi256ELb1ELi2EEvPKT_PKT0_S7_ifPKiS9_S9_iPKfiiiPfSC_PS2_PT2_iSB_SB_
; %bb.0:
	s_get_pc_i64 s[2:3]
	s_add_nc_u64 s[2:3], s[2:3], __PRETTY_FUNCTION__._Z39paged_attention_ll4mi_QKV_mfma16_kernelIDF16_hLN4vllm18Fp8KVCacheDataTypeE1EDF16_Li32ELi128ELi256ELb1ELi2EEvPKT_PKT0_S7_ifPKiS9_S9_iPKfiiiPfSC_PS2_PT2_iSB_SB_@rel64+4
	s_delay_alu instid0(SALU_CYCLE_1)
	v_dual_mov_b32 v0, 0xbb3 :: v_dual_mov_b32 v1, s2
	v_mov_b32_e32 v2, s3
	s_add_nc_u64 s[8:9], s[0:1], 0x90
	s_get_pc_i64 s[0:1]
	s_add_nc_u64 s[0:1], s[0:1], __assert_fail@rel64+4
	s_mov_b32 s32, 0
	s_swap_pc_i64 s[30:31], s[0:1]
	.section	.rodata,"a",@progbits
	.p2align	6, 0x0
	.amdhsa_kernel _Z39paged_attention_ll4mi_QKV_mfma16_kernelIDF16_hLN4vllm18Fp8KVCacheDataTypeE1EDF16_Li32ELi128ELi256ELb1ELi2EEvPKT_PKT0_S7_ifPKiS9_S9_iPKfiiiPfSC_PS2_PT2_iSB_SB_
		.amdhsa_group_segment_fixed_size 0
		.amdhsa_private_segment_fixed_size 64
		.amdhsa_kernarg_size 400
		.amdhsa_user_sgpr_count 2
		.amdhsa_user_sgpr_dispatch_ptr 0
		.amdhsa_user_sgpr_queue_ptr 0
		.amdhsa_user_sgpr_kernarg_segment_ptr 1
		.amdhsa_user_sgpr_dispatch_id 0
		.amdhsa_user_sgpr_kernarg_preload_length 0
		.amdhsa_user_sgpr_kernarg_preload_offset 0
		.amdhsa_user_sgpr_private_segment_size 0
		.amdhsa_wavefront_size32 1
		.amdhsa_uses_dynamic_stack 0
		.amdhsa_enable_private_segment 1
		.amdhsa_system_sgpr_workgroup_id_x 1
		.amdhsa_system_sgpr_workgroup_id_y 0
		.amdhsa_system_sgpr_workgroup_id_z 0
		.amdhsa_system_sgpr_workgroup_info 0
		.amdhsa_system_vgpr_workitem_id 0
		.amdhsa_next_free_vgpr 51
		.amdhsa_next_free_sgpr 34
		.amdhsa_named_barrier_count 0
		.amdhsa_reserve_vcc 1
		.amdhsa_float_round_mode_32 0
		.amdhsa_float_round_mode_16_64 0
		.amdhsa_float_denorm_mode_32 3
		.amdhsa_float_denorm_mode_16_64 3
		.amdhsa_fp16_overflow 0
		.amdhsa_memory_ordered 1
		.amdhsa_forward_progress 1
		.amdhsa_inst_pref_size 1
		.amdhsa_round_robin_scheduling 0
		.amdhsa_exception_fp_ieee_invalid_op 0
		.amdhsa_exception_fp_denorm_src 0
		.amdhsa_exception_fp_ieee_div_zero 0
		.amdhsa_exception_fp_ieee_overflow 0
		.amdhsa_exception_fp_ieee_underflow 0
		.amdhsa_exception_fp_ieee_inexact 0
		.amdhsa_exception_int_div_zero 0
	.end_amdhsa_kernel
	.section	.text._Z39paged_attention_ll4mi_QKV_mfma16_kernelIDF16_hLN4vllm18Fp8KVCacheDataTypeE1EDF16_Li32ELi128ELi256ELb1ELi2EEvPKT_PKT0_S7_ifPKiS9_S9_iPKfiiiPfSC_PS2_PT2_iSB_SB_,"axG",@progbits,_Z39paged_attention_ll4mi_QKV_mfma16_kernelIDF16_hLN4vllm18Fp8KVCacheDataTypeE1EDF16_Li32ELi128ELi256ELb1ELi2EEvPKT_PKT0_S7_ifPKiS9_S9_iPKfiiiPfSC_PS2_PT2_iSB_SB_,comdat
.Lfunc_end1067:
	.size	_Z39paged_attention_ll4mi_QKV_mfma16_kernelIDF16_hLN4vllm18Fp8KVCacheDataTypeE1EDF16_Li32ELi128ELi256ELb1ELi2EEvPKT_PKT0_S7_ifPKiS9_S9_iPKfiiiPfSC_PS2_PT2_iSB_SB_, .Lfunc_end1067-_Z39paged_attention_ll4mi_QKV_mfma16_kernelIDF16_hLN4vllm18Fp8KVCacheDataTypeE1EDF16_Li32ELi128ELi256ELb1ELi2EEvPKT_PKT0_S7_ifPKiS9_S9_iPKfiiiPfSC_PS2_PT2_iSB_SB_
                                        ; -- End function
	.set _Z39paged_attention_ll4mi_QKV_mfma16_kernelIDF16_hLN4vllm18Fp8KVCacheDataTypeE1EDF16_Li32ELi128ELi256ELb1ELi2EEvPKT_PKT0_S7_ifPKiS9_S9_iPKfiiiPfSC_PS2_PT2_iSB_SB_.num_vgpr, max(3, .L__assert_fail.num_vgpr)
	.set _Z39paged_attention_ll4mi_QKV_mfma16_kernelIDF16_hLN4vllm18Fp8KVCacheDataTypeE1EDF16_Li32ELi128ELi256ELb1ELi2EEvPKT_PKT0_S7_ifPKiS9_S9_iPKfiiiPfSC_PS2_PT2_iSB_SB_.num_agpr, max(0, .L__assert_fail.num_agpr)
	.set _Z39paged_attention_ll4mi_QKV_mfma16_kernelIDF16_hLN4vllm18Fp8KVCacheDataTypeE1EDF16_Li32ELi128ELi256ELb1ELi2EEvPKT_PKT0_S7_ifPKiS9_S9_iPKfiiiPfSC_PS2_PT2_iSB_SB_.numbered_sgpr, max(33, .L__assert_fail.numbered_sgpr)
	.set _Z39paged_attention_ll4mi_QKV_mfma16_kernelIDF16_hLN4vllm18Fp8KVCacheDataTypeE1EDF16_Li32ELi128ELi256ELb1ELi2EEvPKT_PKT0_S7_ifPKiS9_S9_iPKfiiiPfSC_PS2_PT2_iSB_SB_.num_named_barrier, max(0, .L__assert_fail.num_named_barrier)
	.set _Z39paged_attention_ll4mi_QKV_mfma16_kernelIDF16_hLN4vllm18Fp8KVCacheDataTypeE1EDF16_Li32ELi128ELi256ELb1ELi2EEvPKT_PKT0_S7_ifPKiS9_S9_iPKfiiiPfSC_PS2_PT2_iSB_SB_.private_seg_size, 0+max(.L__assert_fail.private_seg_size)
	.set _Z39paged_attention_ll4mi_QKV_mfma16_kernelIDF16_hLN4vllm18Fp8KVCacheDataTypeE1EDF16_Li32ELi128ELi256ELb1ELi2EEvPKT_PKT0_S7_ifPKiS9_S9_iPKfiiiPfSC_PS2_PT2_iSB_SB_.uses_vcc, or(1, .L__assert_fail.uses_vcc)
	.set _Z39paged_attention_ll4mi_QKV_mfma16_kernelIDF16_hLN4vllm18Fp8KVCacheDataTypeE1EDF16_Li32ELi128ELi256ELb1ELi2EEvPKT_PKT0_S7_ifPKiS9_S9_iPKfiiiPfSC_PS2_PT2_iSB_SB_.uses_flat_scratch, or(0, .L__assert_fail.uses_flat_scratch)
	.set _Z39paged_attention_ll4mi_QKV_mfma16_kernelIDF16_hLN4vllm18Fp8KVCacheDataTypeE1EDF16_Li32ELi128ELi256ELb1ELi2EEvPKT_PKT0_S7_ifPKiS9_S9_iPKfiiiPfSC_PS2_PT2_iSB_SB_.has_dyn_sized_stack, or(0, .L__assert_fail.has_dyn_sized_stack)
	.set _Z39paged_attention_ll4mi_QKV_mfma16_kernelIDF16_hLN4vllm18Fp8KVCacheDataTypeE1EDF16_Li32ELi128ELi256ELb1ELi2EEvPKT_PKT0_S7_ifPKiS9_S9_iPKfiiiPfSC_PS2_PT2_iSB_SB_.has_recursion, or(0, .L__assert_fail.has_recursion)
	.set _Z39paged_attention_ll4mi_QKV_mfma16_kernelIDF16_hLN4vllm18Fp8KVCacheDataTypeE1EDF16_Li32ELi128ELi256ELb1ELi2EEvPKT_PKT0_S7_ifPKiS9_S9_iPKfiiiPfSC_PS2_PT2_iSB_SB_.has_indirect_call, or(0, .L__assert_fail.has_indirect_call)
	.section	.AMDGPU.csdata,"",@progbits
; Kernel info:
; codeLenInByte = 68
; TotalNumSgprs: 36
; NumVgprs: 51
; ScratchSize: 64
; MemoryBound: 0
; FloatMode: 240
; IeeeMode: 1
; LDSByteSize: 0 bytes/workgroup (compile time only)
; SGPRBlocks: 0
; VGPRBlocks: 3
; NumSGPRsForWavesPerEU: 36
; NumVGPRsForWavesPerEU: 51
; NamedBarCnt: 0
; Occupancy: 16
; WaveLimiterHint : 1
; COMPUTE_PGM_RSRC2:SCRATCH_EN: 1
; COMPUTE_PGM_RSRC2:USER_SGPR: 2
; COMPUTE_PGM_RSRC2:TRAP_HANDLER: 0
; COMPUTE_PGM_RSRC2:TGID_X_EN: 1
; COMPUTE_PGM_RSRC2:TGID_Y_EN: 0
; COMPUTE_PGM_RSRC2:TGID_Z_EN: 0
; COMPUTE_PGM_RSRC2:TIDIG_COMP_CNT: 0
	.section	.text._Z39paged_attention_ll4mi_QKV_mfma16_kernelIDF16_hLN4vllm18Fp8KVCacheDataTypeE1EDF16_Li32ELi128ELi256ELb1ELi3EEvPKT_PKT0_S7_ifPKiS9_S9_iPKfiiiPfSC_PS2_PT2_iSB_SB_,"axG",@progbits,_Z39paged_attention_ll4mi_QKV_mfma16_kernelIDF16_hLN4vllm18Fp8KVCacheDataTypeE1EDF16_Li32ELi128ELi256ELb1ELi3EEvPKT_PKT0_S7_ifPKiS9_S9_iPKfiiiPfSC_PS2_PT2_iSB_SB_,comdat
	.protected	_Z39paged_attention_ll4mi_QKV_mfma16_kernelIDF16_hLN4vllm18Fp8KVCacheDataTypeE1EDF16_Li32ELi128ELi256ELb1ELi3EEvPKT_PKT0_S7_ifPKiS9_S9_iPKfiiiPfSC_PS2_PT2_iSB_SB_ ; -- Begin function _Z39paged_attention_ll4mi_QKV_mfma16_kernelIDF16_hLN4vllm18Fp8KVCacheDataTypeE1EDF16_Li32ELi128ELi256ELb1ELi3EEvPKT_PKT0_S7_ifPKiS9_S9_iPKfiiiPfSC_PS2_PT2_iSB_SB_
	.globl	_Z39paged_attention_ll4mi_QKV_mfma16_kernelIDF16_hLN4vllm18Fp8KVCacheDataTypeE1EDF16_Li32ELi128ELi256ELb1ELi3EEvPKT_PKT0_S7_ifPKiS9_S9_iPKfiiiPfSC_PS2_PT2_iSB_SB_
	.p2align	8
	.type	_Z39paged_attention_ll4mi_QKV_mfma16_kernelIDF16_hLN4vllm18Fp8KVCacheDataTypeE1EDF16_Li32ELi128ELi256ELb1ELi3EEvPKT_PKT0_S7_ifPKiS9_S9_iPKfiiiPfSC_PS2_PT2_iSB_SB_,@function
_Z39paged_attention_ll4mi_QKV_mfma16_kernelIDF16_hLN4vllm18Fp8KVCacheDataTypeE1EDF16_Li32ELi128ELi256ELb1ELi3EEvPKT_PKT0_S7_ifPKiS9_S9_iPKfiiiPfSC_PS2_PT2_iSB_SB_: ; @_Z39paged_attention_ll4mi_QKV_mfma16_kernelIDF16_hLN4vllm18Fp8KVCacheDataTypeE1EDF16_Li32ELi128ELi256ELb1ELi3EEvPKT_PKT0_S7_ifPKiS9_S9_iPKfiiiPfSC_PS2_PT2_iSB_SB_
; %bb.0:
	s_get_pc_i64 s[2:3]
	s_add_nc_u64 s[2:3], s[2:3], __PRETTY_FUNCTION__._Z39paged_attention_ll4mi_QKV_mfma16_kernelIDF16_hLN4vllm18Fp8KVCacheDataTypeE1EDF16_Li32ELi128ELi256ELb1ELi3EEvPKT_PKT0_S7_ifPKiS9_S9_iPKfiiiPfSC_PS2_PT2_iSB_SB_@rel64+4
	s_delay_alu instid0(SALU_CYCLE_1)
	v_dual_mov_b32 v0, 0xbb3 :: v_dual_mov_b32 v1, s2
	v_mov_b32_e32 v2, s3
	s_add_nc_u64 s[8:9], s[0:1], 0x90
	s_get_pc_i64 s[0:1]
	s_add_nc_u64 s[0:1], s[0:1], __assert_fail@rel64+4
	s_mov_b32 s32, 0
	s_swap_pc_i64 s[30:31], s[0:1]
	.section	.rodata,"a",@progbits
	.p2align	6, 0x0
	.amdhsa_kernel _Z39paged_attention_ll4mi_QKV_mfma16_kernelIDF16_hLN4vllm18Fp8KVCacheDataTypeE1EDF16_Li32ELi128ELi256ELb1ELi3EEvPKT_PKT0_S7_ifPKiS9_S9_iPKfiiiPfSC_PS2_PT2_iSB_SB_
		.amdhsa_group_segment_fixed_size 0
		.amdhsa_private_segment_fixed_size 64
		.amdhsa_kernarg_size 400
		.amdhsa_user_sgpr_count 2
		.amdhsa_user_sgpr_dispatch_ptr 0
		.amdhsa_user_sgpr_queue_ptr 0
		.amdhsa_user_sgpr_kernarg_segment_ptr 1
		.amdhsa_user_sgpr_dispatch_id 0
		.amdhsa_user_sgpr_kernarg_preload_length 0
		.amdhsa_user_sgpr_kernarg_preload_offset 0
		.amdhsa_user_sgpr_private_segment_size 0
		.amdhsa_wavefront_size32 1
		.amdhsa_uses_dynamic_stack 0
		.amdhsa_enable_private_segment 1
		.amdhsa_system_sgpr_workgroup_id_x 1
		.amdhsa_system_sgpr_workgroup_id_y 0
		.amdhsa_system_sgpr_workgroup_id_z 0
		.amdhsa_system_sgpr_workgroup_info 0
		.amdhsa_system_vgpr_workitem_id 0
		.amdhsa_next_free_vgpr 51
		.amdhsa_next_free_sgpr 34
		.amdhsa_named_barrier_count 0
		.amdhsa_reserve_vcc 1
		.amdhsa_float_round_mode_32 0
		.amdhsa_float_round_mode_16_64 0
		.amdhsa_float_denorm_mode_32 3
		.amdhsa_float_denorm_mode_16_64 3
		.amdhsa_fp16_overflow 0
		.amdhsa_memory_ordered 1
		.amdhsa_forward_progress 1
		.amdhsa_inst_pref_size 1
		.amdhsa_round_robin_scheduling 0
		.amdhsa_exception_fp_ieee_invalid_op 0
		.amdhsa_exception_fp_denorm_src 0
		.amdhsa_exception_fp_ieee_div_zero 0
		.amdhsa_exception_fp_ieee_overflow 0
		.amdhsa_exception_fp_ieee_underflow 0
		.amdhsa_exception_fp_ieee_inexact 0
		.amdhsa_exception_int_div_zero 0
	.end_amdhsa_kernel
	.section	.text._Z39paged_attention_ll4mi_QKV_mfma16_kernelIDF16_hLN4vllm18Fp8KVCacheDataTypeE1EDF16_Li32ELi128ELi256ELb1ELi3EEvPKT_PKT0_S7_ifPKiS9_S9_iPKfiiiPfSC_PS2_PT2_iSB_SB_,"axG",@progbits,_Z39paged_attention_ll4mi_QKV_mfma16_kernelIDF16_hLN4vllm18Fp8KVCacheDataTypeE1EDF16_Li32ELi128ELi256ELb1ELi3EEvPKT_PKT0_S7_ifPKiS9_S9_iPKfiiiPfSC_PS2_PT2_iSB_SB_,comdat
.Lfunc_end1068:
	.size	_Z39paged_attention_ll4mi_QKV_mfma16_kernelIDF16_hLN4vllm18Fp8KVCacheDataTypeE1EDF16_Li32ELi128ELi256ELb1ELi3EEvPKT_PKT0_S7_ifPKiS9_S9_iPKfiiiPfSC_PS2_PT2_iSB_SB_, .Lfunc_end1068-_Z39paged_attention_ll4mi_QKV_mfma16_kernelIDF16_hLN4vllm18Fp8KVCacheDataTypeE1EDF16_Li32ELi128ELi256ELb1ELi3EEvPKT_PKT0_S7_ifPKiS9_S9_iPKfiiiPfSC_PS2_PT2_iSB_SB_
                                        ; -- End function
	.set _Z39paged_attention_ll4mi_QKV_mfma16_kernelIDF16_hLN4vllm18Fp8KVCacheDataTypeE1EDF16_Li32ELi128ELi256ELb1ELi3EEvPKT_PKT0_S7_ifPKiS9_S9_iPKfiiiPfSC_PS2_PT2_iSB_SB_.num_vgpr, max(3, .L__assert_fail.num_vgpr)
	.set _Z39paged_attention_ll4mi_QKV_mfma16_kernelIDF16_hLN4vllm18Fp8KVCacheDataTypeE1EDF16_Li32ELi128ELi256ELb1ELi3EEvPKT_PKT0_S7_ifPKiS9_S9_iPKfiiiPfSC_PS2_PT2_iSB_SB_.num_agpr, max(0, .L__assert_fail.num_agpr)
	.set _Z39paged_attention_ll4mi_QKV_mfma16_kernelIDF16_hLN4vllm18Fp8KVCacheDataTypeE1EDF16_Li32ELi128ELi256ELb1ELi3EEvPKT_PKT0_S7_ifPKiS9_S9_iPKfiiiPfSC_PS2_PT2_iSB_SB_.numbered_sgpr, max(33, .L__assert_fail.numbered_sgpr)
	.set _Z39paged_attention_ll4mi_QKV_mfma16_kernelIDF16_hLN4vllm18Fp8KVCacheDataTypeE1EDF16_Li32ELi128ELi256ELb1ELi3EEvPKT_PKT0_S7_ifPKiS9_S9_iPKfiiiPfSC_PS2_PT2_iSB_SB_.num_named_barrier, max(0, .L__assert_fail.num_named_barrier)
	.set _Z39paged_attention_ll4mi_QKV_mfma16_kernelIDF16_hLN4vllm18Fp8KVCacheDataTypeE1EDF16_Li32ELi128ELi256ELb1ELi3EEvPKT_PKT0_S7_ifPKiS9_S9_iPKfiiiPfSC_PS2_PT2_iSB_SB_.private_seg_size, 0+max(.L__assert_fail.private_seg_size)
	.set _Z39paged_attention_ll4mi_QKV_mfma16_kernelIDF16_hLN4vllm18Fp8KVCacheDataTypeE1EDF16_Li32ELi128ELi256ELb1ELi3EEvPKT_PKT0_S7_ifPKiS9_S9_iPKfiiiPfSC_PS2_PT2_iSB_SB_.uses_vcc, or(1, .L__assert_fail.uses_vcc)
	.set _Z39paged_attention_ll4mi_QKV_mfma16_kernelIDF16_hLN4vllm18Fp8KVCacheDataTypeE1EDF16_Li32ELi128ELi256ELb1ELi3EEvPKT_PKT0_S7_ifPKiS9_S9_iPKfiiiPfSC_PS2_PT2_iSB_SB_.uses_flat_scratch, or(0, .L__assert_fail.uses_flat_scratch)
	.set _Z39paged_attention_ll4mi_QKV_mfma16_kernelIDF16_hLN4vllm18Fp8KVCacheDataTypeE1EDF16_Li32ELi128ELi256ELb1ELi3EEvPKT_PKT0_S7_ifPKiS9_S9_iPKfiiiPfSC_PS2_PT2_iSB_SB_.has_dyn_sized_stack, or(0, .L__assert_fail.has_dyn_sized_stack)
	.set _Z39paged_attention_ll4mi_QKV_mfma16_kernelIDF16_hLN4vllm18Fp8KVCacheDataTypeE1EDF16_Li32ELi128ELi256ELb1ELi3EEvPKT_PKT0_S7_ifPKiS9_S9_iPKfiiiPfSC_PS2_PT2_iSB_SB_.has_recursion, or(0, .L__assert_fail.has_recursion)
	.set _Z39paged_attention_ll4mi_QKV_mfma16_kernelIDF16_hLN4vllm18Fp8KVCacheDataTypeE1EDF16_Li32ELi128ELi256ELb1ELi3EEvPKT_PKT0_S7_ifPKiS9_S9_iPKfiiiPfSC_PS2_PT2_iSB_SB_.has_indirect_call, or(0, .L__assert_fail.has_indirect_call)
	.section	.AMDGPU.csdata,"",@progbits
; Kernel info:
; codeLenInByte = 68
; TotalNumSgprs: 36
; NumVgprs: 51
; ScratchSize: 64
; MemoryBound: 0
; FloatMode: 240
; IeeeMode: 1
; LDSByteSize: 0 bytes/workgroup (compile time only)
; SGPRBlocks: 0
; VGPRBlocks: 3
; NumSGPRsForWavesPerEU: 36
; NumVGPRsForWavesPerEU: 51
; NamedBarCnt: 0
; Occupancy: 16
; WaveLimiterHint : 1
; COMPUTE_PGM_RSRC2:SCRATCH_EN: 1
; COMPUTE_PGM_RSRC2:USER_SGPR: 2
; COMPUTE_PGM_RSRC2:TRAP_HANDLER: 0
; COMPUTE_PGM_RSRC2:TGID_X_EN: 1
; COMPUTE_PGM_RSRC2:TGID_Y_EN: 0
; COMPUTE_PGM_RSRC2:TGID_Z_EN: 0
; COMPUTE_PGM_RSRC2:TIDIG_COMP_CNT: 0
	.section	.text._Z39paged_attention_ll4mi_QKV_mfma16_kernelIDF16_hLN4vllm18Fp8KVCacheDataTypeE1EDF16_Li32ELi128ELi256ELb1ELi4EEvPKT_PKT0_S7_ifPKiS9_S9_iPKfiiiPfSC_PS2_PT2_iSB_SB_,"axG",@progbits,_Z39paged_attention_ll4mi_QKV_mfma16_kernelIDF16_hLN4vllm18Fp8KVCacheDataTypeE1EDF16_Li32ELi128ELi256ELb1ELi4EEvPKT_PKT0_S7_ifPKiS9_S9_iPKfiiiPfSC_PS2_PT2_iSB_SB_,comdat
	.protected	_Z39paged_attention_ll4mi_QKV_mfma16_kernelIDF16_hLN4vllm18Fp8KVCacheDataTypeE1EDF16_Li32ELi128ELi256ELb1ELi4EEvPKT_PKT0_S7_ifPKiS9_S9_iPKfiiiPfSC_PS2_PT2_iSB_SB_ ; -- Begin function _Z39paged_attention_ll4mi_QKV_mfma16_kernelIDF16_hLN4vllm18Fp8KVCacheDataTypeE1EDF16_Li32ELi128ELi256ELb1ELi4EEvPKT_PKT0_S7_ifPKiS9_S9_iPKfiiiPfSC_PS2_PT2_iSB_SB_
	.globl	_Z39paged_attention_ll4mi_QKV_mfma16_kernelIDF16_hLN4vllm18Fp8KVCacheDataTypeE1EDF16_Li32ELi128ELi256ELb1ELi4EEvPKT_PKT0_S7_ifPKiS9_S9_iPKfiiiPfSC_PS2_PT2_iSB_SB_
	.p2align	8
	.type	_Z39paged_attention_ll4mi_QKV_mfma16_kernelIDF16_hLN4vllm18Fp8KVCacheDataTypeE1EDF16_Li32ELi128ELi256ELb1ELi4EEvPKT_PKT0_S7_ifPKiS9_S9_iPKfiiiPfSC_PS2_PT2_iSB_SB_,@function
_Z39paged_attention_ll4mi_QKV_mfma16_kernelIDF16_hLN4vllm18Fp8KVCacheDataTypeE1EDF16_Li32ELi128ELi256ELb1ELi4EEvPKT_PKT0_S7_ifPKiS9_S9_iPKfiiiPfSC_PS2_PT2_iSB_SB_: ; @_Z39paged_attention_ll4mi_QKV_mfma16_kernelIDF16_hLN4vllm18Fp8KVCacheDataTypeE1EDF16_Li32ELi128ELi256ELb1ELi4EEvPKT_PKT0_S7_ifPKiS9_S9_iPKfiiiPfSC_PS2_PT2_iSB_SB_
; %bb.0:
	s_get_pc_i64 s[2:3]
	s_add_nc_u64 s[2:3], s[2:3], __PRETTY_FUNCTION__._Z39paged_attention_ll4mi_QKV_mfma16_kernelIDF16_hLN4vllm18Fp8KVCacheDataTypeE1EDF16_Li32ELi128ELi256ELb1ELi4EEvPKT_PKT0_S7_ifPKiS9_S9_iPKfiiiPfSC_PS2_PT2_iSB_SB_@rel64+4
	s_delay_alu instid0(SALU_CYCLE_1)
	v_dual_mov_b32 v0, 0xbb3 :: v_dual_mov_b32 v1, s2
	v_mov_b32_e32 v2, s3
	s_add_nc_u64 s[8:9], s[0:1], 0x90
	s_get_pc_i64 s[0:1]
	s_add_nc_u64 s[0:1], s[0:1], __assert_fail@rel64+4
	s_mov_b32 s32, 0
	s_swap_pc_i64 s[30:31], s[0:1]
	.section	.rodata,"a",@progbits
	.p2align	6, 0x0
	.amdhsa_kernel _Z39paged_attention_ll4mi_QKV_mfma16_kernelIDF16_hLN4vllm18Fp8KVCacheDataTypeE1EDF16_Li32ELi128ELi256ELb1ELi4EEvPKT_PKT0_S7_ifPKiS9_S9_iPKfiiiPfSC_PS2_PT2_iSB_SB_
		.amdhsa_group_segment_fixed_size 0
		.amdhsa_private_segment_fixed_size 64
		.amdhsa_kernarg_size 400
		.amdhsa_user_sgpr_count 2
		.amdhsa_user_sgpr_dispatch_ptr 0
		.amdhsa_user_sgpr_queue_ptr 0
		.amdhsa_user_sgpr_kernarg_segment_ptr 1
		.amdhsa_user_sgpr_dispatch_id 0
		.amdhsa_user_sgpr_kernarg_preload_length 0
		.amdhsa_user_sgpr_kernarg_preload_offset 0
		.amdhsa_user_sgpr_private_segment_size 0
		.amdhsa_wavefront_size32 1
		.amdhsa_uses_dynamic_stack 0
		.amdhsa_enable_private_segment 1
		.amdhsa_system_sgpr_workgroup_id_x 1
		.amdhsa_system_sgpr_workgroup_id_y 0
		.amdhsa_system_sgpr_workgroup_id_z 0
		.amdhsa_system_sgpr_workgroup_info 0
		.amdhsa_system_vgpr_workitem_id 0
		.amdhsa_next_free_vgpr 51
		.amdhsa_next_free_sgpr 34
		.amdhsa_named_barrier_count 0
		.amdhsa_reserve_vcc 1
		.amdhsa_float_round_mode_32 0
		.amdhsa_float_round_mode_16_64 0
		.amdhsa_float_denorm_mode_32 3
		.amdhsa_float_denorm_mode_16_64 3
		.amdhsa_fp16_overflow 0
		.amdhsa_memory_ordered 1
		.amdhsa_forward_progress 1
		.amdhsa_inst_pref_size 1
		.amdhsa_round_robin_scheduling 0
		.amdhsa_exception_fp_ieee_invalid_op 0
		.amdhsa_exception_fp_denorm_src 0
		.amdhsa_exception_fp_ieee_div_zero 0
		.amdhsa_exception_fp_ieee_overflow 0
		.amdhsa_exception_fp_ieee_underflow 0
		.amdhsa_exception_fp_ieee_inexact 0
		.amdhsa_exception_int_div_zero 0
	.end_amdhsa_kernel
	.section	.text._Z39paged_attention_ll4mi_QKV_mfma16_kernelIDF16_hLN4vllm18Fp8KVCacheDataTypeE1EDF16_Li32ELi128ELi256ELb1ELi4EEvPKT_PKT0_S7_ifPKiS9_S9_iPKfiiiPfSC_PS2_PT2_iSB_SB_,"axG",@progbits,_Z39paged_attention_ll4mi_QKV_mfma16_kernelIDF16_hLN4vllm18Fp8KVCacheDataTypeE1EDF16_Li32ELi128ELi256ELb1ELi4EEvPKT_PKT0_S7_ifPKiS9_S9_iPKfiiiPfSC_PS2_PT2_iSB_SB_,comdat
.Lfunc_end1069:
	.size	_Z39paged_attention_ll4mi_QKV_mfma16_kernelIDF16_hLN4vllm18Fp8KVCacheDataTypeE1EDF16_Li32ELi128ELi256ELb1ELi4EEvPKT_PKT0_S7_ifPKiS9_S9_iPKfiiiPfSC_PS2_PT2_iSB_SB_, .Lfunc_end1069-_Z39paged_attention_ll4mi_QKV_mfma16_kernelIDF16_hLN4vllm18Fp8KVCacheDataTypeE1EDF16_Li32ELi128ELi256ELb1ELi4EEvPKT_PKT0_S7_ifPKiS9_S9_iPKfiiiPfSC_PS2_PT2_iSB_SB_
                                        ; -- End function
	.set _Z39paged_attention_ll4mi_QKV_mfma16_kernelIDF16_hLN4vllm18Fp8KVCacheDataTypeE1EDF16_Li32ELi128ELi256ELb1ELi4EEvPKT_PKT0_S7_ifPKiS9_S9_iPKfiiiPfSC_PS2_PT2_iSB_SB_.num_vgpr, max(3, .L__assert_fail.num_vgpr)
	.set _Z39paged_attention_ll4mi_QKV_mfma16_kernelIDF16_hLN4vllm18Fp8KVCacheDataTypeE1EDF16_Li32ELi128ELi256ELb1ELi4EEvPKT_PKT0_S7_ifPKiS9_S9_iPKfiiiPfSC_PS2_PT2_iSB_SB_.num_agpr, max(0, .L__assert_fail.num_agpr)
	.set _Z39paged_attention_ll4mi_QKV_mfma16_kernelIDF16_hLN4vllm18Fp8KVCacheDataTypeE1EDF16_Li32ELi128ELi256ELb1ELi4EEvPKT_PKT0_S7_ifPKiS9_S9_iPKfiiiPfSC_PS2_PT2_iSB_SB_.numbered_sgpr, max(33, .L__assert_fail.numbered_sgpr)
	.set _Z39paged_attention_ll4mi_QKV_mfma16_kernelIDF16_hLN4vllm18Fp8KVCacheDataTypeE1EDF16_Li32ELi128ELi256ELb1ELi4EEvPKT_PKT0_S7_ifPKiS9_S9_iPKfiiiPfSC_PS2_PT2_iSB_SB_.num_named_barrier, max(0, .L__assert_fail.num_named_barrier)
	.set _Z39paged_attention_ll4mi_QKV_mfma16_kernelIDF16_hLN4vllm18Fp8KVCacheDataTypeE1EDF16_Li32ELi128ELi256ELb1ELi4EEvPKT_PKT0_S7_ifPKiS9_S9_iPKfiiiPfSC_PS2_PT2_iSB_SB_.private_seg_size, 0+max(.L__assert_fail.private_seg_size)
	.set _Z39paged_attention_ll4mi_QKV_mfma16_kernelIDF16_hLN4vllm18Fp8KVCacheDataTypeE1EDF16_Li32ELi128ELi256ELb1ELi4EEvPKT_PKT0_S7_ifPKiS9_S9_iPKfiiiPfSC_PS2_PT2_iSB_SB_.uses_vcc, or(1, .L__assert_fail.uses_vcc)
	.set _Z39paged_attention_ll4mi_QKV_mfma16_kernelIDF16_hLN4vllm18Fp8KVCacheDataTypeE1EDF16_Li32ELi128ELi256ELb1ELi4EEvPKT_PKT0_S7_ifPKiS9_S9_iPKfiiiPfSC_PS2_PT2_iSB_SB_.uses_flat_scratch, or(0, .L__assert_fail.uses_flat_scratch)
	.set _Z39paged_attention_ll4mi_QKV_mfma16_kernelIDF16_hLN4vllm18Fp8KVCacheDataTypeE1EDF16_Li32ELi128ELi256ELb1ELi4EEvPKT_PKT0_S7_ifPKiS9_S9_iPKfiiiPfSC_PS2_PT2_iSB_SB_.has_dyn_sized_stack, or(0, .L__assert_fail.has_dyn_sized_stack)
	.set _Z39paged_attention_ll4mi_QKV_mfma16_kernelIDF16_hLN4vllm18Fp8KVCacheDataTypeE1EDF16_Li32ELi128ELi256ELb1ELi4EEvPKT_PKT0_S7_ifPKiS9_S9_iPKfiiiPfSC_PS2_PT2_iSB_SB_.has_recursion, or(0, .L__assert_fail.has_recursion)
	.set _Z39paged_attention_ll4mi_QKV_mfma16_kernelIDF16_hLN4vllm18Fp8KVCacheDataTypeE1EDF16_Li32ELi128ELi256ELb1ELi4EEvPKT_PKT0_S7_ifPKiS9_S9_iPKfiiiPfSC_PS2_PT2_iSB_SB_.has_indirect_call, or(0, .L__assert_fail.has_indirect_call)
	.section	.AMDGPU.csdata,"",@progbits
; Kernel info:
; codeLenInByte = 68
; TotalNumSgprs: 36
; NumVgprs: 51
; ScratchSize: 64
; MemoryBound: 0
; FloatMode: 240
; IeeeMode: 1
; LDSByteSize: 0 bytes/workgroup (compile time only)
; SGPRBlocks: 0
; VGPRBlocks: 3
; NumSGPRsForWavesPerEU: 36
; NumVGPRsForWavesPerEU: 51
; NamedBarCnt: 0
; Occupancy: 16
; WaveLimiterHint : 1
; COMPUTE_PGM_RSRC2:SCRATCH_EN: 1
; COMPUTE_PGM_RSRC2:USER_SGPR: 2
; COMPUTE_PGM_RSRC2:TRAP_HANDLER: 0
; COMPUTE_PGM_RSRC2:TGID_X_EN: 1
; COMPUTE_PGM_RSRC2:TGID_Y_EN: 0
; COMPUTE_PGM_RSRC2:TGID_Z_EN: 0
; COMPUTE_PGM_RSRC2:TIDIG_COMP_CNT: 0
	.section	.text._Z38paged_attention_ll4mi_QKV_mfma4_kernelIDF16_hLN4vllm18Fp8KVCacheDataTypeE1EDF16_Li32ELi128ELi256ELb0ELi1EEvPKT_PKT0_S7_ifPKiS9_S9_iPKfiiiPfSC_PS2_PT2_iSB_SB_,"axG",@progbits,_Z38paged_attention_ll4mi_QKV_mfma4_kernelIDF16_hLN4vllm18Fp8KVCacheDataTypeE1EDF16_Li32ELi128ELi256ELb0ELi1EEvPKT_PKT0_S7_ifPKiS9_S9_iPKfiiiPfSC_PS2_PT2_iSB_SB_,comdat
	.protected	_Z38paged_attention_ll4mi_QKV_mfma4_kernelIDF16_hLN4vllm18Fp8KVCacheDataTypeE1EDF16_Li32ELi128ELi256ELb0ELi1EEvPKT_PKT0_S7_ifPKiS9_S9_iPKfiiiPfSC_PS2_PT2_iSB_SB_ ; -- Begin function _Z38paged_attention_ll4mi_QKV_mfma4_kernelIDF16_hLN4vllm18Fp8KVCacheDataTypeE1EDF16_Li32ELi128ELi256ELb0ELi1EEvPKT_PKT0_S7_ifPKiS9_S9_iPKfiiiPfSC_PS2_PT2_iSB_SB_
	.globl	_Z38paged_attention_ll4mi_QKV_mfma4_kernelIDF16_hLN4vllm18Fp8KVCacheDataTypeE1EDF16_Li32ELi128ELi256ELb0ELi1EEvPKT_PKT0_S7_ifPKiS9_S9_iPKfiiiPfSC_PS2_PT2_iSB_SB_
	.p2align	8
	.type	_Z38paged_attention_ll4mi_QKV_mfma4_kernelIDF16_hLN4vllm18Fp8KVCacheDataTypeE1EDF16_Li32ELi128ELi256ELb0ELi1EEvPKT_PKT0_S7_ifPKiS9_S9_iPKfiiiPfSC_PS2_PT2_iSB_SB_,@function
_Z38paged_attention_ll4mi_QKV_mfma4_kernelIDF16_hLN4vllm18Fp8KVCacheDataTypeE1EDF16_Li32ELi128ELi256ELb0ELi1EEvPKT_PKT0_S7_ifPKiS9_S9_iPKfiiiPfSC_PS2_PT2_iSB_SB_: ; @_Z38paged_attention_ll4mi_QKV_mfma4_kernelIDF16_hLN4vllm18Fp8KVCacheDataTypeE1EDF16_Li32ELi128ELi256ELb0ELi1EEvPKT_PKT0_S7_ifPKiS9_S9_iPKfiiiPfSC_PS2_PT2_iSB_SB_
; %bb.0:
	s_get_pc_i64 s[2:3]
	s_add_nc_u64 s[2:3], s[2:3], __PRETTY_FUNCTION__._Z38paged_attention_ll4mi_QKV_mfma4_kernelIDF16_hLN4vllm18Fp8KVCacheDataTypeE1EDF16_Li32ELi128ELi256ELb0ELi1EEvPKT_PKT0_S7_ifPKiS9_S9_iPKfiiiPfSC_PS2_PT2_iSB_SB_@rel64+4
	s_delay_alu instid0(SALU_CYCLE_1)
	v_dual_mov_b32 v0, 0xbce :: v_dual_mov_b32 v1, s2
	v_mov_b32_e32 v2, s3
	s_add_nc_u64 s[8:9], s[0:1], 0x90
	s_get_pc_i64 s[0:1]
	s_add_nc_u64 s[0:1], s[0:1], __assert_fail@rel64+4
	s_mov_b32 s32, 0
	s_swap_pc_i64 s[30:31], s[0:1]
	.section	.rodata,"a",@progbits
	.p2align	6, 0x0
	.amdhsa_kernel _Z38paged_attention_ll4mi_QKV_mfma4_kernelIDF16_hLN4vllm18Fp8KVCacheDataTypeE1EDF16_Li32ELi128ELi256ELb0ELi1EEvPKT_PKT0_S7_ifPKiS9_S9_iPKfiiiPfSC_PS2_PT2_iSB_SB_
		.amdhsa_group_segment_fixed_size 0
		.amdhsa_private_segment_fixed_size 64
		.amdhsa_kernarg_size 400
		.amdhsa_user_sgpr_count 2
		.amdhsa_user_sgpr_dispatch_ptr 0
		.amdhsa_user_sgpr_queue_ptr 0
		.amdhsa_user_sgpr_kernarg_segment_ptr 1
		.amdhsa_user_sgpr_dispatch_id 0
		.amdhsa_user_sgpr_kernarg_preload_length 0
		.amdhsa_user_sgpr_kernarg_preload_offset 0
		.amdhsa_user_sgpr_private_segment_size 0
		.amdhsa_wavefront_size32 1
		.amdhsa_uses_dynamic_stack 0
		.amdhsa_enable_private_segment 1
		.amdhsa_system_sgpr_workgroup_id_x 1
		.amdhsa_system_sgpr_workgroup_id_y 0
		.amdhsa_system_sgpr_workgroup_id_z 0
		.amdhsa_system_sgpr_workgroup_info 0
		.amdhsa_system_vgpr_workitem_id 0
		.amdhsa_next_free_vgpr 51
		.amdhsa_next_free_sgpr 34
		.amdhsa_named_barrier_count 0
		.amdhsa_reserve_vcc 1
		.amdhsa_float_round_mode_32 0
		.amdhsa_float_round_mode_16_64 0
		.amdhsa_float_denorm_mode_32 3
		.amdhsa_float_denorm_mode_16_64 3
		.amdhsa_fp16_overflow 0
		.amdhsa_memory_ordered 1
		.amdhsa_forward_progress 1
		.amdhsa_inst_pref_size 1
		.amdhsa_round_robin_scheduling 0
		.amdhsa_exception_fp_ieee_invalid_op 0
		.amdhsa_exception_fp_denorm_src 0
		.amdhsa_exception_fp_ieee_div_zero 0
		.amdhsa_exception_fp_ieee_overflow 0
		.amdhsa_exception_fp_ieee_underflow 0
		.amdhsa_exception_fp_ieee_inexact 0
		.amdhsa_exception_int_div_zero 0
	.end_amdhsa_kernel
	.section	.text._Z38paged_attention_ll4mi_QKV_mfma4_kernelIDF16_hLN4vllm18Fp8KVCacheDataTypeE1EDF16_Li32ELi128ELi256ELb0ELi1EEvPKT_PKT0_S7_ifPKiS9_S9_iPKfiiiPfSC_PS2_PT2_iSB_SB_,"axG",@progbits,_Z38paged_attention_ll4mi_QKV_mfma4_kernelIDF16_hLN4vllm18Fp8KVCacheDataTypeE1EDF16_Li32ELi128ELi256ELb0ELi1EEvPKT_PKT0_S7_ifPKiS9_S9_iPKfiiiPfSC_PS2_PT2_iSB_SB_,comdat
.Lfunc_end1070:
	.size	_Z38paged_attention_ll4mi_QKV_mfma4_kernelIDF16_hLN4vllm18Fp8KVCacheDataTypeE1EDF16_Li32ELi128ELi256ELb0ELi1EEvPKT_PKT0_S7_ifPKiS9_S9_iPKfiiiPfSC_PS2_PT2_iSB_SB_, .Lfunc_end1070-_Z38paged_attention_ll4mi_QKV_mfma4_kernelIDF16_hLN4vllm18Fp8KVCacheDataTypeE1EDF16_Li32ELi128ELi256ELb0ELi1EEvPKT_PKT0_S7_ifPKiS9_S9_iPKfiiiPfSC_PS2_PT2_iSB_SB_
                                        ; -- End function
	.set _Z38paged_attention_ll4mi_QKV_mfma4_kernelIDF16_hLN4vllm18Fp8KVCacheDataTypeE1EDF16_Li32ELi128ELi256ELb0ELi1EEvPKT_PKT0_S7_ifPKiS9_S9_iPKfiiiPfSC_PS2_PT2_iSB_SB_.num_vgpr, max(3, .L__assert_fail.num_vgpr)
	.set _Z38paged_attention_ll4mi_QKV_mfma4_kernelIDF16_hLN4vllm18Fp8KVCacheDataTypeE1EDF16_Li32ELi128ELi256ELb0ELi1EEvPKT_PKT0_S7_ifPKiS9_S9_iPKfiiiPfSC_PS2_PT2_iSB_SB_.num_agpr, max(0, .L__assert_fail.num_agpr)
	.set _Z38paged_attention_ll4mi_QKV_mfma4_kernelIDF16_hLN4vllm18Fp8KVCacheDataTypeE1EDF16_Li32ELi128ELi256ELb0ELi1EEvPKT_PKT0_S7_ifPKiS9_S9_iPKfiiiPfSC_PS2_PT2_iSB_SB_.numbered_sgpr, max(33, .L__assert_fail.numbered_sgpr)
	.set _Z38paged_attention_ll4mi_QKV_mfma4_kernelIDF16_hLN4vllm18Fp8KVCacheDataTypeE1EDF16_Li32ELi128ELi256ELb0ELi1EEvPKT_PKT0_S7_ifPKiS9_S9_iPKfiiiPfSC_PS2_PT2_iSB_SB_.num_named_barrier, max(0, .L__assert_fail.num_named_barrier)
	.set _Z38paged_attention_ll4mi_QKV_mfma4_kernelIDF16_hLN4vllm18Fp8KVCacheDataTypeE1EDF16_Li32ELi128ELi256ELb0ELi1EEvPKT_PKT0_S7_ifPKiS9_S9_iPKfiiiPfSC_PS2_PT2_iSB_SB_.private_seg_size, 0+max(.L__assert_fail.private_seg_size)
	.set _Z38paged_attention_ll4mi_QKV_mfma4_kernelIDF16_hLN4vllm18Fp8KVCacheDataTypeE1EDF16_Li32ELi128ELi256ELb0ELi1EEvPKT_PKT0_S7_ifPKiS9_S9_iPKfiiiPfSC_PS2_PT2_iSB_SB_.uses_vcc, or(1, .L__assert_fail.uses_vcc)
	.set _Z38paged_attention_ll4mi_QKV_mfma4_kernelIDF16_hLN4vllm18Fp8KVCacheDataTypeE1EDF16_Li32ELi128ELi256ELb0ELi1EEvPKT_PKT0_S7_ifPKiS9_S9_iPKfiiiPfSC_PS2_PT2_iSB_SB_.uses_flat_scratch, or(0, .L__assert_fail.uses_flat_scratch)
	.set _Z38paged_attention_ll4mi_QKV_mfma4_kernelIDF16_hLN4vllm18Fp8KVCacheDataTypeE1EDF16_Li32ELi128ELi256ELb0ELi1EEvPKT_PKT0_S7_ifPKiS9_S9_iPKfiiiPfSC_PS2_PT2_iSB_SB_.has_dyn_sized_stack, or(0, .L__assert_fail.has_dyn_sized_stack)
	.set _Z38paged_attention_ll4mi_QKV_mfma4_kernelIDF16_hLN4vllm18Fp8KVCacheDataTypeE1EDF16_Li32ELi128ELi256ELb0ELi1EEvPKT_PKT0_S7_ifPKiS9_S9_iPKfiiiPfSC_PS2_PT2_iSB_SB_.has_recursion, or(0, .L__assert_fail.has_recursion)
	.set _Z38paged_attention_ll4mi_QKV_mfma4_kernelIDF16_hLN4vllm18Fp8KVCacheDataTypeE1EDF16_Li32ELi128ELi256ELb0ELi1EEvPKT_PKT0_S7_ifPKiS9_S9_iPKfiiiPfSC_PS2_PT2_iSB_SB_.has_indirect_call, or(0, .L__assert_fail.has_indirect_call)
	.section	.AMDGPU.csdata,"",@progbits
; Kernel info:
; codeLenInByte = 68
; TotalNumSgprs: 36
; NumVgprs: 51
; ScratchSize: 64
; MemoryBound: 0
; FloatMode: 240
; IeeeMode: 1
; LDSByteSize: 0 bytes/workgroup (compile time only)
; SGPRBlocks: 0
; VGPRBlocks: 3
; NumSGPRsForWavesPerEU: 36
; NumVGPRsForWavesPerEU: 51
; NamedBarCnt: 0
; Occupancy: 16
; WaveLimiterHint : 1
; COMPUTE_PGM_RSRC2:SCRATCH_EN: 1
; COMPUTE_PGM_RSRC2:USER_SGPR: 2
; COMPUTE_PGM_RSRC2:TRAP_HANDLER: 0
; COMPUTE_PGM_RSRC2:TGID_X_EN: 1
; COMPUTE_PGM_RSRC2:TGID_Y_EN: 0
; COMPUTE_PGM_RSRC2:TGID_Z_EN: 0
; COMPUTE_PGM_RSRC2:TIDIG_COMP_CNT: 0
	.section	.text._Z38paged_attention_ll4mi_QKV_mfma4_kernelIDF16_hLN4vllm18Fp8KVCacheDataTypeE1EDF16_Li32ELi128ELi256ELb0ELi2EEvPKT_PKT0_S7_ifPKiS9_S9_iPKfiiiPfSC_PS2_PT2_iSB_SB_,"axG",@progbits,_Z38paged_attention_ll4mi_QKV_mfma4_kernelIDF16_hLN4vllm18Fp8KVCacheDataTypeE1EDF16_Li32ELi128ELi256ELb0ELi2EEvPKT_PKT0_S7_ifPKiS9_S9_iPKfiiiPfSC_PS2_PT2_iSB_SB_,comdat
	.protected	_Z38paged_attention_ll4mi_QKV_mfma4_kernelIDF16_hLN4vllm18Fp8KVCacheDataTypeE1EDF16_Li32ELi128ELi256ELb0ELi2EEvPKT_PKT0_S7_ifPKiS9_S9_iPKfiiiPfSC_PS2_PT2_iSB_SB_ ; -- Begin function _Z38paged_attention_ll4mi_QKV_mfma4_kernelIDF16_hLN4vllm18Fp8KVCacheDataTypeE1EDF16_Li32ELi128ELi256ELb0ELi2EEvPKT_PKT0_S7_ifPKiS9_S9_iPKfiiiPfSC_PS2_PT2_iSB_SB_
	.globl	_Z38paged_attention_ll4mi_QKV_mfma4_kernelIDF16_hLN4vllm18Fp8KVCacheDataTypeE1EDF16_Li32ELi128ELi256ELb0ELi2EEvPKT_PKT0_S7_ifPKiS9_S9_iPKfiiiPfSC_PS2_PT2_iSB_SB_
	.p2align	8
	.type	_Z38paged_attention_ll4mi_QKV_mfma4_kernelIDF16_hLN4vllm18Fp8KVCacheDataTypeE1EDF16_Li32ELi128ELi256ELb0ELi2EEvPKT_PKT0_S7_ifPKiS9_S9_iPKfiiiPfSC_PS2_PT2_iSB_SB_,@function
_Z38paged_attention_ll4mi_QKV_mfma4_kernelIDF16_hLN4vllm18Fp8KVCacheDataTypeE1EDF16_Li32ELi128ELi256ELb0ELi2EEvPKT_PKT0_S7_ifPKiS9_S9_iPKfiiiPfSC_PS2_PT2_iSB_SB_: ; @_Z38paged_attention_ll4mi_QKV_mfma4_kernelIDF16_hLN4vllm18Fp8KVCacheDataTypeE1EDF16_Li32ELi128ELi256ELb0ELi2EEvPKT_PKT0_S7_ifPKiS9_S9_iPKfiiiPfSC_PS2_PT2_iSB_SB_
; %bb.0:
	s_get_pc_i64 s[2:3]
	s_add_nc_u64 s[2:3], s[2:3], __PRETTY_FUNCTION__._Z38paged_attention_ll4mi_QKV_mfma4_kernelIDF16_hLN4vllm18Fp8KVCacheDataTypeE1EDF16_Li32ELi128ELi256ELb0ELi2EEvPKT_PKT0_S7_ifPKiS9_S9_iPKfiiiPfSC_PS2_PT2_iSB_SB_@rel64+4
	s_delay_alu instid0(SALU_CYCLE_1)
	v_dual_mov_b32 v0, 0xbce :: v_dual_mov_b32 v1, s2
	v_mov_b32_e32 v2, s3
	s_add_nc_u64 s[8:9], s[0:1], 0x90
	s_get_pc_i64 s[0:1]
	s_add_nc_u64 s[0:1], s[0:1], __assert_fail@rel64+4
	s_mov_b32 s32, 0
	s_swap_pc_i64 s[30:31], s[0:1]
	.section	.rodata,"a",@progbits
	.p2align	6, 0x0
	.amdhsa_kernel _Z38paged_attention_ll4mi_QKV_mfma4_kernelIDF16_hLN4vllm18Fp8KVCacheDataTypeE1EDF16_Li32ELi128ELi256ELb0ELi2EEvPKT_PKT0_S7_ifPKiS9_S9_iPKfiiiPfSC_PS2_PT2_iSB_SB_
		.amdhsa_group_segment_fixed_size 0
		.amdhsa_private_segment_fixed_size 64
		.amdhsa_kernarg_size 400
		.amdhsa_user_sgpr_count 2
		.amdhsa_user_sgpr_dispatch_ptr 0
		.amdhsa_user_sgpr_queue_ptr 0
		.amdhsa_user_sgpr_kernarg_segment_ptr 1
		.amdhsa_user_sgpr_dispatch_id 0
		.amdhsa_user_sgpr_kernarg_preload_length 0
		.amdhsa_user_sgpr_kernarg_preload_offset 0
		.amdhsa_user_sgpr_private_segment_size 0
		.amdhsa_wavefront_size32 1
		.amdhsa_uses_dynamic_stack 0
		.amdhsa_enable_private_segment 1
		.amdhsa_system_sgpr_workgroup_id_x 1
		.amdhsa_system_sgpr_workgroup_id_y 0
		.amdhsa_system_sgpr_workgroup_id_z 0
		.amdhsa_system_sgpr_workgroup_info 0
		.amdhsa_system_vgpr_workitem_id 0
		.amdhsa_next_free_vgpr 51
		.amdhsa_next_free_sgpr 34
		.amdhsa_named_barrier_count 0
		.amdhsa_reserve_vcc 1
		.amdhsa_float_round_mode_32 0
		.amdhsa_float_round_mode_16_64 0
		.amdhsa_float_denorm_mode_32 3
		.amdhsa_float_denorm_mode_16_64 3
		.amdhsa_fp16_overflow 0
		.amdhsa_memory_ordered 1
		.amdhsa_forward_progress 1
		.amdhsa_inst_pref_size 1
		.amdhsa_round_robin_scheduling 0
		.amdhsa_exception_fp_ieee_invalid_op 0
		.amdhsa_exception_fp_denorm_src 0
		.amdhsa_exception_fp_ieee_div_zero 0
		.amdhsa_exception_fp_ieee_overflow 0
		.amdhsa_exception_fp_ieee_underflow 0
		.amdhsa_exception_fp_ieee_inexact 0
		.amdhsa_exception_int_div_zero 0
	.end_amdhsa_kernel
	.section	.text._Z38paged_attention_ll4mi_QKV_mfma4_kernelIDF16_hLN4vllm18Fp8KVCacheDataTypeE1EDF16_Li32ELi128ELi256ELb0ELi2EEvPKT_PKT0_S7_ifPKiS9_S9_iPKfiiiPfSC_PS2_PT2_iSB_SB_,"axG",@progbits,_Z38paged_attention_ll4mi_QKV_mfma4_kernelIDF16_hLN4vllm18Fp8KVCacheDataTypeE1EDF16_Li32ELi128ELi256ELb0ELi2EEvPKT_PKT0_S7_ifPKiS9_S9_iPKfiiiPfSC_PS2_PT2_iSB_SB_,comdat
.Lfunc_end1071:
	.size	_Z38paged_attention_ll4mi_QKV_mfma4_kernelIDF16_hLN4vllm18Fp8KVCacheDataTypeE1EDF16_Li32ELi128ELi256ELb0ELi2EEvPKT_PKT0_S7_ifPKiS9_S9_iPKfiiiPfSC_PS2_PT2_iSB_SB_, .Lfunc_end1071-_Z38paged_attention_ll4mi_QKV_mfma4_kernelIDF16_hLN4vllm18Fp8KVCacheDataTypeE1EDF16_Li32ELi128ELi256ELb0ELi2EEvPKT_PKT0_S7_ifPKiS9_S9_iPKfiiiPfSC_PS2_PT2_iSB_SB_
                                        ; -- End function
	.set _Z38paged_attention_ll4mi_QKV_mfma4_kernelIDF16_hLN4vllm18Fp8KVCacheDataTypeE1EDF16_Li32ELi128ELi256ELb0ELi2EEvPKT_PKT0_S7_ifPKiS9_S9_iPKfiiiPfSC_PS2_PT2_iSB_SB_.num_vgpr, max(3, .L__assert_fail.num_vgpr)
	.set _Z38paged_attention_ll4mi_QKV_mfma4_kernelIDF16_hLN4vllm18Fp8KVCacheDataTypeE1EDF16_Li32ELi128ELi256ELb0ELi2EEvPKT_PKT0_S7_ifPKiS9_S9_iPKfiiiPfSC_PS2_PT2_iSB_SB_.num_agpr, max(0, .L__assert_fail.num_agpr)
	.set _Z38paged_attention_ll4mi_QKV_mfma4_kernelIDF16_hLN4vllm18Fp8KVCacheDataTypeE1EDF16_Li32ELi128ELi256ELb0ELi2EEvPKT_PKT0_S7_ifPKiS9_S9_iPKfiiiPfSC_PS2_PT2_iSB_SB_.numbered_sgpr, max(33, .L__assert_fail.numbered_sgpr)
	.set _Z38paged_attention_ll4mi_QKV_mfma4_kernelIDF16_hLN4vllm18Fp8KVCacheDataTypeE1EDF16_Li32ELi128ELi256ELb0ELi2EEvPKT_PKT0_S7_ifPKiS9_S9_iPKfiiiPfSC_PS2_PT2_iSB_SB_.num_named_barrier, max(0, .L__assert_fail.num_named_barrier)
	.set _Z38paged_attention_ll4mi_QKV_mfma4_kernelIDF16_hLN4vllm18Fp8KVCacheDataTypeE1EDF16_Li32ELi128ELi256ELb0ELi2EEvPKT_PKT0_S7_ifPKiS9_S9_iPKfiiiPfSC_PS2_PT2_iSB_SB_.private_seg_size, 0+max(.L__assert_fail.private_seg_size)
	.set _Z38paged_attention_ll4mi_QKV_mfma4_kernelIDF16_hLN4vllm18Fp8KVCacheDataTypeE1EDF16_Li32ELi128ELi256ELb0ELi2EEvPKT_PKT0_S7_ifPKiS9_S9_iPKfiiiPfSC_PS2_PT2_iSB_SB_.uses_vcc, or(1, .L__assert_fail.uses_vcc)
	.set _Z38paged_attention_ll4mi_QKV_mfma4_kernelIDF16_hLN4vllm18Fp8KVCacheDataTypeE1EDF16_Li32ELi128ELi256ELb0ELi2EEvPKT_PKT0_S7_ifPKiS9_S9_iPKfiiiPfSC_PS2_PT2_iSB_SB_.uses_flat_scratch, or(0, .L__assert_fail.uses_flat_scratch)
	.set _Z38paged_attention_ll4mi_QKV_mfma4_kernelIDF16_hLN4vllm18Fp8KVCacheDataTypeE1EDF16_Li32ELi128ELi256ELb0ELi2EEvPKT_PKT0_S7_ifPKiS9_S9_iPKfiiiPfSC_PS2_PT2_iSB_SB_.has_dyn_sized_stack, or(0, .L__assert_fail.has_dyn_sized_stack)
	.set _Z38paged_attention_ll4mi_QKV_mfma4_kernelIDF16_hLN4vllm18Fp8KVCacheDataTypeE1EDF16_Li32ELi128ELi256ELb0ELi2EEvPKT_PKT0_S7_ifPKiS9_S9_iPKfiiiPfSC_PS2_PT2_iSB_SB_.has_recursion, or(0, .L__assert_fail.has_recursion)
	.set _Z38paged_attention_ll4mi_QKV_mfma4_kernelIDF16_hLN4vllm18Fp8KVCacheDataTypeE1EDF16_Li32ELi128ELi256ELb0ELi2EEvPKT_PKT0_S7_ifPKiS9_S9_iPKfiiiPfSC_PS2_PT2_iSB_SB_.has_indirect_call, or(0, .L__assert_fail.has_indirect_call)
	.section	.AMDGPU.csdata,"",@progbits
; Kernel info:
; codeLenInByte = 68
; TotalNumSgprs: 36
; NumVgprs: 51
; ScratchSize: 64
; MemoryBound: 0
; FloatMode: 240
; IeeeMode: 1
; LDSByteSize: 0 bytes/workgroup (compile time only)
; SGPRBlocks: 0
; VGPRBlocks: 3
; NumSGPRsForWavesPerEU: 36
; NumVGPRsForWavesPerEU: 51
; NamedBarCnt: 0
; Occupancy: 16
; WaveLimiterHint : 1
; COMPUTE_PGM_RSRC2:SCRATCH_EN: 1
; COMPUTE_PGM_RSRC2:USER_SGPR: 2
; COMPUTE_PGM_RSRC2:TRAP_HANDLER: 0
; COMPUTE_PGM_RSRC2:TGID_X_EN: 1
; COMPUTE_PGM_RSRC2:TGID_Y_EN: 0
; COMPUTE_PGM_RSRC2:TGID_Z_EN: 0
; COMPUTE_PGM_RSRC2:TIDIG_COMP_CNT: 0
	.section	.text._Z38paged_attention_ll4mi_QKV_mfma4_kernelIDF16_hLN4vllm18Fp8KVCacheDataTypeE1EDF16_Li32ELi128ELi256ELb0ELi3EEvPKT_PKT0_S7_ifPKiS9_S9_iPKfiiiPfSC_PS2_PT2_iSB_SB_,"axG",@progbits,_Z38paged_attention_ll4mi_QKV_mfma4_kernelIDF16_hLN4vllm18Fp8KVCacheDataTypeE1EDF16_Li32ELi128ELi256ELb0ELi3EEvPKT_PKT0_S7_ifPKiS9_S9_iPKfiiiPfSC_PS2_PT2_iSB_SB_,comdat
	.protected	_Z38paged_attention_ll4mi_QKV_mfma4_kernelIDF16_hLN4vllm18Fp8KVCacheDataTypeE1EDF16_Li32ELi128ELi256ELb0ELi3EEvPKT_PKT0_S7_ifPKiS9_S9_iPKfiiiPfSC_PS2_PT2_iSB_SB_ ; -- Begin function _Z38paged_attention_ll4mi_QKV_mfma4_kernelIDF16_hLN4vllm18Fp8KVCacheDataTypeE1EDF16_Li32ELi128ELi256ELb0ELi3EEvPKT_PKT0_S7_ifPKiS9_S9_iPKfiiiPfSC_PS2_PT2_iSB_SB_
	.globl	_Z38paged_attention_ll4mi_QKV_mfma4_kernelIDF16_hLN4vllm18Fp8KVCacheDataTypeE1EDF16_Li32ELi128ELi256ELb0ELi3EEvPKT_PKT0_S7_ifPKiS9_S9_iPKfiiiPfSC_PS2_PT2_iSB_SB_
	.p2align	8
	.type	_Z38paged_attention_ll4mi_QKV_mfma4_kernelIDF16_hLN4vllm18Fp8KVCacheDataTypeE1EDF16_Li32ELi128ELi256ELb0ELi3EEvPKT_PKT0_S7_ifPKiS9_S9_iPKfiiiPfSC_PS2_PT2_iSB_SB_,@function
_Z38paged_attention_ll4mi_QKV_mfma4_kernelIDF16_hLN4vllm18Fp8KVCacheDataTypeE1EDF16_Li32ELi128ELi256ELb0ELi3EEvPKT_PKT0_S7_ifPKiS9_S9_iPKfiiiPfSC_PS2_PT2_iSB_SB_: ; @_Z38paged_attention_ll4mi_QKV_mfma4_kernelIDF16_hLN4vllm18Fp8KVCacheDataTypeE1EDF16_Li32ELi128ELi256ELb0ELi3EEvPKT_PKT0_S7_ifPKiS9_S9_iPKfiiiPfSC_PS2_PT2_iSB_SB_
; %bb.0:
	s_get_pc_i64 s[2:3]
	s_add_nc_u64 s[2:3], s[2:3], __PRETTY_FUNCTION__._Z38paged_attention_ll4mi_QKV_mfma4_kernelIDF16_hLN4vllm18Fp8KVCacheDataTypeE1EDF16_Li32ELi128ELi256ELb0ELi3EEvPKT_PKT0_S7_ifPKiS9_S9_iPKfiiiPfSC_PS2_PT2_iSB_SB_@rel64+4
	s_delay_alu instid0(SALU_CYCLE_1)
	v_dual_mov_b32 v0, 0xbce :: v_dual_mov_b32 v1, s2
	v_mov_b32_e32 v2, s3
	s_add_nc_u64 s[8:9], s[0:1], 0x90
	s_get_pc_i64 s[0:1]
	s_add_nc_u64 s[0:1], s[0:1], __assert_fail@rel64+4
	s_mov_b32 s32, 0
	s_swap_pc_i64 s[30:31], s[0:1]
	.section	.rodata,"a",@progbits
	.p2align	6, 0x0
	.amdhsa_kernel _Z38paged_attention_ll4mi_QKV_mfma4_kernelIDF16_hLN4vllm18Fp8KVCacheDataTypeE1EDF16_Li32ELi128ELi256ELb0ELi3EEvPKT_PKT0_S7_ifPKiS9_S9_iPKfiiiPfSC_PS2_PT2_iSB_SB_
		.amdhsa_group_segment_fixed_size 0
		.amdhsa_private_segment_fixed_size 64
		.amdhsa_kernarg_size 400
		.amdhsa_user_sgpr_count 2
		.amdhsa_user_sgpr_dispatch_ptr 0
		.amdhsa_user_sgpr_queue_ptr 0
		.amdhsa_user_sgpr_kernarg_segment_ptr 1
		.amdhsa_user_sgpr_dispatch_id 0
		.amdhsa_user_sgpr_kernarg_preload_length 0
		.amdhsa_user_sgpr_kernarg_preload_offset 0
		.amdhsa_user_sgpr_private_segment_size 0
		.amdhsa_wavefront_size32 1
		.amdhsa_uses_dynamic_stack 0
		.amdhsa_enable_private_segment 1
		.amdhsa_system_sgpr_workgroup_id_x 1
		.amdhsa_system_sgpr_workgroup_id_y 0
		.amdhsa_system_sgpr_workgroup_id_z 0
		.amdhsa_system_sgpr_workgroup_info 0
		.amdhsa_system_vgpr_workitem_id 0
		.amdhsa_next_free_vgpr 51
		.amdhsa_next_free_sgpr 34
		.amdhsa_named_barrier_count 0
		.amdhsa_reserve_vcc 1
		.amdhsa_float_round_mode_32 0
		.amdhsa_float_round_mode_16_64 0
		.amdhsa_float_denorm_mode_32 3
		.amdhsa_float_denorm_mode_16_64 3
		.amdhsa_fp16_overflow 0
		.amdhsa_memory_ordered 1
		.amdhsa_forward_progress 1
		.amdhsa_inst_pref_size 1
		.amdhsa_round_robin_scheduling 0
		.amdhsa_exception_fp_ieee_invalid_op 0
		.amdhsa_exception_fp_denorm_src 0
		.amdhsa_exception_fp_ieee_div_zero 0
		.amdhsa_exception_fp_ieee_overflow 0
		.amdhsa_exception_fp_ieee_underflow 0
		.amdhsa_exception_fp_ieee_inexact 0
		.amdhsa_exception_int_div_zero 0
	.end_amdhsa_kernel
	.section	.text._Z38paged_attention_ll4mi_QKV_mfma4_kernelIDF16_hLN4vllm18Fp8KVCacheDataTypeE1EDF16_Li32ELi128ELi256ELb0ELi3EEvPKT_PKT0_S7_ifPKiS9_S9_iPKfiiiPfSC_PS2_PT2_iSB_SB_,"axG",@progbits,_Z38paged_attention_ll4mi_QKV_mfma4_kernelIDF16_hLN4vllm18Fp8KVCacheDataTypeE1EDF16_Li32ELi128ELi256ELb0ELi3EEvPKT_PKT0_S7_ifPKiS9_S9_iPKfiiiPfSC_PS2_PT2_iSB_SB_,comdat
.Lfunc_end1072:
	.size	_Z38paged_attention_ll4mi_QKV_mfma4_kernelIDF16_hLN4vllm18Fp8KVCacheDataTypeE1EDF16_Li32ELi128ELi256ELb0ELi3EEvPKT_PKT0_S7_ifPKiS9_S9_iPKfiiiPfSC_PS2_PT2_iSB_SB_, .Lfunc_end1072-_Z38paged_attention_ll4mi_QKV_mfma4_kernelIDF16_hLN4vllm18Fp8KVCacheDataTypeE1EDF16_Li32ELi128ELi256ELb0ELi3EEvPKT_PKT0_S7_ifPKiS9_S9_iPKfiiiPfSC_PS2_PT2_iSB_SB_
                                        ; -- End function
	.set _Z38paged_attention_ll4mi_QKV_mfma4_kernelIDF16_hLN4vllm18Fp8KVCacheDataTypeE1EDF16_Li32ELi128ELi256ELb0ELi3EEvPKT_PKT0_S7_ifPKiS9_S9_iPKfiiiPfSC_PS2_PT2_iSB_SB_.num_vgpr, max(3, .L__assert_fail.num_vgpr)
	.set _Z38paged_attention_ll4mi_QKV_mfma4_kernelIDF16_hLN4vllm18Fp8KVCacheDataTypeE1EDF16_Li32ELi128ELi256ELb0ELi3EEvPKT_PKT0_S7_ifPKiS9_S9_iPKfiiiPfSC_PS2_PT2_iSB_SB_.num_agpr, max(0, .L__assert_fail.num_agpr)
	.set _Z38paged_attention_ll4mi_QKV_mfma4_kernelIDF16_hLN4vllm18Fp8KVCacheDataTypeE1EDF16_Li32ELi128ELi256ELb0ELi3EEvPKT_PKT0_S7_ifPKiS9_S9_iPKfiiiPfSC_PS2_PT2_iSB_SB_.numbered_sgpr, max(33, .L__assert_fail.numbered_sgpr)
	.set _Z38paged_attention_ll4mi_QKV_mfma4_kernelIDF16_hLN4vllm18Fp8KVCacheDataTypeE1EDF16_Li32ELi128ELi256ELb0ELi3EEvPKT_PKT0_S7_ifPKiS9_S9_iPKfiiiPfSC_PS2_PT2_iSB_SB_.num_named_barrier, max(0, .L__assert_fail.num_named_barrier)
	.set _Z38paged_attention_ll4mi_QKV_mfma4_kernelIDF16_hLN4vllm18Fp8KVCacheDataTypeE1EDF16_Li32ELi128ELi256ELb0ELi3EEvPKT_PKT0_S7_ifPKiS9_S9_iPKfiiiPfSC_PS2_PT2_iSB_SB_.private_seg_size, 0+max(.L__assert_fail.private_seg_size)
	.set _Z38paged_attention_ll4mi_QKV_mfma4_kernelIDF16_hLN4vllm18Fp8KVCacheDataTypeE1EDF16_Li32ELi128ELi256ELb0ELi3EEvPKT_PKT0_S7_ifPKiS9_S9_iPKfiiiPfSC_PS2_PT2_iSB_SB_.uses_vcc, or(1, .L__assert_fail.uses_vcc)
	.set _Z38paged_attention_ll4mi_QKV_mfma4_kernelIDF16_hLN4vllm18Fp8KVCacheDataTypeE1EDF16_Li32ELi128ELi256ELb0ELi3EEvPKT_PKT0_S7_ifPKiS9_S9_iPKfiiiPfSC_PS2_PT2_iSB_SB_.uses_flat_scratch, or(0, .L__assert_fail.uses_flat_scratch)
	.set _Z38paged_attention_ll4mi_QKV_mfma4_kernelIDF16_hLN4vllm18Fp8KVCacheDataTypeE1EDF16_Li32ELi128ELi256ELb0ELi3EEvPKT_PKT0_S7_ifPKiS9_S9_iPKfiiiPfSC_PS2_PT2_iSB_SB_.has_dyn_sized_stack, or(0, .L__assert_fail.has_dyn_sized_stack)
	.set _Z38paged_attention_ll4mi_QKV_mfma4_kernelIDF16_hLN4vllm18Fp8KVCacheDataTypeE1EDF16_Li32ELi128ELi256ELb0ELi3EEvPKT_PKT0_S7_ifPKiS9_S9_iPKfiiiPfSC_PS2_PT2_iSB_SB_.has_recursion, or(0, .L__assert_fail.has_recursion)
	.set _Z38paged_attention_ll4mi_QKV_mfma4_kernelIDF16_hLN4vllm18Fp8KVCacheDataTypeE1EDF16_Li32ELi128ELi256ELb0ELi3EEvPKT_PKT0_S7_ifPKiS9_S9_iPKfiiiPfSC_PS2_PT2_iSB_SB_.has_indirect_call, or(0, .L__assert_fail.has_indirect_call)
	.section	.AMDGPU.csdata,"",@progbits
; Kernel info:
; codeLenInByte = 68
; TotalNumSgprs: 36
; NumVgprs: 51
; ScratchSize: 64
; MemoryBound: 0
; FloatMode: 240
; IeeeMode: 1
; LDSByteSize: 0 bytes/workgroup (compile time only)
; SGPRBlocks: 0
; VGPRBlocks: 3
; NumSGPRsForWavesPerEU: 36
; NumVGPRsForWavesPerEU: 51
; NamedBarCnt: 0
; Occupancy: 16
; WaveLimiterHint : 1
; COMPUTE_PGM_RSRC2:SCRATCH_EN: 1
; COMPUTE_PGM_RSRC2:USER_SGPR: 2
; COMPUTE_PGM_RSRC2:TRAP_HANDLER: 0
; COMPUTE_PGM_RSRC2:TGID_X_EN: 1
; COMPUTE_PGM_RSRC2:TGID_Y_EN: 0
; COMPUTE_PGM_RSRC2:TGID_Z_EN: 0
; COMPUTE_PGM_RSRC2:TIDIG_COMP_CNT: 0
	.section	.text._Z38paged_attention_ll4mi_QKV_mfma4_kernelIDF16_hLN4vllm18Fp8KVCacheDataTypeE1EDF16_Li32ELi128ELi256ELb0ELi4EEvPKT_PKT0_S7_ifPKiS9_S9_iPKfiiiPfSC_PS2_PT2_iSB_SB_,"axG",@progbits,_Z38paged_attention_ll4mi_QKV_mfma4_kernelIDF16_hLN4vllm18Fp8KVCacheDataTypeE1EDF16_Li32ELi128ELi256ELb0ELi4EEvPKT_PKT0_S7_ifPKiS9_S9_iPKfiiiPfSC_PS2_PT2_iSB_SB_,comdat
	.protected	_Z38paged_attention_ll4mi_QKV_mfma4_kernelIDF16_hLN4vllm18Fp8KVCacheDataTypeE1EDF16_Li32ELi128ELi256ELb0ELi4EEvPKT_PKT0_S7_ifPKiS9_S9_iPKfiiiPfSC_PS2_PT2_iSB_SB_ ; -- Begin function _Z38paged_attention_ll4mi_QKV_mfma4_kernelIDF16_hLN4vllm18Fp8KVCacheDataTypeE1EDF16_Li32ELi128ELi256ELb0ELi4EEvPKT_PKT0_S7_ifPKiS9_S9_iPKfiiiPfSC_PS2_PT2_iSB_SB_
	.globl	_Z38paged_attention_ll4mi_QKV_mfma4_kernelIDF16_hLN4vllm18Fp8KVCacheDataTypeE1EDF16_Li32ELi128ELi256ELb0ELi4EEvPKT_PKT0_S7_ifPKiS9_S9_iPKfiiiPfSC_PS2_PT2_iSB_SB_
	.p2align	8
	.type	_Z38paged_attention_ll4mi_QKV_mfma4_kernelIDF16_hLN4vllm18Fp8KVCacheDataTypeE1EDF16_Li32ELi128ELi256ELb0ELi4EEvPKT_PKT0_S7_ifPKiS9_S9_iPKfiiiPfSC_PS2_PT2_iSB_SB_,@function
_Z38paged_attention_ll4mi_QKV_mfma4_kernelIDF16_hLN4vllm18Fp8KVCacheDataTypeE1EDF16_Li32ELi128ELi256ELb0ELi4EEvPKT_PKT0_S7_ifPKiS9_S9_iPKfiiiPfSC_PS2_PT2_iSB_SB_: ; @_Z38paged_attention_ll4mi_QKV_mfma4_kernelIDF16_hLN4vllm18Fp8KVCacheDataTypeE1EDF16_Li32ELi128ELi256ELb0ELi4EEvPKT_PKT0_S7_ifPKiS9_S9_iPKfiiiPfSC_PS2_PT2_iSB_SB_
; %bb.0:
	s_get_pc_i64 s[2:3]
	s_add_nc_u64 s[2:3], s[2:3], __PRETTY_FUNCTION__._Z38paged_attention_ll4mi_QKV_mfma4_kernelIDF16_hLN4vllm18Fp8KVCacheDataTypeE1EDF16_Li32ELi128ELi256ELb0ELi4EEvPKT_PKT0_S7_ifPKiS9_S9_iPKfiiiPfSC_PS2_PT2_iSB_SB_@rel64+4
	s_delay_alu instid0(SALU_CYCLE_1)
	v_dual_mov_b32 v0, 0xbce :: v_dual_mov_b32 v1, s2
	v_mov_b32_e32 v2, s3
	s_add_nc_u64 s[8:9], s[0:1], 0x90
	s_get_pc_i64 s[0:1]
	s_add_nc_u64 s[0:1], s[0:1], __assert_fail@rel64+4
	s_mov_b32 s32, 0
	s_swap_pc_i64 s[30:31], s[0:1]
	.section	.rodata,"a",@progbits
	.p2align	6, 0x0
	.amdhsa_kernel _Z38paged_attention_ll4mi_QKV_mfma4_kernelIDF16_hLN4vllm18Fp8KVCacheDataTypeE1EDF16_Li32ELi128ELi256ELb0ELi4EEvPKT_PKT0_S7_ifPKiS9_S9_iPKfiiiPfSC_PS2_PT2_iSB_SB_
		.amdhsa_group_segment_fixed_size 0
		.amdhsa_private_segment_fixed_size 64
		.amdhsa_kernarg_size 400
		.amdhsa_user_sgpr_count 2
		.amdhsa_user_sgpr_dispatch_ptr 0
		.amdhsa_user_sgpr_queue_ptr 0
		.amdhsa_user_sgpr_kernarg_segment_ptr 1
		.amdhsa_user_sgpr_dispatch_id 0
		.amdhsa_user_sgpr_kernarg_preload_length 0
		.amdhsa_user_sgpr_kernarg_preload_offset 0
		.amdhsa_user_sgpr_private_segment_size 0
		.amdhsa_wavefront_size32 1
		.amdhsa_uses_dynamic_stack 0
		.amdhsa_enable_private_segment 1
		.amdhsa_system_sgpr_workgroup_id_x 1
		.amdhsa_system_sgpr_workgroup_id_y 0
		.amdhsa_system_sgpr_workgroup_id_z 0
		.amdhsa_system_sgpr_workgroup_info 0
		.amdhsa_system_vgpr_workitem_id 0
		.amdhsa_next_free_vgpr 51
		.amdhsa_next_free_sgpr 34
		.amdhsa_named_barrier_count 0
		.amdhsa_reserve_vcc 1
		.amdhsa_float_round_mode_32 0
		.amdhsa_float_round_mode_16_64 0
		.amdhsa_float_denorm_mode_32 3
		.amdhsa_float_denorm_mode_16_64 3
		.amdhsa_fp16_overflow 0
		.amdhsa_memory_ordered 1
		.amdhsa_forward_progress 1
		.amdhsa_inst_pref_size 1
		.amdhsa_round_robin_scheduling 0
		.amdhsa_exception_fp_ieee_invalid_op 0
		.amdhsa_exception_fp_denorm_src 0
		.amdhsa_exception_fp_ieee_div_zero 0
		.amdhsa_exception_fp_ieee_overflow 0
		.amdhsa_exception_fp_ieee_underflow 0
		.amdhsa_exception_fp_ieee_inexact 0
		.amdhsa_exception_int_div_zero 0
	.end_amdhsa_kernel
	.section	.text._Z38paged_attention_ll4mi_QKV_mfma4_kernelIDF16_hLN4vllm18Fp8KVCacheDataTypeE1EDF16_Li32ELi128ELi256ELb0ELi4EEvPKT_PKT0_S7_ifPKiS9_S9_iPKfiiiPfSC_PS2_PT2_iSB_SB_,"axG",@progbits,_Z38paged_attention_ll4mi_QKV_mfma4_kernelIDF16_hLN4vllm18Fp8KVCacheDataTypeE1EDF16_Li32ELi128ELi256ELb0ELi4EEvPKT_PKT0_S7_ifPKiS9_S9_iPKfiiiPfSC_PS2_PT2_iSB_SB_,comdat
.Lfunc_end1073:
	.size	_Z38paged_attention_ll4mi_QKV_mfma4_kernelIDF16_hLN4vllm18Fp8KVCacheDataTypeE1EDF16_Li32ELi128ELi256ELb0ELi4EEvPKT_PKT0_S7_ifPKiS9_S9_iPKfiiiPfSC_PS2_PT2_iSB_SB_, .Lfunc_end1073-_Z38paged_attention_ll4mi_QKV_mfma4_kernelIDF16_hLN4vllm18Fp8KVCacheDataTypeE1EDF16_Li32ELi128ELi256ELb0ELi4EEvPKT_PKT0_S7_ifPKiS9_S9_iPKfiiiPfSC_PS2_PT2_iSB_SB_
                                        ; -- End function
	.set _Z38paged_attention_ll4mi_QKV_mfma4_kernelIDF16_hLN4vllm18Fp8KVCacheDataTypeE1EDF16_Li32ELi128ELi256ELb0ELi4EEvPKT_PKT0_S7_ifPKiS9_S9_iPKfiiiPfSC_PS2_PT2_iSB_SB_.num_vgpr, max(3, .L__assert_fail.num_vgpr)
	.set _Z38paged_attention_ll4mi_QKV_mfma4_kernelIDF16_hLN4vllm18Fp8KVCacheDataTypeE1EDF16_Li32ELi128ELi256ELb0ELi4EEvPKT_PKT0_S7_ifPKiS9_S9_iPKfiiiPfSC_PS2_PT2_iSB_SB_.num_agpr, max(0, .L__assert_fail.num_agpr)
	.set _Z38paged_attention_ll4mi_QKV_mfma4_kernelIDF16_hLN4vllm18Fp8KVCacheDataTypeE1EDF16_Li32ELi128ELi256ELb0ELi4EEvPKT_PKT0_S7_ifPKiS9_S9_iPKfiiiPfSC_PS2_PT2_iSB_SB_.numbered_sgpr, max(33, .L__assert_fail.numbered_sgpr)
	.set _Z38paged_attention_ll4mi_QKV_mfma4_kernelIDF16_hLN4vllm18Fp8KVCacheDataTypeE1EDF16_Li32ELi128ELi256ELb0ELi4EEvPKT_PKT0_S7_ifPKiS9_S9_iPKfiiiPfSC_PS2_PT2_iSB_SB_.num_named_barrier, max(0, .L__assert_fail.num_named_barrier)
	.set _Z38paged_attention_ll4mi_QKV_mfma4_kernelIDF16_hLN4vllm18Fp8KVCacheDataTypeE1EDF16_Li32ELi128ELi256ELb0ELi4EEvPKT_PKT0_S7_ifPKiS9_S9_iPKfiiiPfSC_PS2_PT2_iSB_SB_.private_seg_size, 0+max(.L__assert_fail.private_seg_size)
	.set _Z38paged_attention_ll4mi_QKV_mfma4_kernelIDF16_hLN4vllm18Fp8KVCacheDataTypeE1EDF16_Li32ELi128ELi256ELb0ELi4EEvPKT_PKT0_S7_ifPKiS9_S9_iPKfiiiPfSC_PS2_PT2_iSB_SB_.uses_vcc, or(1, .L__assert_fail.uses_vcc)
	.set _Z38paged_attention_ll4mi_QKV_mfma4_kernelIDF16_hLN4vllm18Fp8KVCacheDataTypeE1EDF16_Li32ELi128ELi256ELb0ELi4EEvPKT_PKT0_S7_ifPKiS9_S9_iPKfiiiPfSC_PS2_PT2_iSB_SB_.uses_flat_scratch, or(0, .L__assert_fail.uses_flat_scratch)
	.set _Z38paged_attention_ll4mi_QKV_mfma4_kernelIDF16_hLN4vllm18Fp8KVCacheDataTypeE1EDF16_Li32ELi128ELi256ELb0ELi4EEvPKT_PKT0_S7_ifPKiS9_S9_iPKfiiiPfSC_PS2_PT2_iSB_SB_.has_dyn_sized_stack, or(0, .L__assert_fail.has_dyn_sized_stack)
	.set _Z38paged_attention_ll4mi_QKV_mfma4_kernelIDF16_hLN4vllm18Fp8KVCacheDataTypeE1EDF16_Li32ELi128ELi256ELb0ELi4EEvPKT_PKT0_S7_ifPKiS9_S9_iPKfiiiPfSC_PS2_PT2_iSB_SB_.has_recursion, or(0, .L__assert_fail.has_recursion)
	.set _Z38paged_attention_ll4mi_QKV_mfma4_kernelIDF16_hLN4vllm18Fp8KVCacheDataTypeE1EDF16_Li32ELi128ELi256ELb0ELi4EEvPKT_PKT0_S7_ifPKiS9_S9_iPKfiiiPfSC_PS2_PT2_iSB_SB_.has_indirect_call, or(0, .L__assert_fail.has_indirect_call)
	.section	.AMDGPU.csdata,"",@progbits
; Kernel info:
; codeLenInByte = 68
; TotalNumSgprs: 36
; NumVgprs: 51
; ScratchSize: 64
; MemoryBound: 0
; FloatMode: 240
; IeeeMode: 1
; LDSByteSize: 0 bytes/workgroup (compile time only)
; SGPRBlocks: 0
; VGPRBlocks: 3
; NumSGPRsForWavesPerEU: 36
; NumVGPRsForWavesPerEU: 51
; NamedBarCnt: 0
; Occupancy: 16
; WaveLimiterHint : 1
; COMPUTE_PGM_RSRC2:SCRATCH_EN: 1
; COMPUTE_PGM_RSRC2:USER_SGPR: 2
; COMPUTE_PGM_RSRC2:TRAP_HANDLER: 0
; COMPUTE_PGM_RSRC2:TGID_X_EN: 1
; COMPUTE_PGM_RSRC2:TGID_Y_EN: 0
; COMPUTE_PGM_RSRC2:TGID_Z_EN: 0
; COMPUTE_PGM_RSRC2:TIDIG_COMP_CNT: 0
	.section	.text._Z39paged_attention_ll4mi_QKV_mfma16_kernelIDF16_hLN4vllm18Fp8KVCacheDataTypeE1EDF16_Li32ELi128ELi256ELb0ELi5EEvPKT_PKT0_S7_ifPKiS9_S9_iPKfiiiPfSC_PS2_PT2_iSB_SB_,"axG",@progbits,_Z39paged_attention_ll4mi_QKV_mfma16_kernelIDF16_hLN4vllm18Fp8KVCacheDataTypeE1EDF16_Li32ELi128ELi256ELb0ELi5EEvPKT_PKT0_S7_ifPKiS9_S9_iPKfiiiPfSC_PS2_PT2_iSB_SB_,comdat
	.protected	_Z39paged_attention_ll4mi_QKV_mfma16_kernelIDF16_hLN4vllm18Fp8KVCacheDataTypeE1EDF16_Li32ELi128ELi256ELb0ELi5EEvPKT_PKT0_S7_ifPKiS9_S9_iPKfiiiPfSC_PS2_PT2_iSB_SB_ ; -- Begin function _Z39paged_attention_ll4mi_QKV_mfma16_kernelIDF16_hLN4vllm18Fp8KVCacheDataTypeE1EDF16_Li32ELi128ELi256ELb0ELi5EEvPKT_PKT0_S7_ifPKiS9_S9_iPKfiiiPfSC_PS2_PT2_iSB_SB_
	.globl	_Z39paged_attention_ll4mi_QKV_mfma16_kernelIDF16_hLN4vllm18Fp8KVCacheDataTypeE1EDF16_Li32ELi128ELi256ELb0ELi5EEvPKT_PKT0_S7_ifPKiS9_S9_iPKfiiiPfSC_PS2_PT2_iSB_SB_
	.p2align	8
	.type	_Z39paged_attention_ll4mi_QKV_mfma16_kernelIDF16_hLN4vllm18Fp8KVCacheDataTypeE1EDF16_Li32ELi128ELi256ELb0ELi5EEvPKT_PKT0_S7_ifPKiS9_S9_iPKfiiiPfSC_PS2_PT2_iSB_SB_,@function
_Z39paged_attention_ll4mi_QKV_mfma16_kernelIDF16_hLN4vllm18Fp8KVCacheDataTypeE1EDF16_Li32ELi128ELi256ELb0ELi5EEvPKT_PKT0_S7_ifPKiS9_S9_iPKfiiiPfSC_PS2_PT2_iSB_SB_: ; @_Z39paged_attention_ll4mi_QKV_mfma16_kernelIDF16_hLN4vllm18Fp8KVCacheDataTypeE1EDF16_Li32ELi128ELi256ELb0ELi5EEvPKT_PKT0_S7_ifPKiS9_S9_iPKfiiiPfSC_PS2_PT2_iSB_SB_
; %bb.0:
	s_get_pc_i64 s[2:3]
	s_add_nc_u64 s[2:3], s[2:3], __PRETTY_FUNCTION__._Z39paged_attention_ll4mi_QKV_mfma16_kernelIDF16_hLN4vllm18Fp8KVCacheDataTypeE1EDF16_Li32ELi128ELi256ELb0ELi5EEvPKT_PKT0_S7_ifPKiS9_S9_iPKfiiiPfSC_PS2_PT2_iSB_SB_@rel64+4
	s_delay_alu instid0(SALU_CYCLE_1)
	v_dual_mov_b32 v0, 0xbb3 :: v_dual_mov_b32 v1, s2
	v_mov_b32_e32 v2, s3
	s_add_nc_u64 s[8:9], s[0:1], 0x90
	s_get_pc_i64 s[0:1]
	s_add_nc_u64 s[0:1], s[0:1], __assert_fail@rel64+4
	s_mov_b32 s32, 0
	s_swap_pc_i64 s[30:31], s[0:1]
	.section	.rodata,"a",@progbits
	.p2align	6, 0x0
	.amdhsa_kernel _Z39paged_attention_ll4mi_QKV_mfma16_kernelIDF16_hLN4vllm18Fp8KVCacheDataTypeE1EDF16_Li32ELi128ELi256ELb0ELi5EEvPKT_PKT0_S7_ifPKiS9_S9_iPKfiiiPfSC_PS2_PT2_iSB_SB_
		.amdhsa_group_segment_fixed_size 0
		.amdhsa_private_segment_fixed_size 64
		.amdhsa_kernarg_size 400
		.amdhsa_user_sgpr_count 2
		.amdhsa_user_sgpr_dispatch_ptr 0
		.amdhsa_user_sgpr_queue_ptr 0
		.amdhsa_user_sgpr_kernarg_segment_ptr 1
		.amdhsa_user_sgpr_dispatch_id 0
		.amdhsa_user_sgpr_kernarg_preload_length 0
		.amdhsa_user_sgpr_kernarg_preload_offset 0
		.amdhsa_user_sgpr_private_segment_size 0
		.amdhsa_wavefront_size32 1
		.amdhsa_uses_dynamic_stack 0
		.amdhsa_enable_private_segment 1
		.amdhsa_system_sgpr_workgroup_id_x 1
		.amdhsa_system_sgpr_workgroup_id_y 0
		.amdhsa_system_sgpr_workgroup_id_z 0
		.amdhsa_system_sgpr_workgroup_info 0
		.amdhsa_system_vgpr_workitem_id 0
		.amdhsa_next_free_vgpr 51
		.amdhsa_next_free_sgpr 34
		.amdhsa_named_barrier_count 0
		.amdhsa_reserve_vcc 1
		.amdhsa_float_round_mode_32 0
		.amdhsa_float_round_mode_16_64 0
		.amdhsa_float_denorm_mode_32 3
		.amdhsa_float_denorm_mode_16_64 3
		.amdhsa_fp16_overflow 0
		.amdhsa_memory_ordered 1
		.amdhsa_forward_progress 1
		.amdhsa_inst_pref_size 1
		.amdhsa_round_robin_scheduling 0
		.amdhsa_exception_fp_ieee_invalid_op 0
		.amdhsa_exception_fp_denorm_src 0
		.amdhsa_exception_fp_ieee_div_zero 0
		.amdhsa_exception_fp_ieee_overflow 0
		.amdhsa_exception_fp_ieee_underflow 0
		.amdhsa_exception_fp_ieee_inexact 0
		.amdhsa_exception_int_div_zero 0
	.end_amdhsa_kernel
	.section	.text._Z39paged_attention_ll4mi_QKV_mfma16_kernelIDF16_hLN4vllm18Fp8KVCacheDataTypeE1EDF16_Li32ELi128ELi256ELb0ELi5EEvPKT_PKT0_S7_ifPKiS9_S9_iPKfiiiPfSC_PS2_PT2_iSB_SB_,"axG",@progbits,_Z39paged_attention_ll4mi_QKV_mfma16_kernelIDF16_hLN4vllm18Fp8KVCacheDataTypeE1EDF16_Li32ELi128ELi256ELb0ELi5EEvPKT_PKT0_S7_ifPKiS9_S9_iPKfiiiPfSC_PS2_PT2_iSB_SB_,comdat
.Lfunc_end1074:
	.size	_Z39paged_attention_ll4mi_QKV_mfma16_kernelIDF16_hLN4vllm18Fp8KVCacheDataTypeE1EDF16_Li32ELi128ELi256ELb0ELi5EEvPKT_PKT0_S7_ifPKiS9_S9_iPKfiiiPfSC_PS2_PT2_iSB_SB_, .Lfunc_end1074-_Z39paged_attention_ll4mi_QKV_mfma16_kernelIDF16_hLN4vllm18Fp8KVCacheDataTypeE1EDF16_Li32ELi128ELi256ELb0ELi5EEvPKT_PKT0_S7_ifPKiS9_S9_iPKfiiiPfSC_PS2_PT2_iSB_SB_
                                        ; -- End function
	.set _Z39paged_attention_ll4mi_QKV_mfma16_kernelIDF16_hLN4vllm18Fp8KVCacheDataTypeE1EDF16_Li32ELi128ELi256ELb0ELi5EEvPKT_PKT0_S7_ifPKiS9_S9_iPKfiiiPfSC_PS2_PT2_iSB_SB_.num_vgpr, max(3, .L__assert_fail.num_vgpr)
	.set _Z39paged_attention_ll4mi_QKV_mfma16_kernelIDF16_hLN4vllm18Fp8KVCacheDataTypeE1EDF16_Li32ELi128ELi256ELb0ELi5EEvPKT_PKT0_S7_ifPKiS9_S9_iPKfiiiPfSC_PS2_PT2_iSB_SB_.num_agpr, max(0, .L__assert_fail.num_agpr)
	.set _Z39paged_attention_ll4mi_QKV_mfma16_kernelIDF16_hLN4vllm18Fp8KVCacheDataTypeE1EDF16_Li32ELi128ELi256ELb0ELi5EEvPKT_PKT0_S7_ifPKiS9_S9_iPKfiiiPfSC_PS2_PT2_iSB_SB_.numbered_sgpr, max(33, .L__assert_fail.numbered_sgpr)
	.set _Z39paged_attention_ll4mi_QKV_mfma16_kernelIDF16_hLN4vllm18Fp8KVCacheDataTypeE1EDF16_Li32ELi128ELi256ELb0ELi5EEvPKT_PKT0_S7_ifPKiS9_S9_iPKfiiiPfSC_PS2_PT2_iSB_SB_.num_named_barrier, max(0, .L__assert_fail.num_named_barrier)
	.set _Z39paged_attention_ll4mi_QKV_mfma16_kernelIDF16_hLN4vllm18Fp8KVCacheDataTypeE1EDF16_Li32ELi128ELi256ELb0ELi5EEvPKT_PKT0_S7_ifPKiS9_S9_iPKfiiiPfSC_PS2_PT2_iSB_SB_.private_seg_size, 0+max(.L__assert_fail.private_seg_size)
	.set _Z39paged_attention_ll4mi_QKV_mfma16_kernelIDF16_hLN4vllm18Fp8KVCacheDataTypeE1EDF16_Li32ELi128ELi256ELb0ELi5EEvPKT_PKT0_S7_ifPKiS9_S9_iPKfiiiPfSC_PS2_PT2_iSB_SB_.uses_vcc, or(1, .L__assert_fail.uses_vcc)
	.set _Z39paged_attention_ll4mi_QKV_mfma16_kernelIDF16_hLN4vllm18Fp8KVCacheDataTypeE1EDF16_Li32ELi128ELi256ELb0ELi5EEvPKT_PKT0_S7_ifPKiS9_S9_iPKfiiiPfSC_PS2_PT2_iSB_SB_.uses_flat_scratch, or(0, .L__assert_fail.uses_flat_scratch)
	.set _Z39paged_attention_ll4mi_QKV_mfma16_kernelIDF16_hLN4vllm18Fp8KVCacheDataTypeE1EDF16_Li32ELi128ELi256ELb0ELi5EEvPKT_PKT0_S7_ifPKiS9_S9_iPKfiiiPfSC_PS2_PT2_iSB_SB_.has_dyn_sized_stack, or(0, .L__assert_fail.has_dyn_sized_stack)
	.set _Z39paged_attention_ll4mi_QKV_mfma16_kernelIDF16_hLN4vllm18Fp8KVCacheDataTypeE1EDF16_Li32ELi128ELi256ELb0ELi5EEvPKT_PKT0_S7_ifPKiS9_S9_iPKfiiiPfSC_PS2_PT2_iSB_SB_.has_recursion, or(0, .L__assert_fail.has_recursion)
	.set _Z39paged_attention_ll4mi_QKV_mfma16_kernelIDF16_hLN4vllm18Fp8KVCacheDataTypeE1EDF16_Li32ELi128ELi256ELb0ELi5EEvPKT_PKT0_S7_ifPKiS9_S9_iPKfiiiPfSC_PS2_PT2_iSB_SB_.has_indirect_call, or(0, .L__assert_fail.has_indirect_call)
	.section	.AMDGPU.csdata,"",@progbits
; Kernel info:
; codeLenInByte = 68
; TotalNumSgprs: 36
; NumVgprs: 51
; ScratchSize: 64
; MemoryBound: 0
; FloatMode: 240
; IeeeMode: 1
; LDSByteSize: 0 bytes/workgroup (compile time only)
; SGPRBlocks: 0
; VGPRBlocks: 3
; NumSGPRsForWavesPerEU: 36
; NumVGPRsForWavesPerEU: 51
; NamedBarCnt: 0
; Occupancy: 16
; WaveLimiterHint : 1
; COMPUTE_PGM_RSRC2:SCRATCH_EN: 1
; COMPUTE_PGM_RSRC2:USER_SGPR: 2
; COMPUTE_PGM_RSRC2:TRAP_HANDLER: 0
; COMPUTE_PGM_RSRC2:TGID_X_EN: 1
; COMPUTE_PGM_RSRC2:TGID_Y_EN: 0
; COMPUTE_PGM_RSRC2:TGID_Z_EN: 0
; COMPUTE_PGM_RSRC2:TIDIG_COMP_CNT: 0
	.section	.text._Z39paged_attention_ll4mi_QKV_mfma16_kernelIDF16_hLN4vllm18Fp8KVCacheDataTypeE1EDF16_Li32ELi128ELi256ELb0ELi6EEvPKT_PKT0_S7_ifPKiS9_S9_iPKfiiiPfSC_PS2_PT2_iSB_SB_,"axG",@progbits,_Z39paged_attention_ll4mi_QKV_mfma16_kernelIDF16_hLN4vllm18Fp8KVCacheDataTypeE1EDF16_Li32ELi128ELi256ELb0ELi6EEvPKT_PKT0_S7_ifPKiS9_S9_iPKfiiiPfSC_PS2_PT2_iSB_SB_,comdat
	.protected	_Z39paged_attention_ll4mi_QKV_mfma16_kernelIDF16_hLN4vllm18Fp8KVCacheDataTypeE1EDF16_Li32ELi128ELi256ELb0ELi6EEvPKT_PKT0_S7_ifPKiS9_S9_iPKfiiiPfSC_PS2_PT2_iSB_SB_ ; -- Begin function _Z39paged_attention_ll4mi_QKV_mfma16_kernelIDF16_hLN4vllm18Fp8KVCacheDataTypeE1EDF16_Li32ELi128ELi256ELb0ELi6EEvPKT_PKT0_S7_ifPKiS9_S9_iPKfiiiPfSC_PS2_PT2_iSB_SB_
	.globl	_Z39paged_attention_ll4mi_QKV_mfma16_kernelIDF16_hLN4vllm18Fp8KVCacheDataTypeE1EDF16_Li32ELi128ELi256ELb0ELi6EEvPKT_PKT0_S7_ifPKiS9_S9_iPKfiiiPfSC_PS2_PT2_iSB_SB_
	.p2align	8
	.type	_Z39paged_attention_ll4mi_QKV_mfma16_kernelIDF16_hLN4vllm18Fp8KVCacheDataTypeE1EDF16_Li32ELi128ELi256ELb0ELi6EEvPKT_PKT0_S7_ifPKiS9_S9_iPKfiiiPfSC_PS2_PT2_iSB_SB_,@function
_Z39paged_attention_ll4mi_QKV_mfma16_kernelIDF16_hLN4vllm18Fp8KVCacheDataTypeE1EDF16_Li32ELi128ELi256ELb0ELi6EEvPKT_PKT0_S7_ifPKiS9_S9_iPKfiiiPfSC_PS2_PT2_iSB_SB_: ; @_Z39paged_attention_ll4mi_QKV_mfma16_kernelIDF16_hLN4vllm18Fp8KVCacheDataTypeE1EDF16_Li32ELi128ELi256ELb0ELi6EEvPKT_PKT0_S7_ifPKiS9_S9_iPKfiiiPfSC_PS2_PT2_iSB_SB_
; %bb.0:
	s_get_pc_i64 s[2:3]
	s_add_nc_u64 s[2:3], s[2:3], __PRETTY_FUNCTION__._Z39paged_attention_ll4mi_QKV_mfma16_kernelIDF16_hLN4vllm18Fp8KVCacheDataTypeE1EDF16_Li32ELi128ELi256ELb0ELi6EEvPKT_PKT0_S7_ifPKiS9_S9_iPKfiiiPfSC_PS2_PT2_iSB_SB_@rel64+4
	s_delay_alu instid0(SALU_CYCLE_1)
	v_dual_mov_b32 v0, 0xbb3 :: v_dual_mov_b32 v1, s2
	v_mov_b32_e32 v2, s3
	s_add_nc_u64 s[8:9], s[0:1], 0x90
	s_get_pc_i64 s[0:1]
	s_add_nc_u64 s[0:1], s[0:1], __assert_fail@rel64+4
	s_mov_b32 s32, 0
	s_swap_pc_i64 s[30:31], s[0:1]
	.section	.rodata,"a",@progbits
	.p2align	6, 0x0
	.amdhsa_kernel _Z39paged_attention_ll4mi_QKV_mfma16_kernelIDF16_hLN4vllm18Fp8KVCacheDataTypeE1EDF16_Li32ELi128ELi256ELb0ELi6EEvPKT_PKT0_S7_ifPKiS9_S9_iPKfiiiPfSC_PS2_PT2_iSB_SB_
		.amdhsa_group_segment_fixed_size 0
		.amdhsa_private_segment_fixed_size 64
		.amdhsa_kernarg_size 400
		.amdhsa_user_sgpr_count 2
		.amdhsa_user_sgpr_dispatch_ptr 0
		.amdhsa_user_sgpr_queue_ptr 0
		.amdhsa_user_sgpr_kernarg_segment_ptr 1
		.amdhsa_user_sgpr_dispatch_id 0
		.amdhsa_user_sgpr_kernarg_preload_length 0
		.amdhsa_user_sgpr_kernarg_preload_offset 0
		.amdhsa_user_sgpr_private_segment_size 0
		.amdhsa_wavefront_size32 1
		.amdhsa_uses_dynamic_stack 0
		.amdhsa_enable_private_segment 1
		.amdhsa_system_sgpr_workgroup_id_x 1
		.amdhsa_system_sgpr_workgroup_id_y 0
		.amdhsa_system_sgpr_workgroup_id_z 0
		.amdhsa_system_sgpr_workgroup_info 0
		.amdhsa_system_vgpr_workitem_id 0
		.amdhsa_next_free_vgpr 51
		.amdhsa_next_free_sgpr 34
		.amdhsa_named_barrier_count 0
		.amdhsa_reserve_vcc 1
		.amdhsa_float_round_mode_32 0
		.amdhsa_float_round_mode_16_64 0
		.amdhsa_float_denorm_mode_32 3
		.amdhsa_float_denorm_mode_16_64 3
		.amdhsa_fp16_overflow 0
		.amdhsa_memory_ordered 1
		.amdhsa_forward_progress 1
		.amdhsa_inst_pref_size 1
		.amdhsa_round_robin_scheduling 0
		.amdhsa_exception_fp_ieee_invalid_op 0
		.amdhsa_exception_fp_denorm_src 0
		.amdhsa_exception_fp_ieee_div_zero 0
		.amdhsa_exception_fp_ieee_overflow 0
		.amdhsa_exception_fp_ieee_underflow 0
		.amdhsa_exception_fp_ieee_inexact 0
		.amdhsa_exception_int_div_zero 0
	.end_amdhsa_kernel
	.section	.text._Z39paged_attention_ll4mi_QKV_mfma16_kernelIDF16_hLN4vllm18Fp8KVCacheDataTypeE1EDF16_Li32ELi128ELi256ELb0ELi6EEvPKT_PKT0_S7_ifPKiS9_S9_iPKfiiiPfSC_PS2_PT2_iSB_SB_,"axG",@progbits,_Z39paged_attention_ll4mi_QKV_mfma16_kernelIDF16_hLN4vllm18Fp8KVCacheDataTypeE1EDF16_Li32ELi128ELi256ELb0ELi6EEvPKT_PKT0_S7_ifPKiS9_S9_iPKfiiiPfSC_PS2_PT2_iSB_SB_,comdat
.Lfunc_end1075:
	.size	_Z39paged_attention_ll4mi_QKV_mfma16_kernelIDF16_hLN4vllm18Fp8KVCacheDataTypeE1EDF16_Li32ELi128ELi256ELb0ELi6EEvPKT_PKT0_S7_ifPKiS9_S9_iPKfiiiPfSC_PS2_PT2_iSB_SB_, .Lfunc_end1075-_Z39paged_attention_ll4mi_QKV_mfma16_kernelIDF16_hLN4vllm18Fp8KVCacheDataTypeE1EDF16_Li32ELi128ELi256ELb0ELi6EEvPKT_PKT0_S7_ifPKiS9_S9_iPKfiiiPfSC_PS2_PT2_iSB_SB_
                                        ; -- End function
	.set _Z39paged_attention_ll4mi_QKV_mfma16_kernelIDF16_hLN4vllm18Fp8KVCacheDataTypeE1EDF16_Li32ELi128ELi256ELb0ELi6EEvPKT_PKT0_S7_ifPKiS9_S9_iPKfiiiPfSC_PS2_PT2_iSB_SB_.num_vgpr, max(3, .L__assert_fail.num_vgpr)
	.set _Z39paged_attention_ll4mi_QKV_mfma16_kernelIDF16_hLN4vllm18Fp8KVCacheDataTypeE1EDF16_Li32ELi128ELi256ELb0ELi6EEvPKT_PKT0_S7_ifPKiS9_S9_iPKfiiiPfSC_PS2_PT2_iSB_SB_.num_agpr, max(0, .L__assert_fail.num_agpr)
	.set _Z39paged_attention_ll4mi_QKV_mfma16_kernelIDF16_hLN4vllm18Fp8KVCacheDataTypeE1EDF16_Li32ELi128ELi256ELb0ELi6EEvPKT_PKT0_S7_ifPKiS9_S9_iPKfiiiPfSC_PS2_PT2_iSB_SB_.numbered_sgpr, max(33, .L__assert_fail.numbered_sgpr)
	.set _Z39paged_attention_ll4mi_QKV_mfma16_kernelIDF16_hLN4vllm18Fp8KVCacheDataTypeE1EDF16_Li32ELi128ELi256ELb0ELi6EEvPKT_PKT0_S7_ifPKiS9_S9_iPKfiiiPfSC_PS2_PT2_iSB_SB_.num_named_barrier, max(0, .L__assert_fail.num_named_barrier)
	.set _Z39paged_attention_ll4mi_QKV_mfma16_kernelIDF16_hLN4vllm18Fp8KVCacheDataTypeE1EDF16_Li32ELi128ELi256ELb0ELi6EEvPKT_PKT0_S7_ifPKiS9_S9_iPKfiiiPfSC_PS2_PT2_iSB_SB_.private_seg_size, 0+max(.L__assert_fail.private_seg_size)
	.set _Z39paged_attention_ll4mi_QKV_mfma16_kernelIDF16_hLN4vllm18Fp8KVCacheDataTypeE1EDF16_Li32ELi128ELi256ELb0ELi6EEvPKT_PKT0_S7_ifPKiS9_S9_iPKfiiiPfSC_PS2_PT2_iSB_SB_.uses_vcc, or(1, .L__assert_fail.uses_vcc)
	.set _Z39paged_attention_ll4mi_QKV_mfma16_kernelIDF16_hLN4vllm18Fp8KVCacheDataTypeE1EDF16_Li32ELi128ELi256ELb0ELi6EEvPKT_PKT0_S7_ifPKiS9_S9_iPKfiiiPfSC_PS2_PT2_iSB_SB_.uses_flat_scratch, or(0, .L__assert_fail.uses_flat_scratch)
	.set _Z39paged_attention_ll4mi_QKV_mfma16_kernelIDF16_hLN4vllm18Fp8KVCacheDataTypeE1EDF16_Li32ELi128ELi256ELb0ELi6EEvPKT_PKT0_S7_ifPKiS9_S9_iPKfiiiPfSC_PS2_PT2_iSB_SB_.has_dyn_sized_stack, or(0, .L__assert_fail.has_dyn_sized_stack)
	.set _Z39paged_attention_ll4mi_QKV_mfma16_kernelIDF16_hLN4vllm18Fp8KVCacheDataTypeE1EDF16_Li32ELi128ELi256ELb0ELi6EEvPKT_PKT0_S7_ifPKiS9_S9_iPKfiiiPfSC_PS2_PT2_iSB_SB_.has_recursion, or(0, .L__assert_fail.has_recursion)
	.set _Z39paged_attention_ll4mi_QKV_mfma16_kernelIDF16_hLN4vllm18Fp8KVCacheDataTypeE1EDF16_Li32ELi128ELi256ELb0ELi6EEvPKT_PKT0_S7_ifPKiS9_S9_iPKfiiiPfSC_PS2_PT2_iSB_SB_.has_indirect_call, or(0, .L__assert_fail.has_indirect_call)
	.section	.AMDGPU.csdata,"",@progbits
; Kernel info:
; codeLenInByte = 68
; TotalNumSgprs: 36
; NumVgprs: 51
; ScratchSize: 64
; MemoryBound: 0
; FloatMode: 240
; IeeeMode: 1
; LDSByteSize: 0 bytes/workgroup (compile time only)
; SGPRBlocks: 0
; VGPRBlocks: 3
; NumSGPRsForWavesPerEU: 36
; NumVGPRsForWavesPerEU: 51
; NamedBarCnt: 0
; Occupancy: 16
; WaveLimiterHint : 1
; COMPUTE_PGM_RSRC2:SCRATCH_EN: 1
; COMPUTE_PGM_RSRC2:USER_SGPR: 2
; COMPUTE_PGM_RSRC2:TRAP_HANDLER: 0
; COMPUTE_PGM_RSRC2:TGID_X_EN: 1
; COMPUTE_PGM_RSRC2:TGID_Y_EN: 0
; COMPUTE_PGM_RSRC2:TGID_Z_EN: 0
; COMPUTE_PGM_RSRC2:TIDIG_COMP_CNT: 0
	.section	.text._Z39paged_attention_ll4mi_QKV_mfma16_kernelIDF16_hLN4vllm18Fp8KVCacheDataTypeE1EDF16_Li32ELi128ELi256ELb0ELi7EEvPKT_PKT0_S7_ifPKiS9_S9_iPKfiiiPfSC_PS2_PT2_iSB_SB_,"axG",@progbits,_Z39paged_attention_ll4mi_QKV_mfma16_kernelIDF16_hLN4vllm18Fp8KVCacheDataTypeE1EDF16_Li32ELi128ELi256ELb0ELi7EEvPKT_PKT0_S7_ifPKiS9_S9_iPKfiiiPfSC_PS2_PT2_iSB_SB_,comdat
	.protected	_Z39paged_attention_ll4mi_QKV_mfma16_kernelIDF16_hLN4vllm18Fp8KVCacheDataTypeE1EDF16_Li32ELi128ELi256ELb0ELi7EEvPKT_PKT0_S7_ifPKiS9_S9_iPKfiiiPfSC_PS2_PT2_iSB_SB_ ; -- Begin function _Z39paged_attention_ll4mi_QKV_mfma16_kernelIDF16_hLN4vllm18Fp8KVCacheDataTypeE1EDF16_Li32ELi128ELi256ELb0ELi7EEvPKT_PKT0_S7_ifPKiS9_S9_iPKfiiiPfSC_PS2_PT2_iSB_SB_
	.globl	_Z39paged_attention_ll4mi_QKV_mfma16_kernelIDF16_hLN4vllm18Fp8KVCacheDataTypeE1EDF16_Li32ELi128ELi256ELb0ELi7EEvPKT_PKT0_S7_ifPKiS9_S9_iPKfiiiPfSC_PS2_PT2_iSB_SB_
	.p2align	8
	.type	_Z39paged_attention_ll4mi_QKV_mfma16_kernelIDF16_hLN4vllm18Fp8KVCacheDataTypeE1EDF16_Li32ELi128ELi256ELb0ELi7EEvPKT_PKT0_S7_ifPKiS9_S9_iPKfiiiPfSC_PS2_PT2_iSB_SB_,@function
_Z39paged_attention_ll4mi_QKV_mfma16_kernelIDF16_hLN4vllm18Fp8KVCacheDataTypeE1EDF16_Li32ELi128ELi256ELb0ELi7EEvPKT_PKT0_S7_ifPKiS9_S9_iPKfiiiPfSC_PS2_PT2_iSB_SB_: ; @_Z39paged_attention_ll4mi_QKV_mfma16_kernelIDF16_hLN4vllm18Fp8KVCacheDataTypeE1EDF16_Li32ELi128ELi256ELb0ELi7EEvPKT_PKT0_S7_ifPKiS9_S9_iPKfiiiPfSC_PS2_PT2_iSB_SB_
; %bb.0:
	s_get_pc_i64 s[2:3]
	s_add_nc_u64 s[2:3], s[2:3], __PRETTY_FUNCTION__._Z39paged_attention_ll4mi_QKV_mfma16_kernelIDF16_hLN4vllm18Fp8KVCacheDataTypeE1EDF16_Li32ELi128ELi256ELb0ELi7EEvPKT_PKT0_S7_ifPKiS9_S9_iPKfiiiPfSC_PS2_PT2_iSB_SB_@rel64+4
	s_delay_alu instid0(SALU_CYCLE_1)
	v_dual_mov_b32 v0, 0xbb3 :: v_dual_mov_b32 v1, s2
	v_mov_b32_e32 v2, s3
	s_add_nc_u64 s[8:9], s[0:1], 0x90
	s_get_pc_i64 s[0:1]
	s_add_nc_u64 s[0:1], s[0:1], __assert_fail@rel64+4
	s_mov_b32 s32, 0
	s_swap_pc_i64 s[30:31], s[0:1]
	.section	.rodata,"a",@progbits
	.p2align	6, 0x0
	.amdhsa_kernel _Z39paged_attention_ll4mi_QKV_mfma16_kernelIDF16_hLN4vllm18Fp8KVCacheDataTypeE1EDF16_Li32ELi128ELi256ELb0ELi7EEvPKT_PKT0_S7_ifPKiS9_S9_iPKfiiiPfSC_PS2_PT2_iSB_SB_
		.amdhsa_group_segment_fixed_size 0
		.amdhsa_private_segment_fixed_size 64
		.amdhsa_kernarg_size 400
		.amdhsa_user_sgpr_count 2
		.amdhsa_user_sgpr_dispatch_ptr 0
		.amdhsa_user_sgpr_queue_ptr 0
		.amdhsa_user_sgpr_kernarg_segment_ptr 1
		.amdhsa_user_sgpr_dispatch_id 0
		.amdhsa_user_sgpr_kernarg_preload_length 0
		.amdhsa_user_sgpr_kernarg_preload_offset 0
		.amdhsa_user_sgpr_private_segment_size 0
		.amdhsa_wavefront_size32 1
		.amdhsa_uses_dynamic_stack 0
		.amdhsa_enable_private_segment 1
		.amdhsa_system_sgpr_workgroup_id_x 1
		.amdhsa_system_sgpr_workgroup_id_y 0
		.amdhsa_system_sgpr_workgroup_id_z 0
		.amdhsa_system_sgpr_workgroup_info 0
		.amdhsa_system_vgpr_workitem_id 0
		.amdhsa_next_free_vgpr 51
		.amdhsa_next_free_sgpr 34
		.amdhsa_named_barrier_count 0
		.amdhsa_reserve_vcc 1
		.amdhsa_float_round_mode_32 0
		.amdhsa_float_round_mode_16_64 0
		.amdhsa_float_denorm_mode_32 3
		.amdhsa_float_denorm_mode_16_64 3
		.amdhsa_fp16_overflow 0
		.amdhsa_memory_ordered 1
		.amdhsa_forward_progress 1
		.amdhsa_inst_pref_size 1
		.amdhsa_round_robin_scheduling 0
		.amdhsa_exception_fp_ieee_invalid_op 0
		.amdhsa_exception_fp_denorm_src 0
		.amdhsa_exception_fp_ieee_div_zero 0
		.amdhsa_exception_fp_ieee_overflow 0
		.amdhsa_exception_fp_ieee_underflow 0
		.amdhsa_exception_fp_ieee_inexact 0
		.amdhsa_exception_int_div_zero 0
	.end_amdhsa_kernel
	.section	.text._Z39paged_attention_ll4mi_QKV_mfma16_kernelIDF16_hLN4vllm18Fp8KVCacheDataTypeE1EDF16_Li32ELi128ELi256ELb0ELi7EEvPKT_PKT0_S7_ifPKiS9_S9_iPKfiiiPfSC_PS2_PT2_iSB_SB_,"axG",@progbits,_Z39paged_attention_ll4mi_QKV_mfma16_kernelIDF16_hLN4vllm18Fp8KVCacheDataTypeE1EDF16_Li32ELi128ELi256ELb0ELi7EEvPKT_PKT0_S7_ifPKiS9_S9_iPKfiiiPfSC_PS2_PT2_iSB_SB_,comdat
.Lfunc_end1076:
	.size	_Z39paged_attention_ll4mi_QKV_mfma16_kernelIDF16_hLN4vllm18Fp8KVCacheDataTypeE1EDF16_Li32ELi128ELi256ELb0ELi7EEvPKT_PKT0_S7_ifPKiS9_S9_iPKfiiiPfSC_PS2_PT2_iSB_SB_, .Lfunc_end1076-_Z39paged_attention_ll4mi_QKV_mfma16_kernelIDF16_hLN4vllm18Fp8KVCacheDataTypeE1EDF16_Li32ELi128ELi256ELb0ELi7EEvPKT_PKT0_S7_ifPKiS9_S9_iPKfiiiPfSC_PS2_PT2_iSB_SB_
                                        ; -- End function
	.set _Z39paged_attention_ll4mi_QKV_mfma16_kernelIDF16_hLN4vllm18Fp8KVCacheDataTypeE1EDF16_Li32ELi128ELi256ELb0ELi7EEvPKT_PKT0_S7_ifPKiS9_S9_iPKfiiiPfSC_PS2_PT2_iSB_SB_.num_vgpr, max(3, .L__assert_fail.num_vgpr)
	.set _Z39paged_attention_ll4mi_QKV_mfma16_kernelIDF16_hLN4vllm18Fp8KVCacheDataTypeE1EDF16_Li32ELi128ELi256ELb0ELi7EEvPKT_PKT0_S7_ifPKiS9_S9_iPKfiiiPfSC_PS2_PT2_iSB_SB_.num_agpr, max(0, .L__assert_fail.num_agpr)
	.set _Z39paged_attention_ll4mi_QKV_mfma16_kernelIDF16_hLN4vllm18Fp8KVCacheDataTypeE1EDF16_Li32ELi128ELi256ELb0ELi7EEvPKT_PKT0_S7_ifPKiS9_S9_iPKfiiiPfSC_PS2_PT2_iSB_SB_.numbered_sgpr, max(33, .L__assert_fail.numbered_sgpr)
	.set _Z39paged_attention_ll4mi_QKV_mfma16_kernelIDF16_hLN4vllm18Fp8KVCacheDataTypeE1EDF16_Li32ELi128ELi256ELb0ELi7EEvPKT_PKT0_S7_ifPKiS9_S9_iPKfiiiPfSC_PS2_PT2_iSB_SB_.num_named_barrier, max(0, .L__assert_fail.num_named_barrier)
	.set _Z39paged_attention_ll4mi_QKV_mfma16_kernelIDF16_hLN4vllm18Fp8KVCacheDataTypeE1EDF16_Li32ELi128ELi256ELb0ELi7EEvPKT_PKT0_S7_ifPKiS9_S9_iPKfiiiPfSC_PS2_PT2_iSB_SB_.private_seg_size, 0+max(.L__assert_fail.private_seg_size)
	.set _Z39paged_attention_ll4mi_QKV_mfma16_kernelIDF16_hLN4vllm18Fp8KVCacheDataTypeE1EDF16_Li32ELi128ELi256ELb0ELi7EEvPKT_PKT0_S7_ifPKiS9_S9_iPKfiiiPfSC_PS2_PT2_iSB_SB_.uses_vcc, or(1, .L__assert_fail.uses_vcc)
	.set _Z39paged_attention_ll4mi_QKV_mfma16_kernelIDF16_hLN4vllm18Fp8KVCacheDataTypeE1EDF16_Li32ELi128ELi256ELb0ELi7EEvPKT_PKT0_S7_ifPKiS9_S9_iPKfiiiPfSC_PS2_PT2_iSB_SB_.uses_flat_scratch, or(0, .L__assert_fail.uses_flat_scratch)
	.set _Z39paged_attention_ll4mi_QKV_mfma16_kernelIDF16_hLN4vllm18Fp8KVCacheDataTypeE1EDF16_Li32ELi128ELi256ELb0ELi7EEvPKT_PKT0_S7_ifPKiS9_S9_iPKfiiiPfSC_PS2_PT2_iSB_SB_.has_dyn_sized_stack, or(0, .L__assert_fail.has_dyn_sized_stack)
	.set _Z39paged_attention_ll4mi_QKV_mfma16_kernelIDF16_hLN4vllm18Fp8KVCacheDataTypeE1EDF16_Li32ELi128ELi256ELb0ELi7EEvPKT_PKT0_S7_ifPKiS9_S9_iPKfiiiPfSC_PS2_PT2_iSB_SB_.has_recursion, or(0, .L__assert_fail.has_recursion)
	.set _Z39paged_attention_ll4mi_QKV_mfma16_kernelIDF16_hLN4vllm18Fp8KVCacheDataTypeE1EDF16_Li32ELi128ELi256ELb0ELi7EEvPKT_PKT0_S7_ifPKiS9_S9_iPKfiiiPfSC_PS2_PT2_iSB_SB_.has_indirect_call, or(0, .L__assert_fail.has_indirect_call)
	.section	.AMDGPU.csdata,"",@progbits
; Kernel info:
; codeLenInByte = 68
; TotalNumSgprs: 36
; NumVgprs: 51
; ScratchSize: 64
; MemoryBound: 0
; FloatMode: 240
; IeeeMode: 1
; LDSByteSize: 0 bytes/workgroup (compile time only)
; SGPRBlocks: 0
; VGPRBlocks: 3
; NumSGPRsForWavesPerEU: 36
; NumVGPRsForWavesPerEU: 51
; NamedBarCnt: 0
; Occupancy: 16
; WaveLimiterHint : 1
; COMPUTE_PGM_RSRC2:SCRATCH_EN: 1
; COMPUTE_PGM_RSRC2:USER_SGPR: 2
; COMPUTE_PGM_RSRC2:TRAP_HANDLER: 0
; COMPUTE_PGM_RSRC2:TGID_X_EN: 1
; COMPUTE_PGM_RSRC2:TGID_Y_EN: 0
; COMPUTE_PGM_RSRC2:TGID_Z_EN: 0
; COMPUTE_PGM_RSRC2:TIDIG_COMP_CNT: 0
	.section	.text._Z39paged_attention_ll4mi_QKV_mfma16_kernelIDF16_hLN4vllm18Fp8KVCacheDataTypeE1EDF16_Li32ELi128ELi256ELb0ELi8EEvPKT_PKT0_S7_ifPKiS9_S9_iPKfiiiPfSC_PS2_PT2_iSB_SB_,"axG",@progbits,_Z39paged_attention_ll4mi_QKV_mfma16_kernelIDF16_hLN4vllm18Fp8KVCacheDataTypeE1EDF16_Li32ELi128ELi256ELb0ELi8EEvPKT_PKT0_S7_ifPKiS9_S9_iPKfiiiPfSC_PS2_PT2_iSB_SB_,comdat
	.protected	_Z39paged_attention_ll4mi_QKV_mfma16_kernelIDF16_hLN4vllm18Fp8KVCacheDataTypeE1EDF16_Li32ELi128ELi256ELb0ELi8EEvPKT_PKT0_S7_ifPKiS9_S9_iPKfiiiPfSC_PS2_PT2_iSB_SB_ ; -- Begin function _Z39paged_attention_ll4mi_QKV_mfma16_kernelIDF16_hLN4vllm18Fp8KVCacheDataTypeE1EDF16_Li32ELi128ELi256ELb0ELi8EEvPKT_PKT0_S7_ifPKiS9_S9_iPKfiiiPfSC_PS2_PT2_iSB_SB_
	.globl	_Z39paged_attention_ll4mi_QKV_mfma16_kernelIDF16_hLN4vllm18Fp8KVCacheDataTypeE1EDF16_Li32ELi128ELi256ELb0ELi8EEvPKT_PKT0_S7_ifPKiS9_S9_iPKfiiiPfSC_PS2_PT2_iSB_SB_
	.p2align	8
	.type	_Z39paged_attention_ll4mi_QKV_mfma16_kernelIDF16_hLN4vllm18Fp8KVCacheDataTypeE1EDF16_Li32ELi128ELi256ELb0ELi8EEvPKT_PKT0_S7_ifPKiS9_S9_iPKfiiiPfSC_PS2_PT2_iSB_SB_,@function
_Z39paged_attention_ll4mi_QKV_mfma16_kernelIDF16_hLN4vllm18Fp8KVCacheDataTypeE1EDF16_Li32ELi128ELi256ELb0ELi8EEvPKT_PKT0_S7_ifPKiS9_S9_iPKfiiiPfSC_PS2_PT2_iSB_SB_: ; @_Z39paged_attention_ll4mi_QKV_mfma16_kernelIDF16_hLN4vllm18Fp8KVCacheDataTypeE1EDF16_Li32ELi128ELi256ELb0ELi8EEvPKT_PKT0_S7_ifPKiS9_S9_iPKfiiiPfSC_PS2_PT2_iSB_SB_
; %bb.0:
	s_get_pc_i64 s[2:3]
	s_add_nc_u64 s[2:3], s[2:3], __PRETTY_FUNCTION__._Z39paged_attention_ll4mi_QKV_mfma16_kernelIDF16_hLN4vllm18Fp8KVCacheDataTypeE1EDF16_Li32ELi128ELi256ELb0ELi8EEvPKT_PKT0_S7_ifPKiS9_S9_iPKfiiiPfSC_PS2_PT2_iSB_SB_@rel64+4
	s_delay_alu instid0(SALU_CYCLE_1)
	v_dual_mov_b32 v0, 0xbb3 :: v_dual_mov_b32 v1, s2
	v_mov_b32_e32 v2, s3
	s_add_nc_u64 s[8:9], s[0:1], 0x90
	s_get_pc_i64 s[0:1]
	s_add_nc_u64 s[0:1], s[0:1], __assert_fail@rel64+4
	s_mov_b32 s32, 0
	s_swap_pc_i64 s[30:31], s[0:1]
	.section	.rodata,"a",@progbits
	.p2align	6, 0x0
	.amdhsa_kernel _Z39paged_attention_ll4mi_QKV_mfma16_kernelIDF16_hLN4vllm18Fp8KVCacheDataTypeE1EDF16_Li32ELi128ELi256ELb0ELi8EEvPKT_PKT0_S7_ifPKiS9_S9_iPKfiiiPfSC_PS2_PT2_iSB_SB_
		.amdhsa_group_segment_fixed_size 0
		.amdhsa_private_segment_fixed_size 64
		.amdhsa_kernarg_size 400
		.amdhsa_user_sgpr_count 2
		.amdhsa_user_sgpr_dispatch_ptr 0
		.amdhsa_user_sgpr_queue_ptr 0
		.amdhsa_user_sgpr_kernarg_segment_ptr 1
		.amdhsa_user_sgpr_dispatch_id 0
		.amdhsa_user_sgpr_kernarg_preload_length 0
		.amdhsa_user_sgpr_kernarg_preload_offset 0
		.amdhsa_user_sgpr_private_segment_size 0
		.amdhsa_wavefront_size32 1
		.amdhsa_uses_dynamic_stack 0
		.amdhsa_enable_private_segment 1
		.amdhsa_system_sgpr_workgroup_id_x 1
		.amdhsa_system_sgpr_workgroup_id_y 0
		.amdhsa_system_sgpr_workgroup_id_z 0
		.amdhsa_system_sgpr_workgroup_info 0
		.amdhsa_system_vgpr_workitem_id 0
		.amdhsa_next_free_vgpr 51
		.amdhsa_next_free_sgpr 34
		.amdhsa_named_barrier_count 0
		.amdhsa_reserve_vcc 1
		.amdhsa_float_round_mode_32 0
		.amdhsa_float_round_mode_16_64 0
		.amdhsa_float_denorm_mode_32 3
		.amdhsa_float_denorm_mode_16_64 3
		.amdhsa_fp16_overflow 0
		.amdhsa_memory_ordered 1
		.amdhsa_forward_progress 1
		.amdhsa_inst_pref_size 1
		.amdhsa_round_robin_scheduling 0
		.amdhsa_exception_fp_ieee_invalid_op 0
		.amdhsa_exception_fp_denorm_src 0
		.amdhsa_exception_fp_ieee_div_zero 0
		.amdhsa_exception_fp_ieee_overflow 0
		.amdhsa_exception_fp_ieee_underflow 0
		.amdhsa_exception_fp_ieee_inexact 0
		.amdhsa_exception_int_div_zero 0
	.end_amdhsa_kernel
	.section	.text._Z39paged_attention_ll4mi_QKV_mfma16_kernelIDF16_hLN4vllm18Fp8KVCacheDataTypeE1EDF16_Li32ELi128ELi256ELb0ELi8EEvPKT_PKT0_S7_ifPKiS9_S9_iPKfiiiPfSC_PS2_PT2_iSB_SB_,"axG",@progbits,_Z39paged_attention_ll4mi_QKV_mfma16_kernelIDF16_hLN4vllm18Fp8KVCacheDataTypeE1EDF16_Li32ELi128ELi256ELb0ELi8EEvPKT_PKT0_S7_ifPKiS9_S9_iPKfiiiPfSC_PS2_PT2_iSB_SB_,comdat
.Lfunc_end1077:
	.size	_Z39paged_attention_ll4mi_QKV_mfma16_kernelIDF16_hLN4vllm18Fp8KVCacheDataTypeE1EDF16_Li32ELi128ELi256ELb0ELi8EEvPKT_PKT0_S7_ifPKiS9_S9_iPKfiiiPfSC_PS2_PT2_iSB_SB_, .Lfunc_end1077-_Z39paged_attention_ll4mi_QKV_mfma16_kernelIDF16_hLN4vllm18Fp8KVCacheDataTypeE1EDF16_Li32ELi128ELi256ELb0ELi8EEvPKT_PKT0_S7_ifPKiS9_S9_iPKfiiiPfSC_PS2_PT2_iSB_SB_
                                        ; -- End function
	.set _Z39paged_attention_ll4mi_QKV_mfma16_kernelIDF16_hLN4vllm18Fp8KVCacheDataTypeE1EDF16_Li32ELi128ELi256ELb0ELi8EEvPKT_PKT0_S7_ifPKiS9_S9_iPKfiiiPfSC_PS2_PT2_iSB_SB_.num_vgpr, max(3, .L__assert_fail.num_vgpr)
	.set _Z39paged_attention_ll4mi_QKV_mfma16_kernelIDF16_hLN4vllm18Fp8KVCacheDataTypeE1EDF16_Li32ELi128ELi256ELb0ELi8EEvPKT_PKT0_S7_ifPKiS9_S9_iPKfiiiPfSC_PS2_PT2_iSB_SB_.num_agpr, max(0, .L__assert_fail.num_agpr)
	.set _Z39paged_attention_ll4mi_QKV_mfma16_kernelIDF16_hLN4vllm18Fp8KVCacheDataTypeE1EDF16_Li32ELi128ELi256ELb0ELi8EEvPKT_PKT0_S7_ifPKiS9_S9_iPKfiiiPfSC_PS2_PT2_iSB_SB_.numbered_sgpr, max(33, .L__assert_fail.numbered_sgpr)
	.set _Z39paged_attention_ll4mi_QKV_mfma16_kernelIDF16_hLN4vllm18Fp8KVCacheDataTypeE1EDF16_Li32ELi128ELi256ELb0ELi8EEvPKT_PKT0_S7_ifPKiS9_S9_iPKfiiiPfSC_PS2_PT2_iSB_SB_.num_named_barrier, max(0, .L__assert_fail.num_named_barrier)
	.set _Z39paged_attention_ll4mi_QKV_mfma16_kernelIDF16_hLN4vllm18Fp8KVCacheDataTypeE1EDF16_Li32ELi128ELi256ELb0ELi8EEvPKT_PKT0_S7_ifPKiS9_S9_iPKfiiiPfSC_PS2_PT2_iSB_SB_.private_seg_size, 0+max(.L__assert_fail.private_seg_size)
	.set _Z39paged_attention_ll4mi_QKV_mfma16_kernelIDF16_hLN4vllm18Fp8KVCacheDataTypeE1EDF16_Li32ELi128ELi256ELb0ELi8EEvPKT_PKT0_S7_ifPKiS9_S9_iPKfiiiPfSC_PS2_PT2_iSB_SB_.uses_vcc, or(1, .L__assert_fail.uses_vcc)
	.set _Z39paged_attention_ll4mi_QKV_mfma16_kernelIDF16_hLN4vllm18Fp8KVCacheDataTypeE1EDF16_Li32ELi128ELi256ELb0ELi8EEvPKT_PKT0_S7_ifPKiS9_S9_iPKfiiiPfSC_PS2_PT2_iSB_SB_.uses_flat_scratch, or(0, .L__assert_fail.uses_flat_scratch)
	.set _Z39paged_attention_ll4mi_QKV_mfma16_kernelIDF16_hLN4vllm18Fp8KVCacheDataTypeE1EDF16_Li32ELi128ELi256ELb0ELi8EEvPKT_PKT0_S7_ifPKiS9_S9_iPKfiiiPfSC_PS2_PT2_iSB_SB_.has_dyn_sized_stack, or(0, .L__assert_fail.has_dyn_sized_stack)
	.set _Z39paged_attention_ll4mi_QKV_mfma16_kernelIDF16_hLN4vllm18Fp8KVCacheDataTypeE1EDF16_Li32ELi128ELi256ELb0ELi8EEvPKT_PKT0_S7_ifPKiS9_S9_iPKfiiiPfSC_PS2_PT2_iSB_SB_.has_recursion, or(0, .L__assert_fail.has_recursion)
	.set _Z39paged_attention_ll4mi_QKV_mfma16_kernelIDF16_hLN4vllm18Fp8KVCacheDataTypeE1EDF16_Li32ELi128ELi256ELb0ELi8EEvPKT_PKT0_S7_ifPKiS9_S9_iPKfiiiPfSC_PS2_PT2_iSB_SB_.has_indirect_call, or(0, .L__assert_fail.has_indirect_call)
	.section	.AMDGPU.csdata,"",@progbits
; Kernel info:
; codeLenInByte = 68
; TotalNumSgprs: 36
; NumVgprs: 51
; ScratchSize: 64
; MemoryBound: 0
; FloatMode: 240
; IeeeMode: 1
; LDSByteSize: 0 bytes/workgroup (compile time only)
; SGPRBlocks: 0
; VGPRBlocks: 3
; NumSGPRsForWavesPerEU: 36
; NumVGPRsForWavesPerEU: 51
; NamedBarCnt: 0
; Occupancy: 16
; WaveLimiterHint : 1
; COMPUTE_PGM_RSRC2:SCRATCH_EN: 1
; COMPUTE_PGM_RSRC2:USER_SGPR: 2
; COMPUTE_PGM_RSRC2:TRAP_HANDLER: 0
; COMPUTE_PGM_RSRC2:TGID_X_EN: 1
; COMPUTE_PGM_RSRC2:TGID_Y_EN: 0
; COMPUTE_PGM_RSRC2:TGID_Z_EN: 0
; COMPUTE_PGM_RSRC2:TIDIG_COMP_CNT: 0
	.section	.text._Z39paged_attention_ll4mi_QKV_mfma16_kernelIDF16_hLN4vllm18Fp8KVCacheDataTypeE1EDF16_Li32ELi128ELi256ELb0ELi9EEvPKT_PKT0_S7_ifPKiS9_S9_iPKfiiiPfSC_PS2_PT2_iSB_SB_,"axG",@progbits,_Z39paged_attention_ll4mi_QKV_mfma16_kernelIDF16_hLN4vllm18Fp8KVCacheDataTypeE1EDF16_Li32ELi128ELi256ELb0ELi9EEvPKT_PKT0_S7_ifPKiS9_S9_iPKfiiiPfSC_PS2_PT2_iSB_SB_,comdat
	.protected	_Z39paged_attention_ll4mi_QKV_mfma16_kernelIDF16_hLN4vllm18Fp8KVCacheDataTypeE1EDF16_Li32ELi128ELi256ELb0ELi9EEvPKT_PKT0_S7_ifPKiS9_S9_iPKfiiiPfSC_PS2_PT2_iSB_SB_ ; -- Begin function _Z39paged_attention_ll4mi_QKV_mfma16_kernelIDF16_hLN4vllm18Fp8KVCacheDataTypeE1EDF16_Li32ELi128ELi256ELb0ELi9EEvPKT_PKT0_S7_ifPKiS9_S9_iPKfiiiPfSC_PS2_PT2_iSB_SB_
	.globl	_Z39paged_attention_ll4mi_QKV_mfma16_kernelIDF16_hLN4vllm18Fp8KVCacheDataTypeE1EDF16_Li32ELi128ELi256ELb0ELi9EEvPKT_PKT0_S7_ifPKiS9_S9_iPKfiiiPfSC_PS2_PT2_iSB_SB_
	.p2align	8
	.type	_Z39paged_attention_ll4mi_QKV_mfma16_kernelIDF16_hLN4vllm18Fp8KVCacheDataTypeE1EDF16_Li32ELi128ELi256ELb0ELi9EEvPKT_PKT0_S7_ifPKiS9_S9_iPKfiiiPfSC_PS2_PT2_iSB_SB_,@function
_Z39paged_attention_ll4mi_QKV_mfma16_kernelIDF16_hLN4vllm18Fp8KVCacheDataTypeE1EDF16_Li32ELi128ELi256ELb0ELi9EEvPKT_PKT0_S7_ifPKiS9_S9_iPKfiiiPfSC_PS2_PT2_iSB_SB_: ; @_Z39paged_attention_ll4mi_QKV_mfma16_kernelIDF16_hLN4vllm18Fp8KVCacheDataTypeE1EDF16_Li32ELi128ELi256ELb0ELi9EEvPKT_PKT0_S7_ifPKiS9_S9_iPKfiiiPfSC_PS2_PT2_iSB_SB_
; %bb.0:
	s_get_pc_i64 s[2:3]
	s_add_nc_u64 s[2:3], s[2:3], __PRETTY_FUNCTION__._Z39paged_attention_ll4mi_QKV_mfma16_kernelIDF16_hLN4vllm18Fp8KVCacheDataTypeE1EDF16_Li32ELi128ELi256ELb0ELi9EEvPKT_PKT0_S7_ifPKiS9_S9_iPKfiiiPfSC_PS2_PT2_iSB_SB_@rel64+4
	s_delay_alu instid0(SALU_CYCLE_1)
	v_dual_mov_b32 v0, 0xbb3 :: v_dual_mov_b32 v1, s2
	v_mov_b32_e32 v2, s3
	s_add_nc_u64 s[8:9], s[0:1], 0x90
	s_get_pc_i64 s[0:1]
	s_add_nc_u64 s[0:1], s[0:1], __assert_fail@rel64+4
	s_mov_b32 s32, 0
	s_swap_pc_i64 s[30:31], s[0:1]
	.section	.rodata,"a",@progbits
	.p2align	6, 0x0
	.amdhsa_kernel _Z39paged_attention_ll4mi_QKV_mfma16_kernelIDF16_hLN4vllm18Fp8KVCacheDataTypeE1EDF16_Li32ELi128ELi256ELb0ELi9EEvPKT_PKT0_S7_ifPKiS9_S9_iPKfiiiPfSC_PS2_PT2_iSB_SB_
		.amdhsa_group_segment_fixed_size 0
		.amdhsa_private_segment_fixed_size 64
		.amdhsa_kernarg_size 400
		.amdhsa_user_sgpr_count 2
		.amdhsa_user_sgpr_dispatch_ptr 0
		.amdhsa_user_sgpr_queue_ptr 0
		.amdhsa_user_sgpr_kernarg_segment_ptr 1
		.amdhsa_user_sgpr_dispatch_id 0
		.amdhsa_user_sgpr_kernarg_preload_length 0
		.amdhsa_user_sgpr_kernarg_preload_offset 0
		.amdhsa_user_sgpr_private_segment_size 0
		.amdhsa_wavefront_size32 1
		.amdhsa_uses_dynamic_stack 0
		.amdhsa_enable_private_segment 1
		.amdhsa_system_sgpr_workgroup_id_x 1
		.amdhsa_system_sgpr_workgroup_id_y 0
		.amdhsa_system_sgpr_workgroup_id_z 0
		.amdhsa_system_sgpr_workgroup_info 0
		.amdhsa_system_vgpr_workitem_id 0
		.amdhsa_next_free_vgpr 51
		.amdhsa_next_free_sgpr 34
		.amdhsa_named_barrier_count 0
		.amdhsa_reserve_vcc 1
		.amdhsa_float_round_mode_32 0
		.amdhsa_float_round_mode_16_64 0
		.amdhsa_float_denorm_mode_32 3
		.amdhsa_float_denorm_mode_16_64 3
		.amdhsa_fp16_overflow 0
		.amdhsa_memory_ordered 1
		.amdhsa_forward_progress 1
		.amdhsa_inst_pref_size 1
		.amdhsa_round_robin_scheduling 0
		.amdhsa_exception_fp_ieee_invalid_op 0
		.amdhsa_exception_fp_denorm_src 0
		.amdhsa_exception_fp_ieee_div_zero 0
		.amdhsa_exception_fp_ieee_overflow 0
		.amdhsa_exception_fp_ieee_underflow 0
		.amdhsa_exception_fp_ieee_inexact 0
		.amdhsa_exception_int_div_zero 0
	.end_amdhsa_kernel
	.section	.text._Z39paged_attention_ll4mi_QKV_mfma16_kernelIDF16_hLN4vllm18Fp8KVCacheDataTypeE1EDF16_Li32ELi128ELi256ELb0ELi9EEvPKT_PKT0_S7_ifPKiS9_S9_iPKfiiiPfSC_PS2_PT2_iSB_SB_,"axG",@progbits,_Z39paged_attention_ll4mi_QKV_mfma16_kernelIDF16_hLN4vllm18Fp8KVCacheDataTypeE1EDF16_Li32ELi128ELi256ELb0ELi9EEvPKT_PKT0_S7_ifPKiS9_S9_iPKfiiiPfSC_PS2_PT2_iSB_SB_,comdat
.Lfunc_end1078:
	.size	_Z39paged_attention_ll4mi_QKV_mfma16_kernelIDF16_hLN4vllm18Fp8KVCacheDataTypeE1EDF16_Li32ELi128ELi256ELb0ELi9EEvPKT_PKT0_S7_ifPKiS9_S9_iPKfiiiPfSC_PS2_PT2_iSB_SB_, .Lfunc_end1078-_Z39paged_attention_ll4mi_QKV_mfma16_kernelIDF16_hLN4vllm18Fp8KVCacheDataTypeE1EDF16_Li32ELi128ELi256ELb0ELi9EEvPKT_PKT0_S7_ifPKiS9_S9_iPKfiiiPfSC_PS2_PT2_iSB_SB_
                                        ; -- End function
	.set _Z39paged_attention_ll4mi_QKV_mfma16_kernelIDF16_hLN4vllm18Fp8KVCacheDataTypeE1EDF16_Li32ELi128ELi256ELb0ELi9EEvPKT_PKT0_S7_ifPKiS9_S9_iPKfiiiPfSC_PS2_PT2_iSB_SB_.num_vgpr, max(3, .L__assert_fail.num_vgpr)
	.set _Z39paged_attention_ll4mi_QKV_mfma16_kernelIDF16_hLN4vllm18Fp8KVCacheDataTypeE1EDF16_Li32ELi128ELi256ELb0ELi9EEvPKT_PKT0_S7_ifPKiS9_S9_iPKfiiiPfSC_PS2_PT2_iSB_SB_.num_agpr, max(0, .L__assert_fail.num_agpr)
	.set _Z39paged_attention_ll4mi_QKV_mfma16_kernelIDF16_hLN4vllm18Fp8KVCacheDataTypeE1EDF16_Li32ELi128ELi256ELb0ELi9EEvPKT_PKT0_S7_ifPKiS9_S9_iPKfiiiPfSC_PS2_PT2_iSB_SB_.numbered_sgpr, max(33, .L__assert_fail.numbered_sgpr)
	.set _Z39paged_attention_ll4mi_QKV_mfma16_kernelIDF16_hLN4vllm18Fp8KVCacheDataTypeE1EDF16_Li32ELi128ELi256ELb0ELi9EEvPKT_PKT0_S7_ifPKiS9_S9_iPKfiiiPfSC_PS2_PT2_iSB_SB_.num_named_barrier, max(0, .L__assert_fail.num_named_barrier)
	.set _Z39paged_attention_ll4mi_QKV_mfma16_kernelIDF16_hLN4vllm18Fp8KVCacheDataTypeE1EDF16_Li32ELi128ELi256ELb0ELi9EEvPKT_PKT0_S7_ifPKiS9_S9_iPKfiiiPfSC_PS2_PT2_iSB_SB_.private_seg_size, 0+max(.L__assert_fail.private_seg_size)
	.set _Z39paged_attention_ll4mi_QKV_mfma16_kernelIDF16_hLN4vllm18Fp8KVCacheDataTypeE1EDF16_Li32ELi128ELi256ELb0ELi9EEvPKT_PKT0_S7_ifPKiS9_S9_iPKfiiiPfSC_PS2_PT2_iSB_SB_.uses_vcc, or(1, .L__assert_fail.uses_vcc)
	.set _Z39paged_attention_ll4mi_QKV_mfma16_kernelIDF16_hLN4vllm18Fp8KVCacheDataTypeE1EDF16_Li32ELi128ELi256ELb0ELi9EEvPKT_PKT0_S7_ifPKiS9_S9_iPKfiiiPfSC_PS2_PT2_iSB_SB_.uses_flat_scratch, or(0, .L__assert_fail.uses_flat_scratch)
	.set _Z39paged_attention_ll4mi_QKV_mfma16_kernelIDF16_hLN4vllm18Fp8KVCacheDataTypeE1EDF16_Li32ELi128ELi256ELb0ELi9EEvPKT_PKT0_S7_ifPKiS9_S9_iPKfiiiPfSC_PS2_PT2_iSB_SB_.has_dyn_sized_stack, or(0, .L__assert_fail.has_dyn_sized_stack)
	.set _Z39paged_attention_ll4mi_QKV_mfma16_kernelIDF16_hLN4vllm18Fp8KVCacheDataTypeE1EDF16_Li32ELi128ELi256ELb0ELi9EEvPKT_PKT0_S7_ifPKiS9_S9_iPKfiiiPfSC_PS2_PT2_iSB_SB_.has_recursion, or(0, .L__assert_fail.has_recursion)
	.set _Z39paged_attention_ll4mi_QKV_mfma16_kernelIDF16_hLN4vllm18Fp8KVCacheDataTypeE1EDF16_Li32ELi128ELi256ELb0ELi9EEvPKT_PKT0_S7_ifPKiS9_S9_iPKfiiiPfSC_PS2_PT2_iSB_SB_.has_indirect_call, or(0, .L__assert_fail.has_indirect_call)
	.section	.AMDGPU.csdata,"",@progbits
; Kernel info:
; codeLenInByte = 68
; TotalNumSgprs: 36
; NumVgprs: 51
; ScratchSize: 64
; MemoryBound: 0
; FloatMode: 240
; IeeeMode: 1
; LDSByteSize: 0 bytes/workgroup (compile time only)
; SGPRBlocks: 0
; VGPRBlocks: 3
; NumSGPRsForWavesPerEU: 36
; NumVGPRsForWavesPerEU: 51
; NamedBarCnt: 0
; Occupancy: 16
; WaveLimiterHint : 1
; COMPUTE_PGM_RSRC2:SCRATCH_EN: 1
; COMPUTE_PGM_RSRC2:USER_SGPR: 2
; COMPUTE_PGM_RSRC2:TRAP_HANDLER: 0
; COMPUTE_PGM_RSRC2:TGID_X_EN: 1
; COMPUTE_PGM_RSRC2:TGID_Y_EN: 0
; COMPUTE_PGM_RSRC2:TGID_Z_EN: 0
; COMPUTE_PGM_RSRC2:TIDIG_COMP_CNT: 0
	.section	.text._Z39paged_attention_ll4mi_QKV_mfma16_kernelIDF16_hLN4vllm18Fp8KVCacheDataTypeE1EDF16_Li32ELi128ELi256ELb0ELi10EEvPKT_PKT0_S7_ifPKiS9_S9_iPKfiiiPfSC_PS2_PT2_iSB_SB_,"axG",@progbits,_Z39paged_attention_ll4mi_QKV_mfma16_kernelIDF16_hLN4vllm18Fp8KVCacheDataTypeE1EDF16_Li32ELi128ELi256ELb0ELi10EEvPKT_PKT0_S7_ifPKiS9_S9_iPKfiiiPfSC_PS2_PT2_iSB_SB_,comdat
	.protected	_Z39paged_attention_ll4mi_QKV_mfma16_kernelIDF16_hLN4vllm18Fp8KVCacheDataTypeE1EDF16_Li32ELi128ELi256ELb0ELi10EEvPKT_PKT0_S7_ifPKiS9_S9_iPKfiiiPfSC_PS2_PT2_iSB_SB_ ; -- Begin function _Z39paged_attention_ll4mi_QKV_mfma16_kernelIDF16_hLN4vllm18Fp8KVCacheDataTypeE1EDF16_Li32ELi128ELi256ELb0ELi10EEvPKT_PKT0_S7_ifPKiS9_S9_iPKfiiiPfSC_PS2_PT2_iSB_SB_
	.globl	_Z39paged_attention_ll4mi_QKV_mfma16_kernelIDF16_hLN4vllm18Fp8KVCacheDataTypeE1EDF16_Li32ELi128ELi256ELb0ELi10EEvPKT_PKT0_S7_ifPKiS9_S9_iPKfiiiPfSC_PS2_PT2_iSB_SB_
	.p2align	8
	.type	_Z39paged_attention_ll4mi_QKV_mfma16_kernelIDF16_hLN4vllm18Fp8KVCacheDataTypeE1EDF16_Li32ELi128ELi256ELb0ELi10EEvPKT_PKT0_S7_ifPKiS9_S9_iPKfiiiPfSC_PS2_PT2_iSB_SB_,@function
_Z39paged_attention_ll4mi_QKV_mfma16_kernelIDF16_hLN4vllm18Fp8KVCacheDataTypeE1EDF16_Li32ELi128ELi256ELb0ELi10EEvPKT_PKT0_S7_ifPKiS9_S9_iPKfiiiPfSC_PS2_PT2_iSB_SB_: ; @_Z39paged_attention_ll4mi_QKV_mfma16_kernelIDF16_hLN4vllm18Fp8KVCacheDataTypeE1EDF16_Li32ELi128ELi256ELb0ELi10EEvPKT_PKT0_S7_ifPKiS9_S9_iPKfiiiPfSC_PS2_PT2_iSB_SB_
; %bb.0:
	s_get_pc_i64 s[2:3]
	s_add_nc_u64 s[2:3], s[2:3], __PRETTY_FUNCTION__._Z39paged_attention_ll4mi_QKV_mfma16_kernelIDF16_hLN4vllm18Fp8KVCacheDataTypeE1EDF16_Li32ELi128ELi256ELb0ELi10EEvPKT_PKT0_S7_ifPKiS9_S9_iPKfiiiPfSC_PS2_PT2_iSB_SB_@rel64+4
	s_delay_alu instid0(SALU_CYCLE_1)
	v_dual_mov_b32 v0, 0xbb3 :: v_dual_mov_b32 v1, s2
	v_mov_b32_e32 v2, s3
	s_add_nc_u64 s[8:9], s[0:1], 0x90
	s_get_pc_i64 s[0:1]
	s_add_nc_u64 s[0:1], s[0:1], __assert_fail@rel64+4
	s_mov_b32 s32, 0
	s_swap_pc_i64 s[30:31], s[0:1]
	.section	.rodata,"a",@progbits
	.p2align	6, 0x0
	.amdhsa_kernel _Z39paged_attention_ll4mi_QKV_mfma16_kernelIDF16_hLN4vllm18Fp8KVCacheDataTypeE1EDF16_Li32ELi128ELi256ELb0ELi10EEvPKT_PKT0_S7_ifPKiS9_S9_iPKfiiiPfSC_PS2_PT2_iSB_SB_
		.amdhsa_group_segment_fixed_size 0
		.amdhsa_private_segment_fixed_size 64
		.amdhsa_kernarg_size 400
		.amdhsa_user_sgpr_count 2
		.amdhsa_user_sgpr_dispatch_ptr 0
		.amdhsa_user_sgpr_queue_ptr 0
		.amdhsa_user_sgpr_kernarg_segment_ptr 1
		.amdhsa_user_sgpr_dispatch_id 0
		.amdhsa_user_sgpr_kernarg_preload_length 0
		.amdhsa_user_sgpr_kernarg_preload_offset 0
		.amdhsa_user_sgpr_private_segment_size 0
		.amdhsa_wavefront_size32 1
		.amdhsa_uses_dynamic_stack 0
		.amdhsa_enable_private_segment 1
		.amdhsa_system_sgpr_workgroup_id_x 1
		.amdhsa_system_sgpr_workgroup_id_y 0
		.amdhsa_system_sgpr_workgroup_id_z 0
		.amdhsa_system_sgpr_workgroup_info 0
		.amdhsa_system_vgpr_workitem_id 0
		.amdhsa_next_free_vgpr 51
		.amdhsa_next_free_sgpr 34
		.amdhsa_named_barrier_count 0
		.amdhsa_reserve_vcc 1
		.amdhsa_float_round_mode_32 0
		.amdhsa_float_round_mode_16_64 0
		.amdhsa_float_denorm_mode_32 3
		.amdhsa_float_denorm_mode_16_64 3
		.amdhsa_fp16_overflow 0
		.amdhsa_memory_ordered 1
		.amdhsa_forward_progress 1
		.amdhsa_inst_pref_size 1
		.amdhsa_round_robin_scheduling 0
		.amdhsa_exception_fp_ieee_invalid_op 0
		.amdhsa_exception_fp_denorm_src 0
		.amdhsa_exception_fp_ieee_div_zero 0
		.amdhsa_exception_fp_ieee_overflow 0
		.amdhsa_exception_fp_ieee_underflow 0
		.amdhsa_exception_fp_ieee_inexact 0
		.amdhsa_exception_int_div_zero 0
	.end_amdhsa_kernel
	.section	.text._Z39paged_attention_ll4mi_QKV_mfma16_kernelIDF16_hLN4vllm18Fp8KVCacheDataTypeE1EDF16_Li32ELi128ELi256ELb0ELi10EEvPKT_PKT0_S7_ifPKiS9_S9_iPKfiiiPfSC_PS2_PT2_iSB_SB_,"axG",@progbits,_Z39paged_attention_ll4mi_QKV_mfma16_kernelIDF16_hLN4vllm18Fp8KVCacheDataTypeE1EDF16_Li32ELi128ELi256ELb0ELi10EEvPKT_PKT0_S7_ifPKiS9_S9_iPKfiiiPfSC_PS2_PT2_iSB_SB_,comdat
.Lfunc_end1079:
	.size	_Z39paged_attention_ll4mi_QKV_mfma16_kernelIDF16_hLN4vllm18Fp8KVCacheDataTypeE1EDF16_Li32ELi128ELi256ELb0ELi10EEvPKT_PKT0_S7_ifPKiS9_S9_iPKfiiiPfSC_PS2_PT2_iSB_SB_, .Lfunc_end1079-_Z39paged_attention_ll4mi_QKV_mfma16_kernelIDF16_hLN4vllm18Fp8KVCacheDataTypeE1EDF16_Li32ELi128ELi256ELb0ELi10EEvPKT_PKT0_S7_ifPKiS9_S9_iPKfiiiPfSC_PS2_PT2_iSB_SB_
                                        ; -- End function
	.set _Z39paged_attention_ll4mi_QKV_mfma16_kernelIDF16_hLN4vllm18Fp8KVCacheDataTypeE1EDF16_Li32ELi128ELi256ELb0ELi10EEvPKT_PKT0_S7_ifPKiS9_S9_iPKfiiiPfSC_PS2_PT2_iSB_SB_.num_vgpr, max(3, .L__assert_fail.num_vgpr)
	.set _Z39paged_attention_ll4mi_QKV_mfma16_kernelIDF16_hLN4vllm18Fp8KVCacheDataTypeE1EDF16_Li32ELi128ELi256ELb0ELi10EEvPKT_PKT0_S7_ifPKiS9_S9_iPKfiiiPfSC_PS2_PT2_iSB_SB_.num_agpr, max(0, .L__assert_fail.num_agpr)
	.set _Z39paged_attention_ll4mi_QKV_mfma16_kernelIDF16_hLN4vllm18Fp8KVCacheDataTypeE1EDF16_Li32ELi128ELi256ELb0ELi10EEvPKT_PKT0_S7_ifPKiS9_S9_iPKfiiiPfSC_PS2_PT2_iSB_SB_.numbered_sgpr, max(33, .L__assert_fail.numbered_sgpr)
	.set _Z39paged_attention_ll4mi_QKV_mfma16_kernelIDF16_hLN4vllm18Fp8KVCacheDataTypeE1EDF16_Li32ELi128ELi256ELb0ELi10EEvPKT_PKT0_S7_ifPKiS9_S9_iPKfiiiPfSC_PS2_PT2_iSB_SB_.num_named_barrier, max(0, .L__assert_fail.num_named_barrier)
	.set _Z39paged_attention_ll4mi_QKV_mfma16_kernelIDF16_hLN4vllm18Fp8KVCacheDataTypeE1EDF16_Li32ELi128ELi256ELb0ELi10EEvPKT_PKT0_S7_ifPKiS9_S9_iPKfiiiPfSC_PS2_PT2_iSB_SB_.private_seg_size, 0+max(.L__assert_fail.private_seg_size)
	.set _Z39paged_attention_ll4mi_QKV_mfma16_kernelIDF16_hLN4vllm18Fp8KVCacheDataTypeE1EDF16_Li32ELi128ELi256ELb0ELi10EEvPKT_PKT0_S7_ifPKiS9_S9_iPKfiiiPfSC_PS2_PT2_iSB_SB_.uses_vcc, or(1, .L__assert_fail.uses_vcc)
	.set _Z39paged_attention_ll4mi_QKV_mfma16_kernelIDF16_hLN4vllm18Fp8KVCacheDataTypeE1EDF16_Li32ELi128ELi256ELb0ELi10EEvPKT_PKT0_S7_ifPKiS9_S9_iPKfiiiPfSC_PS2_PT2_iSB_SB_.uses_flat_scratch, or(0, .L__assert_fail.uses_flat_scratch)
	.set _Z39paged_attention_ll4mi_QKV_mfma16_kernelIDF16_hLN4vllm18Fp8KVCacheDataTypeE1EDF16_Li32ELi128ELi256ELb0ELi10EEvPKT_PKT0_S7_ifPKiS9_S9_iPKfiiiPfSC_PS2_PT2_iSB_SB_.has_dyn_sized_stack, or(0, .L__assert_fail.has_dyn_sized_stack)
	.set _Z39paged_attention_ll4mi_QKV_mfma16_kernelIDF16_hLN4vllm18Fp8KVCacheDataTypeE1EDF16_Li32ELi128ELi256ELb0ELi10EEvPKT_PKT0_S7_ifPKiS9_S9_iPKfiiiPfSC_PS2_PT2_iSB_SB_.has_recursion, or(0, .L__assert_fail.has_recursion)
	.set _Z39paged_attention_ll4mi_QKV_mfma16_kernelIDF16_hLN4vllm18Fp8KVCacheDataTypeE1EDF16_Li32ELi128ELi256ELb0ELi10EEvPKT_PKT0_S7_ifPKiS9_S9_iPKfiiiPfSC_PS2_PT2_iSB_SB_.has_indirect_call, or(0, .L__assert_fail.has_indirect_call)
	.section	.AMDGPU.csdata,"",@progbits
; Kernel info:
; codeLenInByte = 68
; TotalNumSgprs: 36
; NumVgprs: 51
; ScratchSize: 64
; MemoryBound: 0
; FloatMode: 240
; IeeeMode: 1
; LDSByteSize: 0 bytes/workgroup (compile time only)
; SGPRBlocks: 0
; VGPRBlocks: 3
; NumSGPRsForWavesPerEU: 36
; NumVGPRsForWavesPerEU: 51
; NamedBarCnt: 0
; Occupancy: 16
; WaveLimiterHint : 1
; COMPUTE_PGM_RSRC2:SCRATCH_EN: 1
; COMPUTE_PGM_RSRC2:USER_SGPR: 2
; COMPUTE_PGM_RSRC2:TRAP_HANDLER: 0
; COMPUTE_PGM_RSRC2:TGID_X_EN: 1
; COMPUTE_PGM_RSRC2:TGID_Y_EN: 0
; COMPUTE_PGM_RSRC2:TGID_Z_EN: 0
; COMPUTE_PGM_RSRC2:TIDIG_COMP_CNT: 0
	.section	.text._Z39paged_attention_ll4mi_QKV_mfma16_kernelIDF16_hLN4vllm18Fp8KVCacheDataTypeE1EDF16_Li32ELi128ELi256ELb0ELi11EEvPKT_PKT0_S7_ifPKiS9_S9_iPKfiiiPfSC_PS2_PT2_iSB_SB_,"axG",@progbits,_Z39paged_attention_ll4mi_QKV_mfma16_kernelIDF16_hLN4vllm18Fp8KVCacheDataTypeE1EDF16_Li32ELi128ELi256ELb0ELi11EEvPKT_PKT0_S7_ifPKiS9_S9_iPKfiiiPfSC_PS2_PT2_iSB_SB_,comdat
	.protected	_Z39paged_attention_ll4mi_QKV_mfma16_kernelIDF16_hLN4vllm18Fp8KVCacheDataTypeE1EDF16_Li32ELi128ELi256ELb0ELi11EEvPKT_PKT0_S7_ifPKiS9_S9_iPKfiiiPfSC_PS2_PT2_iSB_SB_ ; -- Begin function _Z39paged_attention_ll4mi_QKV_mfma16_kernelIDF16_hLN4vllm18Fp8KVCacheDataTypeE1EDF16_Li32ELi128ELi256ELb0ELi11EEvPKT_PKT0_S7_ifPKiS9_S9_iPKfiiiPfSC_PS2_PT2_iSB_SB_
	.globl	_Z39paged_attention_ll4mi_QKV_mfma16_kernelIDF16_hLN4vllm18Fp8KVCacheDataTypeE1EDF16_Li32ELi128ELi256ELb0ELi11EEvPKT_PKT0_S7_ifPKiS9_S9_iPKfiiiPfSC_PS2_PT2_iSB_SB_
	.p2align	8
	.type	_Z39paged_attention_ll4mi_QKV_mfma16_kernelIDF16_hLN4vllm18Fp8KVCacheDataTypeE1EDF16_Li32ELi128ELi256ELb0ELi11EEvPKT_PKT0_S7_ifPKiS9_S9_iPKfiiiPfSC_PS2_PT2_iSB_SB_,@function
_Z39paged_attention_ll4mi_QKV_mfma16_kernelIDF16_hLN4vllm18Fp8KVCacheDataTypeE1EDF16_Li32ELi128ELi256ELb0ELi11EEvPKT_PKT0_S7_ifPKiS9_S9_iPKfiiiPfSC_PS2_PT2_iSB_SB_: ; @_Z39paged_attention_ll4mi_QKV_mfma16_kernelIDF16_hLN4vllm18Fp8KVCacheDataTypeE1EDF16_Li32ELi128ELi256ELb0ELi11EEvPKT_PKT0_S7_ifPKiS9_S9_iPKfiiiPfSC_PS2_PT2_iSB_SB_
; %bb.0:
	s_get_pc_i64 s[2:3]
	s_add_nc_u64 s[2:3], s[2:3], __PRETTY_FUNCTION__._Z39paged_attention_ll4mi_QKV_mfma16_kernelIDF16_hLN4vllm18Fp8KVCacheDataTypeE1EDF16_Li32ELi128ELi256ELb0ELi11EEvPKT_PKT0_S7_ifPKiS9_S9_iPKfiiiPfSC_PS2_PT2_iSB_SB_@rel64+4
	s_delay_alu instid0(SALU_CYCLE_1)
	v_dual_mov_b32 v0, 0xbb3 :: v_dual_mov_b32 v1, s2
	v_mov_b32_e32 v2, s3
	s_add_nc_u64 s[8:9], s[0:1], 0x90
	s_get_pc_i64 s[0:1]
	s_add_nc_u64 s[0:1], s[0:1], __assert_fail@rel64+4
	s_mov_b32 s32, 0
	s_swap_pc_i64 s[30:31], s[0:1]
	.section	.rodata,"a",@progbits
	.p2align	6, 0x0
	.amdhsa_kernel _Z39paged_attention_ll4mi_QKV_mfma16_kernelIDF16_hLN4vllm18Fp8KVCacheDataTypeE1EDF16_Li32ELi128ELi256ELb0ELi11EEvPKT_PKT0_S7_ifPKiS9_S9_iPKfiiiPfSC_PS2_PT2_iSB_SB_
		.amdhsa_group_segment_fixed_size 0
		.amdhsa_private_segment_fixed_size 64
		.amdhsa_kernarg_size 400
		.amdhsa_user_sgpr_count 2
		.amdhsa_user_sgpr_dispatch_ptr 0
		.amdhsa_user_sgpr_queue_ptr 0
		.amdhsa_user_sgpr_kernarg_segment_ptr 1
		.amdhsa_user_sgpr_dispatch_id 0
		.amdhsa_user_sgpr_kernarg_preload_length 0
		.amdhsa_user_sgpr_kernarg_preload_offset 0
		.amdhsa_user_sgpr_private_segment_size 0
		.amdhsa_wavefront_size32 1
		.amdhsa_uses_dynamic_stack 0
		.amdhsa_enable_private_segment 1
		.amdhsa_system_sgpr_workgroup_id_x 1
		.amdhsa_system_sgpr_workgroup_id_y 0
		.amdhsa_system_sgpr_workgroup_id_z 0
		.amdhsa_system_sgpr_workgroup_info 0
		.amdhsa_system_vgpr_workitem_id 0
		.amdhsa_next_free_vgpr 51
		.amdhsa_next_free_sgpr 34
		.amdhsa_named_barrier_count 0
		.amdhsa_reserve_vcc 1
		.amdhsa_float_round_mode_32 0
		.amdhsa_float_round_mode_16_64 0
		.amdhsa_float_denorm_mode_32 3
		.amdhsa_float_denorm_mode_16_64 3
		.amdhsa_fp16_overflow 0
		.amdhsa_memory_ordered 1
		.amdhsa_forward_progress 1
		.amdhsa_inst_pref_size 1
		.amdhsa_round_robin_scheduling 0
		.amdhsa_exception_fp_ieee_invalid_op 0
		.amdhsa_exception_fp_denorm_src 0
		.amdhsa_exception_fp_ieee_div_zero 0
		.amdhsa_exception_fp_ieee_overflow 0
		.amdhsa_exception_fp_ieee_underflow 0
		.amdhsa_exception_fp_ieee_inexact 0
		.amdhsa_exception_int_div_zero 0
	.end_amdhsa_kernel
	.section	.text._Z39paged_attention_ll4mi_QKV_mfma16_kernelIDF16_hLN4vllm18Fp8KVCacheDataTypeE1EDF16_Li32ELi128ELi256ELb0ELi11EEvPKT_PKT0_S7_ifPKiS9_S9_iPKfiiiPfSC_PS2_PT2_iSB_SB_,"axG",@progbits,_Z39paged_attention_ll4mi_QKV_mfma16_kernelIDF16_hLN4vllm18Fp8KVCacheDataTypeE1EDF16_Li32ELi128ELi256ELb0ELi11EEvPKT_PKT0_S7_ifPKiS9_S9_iPKfiiiPfSC_PS2_PT2_iSB_SB_,comdat
.Lfunc_end1080:
	.size	_Z39paged_attention_ll4mi_QKV_mfma16_kernelIDF16_hLN4vllm18Fp8KVCacheDataTypeE1EDF16_Li32ELi128ELi256ELb0ELi11EEvPKT_PKT0_S7_ifPKiS9_S9_iPKfiiiPfSC_PS2_PT2_iSB_SB_, .Lfunc_end1080-_Z39paged_attention_ll4mi_QKV_mfma16_kernelIDF16_hLN4vllm18Fp8KVCacheDataTypeE1EDF16_Li32ELi128ELi256ELb0ELi11EEvPKT_PKT0_S7_ifPKiS9_S9_iPKfiiiPfSC_PS2_PT2_iSB_SB_
                                        ; -- End function
	.set _Z39paged_attention_ll4mi_QKV_mfma16_kernelIDF16_hLN4vllm18Fp8KVCacheDataTypeE1EDF16_Li32ELi128ELi256ELb0ELi11EEvPKT_PKT0_S7_ifPKiS9_S9_iPKfiiiPfSC_PS2_PT2_iSB_SB_.num_vgpr, max(3, .L__assert_fail.num_vgpr)
	.set _Z39paged_attention_ll4mi_QKV_mfma16_kernelIDF16_hLN4vllm18Fp8KVCacheDataTypeE1EDF16_Li32ELi128ELi256ELb0ELi11EEvPKT_PKT0_S7_ifPKiS9_S9_iPKfiiiPfSC_PS2_PT2_iSB_SB_.num_agpr, max(0, .L__assert_fail.num_agpr)
	.set _Z39paged_attention_ll4mi_QKV_mfma16_kernelIDF16_hLN4vllm18Fp8KVCacheDataTypeE1EDF16_Li32ELi128ELi256ELb0ELi11EEvPKT_PKT0_S7_ifPKiS9_S9_iPKfiiiPfSC_PS2_PT2_iSB_SB_.numbered_sgpr, max(33, .L__assert_fail.numbered_sgpr)
	.set _Z39paged_attention_ll4mi_QKV_mfma16_kernelIDF16_hLN4vllm18Fp8KVCacheDataTypeE1EDF16_Li32ELi128ELi256ELb0ELi11EEvPKT_PKT0_S7_ifPKiS9_S9_iPKfiiiPfSC_PS2_PT2_iSB_SB_.num_named_barrier, max(0, .L__assert_fail.num_named_barrier)
	.set _Z39paged_attention_ll4mi_QKV_mfma16_kernelIDF16_hLN4vllm18Fp8KVCacheDataTypeE1EDF16_Li32ELi128ELi256ELb0ELi11EEvPKT_PKT0_S7_ifPKiS9_S9_iPKfiiiPfSC_PS2_PT2_iSB_SB_.private_seg_size, 0+max(.L__assert_fail.private_seg_size)
	.set _Z39paged_attention_ll4mi_QKV_mfma16_kernelIDF16_hLN4vllm18Fp8KVCacheDataTypeE1EDF16_Li32ELi128ELi256ELb0ELi11EEvPKT_PKT0_S7_ifPKiS9_S9_iPKfiiiPfSC_PS2_PT2_iSB_SB_.uses_vcc, or(1, .L__assert_fail.uses_vcc)
	.set _Z39paged_attention_ll4mi_QKV_mfma16_kernelIDF16_hLN4vllm18Fp8KVCacheDataTypeE1EDF16_Li32ELi128ELi256ELb0ELi11EEvPKT_PKT0_S7_ifPKiS9_S9_iPKfiiiPfSC_PS2_PT2_iSB_SB_.uses_flat_scratch, or(0, .L__assert_fail.uses_flat_scratch)
	.set _Z39paged_attention_ll4mi_QKV_mfma16_kernelIDF16_hLN4vllm18Fp8KVCacheDataTypeE1EDF16_Li32ELi128ELi256ELb0ELi11EEvPKT_PKT0_S7_ifPKiS9_S9_iPKfiiiPfSC_PS2_PT2_iSB_SB_.has_dyn_sized_stack, or(0, .L__assert_fail.has_dyn_sized_stack)
	.set _Z39paged_attention_ll4mi_QKV_mfma16_kernelIDF16_hLN4vllm18Fp8KVCacheDataTypeE1EDF16_Li32ELi128ELi256ELb0ELi11EEvPKT_PKT0_S7_ifPKiS9_S9_iPKfiiiPfSC_PS2_PT2_iSB_SB_.has_recursion, or(0, .L__assert_fail.has_recursion)
	.set _Z39paged_attention_ll4mi_QKV_mfma16_kernelIDF16_hLN4vllm18Fp8KVCacheDataTypeE1EDF16_Li32ELi128ELi256ELb0ELi11EEvPKT_PKT0_S7_ifPKiS9_S9_iPKfiiiPfSC_PS2_PT2_iSB_SB_.has_indirect_call, or(0, .L__assert_fail.has_indirect_call)
	.section	.AMDGPU.csdata,"",@progbits
; Kernel info:
; codeLenInByte = 68
; TotalNumSgprs: 36
; NumVgprs: 51
; ScratchSize: 64
; MemoryBound: 0
; FloatMode: 240
; IeeeMode: 1
; LDSByteSize: 0 bytes/workgroup (compile time only)
; SGPRBlocks: 0
; VGPRBlocks: 3
; NumSGPRsForWavesPerEU: 36
; NumVGPRsForWavesPerEU: 51
; NamedBarCnt: 0
; Occupancy: 16
; WaveLimiterHint : 1
; COMPUTE_PGM_RSRC2:SCRATCH_EN: 1
; COMPUTE_PGM_RSRC2:USER_SGPR: 2
; COMPUTE_PGM_RSRC2:TRAP_HANDLER: 0
; COMPUTE_PGM_RSRC2:TGID_X_EN: 1
; COMPUTE_PGM_RSRC2:TGID_Y_EN: 0
; COMPUTE_PGM_RSRC2:TGID_Z_EN: 0
; COMPUTE_PGM_RSRC2:TIDIG_COMP_CNT: 0
	.section	.text._Z39paged_attention_ll4mi_QKV_mfma16_kernelIDF16_hLN4vllm18Fp8KVCacheDataTypeE1EDF16_Li32ELi128ELi256ELb0ELi12EEvPKT_PKT0_S7_ifPKiS9_S9_iPKfiiiPfSC_PS2_PT2_iSB_SB_,"axG",@progbits,_Z39paged_attention_ll4mi_QKV_mfma16_kernelIDF16_hLN4vllm18Fp8KVCacheDataTypeE1EDF16_Li32ELi128ELi256ELb0ELi12EEvPKT_PKT0_S7_ifPKiS9_S9_iPKfiiiPfSC_PS2_PT2_iSB_SB_,comdat
	.protected	_Z39paged_attention_ll4mi_QKV_mfma16_kernelIDF16_hLN4vllm18Fp8KVCacheDataTypeE1EDF16_Li32ELi128ELi256ELb0ELi12EEvPKT_PKT0_S7_ifPKiS9_S9_iPKfiiiPfSC_PS2_PT2_iSB_SB_ ; -- Begin function _Z39paged_attention_ll4mi_QKV_mfma16_kernelIDF16_hLN4vllm18Fp8KVCacheDataTypeE1EDF16_Li32ELi128ELi256ELb0ELi12EEvPKT_PKT0_S7_ifPKiS9_S9_iPKfiiiPfSC_PS2_PT2_iSB_SB_
	.globl	_Z39paged_attention_ll4mi_QKV_mfma16_kernelIDF16_hLN4vllm18Fp8KVCacheDataTypeE1EDF16_Li32ELi128ELi256ELb0ELi12EEvPKT_PKT0_S7_ifPKiS9_S9_iPKfiiiPfSC_PS2_PT2_iSB_SB_
	.p2align	8
	.type	_Z39paged_attention_ll4mi_QKV_mfma16_kernelIDF16_hLN4vllm18Fp8KVCacheDataTypeE1EDF16_Li32ELi128ELi256ELb0ELi12EEvPKT_PKT0_S7_ifPKiS9_S9_iPKfiiiPfSC_PS2_PT2_iSB_SB_,@function
_Z39paged_attention_ll4mi_QKV_mfma16_kernelIDF16_hLN4vllm18Fp8KVCacheDataTypeE1EDF16_Li32ELi128ELi256ELb0ELi12EEvPKT_PKT0_S7_ifPKiS9_S9_iPKfiiiPfSC_PS2_PT2_iSB_SB_: ; @_Z39paged_attention_ll4mi_QKV_mfma16_kernelIDF16_hLN4vllm18Fp8KVCacheDataTypeE1EDF16_Li32ELi128ELi256ELb0ELi12EEvPKT_PKT0_S7_ifPKiS9_S9_iPKfiiiPfSC_PS2_PT2_iSB_SB_
; %bb.0:
	s_get_pc_i64 s[2:3]
	s_add_nc_u64 s[2:3], s[2:3], __PRETTY_FUNCTION__._Z39paged_attention_ll4mi_QKV_mfma16_kernelIDF16_hLN4vllm18Fp8KVCacheDataTypeE1EDF16_Li32ELi128ELi256ELb0ELi12EEvPKT_PKT0_S7_ifPKiS9_S9_iPKfiiiPfSC_PS2_PT2_iSB_SB_@rel64+4
	s_delay_alu instid0(SALU_CYCLE_1)
	v_dual_mov_b32 v0, 0xbb3 :: v_dual_mov_b32 v1, s2
	v_mov_b32_e32 v2, s3
	s_add_nc_u64 s[8:9], s[0:1], 0x90
	s_get_pc_i64 s[0:1]
	s_add_nc_u64 s[0:1], s[0:1], __assert_fail@rel64+4
	s_mov_b32 s32, 0
	s_swap_pc_i64 s[30:31], s[0:1]
	.section	.rodata,"a",@progbits
	.p2align	6, 0x0
	.amdhsa_kernel _Z39paged_attention_ll4mi_QKV_mfma16_kernelIDF16_hLN4vllm18Fp8KVCacheDataTypeE1EDF16_Li32ELi128ELi256ELb0ELi12EEvPKT_PKT0_S7_ifPKiS9_S9_iPKfiiiPfSC_PS2_PT2_iSB_SB_
		.amdhsa_group_segment_fixed_size 0
		.amdhsa_private_segment_fixed_size 64
		.amdhsa_kernarg_size 400
		.amdhsa_user_sgpr_count 2
		.amdhsa_user_sgpr_dispatch_ptr 0
		.amdhsa_user_sgpr_queue_ptr 0
		.amdhsa_user_sgpr_kernarg_segment_ptr 1
		.amdhsa_user_sgpr_dispatch_id 0
		.amdhsa_user_sgpr_kernarg_preload_length 0
		.amdhsa_user_sgpr_kernarg_preload_offset 0
		.amdhsa_user_sgpr_private_segment_size 0
		.amdhsa_wavefront_size32 1
		.amdhsa_uses_dynamic_stack 0
		.amdhsa_enable_private_segment 1
		.amdhsa_system_sgpr_workgroup_id_x 1
		.amdhsa_system_sgpr_workgroup_id_y 0
		.amdhsa_system_sgpr_workgroup_id_z 0
		.amdhsa_system_sgpr_workgroup_info 0
		.amdhsa_system_vgpr_workitem_id 0
		.amdhsa_next_free_vgpr 51
		.amdhsa_next_free_sgpr 34
		.amdhsa_named_barrier_count 0
		.amdhsa_reserve_vcc 1
		.amdhsa_float_round_mode_32 0
		.amdhsa_float_round_mode_16_64 0
		.amdhsa_float_denorm_mode_32 3
		.amdhsa_float_denorm_mode_16_64 3
		.amdhsa_fp16_overflow 0
		.amdhsa_memory_ordered 1
		.amdhsa_forward_progress 1
		.amdhsa_inst_pref_size 1
		.amdhsa_round_robin_scheduling 0
		.amdhsa_exception_fp_ieee_invalid_op 0
		.amdhsa_exception_fp_denorm_src 0
		.amdhsa_exception_fp_ieee_div_zero 0
		.amdhsa_exception_fp_ieee_overflow 0
		.amdhsa_exception_fp_ieee_underflow 0
		.amdhsa_exception_fp_ieee_inexact 0
		.amdhsa_exception_int_div_zero 0
	.end_amdhsa_kernel
	.section	.text._Z39paged_attention_ll4mi_QKV_mfma16_kernelIDF16_hLN4vllm18Fp8KVCacheDataTypeE1EDF16_Li32ELi128ELi256ELb0ELi12EEvPKT_PKT0_S7_ifPKiS9_S9_iPKfiiiPfSC_PS2_PT2_iSB_SB_,"axG",@progbits,_Z39paged_attention_ll4mi_QKV_mfma16_kernelIDF16_hLN4vllm18Fp8KVCacheDataTypeE1EDF16_Li32ELi128ELi256ELb0ELi12EEvPKT_PKT0_S7_ifPKiS9_S9_iPKfiiiPfSC_PS2_PT2_iSB_SB_,comdat
.Lfunc_end1081:
	.size	_Z39paged_attention_ll4mi_QKV_mfma16_kernelIDF16_hLN4vllm18Fp8KVCacheDataTypeE1EDF16_Li32ELi128ELi256ELb0ELi12EEvPKT_PKT0_S7_ifPKiS9_S9_iPKfiiiPfSC_PS2_PT2_iSB_SB_, .Lfunc_end1081-_Z39paged_attention_ll4mi_QKV_mfma16_kernelIDF16_hLN4vllm18Fp8KVCacheDataTypeE1EDF16_Li32ELi128ELi256ELb0ELi12EEvPKT_PKT0_S7_ifPKiS9_S9_iPKfiiiPfSC_PS2_PT2_iSB_SB_
                                        ; -- End function
	.set _Z39paged_attention_ll4mi_QKV_mfma16_kernelIDF16_hLN4vllm18Fp8KVCacheDataTypeE1EDF16_Li32ELi128ELi256ELb0ELi12EEvPKT_PKT0_S7_ifPKiS9_S9_iPKfiiiPfSC_PS2_PT2_iSB_SB_.num_vgpr, max(3, .L__assert_fail.num_vgpr)
	.set _Z39paged_attention_ll4mi_QKV_mfma16_kernelIDF16_hLN4vllm18Fp8KVCacheDataTypeE1EDF16_Li32ELi128ELi256ELb0ELi12EEvPKT_PKT0_S7_ifPKiS9_S9_iPKfiiiPfSC_PS2_PT2_iSB_SB_.num_agpr, max(0, .L__assert_fail.num_agpr)
	.set _Z39paged_attention_ll4mi_QKV_mfma16_kernelIDF16_hLN4vllm18Fp8KVCacheDataTypeE1EDF16_Li32ELi128ELi256ELb0ELi12EEvPKT_PKT0_S7_ifPKiS9_S9_iPKfiiiPfSC_PS2_PT2_iSB_SB_.numbered_sgpr, max(33, .L__assert_fail.numbered_sgpr)
	.set _Z39paged_attention_ll4mi_QKV_mfma16_kernelIDF16_hLN4vllm18Fp8KVCacheDataTypeE1EDF16_Li32ELi128ELi256ELb0ELi12EEvPKT_PKT0_S7_ifPKiS9_S9_iPKfiiiPfSC_PS2_PT2_iSB_SB_.num_named_barrier, max(0, .L__assert_fail.num_named_barrier)
	.set _Z39paged_attention_ll4mi_QKV_mfma16_kernelIDF16_hLN4vllm18Fp8KVCacheDataTypeE1EDF16_Li32ELi128ELi256ELb0ELi12EEvPKT_PKT0_S7_ifPKiS9_S9_iPKfiiiPfSC_PS2_PT2_iSB_SB_.private_seg_size, 0+max(.L__assert_fail.private_seg_size)
	.set _Z39paged_attention_ll4mi_QKV_mfma16_kernelIDF16_hLN4vllm18Fp8KVCacheDataTypeE1EDF16_Li32ELi128ELi256ELb0ELi12EEvPKT_PKT0_S7_ifPKiS9_S9_iPKfiiiPfSC_PS2_PT2_iSB_SB_.uses_vcc, or(1, .L__assert_fail.uses_vcc)
	.set _Z39paged_attention_ll4mi_QKV_mfma16_kernelIDF16_hLN4vllm18Fp8KVCacheDataTypeE1EDF16_Li32ELi128ELi256ELb0ELi12EEvPKT_PKT0_S7_ifPKiS9_S9_iPKfiiiPfSC_PS2_PT2_iSB_SB_.uses_flat_scratch, or(0, .L__assert_fail.uses_flat_scratch)
	.set _Z39paged_attention_ll4mi_QKV_mfma16_kernelIDF16_hLN4vllm18Fp8KVCacheDataTypeE1EDF16_Li32ELi128ELi256ELb0ELi12EEvPKT_PKT0_S7_ifPKiS9_S9_iPKfiiiPfSC_PS2_PT2_iSB_SB_.has_dyn_sized_stack, or(0, .L__assert_fail.has_dyn_sized_stack)
	.set _Z39paged_attention_ll4mi_QKV_mfma16_kernelIDF16_hLN4vllm18Fp8KVCacheDataTypeE1EDF16_Li32ELi128ELi256ELb0ELi12EEvPKT_PKT0_S7_ifPKiS9_S9_iPKfiiiPfSC_PS2_PT2_iSB_SB_.has_recursion, or(0, .L__assert_fail.has_recursion)
	.set _Z39paged_attention_ll4mi_QKV_mfma16_kernelIDF16_hLN4vllm18Fp8KVCacheDataTypeE1EDF16_Li32ELi128ELi256ELb0ELi12EEvPKT_PKT0_S7_ifPKiS9_S9_iPKfiiiPfSC_PS2_PT2_iSB_SB_.has_indirect_call, or(0, .L__assert_fail.has_indirect_call)
	.section	.AMDGPU.csdata,"",@progbits
; Kernel info:
; codeLenInByte = 68
; TotalNumSgprs: 36
; NumVgprs: 51
; ScratchSize: 64
; MemoryBound: 0
; FloatMode: 240
; IeeeMode: 1
; LDSByteSize: 0 bytes/workgroup (compile time only)
; SGPRBlocks: 0
; VGPRBlocks: 3
; NumSGPRsForWavesPerEU: 36
; NumVGPRsForWavesPerEU: 51
; NamedBarCnt: 0
; Occupancy: 16
; WaveLimiterHint : 1
; COMPUTE_PGM_RSRC2:SCRATCH_EN: 1
; COMPUTE_PGM_RSRC2:USER_SGPR: 2
; COMPUTE_PGM_RSRC2:TRAP_HANDLER: 0
; COMPUTE_PGM_RSRC2:TGID_X_EN: 1
; COMPUTE_PGM_RSRC2:TGID_Y_EN: 0
; COMPUTE_PGM_RSRC2:TGID_Z_EN: 0
; COMPUTE_PGM_RSRC2:TIDIG_COMP_CNT: 0
	.section	.text._Z39paged_attention_ll4mi_QKV_mfma16_kernelIDF16_hLN4vllm18Fp8KVCacheDataTypeE1EDF16_Li32ELi128ELi256ELb0ELi13EEvPKT_PKT0_S7_ifPKiS9_S9_iPKfiiiPfSC_PS2_PT2_iSB_SB_,"axG",@progbits,_Z39paged_attention_ll4mi_QKV_mfma16_kernelIDF16_hLN4vllm18Fp8KVCacheDataTypeE1EDF16_Li32ELi128ELi256ELb0ELi13EEvPKT_PKT0_S7_ifPKiS9_S9_iPKfiiiPfSC_PS2_PT2_iSB_SB_,comdat
	.protected	_Z39paged_attention_ll4mi_QKV_mfma16_kernelIDF16_hLN4vllm18Fp8KVCacheDataTypeE1EDF16_Li32ELi128ELi256ELb0ELi13EEvPKT_PKT0_S7_ifPKiS9_S9_iPKfiiiPfSC_PS2_PT2_iSB_SB_ ; -- Begin function _Z39paged_attention_ll4mi_QKV_mfma16_kernelIDF16_hLN4vllm18Fp8KVCacheDataTypeE1EDF16_Li32ELi128ELi256ELb0ELi13EEvPKT_PKT0_S7_ifPKiS9_S9_iPKfiiiPfSC_PS2_PT2_iSB_SB_
	.globl	_Z39paged_attention_ll4mi_QKV_mfma16_kernelIDF16_hLN4vllm18Fp8KVCacheDataTypeE1EDF16_Li32ELi128ELi256ELb0ELi13EEvPKT_PKT0_S7_ifPKiS9_S9_iPKfiiiPfSC_PS2_PT2_iSB_SB_
	.p2align	8
	.type	_Z39paged_attention_ll4mi_QKV_mfma16_kernelIDF16_hLN4vllm18Fp8KVCacheDataTypeE1EDF16_Li32ELi128ELi256ELb0ELi13EEvPKT_PKT0_S7_ifPKiS9_S9_iPKfiiiPfSC_PS2_PT2_iSB_SB_,@function
_Z39paged_attention_ll4mi_QKV_mfma16_kernelIDF16_hLN4vllm18Fp8KVCacheDataTypeE1EDF16_Li32ELi128ELi256ELb0ELi13EEvPKT_PKT0_S7_ifPKiS9_S9_iPKfiiiPfSC_PS2_PT2_iSB_SB_: ; @_Z39paged_attention_ll4mi_QKV_mfma16_kernelIDF16_hLN4vllm18Fp8KVCacheDataTypeE1EDF16_Li32ELi128ELi256ELb0ELi13EEvPKT_PKT0_S7_ifPKiS9_S9_iPKfiiiPfSC_PS2_PT2_iSB_SB_
; %bb.0:
	s_get_pc_i64 s[2:3]
	s_add_nc_u64 s[2:3], s[2:3], __PRETTY_FUNCTION__._Z39paged_attention_ll4mi_QKV_mfma16_kernelIDF16_hLN4vllm18Fp8KVCacheDataTypeE1EDF16_Li32ELi128ELi256ELb0ELi13EEvPKT_PKT0_S7_ifPKiS9_S9_iPKfiiiPfSC_PS2_PT2_iSB_SB_@rel64+4
	s_delay_alu instid0(SALU_CYCLE_1)
	v_dual_mov_b32 v0, 0xbb3 :: v_dual_mov_b32 v1, s2
	v_mov_b32_e32 v2, s3
	s_add_nc_u64 s[8:9], s[0:1], 0x90
	s_get_pc_i64 s[0:1]
	s_add_nc_u64 s[0:1], s[0:1], __assert_fail@rel64+4
	s_mov_b32 s32, 0
	s_swap_pc_i64 s[30:31], s[0:1]
	.section	.rodata,"a",@progbits
	.p2align	6, 0x0
	.amdhsa_kernel _Z39paged_attention_ll4mi_QKV_mfma16_kernelIDF16_hLN4vllm18Fp8KVCacheDataTypeE1EDF16_Li32ELi128ELi256ELb0ELi13EEvPKT_PKT0_S7_ifPKiS9_S9_iPKfiiiPfSC_PS2_PT2_iSB_SB_
		.amdhsa_group_segment_fixed_size 0
		.amdhsa_private_segment_fixed_size 64
		.amdhsa_kernarg_size 400
		.amdhsa_user_sgpr_count 2
		.amdhsa_user_sgpr_dispatch_ptr 0
		.amdhsa_user_sgpr_queue_ptr 0
		.amdhsa_user_sgpr_kernarg_segment_ptr 1
		.amdhsa_user_sgpr_dispatch_id 0
		.amdhsa_user_sgpr_kernarg_preload_length 0
		.amdhsa_user_sgpr_kernarg_preload_offset 0
		.amdhsa_user_sgpr_private_segment_size 0
		.amdhsa_wavefront_size32 1
		.amdhsa_uses_dynamic_stack 0
		.amdhsa_enable_private_segment 1
		.amdhsa_system_sgpr_workgroup_id_x 1
		.amdhsa_system_sgpr_workgroup_id_y 0
		.amdhsa_system_sgpr_workgroup_id_z 0
		.amdhsa_system_sgpr_workgroup_info 0
		.amdhsa_system_vgpr_workitem_id 0
		.amdhsa_next_free_vgpr 51
		.amdhsa_next_free_sgpr 34
		.amdhsa_named_barrier_count 0
		.amdhsa_reserve_vcc 1
		.amdhsa_float_round_mode_32 0
		.amdhsa_float_round_mode_16_64 0
		.amdhsa_float_denorm_mode_32 3
		.amdhsa_float_denorm_mode_16_64 3
		.amdhsa_fp16_overflow 0
		.amdhsa_memory_ordered 1
		.amdhsa_forward_progress 1
		.amdhsa_inst_pref_size 1
		.amdhsa_round_robin_scheduling 0
		.amdhsa_exception_fp_ieee_invalid_op 0
		.amdhsa_exception_fp_denorm_src 0
		.amdhsa_exception_fp_ieee_div_zero 0
		.amdhsa_exception_fp_ieee_overflow 0
		.amdhsa_exception_fp_ieee_underflow 0
		.amdhsa_exception_fp_ieee_inexact 0
		.amdhsa_exception_int_div_zero 0
	.end_amdhsa_kernel
	.section	.text._Z39paged_attention_ll4mi_QKV_mfma16_kernelIDF16_hLN4vllm18Fp8KVCacheDataTypeE1EDF16_Li32ELi128ELi256ELb0ELi13EEvPKT_PKT0_S7_ifPKiS9_S9_iPKfiiiPfSC_PS2_PT2_iSB_SB_,"axG",@progbits,_Z39paged_attention_ll4mi_QKV_mfma16_kernelIDF16_hLN4vllm18Fp8KVCacheDataTypeE1EDF16_Li32ELi128ELi256ELb0ELi13EEvPKT_PKT0_S7_ifPKiS9_S9_iPKfiiiPfSC_PS2_PT2_iSB_SB_,comdat
.Lfunc_end1082:
	.size	_Z39paged_attention_ll4mi_QKV_mfma16_kernelIDF16_hLN4vllm18Fp8KVCacheDataTypeE1EDF16_Li32ELi128ELi256ELb0ELi13EEvPKT_PKT0_S7_ifPKiS9_S9_iPKfiiiPfSC_PS2_PT2_iSB_SB_, .Lfunc_end1082-_Z39paged_attention_ll4mi_QKV_mfma16_kernelIDF16_hLN4vllm18Fp8KVCacheDataTypeE1EDF16_Li32ELi128ELi256ELb0ELi13EEvPKT_PKT0_S7_ifPKiS9_S9_iPKfiiiPfSC_PS2_PT2_iSB_SB_
                                        ; -- End function
	.set _Z39paged_attention_ll4mi_QKV_mfma16_kernelIDF16_hLN4vllm18Fp8KVCacheDataTypeE1EDF16_Li32ELi128ELi256ELb0ELi13EEvPKT_PKT0_S7_ifPKiS9_S9_iPKfiiiPfSC_PS2_PT2_iSB_SB_.num_vgpr, max(3, .L__assert_fail.num_vgpr)
	.set _Z39paged_attention_ll4mi_QKV_mfma16_kernelIDF16_hLN4vllm18Fp8KVCacheDataTypeE1EDF16_Li32ELi128ELi256ELb0ELi13EEvPKT_PKT0_S7_ifPKiS9_S9_iPKfiiiPfSC_PS2_PT2_iSB_SB_.num_agpr, max(0, .L__assert_fail.num_agpr)
	.set _Z39paged_attention_ll4mi_QKV_mfma16_kernelIDF16_hLN4vllm18Fp8KVCacheDataTypeE1EDF16_Li32ELi128ELi256ELb0ELi13EEvPKT_PKT0_S7_ifPKiS9_S9_iPKfiiiPfSC_PS2_PT2_iSB_SB_.numbered_sgpr, max(33, .L__assert_fail.numbered_sgpr)
	.set _Z39paged_attention_ll4mi_QKV_mfma16_kernelIDF16_hLN4vllm18Fp8KVCacheDataTypeE1EDF16_Li32ELi128ELi256ELb0ELi13EEvPKT_PKT0_S7_ifPKiS9_S9_iPKfiiiPfSC_PS2_PT2_iSB_SB_.num_named_barrier, max(0, .L__assert_fail.num_named_barrier)
	.set _Z39paged_attention_ll4mi_QKV_mfma16_kernelIDF16_hLN4vllm18Fp8KVCacheDataTypeE1EDF16_Li32ELi128ELi256ELb0ELi13EEvPKT_PKT0_S7_ifPKiS9_S9_iPKfiiiPfSC_PS2_PT2_iSB_SB_.private_seg_size, 0+max(.L__assert_fail.private_seg_size)
	.set _Z39paged_attention_ll4mi_QKV_mfma16_kernelIDF16_hLN4vllm18Fp8KVCacheDataTypeE1EDF16_Li32ELi128ELi256ELb0ELi13EEvPKT_PKT0_S7_ifPKiS9_S9_iPKfiiiPfSC_PS2_PT2_iSB_SB_.uses_vcc, or(1, .L__assert_fail.uses_vcc)
	.set _Z39paged_attention_ll4mi_QKV_mfma16_kernelIDF16_hLN4vllm18Fp8KVCacheDataTypeE1EDF16_Li32ELi128ELi256ELb0ELi13EEvPKT_PKT0_S7_ifPKiS9_S9_iPKfiiiPfSC_PS2_PT2_iSB_SB_.uses_flat_scratch, or(0, .L__assert_fail.uses_flat_scratch)
	.set _Z39paged_attention_ll4mi_QKV_mfma16_kernelIDF16_hLN4vllm18Fp8KVCacheDataTypeE1EDF16_Li32ELi128ELi256ELb0ELi13EEvPKT_PKT0_S7_ifPKiS9_S9_iPKfiiiPfSC_PS2_PT2_iSB_SB_.has_dyn_sized_stack, or(0, .L__assert_fail.has_dyn_sized_stack)
	.set _Z39paged_attention_ll4mi_QKV_mfma16_kernelIDF16_hLN4vllm18Fp8KVCacheDataTypeE1EDF16_Li32ELi128ELi256ELb0ELi13EEvPKT_PKT0_S7_ifPKiS9_S9_iPKfiiiPfSC_PS2_PT2_iSB_SB_.has_recursion, or(0, .L__assert_fail.has_recursion)
	.set _Z39paged_attention_ll4mi_QKV_mfma16_kernelIDF16_hLN4vllm18Fp8KVCacheDataTypeE1EDF16_Li32ELi128ELi256ELb0ELi13EEvPKT_PKT0_S7_ifPKiS9_S9_iPKfiiiPfSC_PS2_PT2_iSB_SB_.has_indirect_call, or(0, .L__assert_fail.has_indirect_call)
	.section	.AMDGPU.csdata,"",@progbits
; Kernel info:
; codeLenInByte = 68
; TotalNumSgprs: 36
; NumVgprs: 51
; ScratchSize: 64
; MemoryBound: 0
; FloatMode: 240
; IeeeMode: 1
; LDSByteSize: 0 bytes/workgroup (compile time only)
; SGPRBlocks: 0
; VGPRBlocks: 3
; NumSGPRsForWavesPerEU: 36
; NumVGPRsForWavesPerEU: 51
; NamedBarCnt: 0
; Occupancy: 16
; WaveLimiterHint : 1
; COMPUTE_PGM_RSRC2:SCRATCH_EN: 1
; COMPUTE_PGM_RSRC2:USER_SGPR: 2
; COMPUTE_PGM_RSRC2:TRAP_HANDLER: 0
; COMPUTE_PGM_RSRC2:TGID_X_EN: 1
; COMPUTE_PGM_RSRC2:TGID_Y_EN: 0
; COMPUTE_PGM_RSRC2:TGID_Z_EN: 0
; COMPUTE_PGM_RSRC2:TIDIG_COMP_CNT: 0
	.section	.text._Z39paged_attention_ll4mi_QKV_mfma16_kernelIDF16_hLN4vllm18Fp8KVCacheDataTypeE1EDF16_Li32ELi128ELi256ELb0ELi14EEvPKT_PKT0_S7_ifPKiS9_S9_iPKfiiiPfSC_PS2_PT2_iSB_SB_,"axG",@progbits,_Z39paged_attention_ll4mi_QKV_mfma16_kernelIDF16_hLN4vllm18Fp8KVCacheDataTypeE1EDF16_Li32ELi128ELi256ELb0ELi14EEvPKT_PKT0_S7_ifPKiS9_S9_iPKfiiiPfSC_PS2_PT2_iSB_SB_,comdat
	.protected	_Z39paged_attention_ll4mi_QKV_mfma16_kernelIDF16_hLN4vllm18Fp8KVCacheDataTypeE1EDF16_Li32ELi128ELi256ELb0ELi14EEvPKT_PKT0_S7_ifPKiS9_S9_iPKfiiiPfSC_PS2_PT2_iSB_SB_ ; -- Begin function _Z39paged_attention_ll4mi_QKV_mfma16_kernelIDF16_hLN4vllm18Fp8KVCacheDataTypeE1EDF16_Li32ELi128ELi256ELb0ELi14EEvPKT_PKT0_S7_ifPKiS9_S9_iPKfiiiPfSC_PS2_PT2_iSB_SB_
	.globl	_Z39paged_attention_ll4mi_QKV_mfma16_kernelIDF16_hLN4vllm18Fp8KVCacheDataTypeE1EDF16_Li32ELi128ELi256ELb0ELi14EEvPKT_PKT0_S7_ifPKiS9_S9_iPKfiiiPfSC_PS2_PT2_iSB_SB_
	.p2align	8
	.type	_Z39paged_attention_ll4mi_QKV_mfma16_kernelIDF16_hLN4vllm18Fp8KVCacheDataTypeE1EDF16_Li32ELi128ELi256ELb0ELi14EEvPKT_PKT0_S7_ifPKiS9_S9_iPKfiiiPfSC_PS2_PT2_iSB_SB_,@function
_Z39paged_attention_ll4mi_QKV_mfma16_kernelIDF16_hLN4vllm18Fp8KVCacheDataTypeE1EDF16_Li32ELi128ELi256ELb0ELi14EEvPKT_PKT0_S7_ifPKiS9_S9_iPKfiiiPfSC_PS2_PT2_iSB_SB_: ; @_Z39paged_attention_ll4mi_QKV_mfma16_kernelIDF16_hLN4vllm18Fp8KVCacheDataTypeE1EDF16_Li32ELi128ELi256ELb0ELi14EEvPKT_PKT0_S7_ifPKiS9_S9_iPKfiiiPfSC_PS2_PT2_iSB_SB_
; %bb.0:
	s_get_pc_i64 s[2:3]
	s_add_nc_u64 s[2:3], s[2:3], __PRETTY_FUNCTION__._Z39paged_attention_ll4mi_QKV_mfma16_kernelIDF16_hLN4vllm18Fp8KVCacheDataTypeE1EDF16_Li32ELi128ELi256ELb0ELi14EEvPKT_PKT0_S7_ifPKiS9_S9_iPKfiiiPfSC_PS2_PT2_iSB_SB_@rel64+4
	s_delay_alu instid0(SALU_CYCLE_1)
	v_dual_mov_b32 v0, 0xbb3 :: v_dual_mov_b32 v1, s2
	v_mov_b32_e32 v2, s3
	s_add_nc_u64 s[8:9], s[0:1], 0x90
	s_get_pc_i64 s[0:1]
	s_add_nc_u64 s[0:1], s[0:1], __assert_fail@rel64+4
	s_mov_b32 s32, 0
	s_swap_pc_i64 s[30:31], s[0:1]
	.section	.rodata,"a",@progbits
	.p2align	6, 0x0
	.amdhsa_kernel _Z39paged_attention_ll4mi_QKV_mfma16_kernelIDF16_hLN4vllm18Fp8KVCacheDataTypeE1EDF16_Li32ELi128ELi256ELb0ELi14EEvPKT_PKT0_S7_ifPKiS9_S9_iPKfiiiPfSC_PS2_PT2_iSB_SB_
		.amdhsa_group_segment_fixed_size 0
		.amdhsa_private_segment_fixed_size 64
		.amdhsa_kernarg_size 400
		.amdhsa_user_sgpr_count 2
		.amdhsa_user_sgpr_dispatch_ptr 0
		.amdhsa_user_sgpr_queue_ptr 0
		.amdhsa_user_sgpr_kernarg_segment_ptr 1
		.amdhsa_user_sgpr_dispatch_id 0
		.amdhsa_user_sgpr_kernarg_preload_length 0
		.amdhsa_user_sgpr_kernarg_preload_offset 0
		.amdhsa_user_sgpr_private_segment_size 0
		.amdhsa_wavefront_size32 1
		.amdhsa_uses_dynamic_stack 0
		.amdhsa_enable_private_segment 1
		.amdhsa_system_sgpr_workgroup_id_x 1
		.amdhsa_system_sgpr_workgroup_id_y 0
		.amdhsa_system_sgpr_workgroup_id_z 0
		.amdhsa_system_sgpr_workgroup_info 0
		.amdhsa_system_vgpr_workitem_id 0
		.amdhsa_next_free_vgpr 51
		.amdhsa_next_free_sgpr 34
		.amdhsa_named_barrier_count 0
		.amdhsa_reserve_vcc 1
		.amdhsa_float_round_mode_32 0
		.amdhsa_float_round_mode_16_64 0
		.amdhsa_float_denorm_mode_32 3
		.amdhsa_float_denorm_mode_16_64 3
		.amdhsa_fp16_overflow 0
		.amdhsa_memory_ordered 1
		.amdhsa_forward_progress 1
		.amdhsa_inst_pref_size 1
		.amdhsa_round_robin_scheduling 0
		.amdhsa_exception_fp_ieee_invalid_op 0
		.amdhsa_exception_fp_denorm_src 0
		.amdhsa_exception_fp_ieee_div_zero 0
		.amdhsa_exception_fp_ieee_overflow 0
		.amdhsa_exception_fp_ieee_underflow 0
		.amdhsa_exception_fp_ieee_inexact 0
		.amdhsa_exception_int_div_zero 0
	.end_amdhsa_kernel
	.section	.text._Z39paged_attention_ll4mi_QKV_mfma16_kernelIDF16_hLN4vllm18Fp8KVCacheDataTypeE1EDF16_Li32ELi128ELi256ELb0ELi14EEvPKT_PKT0_S7_ifPKiS9_S9_iPKfiiiPfSC_PS2_PT2_iSB_SB_,"axG",@progbits,_Z39paged_attention_ll4mi_QKV_mfma16_kernelIDF16_hLN4vllm18Fp8KVCacheDataTypeE1EDF16_Li32ELi128ELi256ELb0ELi14EEvPKT_PKT0_S7_ifPKiS9_S9_iPKfiiiPfSC_PS2_PT2_iSB_SB_,comdat
.Lfunc_end1083:
	.size	_Z39paged_attention_ll4mi_QKV_mfma16_kernelIDF16_hLN4vllm18Fp8KVCacheDataTypeE1EDF16_Li32ELi128ELi256ELb0ELi14EEvPKT_PKT0_S7_ifPKiS9_S9_iPKfiiiPfSC_PS2_PT2_iSB_SB_, .Lfunc_end1083-_Z39paged_attention_ll4mi_QKV_mfma16_kernelIDF16_hLN4vllm18Fp8KVCacheDataTypeE1EDF16_Li32ELi128ELi256ELb0ELi14EEvPKT_PKT0_S7_ifPKiS9_S9_iPKfiiiPfSC_PS2_PT2_iSB_SB_
                                        ; -- End function
	.set _Z39paged_attention_ll4mi_QKV_mfma16_kernelIDF16_hLN4vllm18Fp8KVCacheDataTypeE1EDF16_Li32ELi128ELi256ELb0ELi14EEvPKT_PKT0_S7_ifPKiS9_S9_iPKfiiiPfSC_PS2_PT2_iSB_SB_.num_vgpr, max(3, .L__assert_fail.num_vgpr)
	.set _Z39paged_attention_ll4mi_QKV_mfma16_kernelIDF16_hLN4vllm18Fp8KVCacheDataTypeE1EDF16_Li32ELi128ELi256ELb0ELi14EEvPKT_PKT0_S7_ifPKiS9_S9_iPKfiiiPfSC_PS2_PT2_iSB_SB_.num_agpr, max(0, .L__assert_fail.num_agpr)
	.set _Z39paged_attention_ll4mi_QKV_mfma16_kernelIDF16_hLN4vllm18Fp8KVCacheDataTypeE1EDF16_Li32ELi128ELi256ELb0ELi14EEvPKT_PKT0_S7_ifPKiS9_S9_iPKfiiiPfSC_PS2_PT2_iSB_SB_.numbered_sgpr, max(33, .L__assert_fail.numbered_sgpr)
	.set _Z39paged_attention_ll4mi_QKV_mfma16_kernelIDF16_hLN4vllm18Fp8KVCacheDataTypeE1EDF16_Li32ELi128ELi256ELb0ELi14EEvPKT_PKT0_S7_ifPKiS9_S9_iPKfiiiPfSC_PS2_PT2_iSB_SB_.num_named_barrier, max(0, .L__assert_fail.num_named_barrier)
	.set _Z39paged_attention_ll4mi_QKV_mfma16_kernelIDF16_hLN4vllm18Fp8KVCacheDataTypeE1EDF16_Li32ELi128ELi256ELb0ELi14EEvPKT_PKT0_S7_ifPKiS9_S9_iPKfiiiPfSC_PS2_PT2_iSB_SB_.private_seg_size, 0+max(.L__assert_fail.private_seg_size)
	.set _Z39paged_attention_ll4mi_QKV_mfma16_kernelIDF16_hLN4vllm18Fp8KVCacheDataTypeE1EDF16_Li32ELi128ELi256ELb0ELi14EEvPKT_PKT0_S7_ifPKiS9_S9_iPKfiiiPfSC_PS2_PT2_iSB_SB_.uses_vcc, or(1, .L__assert_fail.uses_vcc)
	.set _Z39paged_attention_ll4mi_QKV_mfma16_kernelIDF16_hLN4vllm18Fp8KVCacheDataTypeE1EDF16_Li32ELi128ELi256ELb0ELi14EEvPKT_PKT0_S7_ifPKiS9_S9_iPKfiiiPfSC_PS2_PT2_iSB_SB_.uses_flat_scratch, or(0, .L__assert_fail.uses_flat_scratch)
	.set _Z39paged_attention_ll4mi_QKV_mfma16_kernelIDF16_hLN4vllm18Fp8KVCacheDataTypeE1EDF16_Li32ELi128ELi256ELb0ELi14EEvPKT_PKT0_S7_ifPKiS9_S9_iPKfiiiPfSC_PS2_PT2_iSB_SB_.has_dyn_sized_stack, or(0, .L__assert_fail.has_dyn_sized_stack)
	.set _Z39paged_attention_ll4mi_QKV_mfma16_kernelIDF16_hLN4vllm18Fp8KVCacheDataTypeE1EDF16_Li32ELi128ELi256ELb0ELi14EEvPKT_PKT0_S7_ifPKiS9_S9_iPKfiiiPfSC_PS2_PT2_iSB_SB_.has_recursion, or(0, .L__assert_fail.has_recursion)
	.set _Z39paged_attention_ll4mi_QKV_mfma16_kernelIDF16_hLN4vllm18Fp8KVCacheDataTypeE1EDF16_Li32ELi128ELi256ELb0ELi14EEvPKT_PKT0_S7_ifPKiS9_S9_iPKfiiiPfSC_PS2_PT2_iSB_SB_.has_indirect_call, or(0, .L__assert_fail.has_indirect_call)
	.section	.AMDGPU.csdata,"",@progbits
; Kernel info:
; codeLenInByte = 68
; TotalNumSgprs: 36
; NumVgprs: 51
; ScratchSize: 64
; MemoryBound: 0
; FloatMode: 240
; IeeeMode: 1
; LDSByteSize: 0 bytes/workgroup (compile time only)
; SGPRBlocks: 0
; VGPRBlocks: 3
; NumSGPRsForWavesPerEU: 36
; NumVGPRsForWavesPerEU: 51
; NamedBarCnt: 0
; Occupancy: 16
; WaveLimiterHint : 1
; COMPUTE_PGM_RSRC2:SCRATCH_EN: 1
; COMPUTE_PGM_RSRC2:USER_SGPR: 2
; COMPUTE_PGM_RSRC2:TRAP_HANDLER: 0
; COMPUTE_PGM_RSRC2:TGID_X_EN: 1
; COMPUTE_PGM_RSRC2:TGID_Y_EN: 0
; COMPUTE_PGM_RSRC2:TGID_Z_EN: 0
; COMPUTE_PGM_RSRC2:TIDIG_COMP_CNT: 0
	.section	.text._Z39paged_attention_ll4mi_QKV_mfma16_kernelIDF16_hLN4vllm18Fp8KVCacheDataTypeE1EDF16_Li32ELi128ELi256ELb0ELi15EEvPKT_PKT0_S7_ifPKiS9_S9_iPKfiiiPfSC_PS2_PT2_iSB_SB_,"axG",@progbits,_Z39paged_attention_ll4mi_QKV_mfma16_kernelIDF16_hLN4vllm18Fp8KVCacheDataTypeE1EDF16_Li32ELi128ELi256ELb0ELi15EEvPKT_PKT0_S7_ifPKiS9_S9_iPKfiiiPfSC_PS2_PT2_iSB_SB_,comdat
	.protected	_Z39paged_attention_ll4mi_QKV_mfma16_kernelIDF16_hLN4vllm18Fp8KVCacheDataTypeE1EDF16_Li32ELi128ELi256ELb0ELi15EEvPKT_PKT0_S7_ifPKiS9_S9_iPKfiiiPfSC_PS2_PT2_iSB_SB_ ; -- Begin function _Z39paged_attention_ll4mi_QKV_mfma16_kernelIDF16_hLN4vllm18Fp8KVCacheDataTypeE1EDF16_Li32ELi128ELi256ELb0ELi15EEvPKT_PKT0_S7_ifPKiS9_S9_iPKfiiiPfSC_PS2_PT2_iSB_SB_
	.globl	_Z39paged_attention_ll4mi_QKV_mfma16_kernelIDF16_hLN4vllm18Fp8KVCacheDataTypeE1EDF16_Li32ELi128ELi256ELb0ELi15EEvPKT_PKT0_S7_ifPKiS9_S9_iPKfiiiPfSC_PS2_PT2_iSB_SB_
	.p2align	8
	.type	_Z39paged_attention_ll4mi_QKV_mfma16_kernelIDF16_hLN4vllm18Fp8KVCacheDataTypeE1EDF16_Li32ELi128ELi256ELb0ELi15EEvPKT_PKT0_S7_ifPKiS9_S9_iPKfiiiPfSC_PS2_PT2_iSB_SB_,@function
_Z39paged_attention_ll4mi_QKV_mfma16_kernelIDF16_hLN4vllm18Fp8KVCacheDataTypeE1EDF16_Li32ELi128ELi256ELb0ELi15EEvPKT_PKT0_S7_ifPKiS9_S9_iPKfiiiPfSC_PS2_PT2_iSB_SB_: ; @_Z39paged_attention_ll4mi_QKV_mfma16_kernelIDF16_hLN4vllm18Fp8KVCacheDataTypeE1EDF16_Li32ELi128ELi256ELb0ELi15EEvPKT_PKT0_S7_ifPKiS9_S9_iPKfiiiPfSC_PS2_PT2_iSB_SB_
; %bb.0:
	s_get_pc_i64 s[2:3]
	s_add_nc_u64 s[2:3], s[2:3], __PRETTY_FUNCTION__._Z39paged_attention_ll4mi_QKV_mfma16_kernelIDF16_hLN4vllm18Fp8KVCacheDataTypeE1EDF16_Li32ELi128ELi256ELb0ELi15EEvPKT_PKT0_S7_ifPKiS9_S9_iPKfiiiPfSC_PS2_PT2_iSB_SB_@rel64+4
	s_delay_alu instid0(SALU_CYCLE_1)
	v_dual_mov_b32 v0, 0xbb3 :: v_dual_mov_b32 v1, s2
	v_mov_b32_e32 v2, s3
	s_add_nc_u64 s[8:9], s[0:1], 0x90
	s_get_pc_i64 s[0:1]
	s_add_nc_u64 s[0:1], s[0:1], __assert_fail@rel64+4
	s_mov_b32 s32, 0
	s_swap_pc_i64 s[30:31], s[0:1]
	.section	.rodata,"a",@progbits
	.p2align	6, 0x0
	.amdhsa_kernel _Z39paged_attention_ll4mi_QKV_mfma16_kernelIDF16_hLN4vllm18Fp8KVCacheDataTypeE1EDF16_Li32ELi128ELi256ELb0ELi15EEvPKT_PKT0_S7_ifPKiS9_S9_iPKfiiiPfSC_PS2_PT2_iSB_SB_
		.amdhsa_group_segment_fixed_size 0
		.amdhsa_private_segment_fixed_size 64
		.amdhsa_kernarg_size 400
		.amdhsa_user_sgpr_count 2
		.amdhsa_user_sgpr_dispatch_ptr 0
		.amdhsa_user_sgpr_queue_ptr 0
		.amdhsa_user_sgpr_kernarg_segment_ptr 1
		.amdhsa_user_sgpr_dispatch_id 0
		.amdhsa_user_sgpr_kernarg_preload_length 0
		.amdhsa_user_sgpr_kernarg_preload_offset 0
		.amdhsa_user_sgpr_private_segment_size 0
		.amdhsa_wavefront_size32 1
		.amdhsa_uses_dynamic_stack 0
		.amdhsa_enable_private_segment 1
		.amdhsa_system_sgpr_workgroup_id_x 1
		.amdhsa_system_sgpr_workgroup_id_y 0
		.amdhsa_system_sgpr_workgroup_id_z 0
		.amdhsa_system_sgpr_workgroup_info 0
		.amdhsa_system_vgpr_workitem_id 0
		.amdhsa_next_free_vgpr 51
		.amdhsa_next_free_sgpr 34
		.amdhsa_named_barrier_count 0
		.amdhsa_reserve_vcc 1
		.amdhsa_float_round_mode_32 0
		.amdhsa_float_round_mode_16_64 0
		.amdhsa_float_denorm_mode_32 3
		.amdhsa_float_denorm_mode_16_64 3
		.amdhsa_fp16_overflow 0
		.amdhsa_memory_ordered 1
		.amdhsa_forward_progress 1
		.amdhsa_inst_pref_size 1
		.amdhsa_round_robin_scheduling 0
		.amdhsa_exception_fp_ieee_invalid_op 0
		.amdhsa_exception_fp_denorm_src 0
		.amdhsa_exception_fp_ieee_div_zero 0
		.amdhsa_exception_fp_ieee_overflow 0
		.amdhsa_exception_fp_ieee_underflow 0
		.amdhsa_exception_fp_ieee_inexact 0
		.amdhsa_exception_int_div_zero 0
	.end_amdhsa_kernel
	.section	.text._Z39paged_attention_ll4mi_QKV_mfma16_kernelIDF16_hLN4vllm18Fp8KVCacheDataTypeE1EDF16_Li32ELi128ELi256ELb0ELi15EEvPKT_PKT0_S7_ifPKiS9_S9_iPKfiiiPfSC_PS2_PT2_iSB_SB_,"axG",@progbits,_Z39paged_attention_ll4mi_QKV_mfma16_kernelIDF16_hLN4vllm18Fp8KVCacheDataTypeE1EDF16_Li32ELi128ELi256ELb0ELi15EEvPKT_PKT0_S7_ifPKiS9_S9_iPKfiiiPfSC_PS2_PT2_iSB_SB_,comdat
.Lfunc_end1084:
	.size	_Z39paged_attention_ll4mi_QKV_mfma16_kernelIDF16_hLN4vllm18Fp8KVCacheDataTypeE1EDF16_Li32ELi128ELi256ELb0ELi15EEvPKT_PKT0_S7_ifPKiS9_S9_iPKfiiiPfSC_PS2_PT2_iSB_SB_, .Lfunc_end1084-_Z39paged_attention_ll4mi_QKV_mfma16_kernelIDF16_hLN4vllm18Fp8KVCacheDataTypeE1EDF16_Li32ELi128ELi256ELb0ELi15EEvPKT_PKT0_S7_ifPKiS9_S9_iPKfiiiPfSC_PS2_PT2_iSB_SB_
                                        ; -- End function
	.set _Z39paged_attention_ll4mi_QKV_mfma16_kernelIDF16_hLN4vllm18Fp8KVCacheDataTypeE1EDF16_Li32ELi128ELi256ELb0ELi15EEvPKT_PKT0_S7_ifPKiS9_S9_iPKfiiiPfSC_PS2_PT2_iSB_SB_.num_vgpr, max(3, .L__assert_fail.num_vgpr)
	.set _Z39paged_attention_ll4mi_QKV_mfma16_kernelIDF16_hLN4vllm18Fp8KVCacheDataTypeE1EDF16_Li32ELi128ELi256ELb0ELi15EEvPKT_PKT0_S7_ifPKiS9_S9_iPKfiiiPfSC_PS2_PT2_iSB_SB_.num_agpr, max(0, .L__assert_fail.num_agpr)
	.set _Z39paged_attention_ll4mi_QKV_mfma16_kernelIDF16_hLN4vllm18Fp8KVCacheDataTypeE1EDF16_Li32ELi128ELi256ELb0ELi15EEvPKT_PKT0_S7_ifPKiS9_S9_iPKfiiiPfSC_PS2_PT2_iSB_SB_.numbered_sgpr, max(33, .L__assert_fail.numbered_sgpr)
	.set _Z39paged_attention_ll4mi_QKV_mfma16_kernelIDF16_hLN4vllm18Fp8KVCacheDataTypeE1EDF16_Li32ELi128ELi256ELb0ELi15EEvPKT_PKT0_S7_ifPKiS9_S9_iPKfiiiPfSC_PS2_PT2_iSB_SB_.num_named_barrier, max(0, .L__assert_fail.num_named_barrier)
	.set _Z39paged_attention_ll4mi_QKV_mfma16_kernelIDF16_hLN4vllm18Fp8KVCacheDataTypeE1EDF16_Li32ELi128ELi256ELb0ELi15EEvPKT_PKT0_S7_ifPKiS9_S9_iPKfiiiPfSC_PS2_PT2_iSB_SB_.private_seg_size, 0+max(.L__assert_fail.private_seg_size)
	.set _Z39paged_attention_ll4mi_QKV_mfma16_kernelIDF16_hLN4vllm18Fp8KVCacheDataTypeE1EDF16_Li32ELi128ELi256ELb0ELi15EEvPKT_PKT0_S7_ifPKiS9_S9_iPKfiiiPfSC_PS2_PT2_iSB_SB_.uses_vcc, or(1, .L__assert_fail.uses_vcc)
	.set _Z39paged_attention_ll4mi_QKV_mfma16_kernelIDF16_hLN4vllm18Fp8KVCacheDataTypeE1EDF16_Li32ELi128ELi256ELb0ELi15EEvPKT_PKT0_S7_ifPKiS9_S9_iPKfiiiPfSC_PS2_PT2_iSB_SB_.uses_flat_scratch, or(0, .L__assert_fail.uses_flat_scratch)
	.set _Z39paged_attention_ll4mi_QKV_mfma16_kernelIDF16_hLN4vllm18Fp8KVCacheDataTypeE1EDF16_Li32ELi128ELi256ELb0ELi15EEvPKT_PKT0_S7_ifPKiS9_S9_iPKfiiiPfSC_PS2_PT2_iSB_SB_.has_dyn_sized_stack, or(0, .L__assert_fail.has_dyn_sized_stack)
	.set _Z39paged_attention_ll4mi_QKV_mfma16_kernelIDF16_hLN4vllm18Fp8KVCacheDataTypeE1EDF16_Li32ELi128ELi256ELb0ELi15EEvPKT_PKT0_S7_ifPKiS9_S9_iPKfiiiPfSC_PS2_PT2_iSB_SB_.has_recursion, or(0, .L__assert_fail.has_recursion)
	.set _Z39paged_attention_ll4mi_QKV_mfma16_kernelIDF16_hLN4vllm18Fp8KVCacheDataTypeE1EDF16_Li32ELi128ELi256ELb0ELi15EEvPKT_PKT0_S7_ifPKiS9_S9_iPKfiiiPfSC_PS2_PT2_iSB_SB_.has_indirect_call, or(0, .L__assert_fail.has_indirect_call)
	.section	.AMDGPU.csdata,"",@progbits
; Kernel info:
; codeLenInByte = 68
; TotalNumSgprs: 36
; NumVgprs: 51
; ScratchSize: 64
; MemoryBound: 0
; FloatMode: 240
; IeeeMode: 1
; LDSByteSize: 0 bytes/workgroup (compile time only)
; SGPRBlocks: 0
; VGPRBlocks: 3
; NumSGPRsForWavesPerEU: 36
; NumVGPRsForWavesPerEU: 51
; NamedBarCnt: 0
; Occupancy: 16
; WaveLimiterHint : 1
; COMPUTE_PGM_RSRC2:SCRATCH_EN: 1
; COMPUTE_PGM_RSRC2:USER_SGPR: 2
; COMPUTE_PGM_RSRC2:TRAP_HANDLER: 0
; COMPUTE_PGM_RSRC2:TGID_X_EN: 1
; COMPUTE_PGM_RSRC2:TGID_Y_EN: 0
; COMPUTE_PGM_RSRC2:TGID_Z_EN: 0
; COMPUTE_PGM_RSRC2:TIDIG_COMP_CNT: 0
	.section	.text._Z39paged_attention_ll4mi_QKV_mfma16_kernelIDF16_hLN4vllm18Fp8KVCacheDataTypeE1EDF16_Li32ELi128ELi256ELb0ELi16EEvPKT_PKT0_S7_ifPKiS9_S9_iPKfiiiPfSC_PS2_PT2_iSB_SB_,"axG",@progbits,_Z39paged_attention_ll4mi_QKV_mfma16_kernelIDF16_hLN4vllm18Fp8KVCacheDataTypeE1EDF16_Li32ELi128ELi256ELb0ELi16EEvPKT_PKT0_S7_ifPKiS9_S9_iPKfiiiPfSC_PS2_PT2_iSB_SB_,comdat
	.protected	_Z39paged_attention_ll4mi_QKV_mfma16_kernelIDF16_hLN4vllm18Fp8KVCacheDataTypeE1EDF16_Li32ELi128ELi256ELb0ELi16EEvPKT_PKT0_S7_ifPKiS9_S9_iPKfiiiPfSC_PS2_PT2_iSB_SB_ ; -- Begin function _Z39paged_attention_ll4mi_QKV_mfma16_kernelIDF16_hLN4vllm18Fp8KVCacheDataTypeE1EDF16_Li32ELi128ELi256ELb0ELi16EEvPKT_PKT0_S7_ifPKiS9_S9_iPKfiiiPfSC_PS2_PT2_iSB_SB_
	.globl	_Z39paged_attention_ll4mi_QKV_mfma16_kernelIDF16_hLN4vllm18Fp8KVCacheDataTypeE1EDF16_Li32ELi128ELi256ELb0ELi16EEvPKT_PKT0_S7_ifPKiS9_S9_iPKfiiiPfSC_PS2_PT2_iSB_SB_
	.p2align	8
	.type	_Z39paged_attention_ll4mi_QKV_mfma16_kernelIDF16_hLN4vllm18Fp8KVCacheDataTypeE1EDF16_Li32ELi128ELi256ELb0ELi16EEvPKT_PKT0_S7_ifPKiS9_S9_iPKfiiiPfSC_PS2_PT2_iSB_SB_,@function
_Z39paged_attention_ll4mi_QKV_mfma16_kernelIDF16_hLN4vllm18Fp8KVCacheDataTypeE1EDF16_Li32ELi128ELi256ELb0ELi16EEvPKT_PKT0_S7_ifPKiS9_S9_iPKfiiiPfSC_PS2_PT2_iSB_SB_: ; @_Z39paged_attention_ll4mi_QKV_mfma16_kernelIDF16_hLN4vllm18Fp8KVCacheDataTypeE1EDF16_Li32ELi128ELi256ELb0ELi16EEvPKT_PKT0_S7_ifPKiS9_S9_iPKfiiiPfSC_PS2_PT2_iSB_SB_
; %bb.0:
	s_get_pc_i64 s[2:3]
	s_add_nc_u64 s[2:3], s[2:3], __PRETTY_FUNCTION__._Z39paged_attention_ll4mi_QKV_mfma16_kernelIDF16_hLN4vllm18Fp8KVCacheDataTypeE1EDF16_Li32ELi128ELi256ELb0ELi16EEvPKT_PKT0_S7_ifPKiS9_S9_iPKfiiiPfSC_PS2_PT2_iSB_SB_@rel64+4
	s_delay_alu instid0(SALU_CYCLE_1)
	v_dual_mov_b32 v0, 0xbb3 :: v_dual_mov_b32 v1, s2
	v_mov_b32_e32 v2, s3
	s_add_nc_u64 s[8:9], s[0:1], 0x90
	s_get_pc_i64 s[0:1]
	s_add_nc_u64 s[0:1], s[0:1], __assert_fail@rel64+4
	s_mov_b32 s32, 0
	s_swap_pc_i64 s[30:31], s[0:1]
	.section	.rodata,"a",@progbits
	.p2align	6, 0x0
	.amdhsa_kernel _Z39paged_attention_ll4mi_QKV_mfma16_kernelIDF16_hLN4vllm18Fp8KVCacheDataTypeE1EDF16_Li32ELi128ELi256ELb0ELi16EEvPKT_PKT0_S7_ifPKiS9_S9_iPKfiiiPfSC_PS2_PT2_iSB_SB_
		.amdhsa_group_segment_fixed_size 0
		.amdhsa_private_segment_fixed_size 64
		.amdhsa_kernarg_size 400
		.amdhsa_user_sgpr_count 2
		.amdhsa_user_sgpr_dispatch_ptr 0
		.amdhsa_user_sgpr_queue_ptr 0
		.amdhsa_user_sgpr_kernarg_segment_ptr 1
		.amdhsa_user_sgpr_dispatch_id 0
		.amdhsa_user_sgpr_kernarg_preload_length 0
		.amdhsa_user_sgpr_kernarg_preload_offset 0
		.amdhsa_user_sgpr_private_segment_size 0
		.amdhsa_wavefront_size32 1
		.amdhsa_uses_dynamic_stack 0
		.amdhsa_enable_private_segment 1
		.amdhsa_system_sgpr_workgroup_id_x 1
		.amdhsa_system_sgpr_workgroup_id_y 0
		.amdhsa_system_sgpr_workgroup_id_z 0
		.amdhsa_system_sgpr_workgroup_info 0
		.amdhsa_system_vgpr_workitem_id 0
		.amdhsa_next_free_vgpr 51
		.amdhsa_next_free_sgpr 34
		.amdhsa_named_barrier_count 0
		.amdhsa_reserve_vcc 1
		.amdhsa_float_round_mode_32 0
		.amdhsa_float_round_mode_16_64 0
		.amdhsa_float_denorm_mode_32 3
		.amdhsa_float_denorm_mode_16_64 3
		.amdhsa_fp16_overflow 0
		.amdhsa_memory_ordered 1
		.amdhsa_forward_progress 1
		.amdhsa_inst_pref_size 1
		.amdhsa_round_robin_scheduling 0
		.amdhsa_exception_fp_ieee_invalid_op 0
		.amdhsa_exception_fp_denorm_src 0
		.amdhsa_exception_fp_ieee_div_zero 0
		.amdhsa_exception_fp_ieee_overflow 0
		.amdhsa_exception_fp_ieee_underflow 0
		.amdhsa_exception_fp_ieee_inexact 0
		.amdhsa_exception_int_div_zero 0
	.end_amdhsa_kernel
	.section	.text._Z39paged_attention_ll4mi_QKV_mfma16_kernelIDF16_hLN4vllm18Fp8KVCacheDataTypeE1EDF16_Li32ELi128ELi256ELb0ELi16EEvPKT_PKT0_S7_ifPKiS9_S9_iPKfiiiPfSC_PS2_PT2_iSB_SB_,"axG",@progbits,_Z39paged_attention_ll4mi_QKV_mfma16_kernelIDF16_hLN4vllm18Fp8KVCacheDataTypeE1EDF16_Li32ELi128ELi256ELb0ELi16EEvPKT_PKT0_S7_ifPKiS9_S9_iPKfiiiPfSC_PS2_PT2_iSB_SB_,comdat
.Lfunc_end1085:
	.size	_Z39paged_attention_ll4mi_QKV_mfma16_kernelIDF16_hLN4vllm18Fp8KVCacheDataTypeE1EDF16_Li32ELi128ELi256ELb0ELi16EEvPKT_PKT0_S7_ifPKiS9_S9_iPKfiiiPfSC_PS2_PT2_iSB_SB_, .Lfunc_end1085-_Z39paged_attention_ll4mi_QKV_mfma16_kernelIDF16_hLN4vllm18Fp8KVCacheDataTypeE1EDF16_Li32ELi128ELi256ELb0ELi16EEvPKT_PKT0_S7_ifPKiS9_S9_iPKfiiiPfSC_PS2_PT2_iSB_SB_
                                        ; -- End function
	.set _Z39paged_attention_ll4mi_QKV_mfma16_kernelIDF16_hLN4vllm18Fp8KVCacheDataTypeE1EDF16_Li32ELi128ELi256ELb0ELi16EEvPKT_PKT0_S7_ifPKiS9_S9_iPKfiiiPfSC_PS2_PT2_iSB_SB_.num_vgpr, max(3, .L__assert_fail.num_vgpr)
	.set _Z39paged_attention_ll4mi_QKV_mfma16_kernelIDF16_hLN4vllm18Fp8KVCacheDataTypeE1EDF16_Li32ELi128ELi256ELb0ELi16EEvPKT_PKT0_S7_ifPKiS9_S9_iPKfiiiPfSC_PS2_PT2_iSB_SB_.num_agpr, max(0, .L__assert_fail.num_agpr)
	.set _Z39paged_attention_ll4mi_QKV_mfma16_kernelIDF16_hLN4vllm18Fp8KVCacheDataTypeE1EDF16_Li32ELi128ELi256ELb0ELi16EEvPKT_PKT0_S7_ifPKiS9_S9_iPKfiiiPfSC_PS2_PT2_iSB_SB_.numbered_sgpr, max(33, .L__assert_fail.numbered_sgpr)
	.set _Z39paged_attention_ll4mi_QKV_mfma16_kernelIDF16_hLN4vllm18Fp8KVCacheDataTypeE1EDF16_Li32ELi128ELi256ELb0ELi16EEvPKT_PKT0_S7_ifPKiS9_S9_iPKfiiiPfSC_PS2_PT2_iSB_SB_.num_named_barrier, max(0, .L__assert_fail.num_named_barrier)
	.set _Z39paged_attention_ll4mi_QKV_mfma16_kernelIDF16_hLN4vllm18Fp8KVCacheDataTypeE1EDF16_Li32ELi128ELi256ELb0ELi16EEvPKT_PKT0_S7_ifPKiS9_S9_iPKfiiiPfSC_PS2_PT2_iSB_SB_.private_seg_size, 0+max(.L__assert_fail.private_seg_size)
	.set _Z39paged_attention_ll4mi_QKV_mfma16_kernelIDF16_hLN4vllm18Fp8KVCacheDataTypeE1EDF16_Li32ELi128ELi256ELb0ELi16EEvPKT_PKT0_S7_ifPKiS9_S9_iPKfiiiPfSC_PS2_PT2_iSB_SB_.uses_vcc, or(1, .L__assert_fail.uses_vcc)
	.set _Z39paged_attention_ll4mi_QKV_mfma16_kernelIDF16_hLN4vllm18Fp8KVCacheDataTypeE1EDF16_Li32ELi128ELi256ELb0ELi16EEvPKT_PKT0_S7_ifPKiS9_S9_iPKfiiiPfSC_PS2_PT2_iSB_SB_.uses_flat_scratch, or(0, .L__assert_fail.uses_flat_scratch)
	.set _Z39paged_attention_ll4mi_QKV_mfma16_kernelIDF16_hLN4vllm18Fp8KVCacheDataTypeE1EDF16_Li32ELi128ELi256ELb0ELi16EEvPKT_PKT0_S7_ifPKiS9_S9_iPKfiiiPfSC_PS2_PT2_iSB_SB_.has_dyn_sized_stack, or(0, .L__assert_fail.has_dyn_sized_stack)
	.set _Z39paged_attention_ll4mi_QKV_mfma16_kernelIDF16_hLN4vllm18Fp8KVCacheDataTypeE1EDF16_Li32ELi128ELi256ELb0ELi16EEvPKT_PKT0_S7_ifPKiS9_S9_iPKfiiiPfSC_PS2_PT2_iSB_SB_.has_recursion, or(0, .L__assert_fail.has_recursion)
	.set _Z39paged_attention_ll4mi_QKV_mfma16_kernelIDF16_hLN4vllm18Fp8KVCacheDataTypeE1EDF16_Li32ELi128ELi256ELb0ELi16EEvPKT_PKT0_S7_ifPKiS9_S9_iPKfiiiPfSC_PS2_PT2_iSB_SB_.has_indirect_call, or(0, .L__assert_fail.has_indirect_call)
	.section	.AMDGPU.csdata,"",@progbits
; Kernel info:
; codeLenInByte = 68
; TotalNumSgprs: 36
; NumVgprs: 51
; ScratchSize: 64
; MemoryBound: 0
; FloatMode: 240
; IeeeMode: 1
; LDSByteSize: 0 bytes/workgroup (compile time only)
; SGPRBlocks: 0
; VGPRBlocks: 3
; NumSGPRsForWavesPerEU: 36
; NumVGPRsForWavesPerEU: 51
; NamedBarCnt: 0
; Occupancy: 16
; WaveLimiterHint : 1
; COMPUTE_PGM_RSRC2:SCRATCH_EN: 1
; COMPUTE_PGM_RSRC2:USER_SGPR: 2
; COMPUTE_PGM_RSRC2:TRAP_HANDLER: 0
; COMPUTE_PGM_RSRC2:TGID_X_EN: 1
; COMPUTE_PGM_RSRC2:TGID_Y_EN: 0
; COMPUTE_PGM_RSRC2:TGID_Z_EN: 0
; COMPUTE_PGM_RSRC2:TIDIG_COMP_CNT: 0
	.section	.text._Z39paged_attention_ll4mi_QKV_mfma16_kernelIDF16_hLN4vllm18Fp8KVCacheDataTypeE1EDF16_Li32ELi128ELi256ELb0ELi1EEvPKT_PKT0_S7_ifPKiS9_S9_iPKfiiiPfSC_PS2_PT2_iSB_SB_,"axG",@progbits,_Z39paged_attention_ll4mi_QKV_mfma16_kernelIDF16_hLN4vllm18Fp8KVCacheDataTypeE1EDF16_Li32ELi128ELi256ELb0ELi1EEvPKT_PKT0_S7_ifPKiS9_S9_iPKfiiiPfSC_PS2_PT2_iSB_SB_,comdat
	.protected	_Z39paged_attention_ll4mi_QKV_mfma16_kernelIDF16_hLN4vllm18Fp8KVCacheDataTypeE1EDF16_Li32ELi128ELi256ELb0ELi1EEvPKT_PKT0_S7_ifPKiS9_S9_iPKfiiiPfSC_PS2_PT2_iSB_SB_ ; -- Begin function _Z39paged_attention_ll4mi_QKV_mfma16_kernelIDF16_hLN4vllm18Fp8KVCacheDataTypeE1EDF16_Li32ELi128ELi256ELb0ELi1EEvPKT_PKT0_S7_ifPKiS9_S9_iPKfiiiPfSC_PS2_PT2_iSB_SB_
	.globl	_Z39paged_attention_ll4mi_QKV_mfma16_kernelIDF16_hLN4vllm18Fp8KVCacheDataTypeE1EDF16_Li32ELi128ELi256ELb0ELi1EEvPKT_PKT0_S7_ifPKiS9_S9_iPKfiiiPfSC_PS2_PT2_iSB_SB_
	.p2align	8
	.type	_Z39paged_attention_ll4mi_QKV_mfma16_kernelIDF16_hLN4vllm18Fp8KVCacheDataTypeE1EDF16_Li32ELi128ELi256ELb0ELi1EEvPKT_PKT0_S7_ifPKiS9_S9_iPKfiiiPfSC_PS2_PT2_iSB_SB_,@function
_Z39paged_attention_ll4mi_QKV_mfma16_kernelIDF16_hLN4vllm18Fp8KVCacheDataTypeE1EDF16_Li32ELi128ELi256ELb0ELi1EEvPKT_PKT0_S7_ifPKiS9_S9_iPKfiiiPfSC_PS2_PT2_iSB_SB_: ; @_Z39paged_attention_ll4mi_QKV_mfma16_kernelIDF16_hLN4vllm18Fp8KVCacheDataTypeE1EDF16_Li32ELi128ELi256ELb0ELi1EEvPKT_PKT0_S7_ifPKiS9_S9_iPKfiiiPfSC_PS2_PT2_iSB_SB_
; %bb.0:
	s_get_pc_i64 s[2:3]
	s_add_nc_u64 s[2:3], s[2:3], __PRETTY_FUNCTION__._Z39paged_attention_ll4mi_QKV_mfma16_kernelIDF16_hLN4vllm18Fp8KVCacheDataTypeE1EDF16_Li32ELi128ELi256ELb0ELi1EEvPKT_PKT0_S7_ifPKiS9_S9_iPKfiiiPfSC_PS2_PT2_iSB_SB_@rel64+4
	s_delay_alu instid0(SALU_CYCLE_1)
	v_dual_mov_b32 v0, 0xbb3 :: v_dual_mov_b32 v1, s2
	v_mov_b32_e32 v2, s3
	s_add_nc_u64 s[8:9], s[0:1], 0x90
	s_get_pc_i64 s[0:1]
	s_add_nc_u64 s[0:1], s[0:1], __assert_fail@rel64+4
	s_mov_b32 s32, 0
	s_swap_pc_i64 s[30:31], s[0:1]
	.section	.rodata,"a",@progbits
	.p2align	6, 0x0
	.amdhsa_kernel _Z39paged_attention_ll4mi_QKV_mfma16_kernelIDF16_hLN4vllm18Fp8KVCacheDataTypeE1EDF16_Li32ELi128ELi256ELb0ELi1EEvPKT_PKT0_S7_ifPKiS9_S9_iPKfiiiPfSC_PS2_PT2_iSB_SB_
		.amdhsa_group_segment_fixed_size 0
		.amdhsa_private_segment_fixed_size 64
		.amdhsa_kernarg_size 400
		.amdhsa_user_sgpr_count 2
		.amdhsa_user_sgpr_dispatch_ptr 0
		.amdhsa_user_sgpr_queue_ptr 0
		.amdhsa_user_sgpr_kernarg_segment_ptr 1
		.amdhsa_user_sgpr_dispatch_id 0
		.amdhsa_user_sgpr_kernarg_preload_length 0
		.amdhsa_user_sgpr_kernarg_preload_offset 0
		.amdhsa_user_sgpr_private_segment_size 0
		.amdhsa_wavefront_size32 1
		.amdhsa_uses_dynamic_stack 0
		.amdhsa_enable_private_segment 1
		.amdhsa_system_sgpr_workgroup_id_x 1
		.amdhsa_system_sgpr_workgroup_id_y 0
		.amdhsa_system_sgpr_workgroup_id_z 0
		.amdhsa_system_sgpr_workgroup_info 0
		.amdhsa_system_vgpr_workitem_id 0
		.amdhsa_next_free_vgpr 51
		.amdhsa_next_free_sgpr 34
		.amdhsa_named_barrier_count 0
		.amdhsa_reserve_vcc 1
		.amdhsa_float_round_mode_32 0
		.amdhsa_float_round_mode_16_64 0
		.amdhsa_float_denorm_mode_32 3
		.amdhsa_float_denorm_mode_16_64 3
		.amdhsa_fp16_overflow 0
		.amdhsa_memory_ordered 1
		.amdhsa_forward_progress 1
		.amdhsa_inst_pref_size 1
		.amdhsa_round_robin_scheduling 0
		.amdhsa_exception_fp_ieee_invalid_op 0
		.amdhsa_exception_fp_denorm_src 0
		.amdhsa_exception_fp_ieee_div_zero 0
		.amdhsa_exception_fp_ieee_overflow 0
		.amdhsa_exception_fp_ieee_underflow 0
		.amdhsa_exception_fp_ieee_inexact 0
		.amdhsa_exception_int_div_zero 0
	.end_amdhsa_kernel
	.section	.text._Z39paged_attention_ll4mi_QKV_mfma16_kernelIDF16_hLN4vllm18Fp8KVCacheDataTypeE1EDF16_Li32ELi128ELi256ELb0ELi1EEvPKT_PKT0_S7_ifPKiS9_S9_iPKfiiiPfSC_PS2_PT2_iSB_SB_,"axG",@progbits,_Z39paged_attention_ll4mi_QKV_mfma16_kernelIDF16_hLN4vllm18Fp8KVCacheDataTypeE1EDF16_Li32ELi128ELi256ELb0ELi1EEvPKT_PKT0_S7_ifPKiS9_S9_iPKfiiiPfSC_PS2_PT2_iSB_SB_,comdat
.Lfunc_end1086:
	.size	_Z39paged_attention_ll4mi_QKV_mfma16_kernelIDF16_hLN4vllm18Fp8KVCacheDataTypeE1EDF16_Li32ELi128ELi256ELb0ELi1EEvPKT_PKT0_S7_ifPKiS9_S9_iPKfiiiPfSC_PS2_PT2_iSB_SB_, .Lfunc_end1086-_Z39paged_attention_ll4mi_QKV_mfma16_kernelIDF16_hLN4vllm18Fp8KVCacheDataTypeE1EDF16_Li32ELi128ELi256ELb0ELi1EEvPKT_PKT0_S7_ifPKiS9_S9_iPKfiiiPfSC_PS2_PT2_iSB_SB_
                                        ; -- End function
	.set _Z39paged_attention_ll4mi_QKV_mfma16_kernelIDF16_hLN4vllm18Fp8KVCacheDataTypeE1EDF16_Li32ELi128ELi256ELb0ELi1EEvPKT_PKT0_S7_ifPKiS9_S9_iPKfiiiPfSC_PS2_PT2_iSB_SB_.num_vgpr, max(3, .L__assert_fail.num_vgpr)
	.set _Z39paged_attention_ll4mi_QKV_mfma16_kernelIDF16_hLN4vllm18Fp8KVCacheDataTypeE1EDF16_Li32ELi128ELi256ELb0ELi1EEvPKT_PKT0_S7_ifPKiS9_S9_iPKfiiiPfSC_PS2_PT2_iSB_SB_.num_agpr, max(0, .L__assert_fail.num_agpr)
	.set _Z39paged_attention_ll4mi_QKV_mfma16_kernelIDF16_hLN4vllm18Fp8KVCacheDataTypeE1EDF16_Li32ELi128ELi256ELb0ELi1EEvPKT_PKT0_S7_ifPKiS9_S9_iPKfiiiPfSC_PS2_PT2_iSB_SB_.numbered_sgpr, max(33, .L__assert_fail.numbered_sgpr)
	.set _Z39paged_attention_ll4mi_QKV_mfma16_kernelIDF16_hLN4vllm18Fp8KVCacheDataTypeE1EDF16_Li32ELi128ELi256ELb0ELi1EEvPKT_PKT0_S7_ifPKiS9_S9_iPKfiiiPfSC_PS2_PT2_iSB_SB_.num_named_barrier, max(0, .L__assert_fail.num_named_barrier)
	.set _Z39paged_attention_ll4mi_QKV_mfma16_kernelIDF16_hLN4vllm18Fp8KVCacheDataTypeE1EDF16_Li32ELi128ELi256ELb0ELi1EEvPKT_PKT0_S7_ifPKiS9_S9_iPKfiiiPfSC_PS2_PT2_iSB_SB_.private_seg_size, 0+max(.L__assert_fail.private_seg_size)
	.set _Z39paged_attention_ll4mi_QKV_mfma16_kernelIDF16_hLN4vllm18Fp8KVCacheDataTypeE1EDF16_Li32ELi128ELi256ELb0ELi1EEvPKT_PKT0_S7_ifPKiS9_S9_iPKfiiiPfSC_PS2_PT2_iSB_SB_.uses_vcc, or(1, .L__assert_fail.uses_vcc)
	.set _Z39paged_attention_ll4mi_QKV_mfma16_kernelIDF16_hLN4vllm18Fp8KVCacheDataTypeE1EDF16_Li32ELi128ELi256ELb0ELi1EEvPKT_PKT0_S7_ifPKiS9_S9_iPKfiiiPfSC_PS2_PT2_iSB_SB_.uses_flat_scratch, or(0, .L__assert_fail.uses_flat_scratch)
	.set _Z39paged_attention_ll4mi_QKV_mfma16_kernelIDF16_hLN4vllm18Fp8KVCacheDataTypeE1EDF16_Li32ELi128ELi256ELb0ELi1EEvPKT_PKT0_S7_ifPKiS9_S9_iPKfiiiPfSC_PS2_PT2_iSB_SB_.has_dyn_sized_stack, or(0, .L__assert_fail.has_dyn_sized_stack)
	.set _Z39paged_attention_ll4mi_QKV_mfma16_kernelIDF16_hLN4vllm18Fp8KVCacheDataTypeE1EDF16_Li32ELi128ELi256ELb0ELi1EEvPKT_PKT0_S7_ifPKiS9_S9_iPKfiiiPfSC_PS2_PT2_iSB_SB_.has_recursion, or(0, .L__assert_fail.has_recursion)
	.set _Z39paged_attention_ll4mi_QKV_mfma16_kernelIDF16_hLN4vllm18Fp8KVCacheDataTypeE1EDF16_Li32ELi128ELi256ELb0ELi1EEvPKT_PKT0_S7_ifPKiS9_S9_iPKfiiiPfSC_PS2_PT2_iSB_SB_.has_indirect_call, or(0, .L__assert_fail.has_indirect_call)
	.section	.AMDGPU.csdata,"",@progbits
; Kernel info:
; codeLenInByte = 68
; TotalNumSgprs: 36
; NumVgprs: 51
; ScratchSize: 64
; MemoryBound: 0
; FloatMode: 240
; IeeeMode: 1
; LDSByteSize: 0 bytes/workgroup (compile time only)
; SGPRBlocks: 0
; VGPRBlocks: 3
; NumSGPRsForWavesPerEU: 36
; NumVGPRsForWavesPerEU: 51
; NamedBarCnt: 0
; Occupancy: 16
; WaveLimiterHint : 1
; COMPUTE_PGM_RSRC2:SCRATCH_EN: 1
; COMPUTE_PGM_RSRC2:USER_SGPR: 2
; COMPUTE_PGM_RSRC2:TRAP_HANDLER: 0
; COMPUTE_PGM_RSRC2:TGID_X_EN: 1
; COMPUTE_PGM_RSRC2:TGID_Y_EN: 0
; COMPUTE_PGM_RSRC2:TGID_Z_EN: 0
; COMPUTE_PGM_RSRC2:TIDIG_COMP_CNT: 0
	.section	.text._Z39paged_attention_ll4mi_QKV_mfma16_kernelIDF16_hLN4vllm18Fp8KVCacheDataTypeE1EDF16_Li32ELi128ELi256ELb0ELi2EEvPKT_PKT0_S7_ifPKiS9_S9_iPKfiiiPfSC_PS2_PT2_iSB_SB_,"axG",@progbits,_Z39paged_attention_ll4mi_QKV_mfma16_kernelIDF16_hLN4vllm18Fp8KVCacheDataTypeE1EDF16_Li32ELi128ELi256ELb0ELi2EEvPKT_PKT0_S7_ifPKiS9_S9_iPKfiiiPfSC_PS2_PT2_iSB_SB_,comdat
	.protected	_Z39paged_attention_ll4mi_QKV_mfma16_kernelIDF16_hLN4vllm18Fp8KVCacheDataTypeE1EDF16_Li32ELi128ELi256ELb0ELi2EEvPKT_PKT0_S7_ifPKiS9_S9_iPKfiiiPfSC_PS2_PT2_iSB_SB_ ; -- Begin function _Z39paged_attention_ll4mi_QKV_mfma16_kernelIDF16_hLN4vllm18Fp8KVCacheDataTypeE1EDF16_Li32ELi128ELi256ELb0ELi2EEvPKT_PKT0_S7_ifPKiS9_S9_iPKfiiiPfSC_PS2_PT2_iSB_SB_
	.globl	_Z39paged_attention_ll4mi_QKV_mfma16_kernelIDF16_hLN4vllm18Fp8KVCacheDataTypeE1EDF16_Li32ELi128ELi256ELb0ELi2EEvPKT_PKT0_S7_ifPKiS9_S9_iPKfiiiPfSC_PS2_PT2_iSB_SB_
	.p2align	8
	.type	_Z39paged_attention_ll4mi_QKV_mfma16_kernelIDF16_hLN4vllm18Fp8KVCacheDataTypeE1EDF16_Li32ELi128ELi256ELb0ELi2EEvPKT_PKT0_S7_ifPKiS9_S9_iPKfiiiPfSC_PS2_PT2_iSB_SB_,@function
_Z39paged_attention_ll4mi_QKV_mfma16_kernelIDF16_hLN4vllm18Fp8KVCacheDataTypeE1EDF16_Li32ELi128ELi256ELb0ELi2EEvPKT_PKT0_S7_ifPKiS9_S9_iPKfiiiPfSC_PS2_PT2_iSB_SB_: ; @_Z39paged_attention_ll4mi_QKV_mfma16_kernelIDF16_hLN4vllm18Fp8KVCacheDataTypeE1EDF16_Li32ELi128ELi256ELb0ELi2EEvPKT_PKT0_S7_ifPKiS9_S9_iPKfiiiPfSC_PS2_PT2_iSB_SB_
; %bb.0:
	s_get_pc_i64 s[2:3]
	s_add_nc_u64 s[2:3], s[2:3], __PRETTY_FUNCTION__._Z39paged_attention_ll4mi_QKV_mfma16_kernelIDF16_hLN4vllm18Fp8KVCacheDataTypeE1EDF16_Li32ELi128ELi256ELb0ELi2EEvPKT_PKT0_S7_ifPKiS9_S9_iPKfiiiPfSC_PS2_PT2_iSB_SB_@rel64+4
	s_delay_alu instid0(SALU_CYCLE_1)
	v_dual_mov_b32 v0, 0xbb3 :: v_dual_mov_b32 v1, s2
	v_mov_b32_e32 v2, s3
	s_add_nc_u64 s[8:9], s[0:1], 0x90
	s_get_pc_i64 s[0:1]
	s_add_nc_u64 s[0:1], s[0:1], __assert_fail@rel64+4
	s_mov_b32 s32, 0
	s_swap_pc_i64 s[30:31], s[0:1]
	.section	.rodata,"a",@progbits
	.p2align	6, 0x0
	.amdhsa_kernel _Z39paged_attention_ll4mi_QKV_mfma16_kernelIDF16_hLN4vllm18Fp8KVCacheDataTypeE1EDF16_Li32ELi128ELi256ELb0ELi2EEvPKT_PKT0_S7_ifPKiS9_S9_iPKfiiiPfSC_PS2_PT2_iSB_SB_
		.amdhsa_group_segment_fixed_size 0
		.amdhsa_private_segment_fixed_size 64
		.amdhsa_kernarg_size 400
		.amdhsa_user_sgpr_count 2
		.amdhsa_user_sgpr_dispatch_ptr 0
		.amdhsa_user_sgpr_queue_ptr 0
		.amdhsa_user_sgpr_kernarg_segment_ptr 1
		.amdhsa_user_sgpr_dispatch_id 0
		.amdhsa_user_sgpr_kernarg_preload_length 0
		.amdhsa_user_sgpr_kernarg_preload_offset 0
		.amdhsa_user_sgpr_private_segment_size 0
		.amdhsa_wavefront_size32 1
		.amdhsa_uses_dynamic_stack 0
		.amdhsa_enable_private_segment 1
		.amdhsa_system_sgpr_workgroup_id_x 1
		.amdhsa_system_sgpr_workgroup_id_y 0
		.amdhsa_system_sgpr_workgroup_id_z 0
		.amdhsa_system_sgpr_workgroup_info 0
		.amdhsa_system_vgpr_workitem_id 0
		.amdhsa_next_free_vgpr 51
		.amdhsa_next_free_sgpr 34
		.amdhsa_named_barrier_count 0
		.amdhsa_reserve_vcc 1
		.amdhsa_float_round_mode_32 0
		.amdhsa_float_round_mode_16_64 0
		.amdhsa_float_denorm_mode_32 3
		.amdhsa_float_denorm_mode_16_64 3
		.amdhsa_fp16_overflow 0
		.amdhsa_memory_ordered 1
		.amdhsa_forward_progress 1
		.amdhsa_inst_pref_size 1
		.amdhsa_round_robin_scheduling 0
		.amdhsa_exception_fp_ieee_invalid_op 0
		.amdhsa_exception_fp_denorm_src 0
		.amdhsa_exception_fp_ieee_div_zero 0
		.amdhsa_exception_fp_ieee_overflow 0
		.amdhsa_exception_fp_ieee_underflow 0
		.amdhsa_exception_fp_ieee_inexact 0
		.amdhsa_exception_int_div_zero 0
	.end_amdhsa_kernel
	.section	.text._Z39paged_attention_ll4mi_QKV_mfma16_kernelIDF16_hLN4vllm18Fp8KVCacheDataTypeE1EDF16_Li32ELi128ELi256ELb0ELi2EEvPKT_PKT0_S7_ifPKiS9_S9_iPKfiiiPfSC_PS2_PT2_iSB_SB_,"axG",@progbits,_Z39paged_attention_ll4mi_QKV_mfma16_kernelIDF16_hLN4vllm18Fp8KVCacheDataTypeE1EDF16_Li32ELi128ELi256ELb0ELi2EEvPKT_PKT0_S7_ifPKiS9_S9_iPKfiiiPfSC_PS2_PT2_iSB_SB_,comdat
.Lfunc_end1087:
	.size	_Z39paged_attention_ll4mi_QKV_mfma16_kernelIDF16_hLN4vllm18Fp8KVCacheDataTypeE1EDF16_Li32ELi128ELi256ELb0ELi2EEvPKT_PKT0_S7_ifPKiS9_S9_iPKfiiiPfSC_PS2_PT2_iSB_SB_, .Lfunc_end1087-_Z39paged_attention_ll4mi_QKV_mfma16_kernelIDF16_hLN4vllm18Fp8KVCacheDataTypeE1EDF16_Li32ELi128ELi256ELb0ELi2EEvPKT_PKT0_S7_ifPKiS9_S9_iPKfiiiPfSC_PS2_PT2_iSB_SB_
                                        ; -- End function
	.set _Z39paged_attention_ll4mi_QKV_mfma16_kernelIDF16_hLN4vllm18Fp8KVCacheDataTypeE1EDF16_Li32ELi128ELi256ELb0ELi2EEvPKT_PKT0_S7_ifPKiS9_S9_iPKfiiiPfSC_PS2_PT2_iSB_SB_.num_vgpr, max(3, .L__assert_fail.num_vgpr)
	.set _Z39paged_attention_ll4mi_QKV_mfma16_kernelIDF16_hLN4vllm18Fp8KVCacheDataTypeE1EDF16_Li32ELi128ELi256ELb0ELi2EEvPKT_PKT0_S7_ifPKiS9_S9_iPKfiiiPfSC_PS2_PT2_iSB_SB_.num_agpr, max(0, .L__assert_fail.num_agpr)
	.set _Z39paged_attention_ll4mi_QKV_mfma16_kernelIDF16_hLN4vllm18Fp8KVCacheDataTypeE1EDF16_Li32ELi128ELi256ELb0ELi2EEvPKT_PKT0_S7_ifPKiS9_S9_iPKfiiiPfSC_PS2_PT2_iSB_SB_.numbered_sgpr, max(33, .L__assert_fail.numbered_sgpr)
	.set _Z39paged_attention_ll4mi_QKV_mfma16_kernelIDF16_hLN4vllm18Fp8KVCacheDataTypeE1EDF16_Li32ELi128ELi256ELb0ELi2EEvPKT_PKT0_S7_ifPKiS9_S9_iPKfiiiPfSC_PS2_PT2_iSB_SB_.num_named_barrier, max(0, .L__assert_fail.num_named_barrier)
	.set _Z39paged_attention_ll4mi_QKV_mfma16_kernelIDF16_hLN4vllm18Fp8KVCacheDataTypeE1EDF16_Li32ELi128ELi256ELb0ELi2EEvPKT_PKT0_S7_ifPKiS9_S9_iPKfiiiPfSC_PS2_PT2_iSB_SB_.private_seg_size, 0+max(.L__assert_fail.private_seg_size)
	.set _Z39paged_attention_ll4mi_QKV_mfma16_kernelIDF16_hLN4vllm18Fp8KVCacheDataTypeE1EDF16_Li32ELi128ELi256ELb0ELi2EEvPKT_PKT0_S7_ifPKiS9_S9_iPKfiiiPfSC_PS2_PT2_iSB_SB_.uses_vcc, or(1, .L__assert_fail.uses_vcc)
	.set _Z39paged_attention_ll4mi_QKV_mfma16_kernelIDF16_hLN4vllm18Fp8KVCacheDataTypeE1EDF16_Li32ELi128ELi256ELb0ELi2EEvPKT_PKT0_S7_ifPKiS9_S9_iPKfiiiPfSC_PS2_PT2_iSB_SB_.uses_flat_scratch, or(0, .L__assert_fail.uses_flat_scratch)
	.set _Z39paged_attention_ll4mi_QKV_mfma16_kernelIDF16_hLN4vllm18Fp8KVCacheDataTypeE1EDF16_Li32ELi128ELi256ELb0ELi2EEvPKT_PKT0_S7_ifPKiS9_S9_iPKfiiiPfSC_PS2_PT2_iSB_SB_.has_dyn_sized_stack, or(0, .L__assert_fail.has_dyn_sized_stack)
	.set _Z39paged_attention_ll4mi_QKV_mfma16_kernelIDF16_hLN4vllm18Fp8KVCacheDataTypeE1EDF16_Li32ELi128ELi256ELb0ELi2EEvPKT_PKT0_S7_ifPKiS9_S9_iPKfiiiPfSC_PS2_PT2_iSB_SB_.has_recursion, or(0, .L__assert_fail.has_recursion)
	.set _Z39paged_attention_ll4mi_QKV_mfma16_kernelIDF16_hLN4vllm18Fp8KVCacheDataTypeE1EDF16_Li32ELi128ELi256ELb0ELi2EEvPKT_PKT0_S7_ifPKiS9_S9_iPKfiiiPfSC_PS2_PT2_iSB_SB_.has_indirect_call, or(0, .L__assert_fail.has_indirect_call)
	.section	.AMDGPU.csdata,"",@progbits
; Kernel info:
; codeLenInByte = 68
; TotalNumSgprs: 36
; NumVgprs: 51
; ScratchSize: 64
; MemoryBound: 0
; FloatMode: 240
; IeeeMode: 1
; LDSByteSize: 0 bytes/workgroup (compile time only)
; SGPRBlocks: 0
; VGPRBlocks: 3
; NumSGPRsForWavesPerEU: 36
; NumVGPRsForWavesPerEU: 51
; NamedBarCnt: 0
; Occupancy: 16
; WaveLimiterHint : 1
; COMPUTE_PGM_RSRC2:SCRATCH_EN: 1
; COMPUTE_PGM_RSRC2:USER_SGPR: 2
; COMPUTE_PGM_RSRC2:TRAP_HANDLER: 0
; COMPUTE_PGM_RSRC2:TGID_X_EN: 1
; COMPUTE_PGM_RSRC2:TGID_Y_EN: 0
; COMPUTE_PGM_RSRC2:TGID_Z_EN: 0
; COMPUTE_PGM_RSRC2:TIDIG_COMP_CNT: 0
	.section	.text._Z39paged_attention_ll4mi_QKV_mfma16_kernelIDF16_hLN4vllm18Fp8KVCacheDataTypeE1EDF16_Li32ELi128ELi256ELb0ELi3EEvPKT_PKT0_S7_ifPKiS9_S9_iPKfiiiPfSC_PS2_PT2_iSB_SB_,"axG",@progbits,_Z39paged_attention_ll4mi_QKV_mfma16_kernelIDF16_hLN4vllm18Fp8KVCacheDataTypeE1EDF16_Li32ELi128ELi256ELb0ELi3EEvPKT_PKT0_S7_ifPKiS9_S9_iPKfiiiPfSC_PS2_PT2_iSB_SB_,comdat
	.protected	_Z39paged_attention_ll4mi_QKV_mfma16_kernelIDF16_hLN4vllm18Fp8KVCacheDataTypeE1EDF16_Li32ELi128ELi256ELb0ELi3EEvPKT_PKT0_S7_ifPKiS9_S9_iPKfiiiPfSC_PS2_PT2_iSB_SB_ ; -- Begin function _Z39paged_attention_ll4mi_QKV_mfma16_kernelIDF16_hLN4vllm18Fp8KVCacheDataTypeE1EDF16_Li32ELi128ELi256ELb0ELi3EEvPKT_PKT0_S7_ifPKiS9_S9_iPKfiiiPfSC_PS2_PT2_iSB_SB_
	.globl	_Z39paged_attention_ll4mi_QKV_mfma16_kernelIDF16_hLN4vllm18Fp8KVCacheDataTypeE1EDF16_Li32ELi128ELi256ELb0ELi3EEvPKT_PKT0_S7_ifPKiS9_S9_iPKfiiiPfSC_PS2_PT2_iSB_SB_
	.p2align	8
	.type	_Z39paged_attention_ll4mi_QKV_mfma16_kernelIDF16_hLN4vllm18Fp8KVCacheDataTypeE1EDF16_Li32ELi128ELi256ELb0ELi3EEvPKT_PKT0_S7_ifPKiS9_S9_iPKfiiiPfSC_PS2_PT2_iSB_SB_,@function
_Z39paged_attention_ll4mi_QKV_mfma16_kernelIDF16_hLN4vllm18Fp8KVCacheDataTypeE1EDF16_Li32ELi128ELi256ELb0ELi3EEvPKT_PKT0_S7_ifPKiS9_S9_iPKfiiiPfSC_PS2_PT2_iSB_SB_: ; @_Z39paged_attention_ll4mi_QKV_mfma16_kernelIDF16_hLN4vllm18Fp8KVCacheDataTypeE1EDF16_Li32ELi128ELi256ELb0ELi3EEvPKT_PKT0_S7_ifPKiS9_S9_iPKfiiiPfSC_PS2_PT2_iSB_SB_
; %bb.0:
	s_get_pc_i64 s[2:3]
	s_add_nc_u64 s[2:3], s[2:3], __PRETTY_FUNCTION__._Z39paged_attention_ll4mi_QKV_mfma16_kernelIDF16_hLN4vllm18Fp8KVCacheDataTypeE1EDF16_Li32ELi128ELi256ELb0ELi3EEvPKT_PKT0_S7_ifPKiS9_S9_iPKfiiiPfSC_PS2_PT2_iSB_SB_@rel64+4
	s_delay_alu instid0(SALU_CYCLE_1)
	v_dual_mov_b32 v0, 0xbb3 :: v_dual_mov_b32 v1, s2
	v_mov_b32_e32 v2, s3
	s_add_nc_u64 s[8:9], s[0:1], 0x90
	s_get_pc_i64 s[0:1]
	s_add_nc_u64 s[0:1], s[0:1], __assert_fail@rel64+4
	s_mov_b32 s32, 0
	s_swap_pc_i64 s[30:31], s[0:1]
	.section	.rodata,"a",@progbits
	.p2align	6, 0x0
	.amdhsa_kernel _Z39paged_attention_ll4mi_QKV_mfma16_kernelIDF16_hLN4vllm18Fp8KVCacheDataTypeE1EDF16_Li32ELi128ELi256ELb0ELi3EEvPKT_PKT0_S7_ifPKiS9_S9_iPKfiiiPfSC_PS2_PT2_iSB_SB_
		.amdhsa_group_segment_fixed_size 0
		.amdhsa_private_segment_fixed_size 64
		.amdhsa_kernarg_size 400
		.amdhsa_user_sgpr_count 2
		.amdhsa_user_sgpr_dispatch_ptr 0
		.amdhsa_user_sgpr_queue_ptr 0
		.amdhsa_user_sgpr_kernarg_segment_ptr 1
		.amdhsa_user_sgpr_dispatch_id 0
		.amdhsa_user_sgpr_kernarg_preload_length 0
		.amdhsa_user_sgpr_kernarg_preload_offset 0
		.amdhsa_user_sgpr_private_segment_size 0
		.amdhsa_wavefront_size32 1
		.amdhsa_uses_dynamic_stack 0
		.amdhsa_enable_private_segment 1
		.amdhsa_system_sgpr_workgroup_id_x 1
		.amdhsa_system_sgpr_workgroup_id_y 0
		.amdhsa_system_sgpr_workgroup_id_z 0
		.amdhsa_system_sgpr_workgroup_info 0
		.amdhsa_system_vgpr_workitem_id 0
		.amdhsa_next_free_vgpr 51
		.amdhsa_next_free_sgpr 34
		.amdhsa_named_barrier_count 0
		.amdhsa_reserve_vcc 1
		.amdhsa_float_round_mode_32 0
		.amdhsa_float_round_mode_16_64 0
		.amdhsa_float_denorm_mode_32 3
		.amdhsa_float_denorm_mode_16_64 3
		.amdhsa_fp16_overflow 0
		.amdhsa_memory_ordered 1
		.amdhsa_forward_progress 1
		.amdhsa_inst_pref_size 1
		.amdhsa_round_robin_scheduling 0
		.amdhsa_exception_fp_ieee_invalid_op 0
		.amdhsa_exception_fp_denorm_src 0
		.amdhsa_exception_fp_ieee_div_zero 0
		.amdhsa_exception_fp_ieee_overflow 0
		.amdhsa_exception_fp_ieee_underflow 0
		.amdhsa_exception_fp_ieee_inexact 0
		.amdhsa_exception_int_div_zero 0
	.end_amdhsa_kernel
	.section	.text._Z39paged_attention_ll4mi_QKV_mfma16_kernelIDF16_hLN4vllm18Fp8KVCacheDataTypeE1EDF16_Li32ELi128ELi256ELb0ELi3EEvPKT_PKT0_S7_ifPKiS9_S9_iPKfiiiPfSC_PS2_PT2_iSB_SB_,"axG",@progbits,_Z39paged_attention_ll4mi_QKV_mfma16_kernelIDF16_hLN4vllm18Fp8KVCacheDataTypeE1EDF16_Li32ELi128ELi256ELb0ELi3EEvPKT_PKT0_S7_ifPKiS9_S9_iPKfiiiPfSC_PS2_PT2_iSB_SB_,comdat
.Lfunc_end1088:
	.size	_Z39paged_attention_ll4mi_QKV_mfma16_kernelIDF16_hLN4vllm18Fp8KVCacheDataTypeE1EDF16_Li32ELi128ELi256ELb0ELi3EEvPKT_PKT0_S7_ifPKiS9_S9_iPKfiiiPfSC_PS2_PT2_iSB_SB_, .Lfunc_end1088-_Z39paged_attention_ll4mi_QKV_mfma16_kernelIDF16_hLN4vllm18Fp8KVCacheDataTypeE1EDF16_Li32ELi128ELi256ELb0ELi3EEvPKT_PKT0_S7_ifPKiS9_S9_iPKfiiiPfSC_PS2_PT2_iSB_SB_
                                        ; -- End function
	.set _Z39paged_attention_ll4mi_QKV_mfma16_kernelIDF16_hLN4vllm18Fp8KVCacheDataTypeE1EDF16_Li32ELi128ELi256ELb0ELi3EEvPKT_PKT0_S7_ifPKiS9_S9_iPKfiiiPfSC_PS2_PT2_iSB_SB_.num_vgpr, max(3, .L__assert_fail.num_vgpr)
	.set _Z39paged_attention_ll4mi_QKV_mfma16_kernelIDF16_hLN4vllm18Fp8KVCacheDataTypeE1EDF16_Li32ELi128ELi256ELb0ELi3EEvPKT_PKT0_S7_ifPKiS9_S9_iPKfiiiPfSC_PS2_PT2_iSB_SB_.num_agpr, max(0, .L__assert_fail.num_agpr)
	.set _Z39paged_attention_ll4mi_QKV_mfma16_kernelIDF16_hLN4vllm18Fp8KVCacheDataTypeE1EDF16_Li32ELi128ELi256ELb0ELi3EEvPKT_PKT0_S7_ifPKiS9_S9_iPKfiiiPfSC_PS2_PT2_iSB_SB_.numbered_sgpr, max(33, .L__assert_fail.numbered_sgpr)
	.set _Z39paged_attention_ll4mi_QKV_mfma16_kernelIDF16_hLN4vllm18Fp8KVCacheDataTypeE1EDF16_Li32ELi128ELi256ELb0ELi3EEvPKT_PKT0_S7_ifPKiS9_S9_iPKfiiiPfSC_PS2_PT2_iSB_SB_.num_named_barrier, max(0, .L__assert_fail.num_named_barrier)
	.set _Z39paged_attention_ll4mi_QKV_mfma16_kernelIDF16_hLN4vllm18Fp8KVCacheDataTypeE1EDF16_Li32ELi128ELi256ELb0ELi3EEvPKT_PKT0_S7_ifPKiS9_S9_iPKfiiiPfSC_PS2_PT2_iSB_SB_.private_seg_size, 0+max(.L__assert_fail.private_seg_size)
	.set _Z39paged_attention_ll4mi_QKV_mfma16_kernelIDF16_hLN4vllm18Fp8KVCacheDataTypeE1EDF16_Li32ELi128ELi256ELb0ELi3EEvPKT_PKT0_S7_ifPKiS9_S9_iPKfiiiPfSC_PS2_PT2_iSB_SB_.uses_vcc, or(1, .L__assert_fail.uses_vcc)
	.set _Z39paged_attention_ll4mi_QKV_mfma16_kernelIDF16_hLN4vllm18Fp8KVCacheDataTypeE1EDF16_Li32ELi128ELi256ELb0ELi3EEvPKT_PKT0_S7_ifPKiS9_S9_iPKfiiiPfSC_PS2_PT2_iSB_SB_.uses_flat_scratch, or(0, .L__assert_fail.uses_flat_scratch)
	.set _Z39paged_attention_ll4mi_QKV_mfma16_kernelIDF16_hLN4vllm18Fp8KVCacheDataTypeE1EDF16_Li32ELi128ELi256ELb0ELi3EEvPKT_PKT0_S7_ifPKiS9_S9_iPKfiiiPfSC_PS2_PT2_iSB_SB_.has_dyn_sized_stack, or(0, .L__assert_fail.has_dyn_sized_stack)
	.set _Z39paged_attention_ll4mi_QKV_mfma16_kernelIDF16_hLN4vllm18Fp8KVCacheDataTypeE1EDF16_Li32ELi128ELi256ELb0ELi3EEvPKT_PKT0_S7_ifPKiS9_S9_iPKfiiiPfSC_PS2_PT2_iSB_SB_.has_recursion, or(0, .L__assert_fail.has_recursion)
	.set _Z39paged_attention_ll4mi_QKV_mfma16_kernelIDF16_hLN4vllm18Fp8KVCacheDataTypeE1EDF16_Li32ELi128ELi256ELb0ELi3EEvPKT_PKT0_S7_ifPKiS9_S9_iPKfiiiPfSC_PS2_PT2_iSB_SB_.has_indirect_call, or(0, .L__assert_fail.has_indirect_call)
	.section	.AMDGPU.csdata,"",@progbits
; Kernel info:
; codeLenInByte = 68
; TotalNumSgprs: 36
; NumVgprs: 51
; ScratchSize: 64
; MemoryBound: 0
; FloatMode: 240
; IeeeMode: 1
; LDSByteSize: 0 bytes/workgroup (compile time only)
; SGPRBlocks: 0
; VGPRBlocks: 3
; NumSGPRsForWavesPerEU: 36
; NumVGPRsForWavesPerEU: 51
; NamedBarCnt: 0
; Occupancy: 16
; WaveLimiterHint : 1
; COMPUTE_PGM_RSRC2:SCRATCH_EN: 1
; COMPUTE_PGM_RSRC2:USER_SGPR: 2
; COMPUTE_PGM_RSRC2:TRAP_HANDLER: 0
; COMPUTE_PGM_RSRC2:TGID_X_EN: 1
; COMPUTE_PGM_RSRC2:TGID_Y_EN: 0
; COMPUTE_PGM_RSRC2:TGID_Z_EN: 0
; COMPUTE_PGM_RSRC2:TIDIG_COMP_CNT: 0
	.section	.text._Z39paged_attention_ll4mi_QKV_mfma16_kernelIDF16_hLN4vllm18Fp8KVCacheDataTypeE1EDF16_Li32ELi128ELi256ELb0ELi4EEvPKT_PKT0_S7_ifPKiS9_S9_iPKfiiiPfSC_PS2_PT2_iSB_SB_,"axG",@progbits,_Z39paged_attention_ll4mi_QKV_mfma16_kernelIDF16_hLN4vllm18Fp8KVCacheDataTypeE1EDF16_Li32ELi128ELi256ELb0ELi4EEvPKT_PKT0_S7_ifPKiS9_S9_iPKfiiiPfSC_PS2_PT2_iSB_SB_,comdat
	.protected	_Z39paged_attention_ll4mi_QKV_mfma16_kernelIDF16_hLN4vllm18Fp8KVCacheDataTypeE1EDF16_Li32ELi128ELi256ELb0ELi4EEvPKT_PKT0_S7_ifPKiS9_S9_iPKfiiiPfSC_PS2_PT2_iSB_SB_ ; -- Begin function _Z39paged_attention_ll4mi_QKV_mfma16_kernelIDF16_hLN4vllm18Fp8KVCacheDataTypeE1EDF16_Li32ELi128ELi256ELb0ELi4EEvPKT_PKT0_S7_ifPKiS9_S9_iPKfiiiPfSC_PS2_PT2_iSB_SB_
	.globl	_Z39paged_attention_ll4mi_QKV_mfma16_kernelIDF16_hLN4vllm18Fp8KVCacheDataTypeE1EDF16_Li32ELi128ELi256ELb0ELi4EEvPKT_PKT0_S7_ifPKiS9_S9_iPKfiiiPfSC_PS2_PT2_iSB_SB_
	.p2align	8
	.type	_Z39paged_attention_ll4mi_QKV_mfma16_kernelIDF16_hLN4vllm18Fp8KVCacheDataTypeE1EDF16_Li32ELi128ELi256ELb0ELi4EEvPKT_PKT0_S7_ifPKiS9_S9_iPKfiiiPfSC_PS2_PT2_iSB_SB_,@function
_Z39paged_attention_ll4mi_QKV_mfma16_kernelIDF16_hLN4vllm18Fp8KVCacheDataTypeE1EDF16_Li32ELi128ELi256ELb0ELi4EEvPKT_PKT0_S7_ifPKiS9_S9_iPKfiiiPfSC_PS2_PT2_iSB_SB_: ; @_Z39paged_attention_ll4mi_QKV_mfma16_kernelIDF16_hLN4vllm18Fp8KVCacheDataTypeE1EDF16_Li32ELi128ELi256ELb0ELi4EEvPKT_PKT0_S7_ifPKiS9_S9_iPKfiiiPfSC_PS2_PT2_iSB_SB_
; %bb.0:
	s_get_pc_i64 s[2:3]
	s_add_nc_u64 s[2:3], s[2:3], __PRETTY_FUNCTION__._Z39paged_attention_ll4mi_QKV_mfma16_kernelIDF16_hLN4vllm18Fp8KVCacheDataTypeE1EDF16_Li32ELi128ELi256ELb0ELi4EEvPKT_PKT0_S7_ifPKiS9_S9_iPKfiiiPfSC_PS2_PT2_iSB_SB_@rel64+4
	s_delay_alu instid0(SALU_CYCLE_1)
	v_dual_mov_b32 v0, 0xbb3 :: v_dual_mov_b32 v1, s2
	v_mov_b32_e32 v2, s3
	s_add_nc_u64 s[8:9], s[0:1], 0x90
	s_get_pc_i64 s[0:1]
	s_add_nc_u64 s[0:1], s[0:1], __assert_fail@rel64+4
	s_mov_b32 s32, 0
	s_swap_pc_i64 s[30:31], s[0:1]
	.section	.rodata,"a",@progbits
	.p2align	6, 0x0
	.amdhsa_kernel _Z39paged_attention_ll4mi_QKV_mfma16_kernelIDF16_hLN4vllm18Fp8KVCacheDataTypeE1EDF16_Li32ELi128ELi256ELb0ELi4EEvPKT_PKT0_S7_ifPKiS9_S9_iPKfiiiPfSC_PS2_PT2_iSB_SB_
		.amdhsa_group_segment_fixed_size 0
		.amdhsa_private_segment_fixed_size 64
		.amdhsa_kernarg_size 400
		.amdhsa_user_sgpr_count 2
		.amdhsa_user_sgpr_dispatch_ptr 0
		.amdhsa_user_sgpr_queue_ptr 0
		.amdhsa_user_sgpr_kernarg_segment_ptr 1
		.amdhsa_user_sgpr_dispatch_id 0
		.amdhsa_user_sgpr_kernarg_preload_length 0
		.amdhsa_user_sgpr_kernarg_preload_offset 0
		.amdhsa_user_sgpr_private_segment_size 0
		.amdhsa_wavefront_size32 1
		.amdhsa_uses_dynamic_stack 0
		.amdhsa_enable_private_segment 1
		.amdhsa_system_sgpr_workgroup_id_x 1
		.amdhsa_system_sgpr_workgroup_id_y 0
		.amdhsa_system_sgpr_workgroup_id_z 0
		.amdhsa_system_sgpr_workgroup_info 0
		.amdhsa_system_vgpr_workitem_id 0
		.amdhsa_next_free_vgpr 51
		.amdhsa_next_free_sgpr 34
		.amdhsa_named_barrier_count 0
		.amdhsa_reserve_vcc 1
		.amdhsa_float_round_mode_32 0
		.amdhsa_float_round_mode_16_64 0
		.amdhsa_float_denorm_mode_32 3
		.amdhsa_float_denorm_mode_16_64 3
		.amdhsa_fp16_overflow 0
		.amdhsa_memory_ordered 1
		.amdhsa_forward_progress 1
		.amdhsa_inst_pref_size 1
		.amdhsa_round_robin_scheduling 0
		.amdhsa_exception_fp_ieee_invalid_op 0
		.amdhsa_exception_fp_denorm_src 0
		.amdhsa_exception_fp_ieee_div_zero 0
		.amdhsa_exception_fp_ieee_overflow 0
		.amdhsa_exception_fp_ieee_underflow 0
		.amdhsa_exception_fp_ieee_inexact 0
		.amdhsa_exception_int_div_zero 0
	.end_amdhsa_kernel
	.section	.text._Z39paged_attention_ll4mi_QKV_mfma16_kernelIDF16_hLN4vllm18Fp8KVCacheDataTypeE1EDF16_Li32ELi128ELi256ELb0ELi4EEvPKT_PKT0_S7_ifPKiS9_S9_iPKfiiiPfSC_PS2_PT2_iSB_SB_,"axG",@progbits,_Z39paged_attention_ll4mi_QKV_mfma16_kernelIDF16_hLN4vllm18Fp8KVCacheDataTypeE1EDF16_Li32ELi128ELi256ELb0ELi4EEvPKT_PKT0_S7_ifPKiS9_S9_iPKfiiiPfSC_PS2_PT2_iSB_SB_,comdat
.Lfunc_end1089:
	.size	_Z39paged_attention_ll4mi_QKV_mfma16_kernelIDF16_hLN4vllm18Fp8KVCacheDataTypeE1EDF16_Li32ELi128ELi256ELb0ELi4EEvPKT_PKT0_S7_ifPKiS9_S9_iPKfiiiPfSC_PS2_PT2_iSB_SB_, .Lfunc_end1089-_Z39paged_attention_ll4mi_QKV_mfma16_kernelIDF16_hLN4vllm18Fp8KVCacheDataTypeE1EDF16_Li32ELi128ELi256ELb0ELi4EEvPKT_PKT0_S7_ifPKiS9_S9_iPKfiiiPfSC_PS2_PT2_iSB_SB_
                                        ; -- End function
	.set _Z39paged_attention_ll4mi_QKV_mfma16_kernelIDF16_hLN4vllm18Fp8KVCacheDataTypeE1EDF16_Li32ELi128ELi256ELb0ELi4EEvPKT_PKT0_S7_ifPKiS9_S9_iPKfiiiPfSC_PS2_PT2_iSB_SB_.num_vgpr, max(3, .L__assert_fail.num_vgpr)
	.set _Z39paged_attention_ll4mi_QKV_mfma16_kernelIDF16_hLN4vllm18Fp8KVCacheDataTypeE1EDF16_Li32ELi128ELi256ELb0ELi4EEvPKT_PKT0_S7_ifPKiS9_S9_iPKfiiiPfSC_PS2_PT2_iSB_SB_.num_agpr, max(0, .L__assert_fail.num_agpr)
	.set _Z39paged_attention_ll4mi_QKV_mfma16_kernelIDF16_hLN4vllm18Fp8KVCacheDataTypeE1EDF16_Li32ELi128ELi256ELb0ELi4EEvPKT_PKT0_S7_ifPKiS9_S9_iPKfiiiPfSC_PS2_PT2_iSB_SB_.numbered_sgpr, max(33, .L__assert_fail.numbered_sgpr)
	.set _Z39paged_attention_ll4mi_QKV_mfma16_kernelIDF16_hLN4vllm18Fp8KVCacheDataTypeE1EDF16_Li32ELi128ELi256ELb0ELi4EEvPKT_PKT0_S7_ifPKiS9_S9_iPKfiiiPfSC_PS2_PT2_iSB_SB_.num_named_barrier, max(0, .L__assert_fail.num_named_barrier)
	.set _Z39paged_attention_ll4mi_QKV_mfma16_kernelIDF16_hLN4vllm18Fp8KVCacheDataTypeE1EDF16_Li32ELi128ELi256ELb0ELi4EEvPKT_PKT0_S7_ifPKiS9_S9_iPKfiiiPfSC_PS2_PT2_iSB_SB_.private_seg_size, 0+max(.L__assert_fail.private_seg_size)
	.set _Z39paged_attention_ll4mi_QKV_mfma16_kernelIDF16_hLN4vllm18Fp8KVCacheDataTypeE1EDF16_Li32ELi128ELi256ELb0ELi4EEvPKT_PKT0_S7_ifPKiS9_S9_iPKfiiiPfSC_PS2_PT2_iSB_SB_.uses_vcc, or(1, .L__assert_fail.uses_vcc)
	.set _Z39paged_attention_ll4mi_QKV_mfma16_kernelIDF16_hLN4vllm18Fp8KVCacheDataTypeE1EDF16_Li32ELi128ELi256ELb0ELi4EEvPKT_PKT0_S7_ifPKiS9_S9_iPKfiiiPfSC_PS2_PT2_iSB_SB_.uses_flat_scratch, or(0, .L__assert_fail.uses_flat_scratch)
	.set _Z39paged_attention_ll4mi_QKV_mfma16_kernelIDF16_hLN4vllm18Fp8KVCacheDataTypeE1EDF16_Li32ELi128ELi256ELb0ELi4EEvPKT_PKT0_S7_ifPKiS9_S9_iPKfiiiPfSC_PS2_PT2_iSB_SB_.has_dyn_sized_stack, or(0, .L__assert_fail.has_dyn_sized_stack)
	.set _Z39paged_attention_ll4mi_QKV_mfma16_kernelIDF16_hLN4vllm18Fp8KVCacheDataTypeE1EDF16_Li32ELi128ELi256ELb0ELi4EEvPKT_PKT0_S7_ifPKiS9_S9_iPKfiiiPfSC_PS2_PT2_iSB_SB_.has_recursion, or(0, .L__assert_fail.has_recursion)
	.set _Z39paged_attention_ll4mi_QKV_mfma16_kernelIDF16_hLN4vllm18Fp8KVCacheDataTypeE1EDF16_Li32ELi128ELi256ELb0ELi4EEvPKT_PKT0_S7_ifPKiS9_S9_iPKfiiiPfSC_PS2_PT2_iSB_SB_.has_indirect_call, or(0, .L__assert_fail.has_indirect_call)
	.section	.AMDGPU.csdata,"",@progbits
; Kernel info:
; codeLenInByte = 68
; TotalNumSgprs: 36
; NumVgprs: 51
; ScratchSize: 64
; MemoryBound: 0
; FloatMode: 240
; IeeeMode: 1
; LDSByteSize: 0 bytes/workgroup (compile time only)
; SGPRBlocks: 0
; VGPRBlocks: 3
; NumSGPRsForWavesPerEU: 36
; NumVGPRsForWavesPerEU: 51
; NamedBarCnt: 0
; Occupancy: 16
; WaveLimiterHint : 1
; COMPUTE_PGM_RSRC2:SCRATCH_EN: 1
; COMPUTE_PGM_RSRC2:USER_SGPR: 2
; COMPUTE_PGM_RSRC2:TRAP_HANDLER: 0
; COMPUTE_PGM_RSRC2:TGID_X_EN: 1
; COMPUTE_PGM_RSRC2:TGID_Y_EN: 0
; COMPUTE_PGM_RSRC2:TGID_Z_EN: 0
; COMPUTE_PGM_RSRC2:TIDIG_COMP_CNT: 0
	.section	.text._Z38paged_attention_ll4mi_QKV_mfma4_kernelI14__hip_bfloat16hLN4vllm18Fp8KVCacheDataTypeE1EhLi16ELi64ELi256ELb1ELi1EEvPKT_PKT0_S8_ifPKiSA_SA_iPKfiiiPfSD_PS3_PT2_iSC_SC_,"axG",@progbits,_Z38paged_attention_ll4mi_QKV_mfma4_kernelI14__hip_bfloat16hLN4vllm18Fp8KVCacheDataTypeE1EhLi16ELi64ELi256ELb1ELi1EEvPKT_PKT0_S8_ifPKiSA_SA_iPKfiiiPfSD_PS3_PT2_iSC_SC_,comdat
	.protected	_Z38paged_attention_ll4mi_QKV_mfma4_kernelI14__hip_bfloat16hLN4vllm18Fp8KVCacheDataTypeE1EhLi16ELi64ELi256ELb1ELi1EEvPKT_PKT0_S8_ifPKiSA_SA_iPKfiiiPfSD_PS3_PT2_iSC_SC_ ; -- Begin function _Z38paged_attention_ll4mi_QKV_mfma4_kernelI14__hip_bfloat16hLN4vllm18Fp8KVCacheDataTypeE1EhLi16ELi64ELi256ELb1ELi1EEvPKT_PKT0_S8_ifPKiSA_SA_iPKfiiiPfSD_PS3_PT2_iSC_SC_
	.globl	_Z38paged_attention_ll4mi_QKV_mfma4_kernelI14__hip_bfloat16hLN4vllm18Fp8KVCacheDataTypeE1EhLi16ELi64ELi256ELb1ELi1EEvPKT_PKT0_S8_ifPKiSA_SA_iPKfiiiPfSD_PS3_PT2_iSC_SC_
	.p2align	8
	.type	_Z38paged_attention_ll4mi_QKV_mfma4_kernelI14__hip_bfloat16hLN4vllm18Fp8KVCacheDataTypeE1EhLi16ELi64ELi256ELb1ELi1EEvPKT_PKT0_S8_ifPKiSA_SA_iPKfiiiPfSD_PS3_PT2_iSC_SC_,@function
_Z38paged_attention_ll4mi_QKV_mfma4_kernelI14__hip_bfloat16hLN4vllm18Fp8KVCacheDataTypeE1EhLi16ELi64ELi256ELb1ELi1EEvPKT_PKT0_S8_ifPKiSA_SA_iPKfiiiPfSD_PS3_PT2_iSC_SC_: ; @_Z38paged_attention_ll4mi_QKV_mfma4_kernelI14__hip_bfloat16hLN4vllm18Fp8KVCacheDataTypeE1EhLi16ELi64ELi256ELb1ELi1EEvPKT_PKT0_S8_ifPKiSA_SA_iPKfiiiPfSD_PS3_PT2_iSC_SC_
; %bb.0:
	s_get_pc_i64 s[2:3]
	s_add_nc_u64 s[2:3], s[2:3], __PRETTY_FUNCTION__._Z38paged_attention_ll4mi_QKV_mfma4_kernelI14__hip_bfloat16hLN4vllm18Fp8KVCacheDataTypeE1EhLi16ELi64ELi256ELb1ELi1EEvPKT_PKT0_S8_ifPKiSA_SA_iPKfiiiPfSD_PS3_PT2_iSC_SC_@rel64+4
	s_delay_alu instid0(SALU_CYCLE_1)
	v_dual_mov_b32 v0, 0xbce :: v_dual_mov_b32 v1, s2
	v_mov_b32_e32 v2, s3
	s_add_nc_u64 s[8:9], s[0:1], 0x90
	s_get_pc_i64 s[0:1]
	s_add_nc_u64 s[0:1], s[0:1], __assert_fail@rel64+4
	s_mov_b32 s32, 0
	s_swap_pc_i64 s[30:31], s[0:1]
	.section	.rodata,"a",@progbits
	.p2align	6, 0x0
	.amdhsa_kernel _Z38paged_attention_ll4mi_QKV_mfma4_kernelI14__hip_bfloat16hLN4vllm18Fp8KVCacheDataTypeE1EhLi16ELi64ELi256ELb1ELi1EEvPKT_PKT0_S8_ifPKiSA_SA_iPKfiiiPfSD_PS3_PT2_iSC_SC_
		.amdhsa_group_segment_fixed_size 0
		.amdhsa_private_segment_fixed_size 64
		.amdhsa_kernarg_size 400
		.amdhsa_user_sgpr_count 2
		.amdhsa_user_sgpr_dispatch_ptr 0
		.amdhsa_user_sgpr_queue_ptr 0
		.amdhsa_user_sgpr_kernarg_segment_ptr 1
		.amdhsa_user_sgpr_dispatch_id 0
		.amdhsa_user_sgpr_kernarg_preload_length 0
		.amdhsa_user_sgpr_kernarg_preload_offset 0
		.amdhsa_user_sgpr_private_segment_size 0
		.amdhsa_wavefront_size32 1
		.amdhsa_uses_dynamic_stack 0
		.amdhsa_enable_private_segment 1
		.amdhsa_system_sgpr_workgroup_id_x 1
		.amdhsa_system_sgpr_workgroup_id_y 0
		.amdhsa_system_sgpr_workgroup_id_z 0
		.amdhsa_system_sgpr_workgroup_info 0
		.amdhsa_system_vgpr_workitem_id 0
		.amdhsa_next_free_vgpr 51
		.amdhsa_next_free_sgpr 34
		.amdhsa_named_barrier_count 0
		.amdhsa_reserve_vcc 1
		.amdhsa_float_round_mode_32 0
		.amdhsa_float_round_mode_16_64 0
		.amdhsa_float_denorm_mode_32 3
		.amdhsa_float_denorm_mode_16_64 3
		.amdhsa_fp16_overflow 0
		.amdhsa_memory_ordered 1
		.amdhsa_forward_progress 1
		.amdhsa_inst_pref_size 1
		.amdhsa_round_robin_scheduling 0
		.amdhsa_exception_fp_ieee_invalid_op 0
		.amdhsa_exception_fp_denorm_src 0
		.amdhsa_exception_fp_ieee_div_zero 0
		.amdhsa_exception_fp_ieee_overflow 0
		.amdhsa_exception_fp_ieee_underflow 0
		.amdhsa_exception_fp_ieee_inexact 0
		.amdhsa_exception_int_div_zero 0
	.end_amdhsa_kernel
	.section	.text._Z38paged_attention_ll4mi_QKV_mfma4_kernelI14__hip_bfloat16hLN4vllm18Fp8KVCacheDataTypeE1EhLi16ELi64ELi256ELb1ELi1EEvPKT_PKT0_S8_ifPKiSA_SA_iPKfiiiPfSD_PS3_PT2_iSC_SC_,"axG",@progbits,_Z38paged_attention_ll4mi_QKV_mfma4_kernelI14__hip_bfloat16hLN4vllm18Fp8KVCacheDataTypeE1EhLi16ELi64ELi256ELb1ELi1EEvPKT_PKT0_S8_ifPKiSA_SA_iPKfiiiPfSD_PS3_PT2_iSC_SC_,comdat
.Lfunc_end1090:
	.size	_Z38paged_attention_ll4mi_QKV_mfma4_kernelI14__hip_bfloat16hLN4vllm18Fp8KVCacheDataTypeE1EhLi16ELi64ELi256ELb1ELi1EEvPKT_PKT0_S8_ifPKiSA_SA_iPKfiiiPfSD_PS3_PT2_iSC_SC_, .Lfunc_end1090-_Z38paged_attention_ll4mi_QKV_mfma4_kernelI14__hip_bfloat16hLN4vllm18Fp8KVCacheDataTypeE1EhLi16ELi64ELi256ELb1ELi1EEvPKT_PKT0_S8_ifPKiSA_SA_iPKfiiiPfSD_PS3_PT2_iSC_SC_
                                        ; -- End function
	.set _Z38paged_attention_ll4mi_QKV_mfma4_kernelI14__hip_bfloat16hLN4vllm18Fp8KVCacheDataTypeE1EhLi16ELi64ELi256ELb1ELi1EEvPKT_PKT0_S8_ifPKiSA_SA_iPKfiiiPfSD_PS3_PT2_iSC_SC_.num_vgpr, max(3, .L__assert_fail.num_vgpr)
	.set _Z38paged_attention_ll4mi_QKV_mfma4_kernelI14__hip_bfloat16hLN4vllm18Fp8KVCacheDataTypeE1EhLi16ELi64ELi256ELb1ELi1EEvPKT_PKT0_S8_ifPKiSA_SA_iPKfiiiPfSD_PS3_PT2_iSC_SC_.num_agpr, max(0, .L__assert_fail.num_agpr)
	.set _Z38paged_attention_ll4mi_QKV_mfma4_kernelI14__hip_bfloat16hLN4vllm18Fp8KVCacheDataTypeE1EhLi16ELi64ELi256ELb1ELi1EEvPKT_PKT0_S8_ifPKiSA_SA_iPKfiiiPfSD_PS3_PT2_iSC_SC_.numbered_sgpr, max(33, .L__assert_fail.numbered_sgpr)
	.set _Z38paged_attention_ll4mi_QKV_mfma4_kernelI14__hip_bfloat16hLN4vllm18Fp8KVCacheDataTypeE1EhLi16ELi64ELi256ELb1ELi1EEvPKT_PKT0_S8_ifPKiSA_SA_iPKfiiiPfSD_PS3_PT2_iSC_SC_.num_named_barrier, max(0, .L__assert_fail.num_named_barrier)
	.set _Z38paged_attention_ll4mi_QKV_mfma4_kernelI14__hip_bfloat16hLN4vllm18Fp8KVCacheDataTypeE1EhLi16ELi64ELi256ELb1ELi1EEvPKT_PKT0_S8_ifPKiSA_SA_iPKfiiiPfSD_PS3_PT2_iSC_SC_.private_seg_size, 0+max(.L__assert_fail.private_seg_size)
	.set _Z38paged_attention_ll4mi_QKV_mfma4_kernelI14__hip_bfloat16hLN4vllm18Fp8KVCacheDataTypeE1EhLi16ELi64ELi256ELb1ELi1EEvPKT_PKT0_S8_ifPKiSA_SA_iPKfiiiPfSD_PS3_PT2_iSC_SC_.uses_vcc, or(1, .L__assert_fail.uses_vcc)
	.set _Z38paged_attention_ll4mi_QKV_mfma4_kernelI14__hip_bfloat16hLN4vllm18Fp8KVCacheDataTypeE1EhLi16ELi64ELi256ELb1ELi1EEvPKT_PKT0_S8_ifPKiSA_SA_iPKfiiiPfSD_PS3_PT2_iSC_SC_.uses_flat_scratch, or(0, .L__assert_fail.uses_flat_scratch)
	.set _Z38paged_attention_ll4mi_QKV_mfma4_kernelI14__hip_bfloat16hLN4vllm18Fp8KVCacheDataTypeE1EhLi16ELi64ELi256ELb1ELi1EEvPKT_PKT0_S8_ifPKiSA_SA_iPKfiiiPfSD_PS3_PT2_iSC_SC_.has_dyn_sized_stack, or(0, .L__assert_fail.has_dyn_sized_stack)
	.set _Z38paged_attention_ll4mi_QKV_mfma4_kernelI14__hip_bfloat16hLN4vllm18Fp8KVCacheDataTypeE1EhLi16ELi64ELi256ELb1ELi1EEvPKT_PKT0_S8_ifPKiSA_SA_iPKfiiiPfSD_PS3_PT2_iSC_SC_.has_recursion, or(0, .L__assert_fail.has_recursion)
	.set _Z38paged_attention_ll4mi_QKV_mfma4_kernelI14__hip_bfloat16hLN4vllm18Fp8KVCacheDataTypeE1EhLi16ELi64ELi256ELb1ELi1EEvPKT_PKT0_S8_ifPKiSA_SA_iPKfiiiPfSD_PS3_PT2_iSC_SC_.has_indirect_call, or(0, .L__assert_fail.has_indirect_call)
	.section	.AMDGPU.csdata,"",@progbits
; Kernel info:
; codeLenInByte = 68
; TotalNumSgprs: 36
; NumVgprs: 51
; ScratchSize: 64
; MemoryBound: 0
; FloatMode: 240
; IeeeMode: 1
; LDSByteSize: 0 bytes/workgroup (compile time only)
; SGPRBlocks: 0
; VGPRBlocks: 3
; NumSGPRsForWavesPerEU: 36
; NumVGPRsForWavesPerEU: 51
; NamedBarCnt: 0
; Occupancy: 16
; WaveLimiterHint : 1
; COMPUTE_PGM_RSRC2:SCRATCH_EN: 1
; COMPUTE_PGM_RSRC2:USER_SGPR: 2
; COMPUTE_PGM_RSRC2:TRAP_HANDLER: 0
; COMPUTE_PGM_RSRC2:TGID_X_EN: 1
; COMPUTE_PGM_RSRC2:TGID_Y_EN: 0
; COMPUTE_PGM_RSRC2:TGID_Z_EN: 0
; COMPUTE_PGM_RSRC2:TIDIG_COMP_CNT: 0
	.section	.text._Z38paged_attention_ll4mi_QKV_mfma4_kernelI14__hip_bfloat16hLN4vllm18Fp8KVCacheDataTypeE1EhLi16ELi64ELi256ELb1ELi2EEvPKT_PKT0_S8_ifPKiSA_SA_iPKfiiiPfSD_PS3_PT2_iSC_SC_,"axG",@progbits,_Z38paged_attention_ll4mi_QKV_mfma4_kernelI14__hip_bfloat16hLN4vllm18Fp8KVCacheDataTypeE1EhLi16ELi64ELi256ELb1ELi2EEvPKT_PKT0_S8_ifPKiSA_SA_iPKfiiiPfSD_PS3_PT2_iSC_SC_,comdat
	.protected	_Z38paged_attention_ll4mi_QKV_mfma4_kernelI14__hip_bfloat16hLN4vllm18Fp8KVCacheDataTypeE1EhLi16ELi64ELi256ELb1ELi2EEvPKT_PKT0_S8_ifPKiSA_SA_iPKfiiiPfSD_PS3_PT2_iSC_SC_ ; -- Begin function _Z38paged_attention_ll4mi_QKV_mfma4_kernelI14__hip_bfloat16hLN4vllm18Fp8KVCacheDataTypeE1EhLi16ELi64ELi256ELb1ELi2EEvPKT_PKT0_S8_ifPKiSA_SA_iPKfiiiPfSD_PS3_PT2_iSC_SC_
	.globl	_Z38paged_attention_ll4mi_QKV_mfma4_kernelI14__hip_bfloat16hLN4vllm18Fp8KVCacheDataTypeE1EhLi16ELi64ELi256ELb1ELi2EEvPKT_PKT0_S8_ifPKiSA_SA_iPKfiiiPfSD_PS3_PT2_iSC_SC_
	.p2align	8
	.type	_Z38paged_attention_ll4mi_QKV_mfma4_kernelI14__hip_bfloat16hLN4vllm18Fp8KVCacheDataTypeE1EhLi16ELi64ELi256ELb1ELi2EEvPKT_PKT0_S8_ifPKiSA_SA_iPKfiiiPfSD_PS3_PT2_iSC_SC_,@function
_Z38paged_attention_ll4mi_QKV_mfma4_kernelI14__hip_bfloat16hLN4vllm18Fp8KVCacheDataTypeE1EhLi16ELi64ELi256ELb1ELi2EEvPKT_PKT0_S8_ifPKiSA_SA_iPKfiiiPfSD_PS3_PT2_iSC_SC_: ; @_Z38paged_attention_ll4mi_QKV_mfma4_kernelI14__hip_bfloat16hLN4vllm18Fp8KVCacheDataTypeE1EhLi16ELi64ELi256ELb1ELi2EEvPKT_PKT0_S8_ifPKiSA_SA_iPKfiiiPfSD_PS3_PT2_iSC_SC_
; %bb.0:
	s_get_pc_i64 s[2:3]
	s_add_nc_u64 s[2:3], s[2:3], __PRETTY_FUNCTION__._Z38paged_attention_ll4mi_QKV_mfma4_kernelI14__hip_bfloat16hLN4vllm18Fp8KVCacheDataTypeE1EhLi16ELi64ELi256ELb1ELi2EEvPKT_PKT0_S8_ifPKiSA_SA_iPKfiiiPfSD_PS3_PT2_iSC_SC_@rel64+4
	s_delay_alu instid0(SALU_CYCLE_1)
	v_dual_mov_b32 v0, 0xbce :: v_dual_mov_b32 v1, s2
	v_mov_b32_e32 v2, s3
	s_add_nc_u64 s[8:9], s[0:1], 0x90
	s_get_pc_i64 s[0:1]
	s_add_nc_u64 s[0:1], s[0:1], __assert_fail@rel64+4
	s_mov_b32 s32, 0
	s_swap_pc_i64 s[30:31], s[0:1]
	.section	.rodata,"a",@progbits
	.p2align	6, 0x0
	.amdhsa_kernel _Z38paged_attention_ll4mi_QKV_mfma4_kernelI14__hip_bfloat16hLN4vllm18Fp8KVCacheDataTypeE1EhLi16ELi64ELi256ELb1ELi2EEvPKT_PKT0_S8_ifPKiSA_SA_iPKfiiiPfSD_PS3_PT2_iSC_SC_
		.amdhsa_group_segment_fixed_size 0
		.amdhsa_private_segment_fixed_size 64
		.amdhsa_kernarg_size 400
		.amdhsa_user_sgpr_count 2
		.amdhsa_user_sgpr_dispatch_ptr 0
		.amdhsa_user_sgpr_queue_ptr 0
		.amdhsa_user_sgpr_kernarg_segment_ptr 1
		.amdhsa_user_sgpr_dispatch_id 0
		.amdhsa_user_sgpr_kernarg_preload_length 0
		.amdhsa_user_sgpr_kernarg_preload_offset 0
		.amdhsa_user_sgpr_private_segment_size 0
		.amdhsa_wavefront_size32 1
		.amdhsa_uses_dynamic_stack 0
		.amdhsa_enable_private_segment 1
		.amdhsa_system_sgpr_workgroup_id_x 1
		.amdhsa_system_sgpr_workgroup_id_y 0
		.amdhsa_system_sgpr_workgroup_id_z 0
		.amdhsa_system_sgpr_workgroup_info 0
		.amdhsa_system_vgpr_workitem_id 0
		.amdhsa_next_free_vgpr 51
		.amdhsa_next_free_sgpr 34
		.amdhsa_named_barrier_count 0
		.amdhsa_reserve_vcc 1
		.amdhsa_float_round_mode_32 0
		.amdhsa_float_round_mode_16_64 0
		.amdhsa_float_denorm_mode_32 3
		.amdhsa_float_denorm_mode_16_64 3
		.amdhsa_fp16_overflow 0
		.amdhsa_memory_ordered 1
		.amdhsa_forward_progress 1
		.amdhsa_inst_pref_size 1
		.amdhsa_round_robin_scheduling 0
		.amdhsa_exception_fp_ieee_invalid_op 0
		.amdhsa_exception_fp_denorm_src 0
		.amdhsa_exception_fp_ieee_div_zero 0
		.amdhsa_exception_fp_ieee_overflow 0
		.amdhsa_exception_fp_ieee_underflow 0
		.amdhsa_exception_fp_ieee_inexact 0
		.amdhsa_exception_int_div_zero 0
	.end_amdhsa_kernel
	.section	.text._Z38paged_attention_ll4mi_QKV_mfma4_kernelI14__hip_bfloat16hLN4vllm18Fp8KVCacheDataTypeE1EhLi16ELi64ELi256ELb1ELi2EEvPKT_PKT0_S8_ifPKiSA_SA_iPKfiiiPfSD_PS3_PT2_iSC_SC_,"axG",@progbits,_Z38paged_attention_ll4mi_QKV_mfma4_kernelI14__hip_bfloat16hLN4vllm18Fp8KVCacheDataTypeE1EhLi16ELi64ELi256ELb1ELi2EEvPKT_PKT0_S8_ifPKiSA_SA_iPKfiiiPfSD_PS3_PT2_iSC_SC_,comdat
.Lfunc_end1091:
	.size	_Z38paged_attention_ll4mi_QKV_mfma4_kernelI14__hip_bfloat16hLN4vllm18Fp8KVCacheDataTypeE1EhLi16ELi64ELi256ELb1ELi2EEvPKT_PKT0_S8_ifPKiSA_SA_iPKfiiiPfSD_PS3_PT2_iSC_SC_, .Lfunc_end1091-_Z38paged_attention_ll4mi_QKV_mfma4_kernelI14__hip_bfloat16hLN4vllm18Fp8KVCacheDataTypeE1EhLi16ELi64ELi256ELb1ELi2EEvPKT_PKT0_S8_ifPKiSA_SA_iPKfiiiPfSD_PS3_PT2_iSC_SC_
                                        ; -- End function
	.set _Z38paged_attention_ll4mi_QKV_mfma4_kernelI14__hip_bfloat16hLN4vllm18Fp8KVCacheDataTypeE1EhLi16ELi64ELi256ELb1ELi2EEvPKT_PKT0_S8_ifPKiSA_SA_iPKfiiiPfSD_PS3_PT2_iSC_SC_.num_vgpr, max(3, .L__assert_fail.num_vgpr)
	.set _Z38paged_attention_ll4mi_QKV_mfma4_kernelI14__hip_bfloat16hLN4vllm18Fp8KVCacheDataTypeE1EhLi16ELi64ELi256ELb1ELi2EEvPKT_PKT0_S8_ifPKiSA_SA_iPKfiiiPfSD_PS3_PT2_iSC_SC_.num_agpr, max(0, .L__assert_fail.num_agpr)
	.set _Z38paged_attention_ll4mi_QKV_mfma4_kernelI14__hip_bfloat16hLN4vllm18Fp8KVCacheDataTypeE1EhLi16ELi64ELi256ELb1ELi2EEvPKT_PKT0_S8_ifPKiSA_SA_iPKfiiiPfSD_PS3_PT2_iSC_SC_.numbered_sgpr, max(33, .L__assert_fail.numbered_sgpr)
	.set _Z38paged_attention_ll4mi_QKV_mfma4_kernelI14__hip_bfloat16hLN4vllm18Fp8KVCacheDataTypeE1EhLi16ELi64ELi256ELb1ELi2EEvPKT_PKT0_S8_ifPKiSA_SA_iPKfiiiPfSD_PS3_PT2_iSC_SC_.num_named_barrier, max(0, .L__assert_fail.num_named_barrier)
	.set _Z38paged_attention_ll4mi_QKV_mfma4_kernelI14__hip_bfloat16hLN4vllm18Fp8KVCacheDataTypeE1EhLi16ELi64ELi256ELb1ELi2EEvPKT_PKT0_S8_ifPKiSA_SA_iPKfiiiPfSD_PS3_PT2_iSC_SC_.private_seg_size, 0+max(.L__assert_fail.private_seg_size)
	.set _Z38paged_attention_ll4mi_QKV_mfma4_kernelI14__hip_bfloat16hLN4vllm18Fp8KVCacheDataTypeE1EhLi16ELi64ELi256ELb1ELi2EEvPKT_PKT0_S8_ifPKiSA_SA_iPKfiiiPfSD_PS3_PT2_iSC_SC_.uses_vcc, or(1, .L__assert_fail.uses_vcc)
	.set _Z38paged_attention_ll4mi_QKV_mfma4_kernelI14__hip_bfloat16hLN4vllm18Fp8KVCacheDataTypeE1EhLi16ELi64ELi256ELb1ELi2EEvPKT_PKT0_S8_ifPKiSA_SA_iPKfiiiPfSD_PS3_PT2_iSC_SC_.uses_flat_scratch, or(0, .L__assert_fail.uses_flat_scratch)
	.set _Z38paged_attention_ll4mi_QKV_mfma4_kernelI14__hip_bfloat16hLN4vllm18Fp8KVCacheDataTypeE1EhLi16ELi64ELi256ELb1ELi2EEvPKT_PKT0_S8_ifPKiSA_SA_iPKfiiiPfSD_PS3_PT2_iSC_SC_.has_dyn_sized_stack, or(0, .L__assert_fail.has_dyn_sized_stack)
	.set _Z38paged_attention_ll4mi_QKV_mfma4_kernelI14__hip_bfloat16hLN4vllm18Fp8KVCacheDataTypeE1EhLi16ELi64ELi256ELb1ELi2EEvPKT_PKT0_S8_ifPKiSA_SA_iPKfiiiPfSD_PS3_PT2_iSC_SC_.has_recursion, or(0, .L__assert_fail.has_recursion)
	.set _Z38paged_attention_ll4mi_QKV_mfma4_kernelI14__hip_bfloat16hLN4vllm18Fp8KVCacheDataTypeE1EhLi16ELi64ELi256ELb1ELi2EEvPKT_PKT0_S8_ifPKiSA_SA_iPKfiiiPfSD_PS3_PT2_iSC_SC_.has_indirect_call, or(0, .L__assert_fail.has_indirect_call)
	.section	.AMDGPU.csdata,"",@progbits
; Kernel info:
; codeLenInByte = 68
; TotalNumSgprs: 36
; NumVgprs: 51
; ScratchSize: 64
; MemoryBound: 0
; FloatMode: 240
; IeeeMode: 1
; LDSByteSize: 0 bytes/workgroup (compile time only)
; SGPRBlocks: 0
; VGPRBlocks: 3
; NumSGPRsForWavesPerEU: 36
; NumVGPRsForWavesPerEU: 51
; NamedBarCnt: 0
; Occupancy: 16
; WaveLimiterHint : 1
; COMPUTE_PGM_RSRC2:SCRATCH_EN: 1
; COMPUTE_PGM_RSRC2:USER_SGPR: 2
; COMPUTE_PGM_RSRC2:TRAP_HANDLER: 0
; COMPUTE_PGM_RSRC2:TGID_X_EN: 1
; COMPUTE_PGM_RSRC2:TGID_Y_EN: 0
; COMPUTE_PGM_RSRC2:TGID_Z_EN: 0
; COMPUTE_PGM_RSRC2:TIDIG_COMP_CNT: 0
	.section	.text._Z38paged_attention_ll4mi_QKV_mfma4_kernelI14__hip_bfloat16hLN4vllm18Fp8KVCacheDataTypeE1EhLi16ELi64ELi256ELb1ELi3EEvPKT_PKT0_S8_ifPKiSA_SA_iPKfiiiPfSD_PS3_PT2_iSC_SC_,"axG",@progbits,_Z38paged_attention_ll4mi_QKV_mfma4_kernelI14__hip_bfloat16hLN4vllm18Fp8KVCacheDataTypeE1EhLi16ELi64ELi256ELb1ELi3EEvPKT_PKT0_S8_ifPKiSA_SA_iPKfiiiPfSD_PS3_PT2_iSC_SC_,comdat
	.protected	_Z38paged_attention_ll4mi_QKV_mfma4_kernelI14__hip_bfloat16hLN4vllm18Fp8KVCacheDataTypeE1EhLi16ELi64ELi256ELb1ELi3EEvPKT_PKT0_S8_ifPKiSA_SA_iPKfiiiPfSD_PS3_PT2_iSC_SC_ ; -- Begin function _Z38paged_attention_ll4mi_QKV_mfma4_kernelI14__hip_bfloat16hLN4vllm18Fp8KVCacheDataTypeE1EhLi16ELi64ELi256ELb1ELi3EEvPKT_PKT0_S8_ifPKiSA_SA_iPKfiiiPfSD_PS3_PT2_iSC_SC_
	.globl	_Z38paged_attention_ll4mi_QKV_mfma4_kernelI14__hip_bfloat16hLN4vllm18Fp8KVCacheDataTypeE1EhLi16ELi64ELi256ELb1ELi3EEvPKT_PKT0_S8_ifPKiSA_SA_iPKfiiiPfSD_PS3_PT2_iSC_SC_
	.p2align	8
	.type	_Z38paged_attention_ll4mi_QKV_mfma4_kernelI14__hip_bfloat16hLN4vllm18Fp8KVCacheDataTypeE1EhLi16ELi64ELi256ELb1ELi3EEvPKT_PKT0_S8_ifPKiSA_SA_iPKfiiiPfSD_PS3_PT2_iSC_SC_,@function
_Z38paged_attention_ll4mi_QKV_mfma4_kernelI14__hip_bfloat16hLN4vllm18Fp8KVCacheDataTypeE1EhLi16ELi64ELi256ELb1ELi3EEvPKT_PKT0_S8_ifPKiSA_SA_iPKfiiiPfSD_PS3_PT2_iSC_SC_: ; @_Z38paged_attention_ll4mi_QKV_mfma4_kernelI14__hip_bfloat16hLN4vllm18Fp8KVCacheDataTypeE1EhLi16ELi64ELi256ELb1ELi3EEvPKT_PKT0_S8_ifPKiSA_SA_iPKfiiiPfSD_PS3_PT2_iSC_SC_
; %bb.0:
	s_get_pc_i64 s[2:3]
	s_add_nc_u64 s[2:3], s[2:3], __PRETTY_FUNCTION__._Z38paged_attention_ll4mi_QKV_mfma4_kernelI14__hip_bfloat16hLN4vllm18Fp8KVCacheDataTypeE1EhLi16ELi64ELi256ELb1ELi3EEvPKT_PKT0_S8_ifPKiSA_SA_iPKfiiiPfSD_PS3_PT2_iSC_SC_@rel64+4
	s_delay_alu instid0(SALU_CYCLE_1)
	v_dual_mov_b32 v0, 0xbce :: v_dual_mov_b32 v1, s2
	v_mov_b32_e32 v2, s3
	s_add_nc_u64 s[8:9], s[0:1], 0x90
	s_get_pc_i64 s[0:1]
	s_add_nc_u64 s[0:1], s[0:1], __assert_fail@rel64+4
	s_mov_b32 s32, 0
	s_swap_pc_i64 s[30:31], s[0:1]
	.section	.rodata,"a",@progbits
	.p2align	6, 0x0
	.amdhsa_kernel _Z38paged_attention_ll4mi_QKV_mfma4_kernelI14__hip_bfloat16hLN4vllm18Fp8KVCacheDataTypeE1EhLi16ELi64ELi256ELb1ELi3EEvPKT_PKT0_S8_ifPKiSA_SA_iPKfiiiPfSD_PS3_PT2_iSC_SC_
		.amdhsa_group_segment_fixed_size 0
		.amdhsa_private_segment_fixed_size 64
		.amdhsa_kernarg_size 400
		.amdhsa_user_sgpr_count 2
		.amdhsa_user_sgpr_dispatch_ptr 0
		.amdhsa_user_sgpr_queue_ptr 0
		.amdhsa_user_sgpr_kernarg_segment_ptr 1
		.amdhsa_user_sgpr_dispatch_id 0
		.amdhsa_user_sgpr_kernarg_preload_length 0
		.amdhsa_user_sgpr_kernarg_preload_offset 0
		.amdhsa_user_sgpr_private_segment_size 0
		.amdhsa_wavefront_size32 1
		.amdhsa_uses_dynamic_stack 0
		.amdhsa_enable_private_segment 1
		.amdhsa_system_sgpr_workgroup_id_x 1
		.amdhsa_system_sgpr_workgroup_id_y 0
		.amdhsa_system_sgpr_workgroup_id_z 0
		.amdhsa_system_sgpr_workgroup_info 0
		.amdhsa_system_vgpr_workitem_id 0
		.amdhsa_next_free_vgpr 51
		.amdhsa_next_free_sgpr 34
		.amdhsa_named_barrier_count 0
		.amdhsa_reserve_vcc 1
		.amdhsa_float_round_mode_32 0
		.amdhsa_float_round_mode_16_64 0
		.amdhsa_float_denorm_mode_32 3
		.amdhsa_float_denorm_mode_16_64 3
		.amdhsa_fp16_overflow 0
		.amdhsa_memory_ordered 1
		.amdhsa_forward_progress 1
		.amdhsa_inst_pref_size 1
		.amdhsa_round_robin_scheduling 0
		.amdhsa_exception_fp_ieee_invalid_op 0
		.amdhsa_exception_fp_denorm_src 0
		.amdhsa_exception_fp_ieee_div_zero 0
		.amdhsa_exception_fp_ieee_overflow 0
		.amdhsa_exception_fp_ieee_underflow 0
		.amdhsa_exception_fp_ieee_inexact 0
		.amdhsa_exception_int_div_zero 0
	.end_amdhsa_kernel
	.section	.text._Z38paged_attention_ll4mi_QKV_mfma4_kernelI14__hip_bfloat16hLN4vllm18Fp8KVCacheDataTypeE1EhLi16ELi64ELi256ELb1ELi3EEvPKT_PKT0_S8_ifPKiSA_SA_iPKfiiiPfSD_PS3_PT2_iSC_SC_,"axG",@progbits,_Z38paged_attention_ll4mi_QKV_mfma4_kernelI14__hip_bfloat16hLN4vllm18Fp8KVCacheDataTypeE1EhLi16ELi64ELi256ELb1ELi3EEvPKT_PKT0_S8_ifPKiSA_SA_iPKfiiiPfSD_PS3_PT2_iSC_SC_,comdat
.Lfunc_end1092:
	.size	_Z38paged_attention_ll4mi_QKV_mfma4_kernelI14__hip_bfloat16hLN4vllm18Fp8KVCacheDataTypeE1EhLi16ELi64ELi256ELb1ELi3EEvPKT_PKT0_S8_ifPKiSA_SA_iPKfiiiPfSD_PS3_PT2_iSC_SC_, .Lfunc_end1092-_Z38paged_attention_ll4mi_QKV_mfma4_kernelI14__hip_bfloat16hLN4vllm18Fp8KVCacheDataTypeE1EhLi16ELi64ELi256ELb1ELi3EEvPKT_PKT0_S8_ifPKiSA_SA_iPKfiiiPfSD_PS3_PT2_iSC_SC_
                                        ; -- End function
	.set _Z38paged_attention_ll4mi_QKV_mfma4_kernelI14__hip_bfloat16hLN4vllm18Fp8KVCacheDataTypeE1EhLi16ELi64ELi256ELb1ELi3EEvPKT_PKT0_S8_ifPKiSA_SA_iPKfiiiPfSD_PS3_PT2_iSC_SC_.num_vgpr, max(3, .L__assert_fail.num_vgpr)
	.set _Z38paged_attention_ll4mi_QKV_mfma4_kernelI14__hip_bfloat16hLN4vllm18Fp8KVCacheDataTypeE1EhLi16ELi64ELi256ELb1ELi3EEvPKT_PKT0_S8_ifPKiSA_SA_iPKfiiiPfSD_PS3_PT2_iSC_SC_.num_agpr, max(0, .L__assert_fail.num_agpr)
	.set _Z38paged_attention_ll4mi_QKV_mfma4_kernelI14__hip_bfloat16hLN4vllm18Fp8KVCacheDataTypeE1EhLi16ELi64ELi256ELb1ELi3EEvPKT_PKT0_S8_ifPKiSA_SA_iPKfiiiPfSD_PS3_PT2_iSC_SC_.numbered_sgpr, max(33, .L__assert_fail.numbered_sgpr)
	.set _Z38paged_attention_ll4mi_QKV_mfma4_kernelI14__hip_bfloat16hLN4vllm18Fp8KVCacheDataTypeE1EhLi16ELi64ELi256ELb1ELi3EEvPKT_PKT0_S8_ifPKiSA_SA_iPKfiiiPfSD_PS3_PT2_iSC_SC_.num_named_barrier, max(0, .L__assert_fail.num_named_barrier)
	.set _Z38paged_attention_ll4mi_QKV_mfma4_kernelI14__hip_bfloat16hLN4vllm18Fp8KVCacheDataTypeE1EhLi16ELi64ELi256ELb1ELi3EEvPKT_PKT0_S8_ifPKiSA_SA_iPKfiiiPfSD_PS3_PT2_iSC_SC_.private_seg_size, 0+max(.L__assert_fail.private_seg_size)
	.set _Z38paged_attention_ll4mi_QKV_mfma4_kernelI14__hip_bfloat16hLN4vllm18Fp8KVCacheDataTypeE1EhLi16ELi64ELi256ELb1ELi3EEvPKT_PKT0_S8_ifPKiSA_SA_iPKfiiiPfSD_PS3_PT2_iSC_SC_.uses_vcc, or(1, .L__assert_fail.uses_vcc)
	.set _Z38paged_attention_ll4mi_QKV_mfma4_kernelI14__hip_bfloat16hLN4vllm18Fp8KVCacheDataTypeE1EhLi16ELi64ELi256ELb1ELi3EEvPKT_PKT0_S8_ifPKiSA_SA_iPKfiiiPfSD_PS3_PT2_iSC_SC_.uses_flat_scratch, or(0, .L__assert_fail.uses_flat_scratch)
	.set _Z38paged_attention_ll4mi_QKV_mfma4_kernelI14__hip_bfloat16hLN4vllm18Fp8KVCacheDataTypeE1EhLi16ELi64ELi256ELb1ELi3EEvPKT_PKT0_S8_ifPKiSA_SA_iPKfiiiPfSD_PS3_PT2_iSC_SC_.has_dyn_sized_stack, or(0, .L__assert_fail.has_dyn_sized_stack)
	.set _Z38paged_attention_ll4mi_QKV_mfma4_kernelI14__hip_bfloat16hLN4vllm18Fp8KVCacheDataTypeE1EhLi16ELi64ELi256ELb1ELi3EEvPKT_PKT0_S8_ifPKiSA_SA_iPKfiiiPfSD_PS3_PT2_iSC_SC_.has_recursion, or(0, .L__assert_fail.has_recursion)
	.set _Z38paged_attention_ll4mi_QKV_mfma4_kernelI14__hip_bfloat16hLN4vllm18Fp8KVCacheDataTypeE1EhLi16ELi64ELi256ELb1ELi3EEvPKT_PKT0_S8_ifPKiSA_SA_iPKfiiiPfSD_PS3_PT2_iSC_SC_.has_indirect_call, or(0, .L__assert_fail.has_indirect_call)
	.section	.AMDGPU.csdata,"",@progbits
; Kernel info:
; codeLenInByte = 68
; TotalNumSgprs: 36
; NumVgprs: 51
; ScratchSize: 64
; MemoryBound: 0
; FloatMode: 240
; IeeeMode: 1
; LDSByteSize: 0 bytes/workgroup (compile time only)
; SGPRBlocks: 0
; VGPRBlocks: 3
; NumSGPRsForWavesPerEU: 36
; NumVGPRsForWavesPerEU: 51
; NamedBarCnt: 0
; Occupancy: 16
; WaveLimiterHint : 1
; COMPUTE_PGM_RSRC2:SCRATCH_EN: 1
; COMPUTE_PGM_RSRC2:USER_SGPR: 2
; COMPUTE_PGM_RSRC2:TRAP_HANDLER: 0
; COMPUTE_PGM_RSRC2:TGID_X_EN: 1
; COMPUTE_PGM_RSRC2:TGID_Y_EN: 0
; COMPUTE_PGM_RSRC2:TGID_Z_EN: 0
; COMPUTE_PGM_RSRC2:TIDIG_COMP_CNT: 0
	.section	.text._Z38paged_attention_ll4mi_QKV_mfma4_kernelI14__hip_bfloat16hLN4vllm18Fp8KVCacheDataTypeE1EhLi16ELi64ELi256ELb1ELi4EEvPKT_PKT0_S8_ifPKiSA_SA_iPKfiiiPfSD_PS3_PT2_iSC_SC_,"axG",@progbits,_Z38paged_attention_ll4mi_QKV_mfma4_kernelI14__hip_bfloat16hLN4vllm18Fp8KVCacheDataTypeE1EhLi16ELi64ELi256ELb1ELi4EEvPKT_PKT0_S8_ifPKiSA_SA_iPKfiiiPfSD_PS3_PT2_iSC_SC_,comdat
	.protected	_Z38paged_attention_ll4mi_QKV_mfma4_kernelI14__hip_bfloat16hLN4vllm18Fp8KVCacheDataTypeE1EhLi16ELi64ELi256ELb1ELi4EEvPKT_PKT0_S8_ifPKiSA_SA_iPKfiiiPfSD_PS3_PT2_iSC_SC_ ; -- Begin function _Z38paged_attention_ll4mi_QKV_mfma4_kernelI14__hip_bfloat16hLN4vllm18Fp8KVCacheDataTypeE1EhLi16ELi64ELi256ELb1ELi4EEvPKT_PKT0_S8_ifPKiSA_SA_iPKfiiiPfSD_PS3_PT2_iSC_SC_
	.globl	_Z38paged_attention_ll4mi_QKV_mfma4_kernelI14__hip_bfloat16hLN4vllm18Fp8KVCacheDataTypeE1EhLi16ELi64ELi256ELb1ELi4EEvPKT_PKT0_S8_ifPKiSA_SA_iPKfiiiPfSD_PS3_PT2_iSC_SC_
	.p2align	8
	.type	_Z38paged_attention_ll4mi_QKV_mfma4_kernelI14__hip_bfloat16hLN4vllm18Fp8KVCacheDataTypeE1EhLi16ELi64ELi256ELb1ELi4EEvPKT_PKT0_S8_ifPKiSA_SA_iPKfiiiPfSD_PS3_PT2_iSC_SC_,@function
_Z38paged_attention_ll4mi_QKV_mfma4_kernelI14__hip_bfloat16hLN4vllm18Fp8KVCacheDataTypeE1EhLi16ELi64ELi256ELb1ELi4EEvPKT_PKT0_S8_ifPKiSA_SA_iPKfiiiPfSD_PS3_PT2_iSC_SC_: ; @_Z38paged_attention_ll4mi_QKV_mfma4_kernelI14__hip_bfloat16hLN4vllm18Fp8KVCacheDataTypeE1EhLi16ELi64ELi256ELb1ELi4EEvPKT_PKT0_S8_ifPKiSA_SA_iPKfiiiPfSD_PS3_PT2_iSC_SC_
; %bb.0:
	s_get_pc_i64 s[2:3]
	s_add_nc_u64 s[2:3], s[2:3], __PRETTY_FUNCTION__._Z38paged_attention_ll4mi_QKV_mfma4_kernelI14__hip_bfloat16hLN4vllm18Fp8KVCacheDataTypeE1EhLi16ELi64ELi256ELb1ELi4EEvPKT_PKT0_S8_ifPKiSA_SA_iPKfiiiPfSD_PS3_PT2_iSC_SC_@rel64+4
	s_delay_alu instid0(SALU_CYCLE_1)
	v_dual_mov_b32 v0, 0xbce :: v_dual_mov_b32 v1, s2
	v_mov_b32_e32 v2, s3
	s_add_nc_u64 s[8:9], s[0:1], 0x90
	s_get_pc_i64 s[0:1]
	s_add_nc_u64 s[0:1], s[0:1], __assert_fail@rel64+4
	s_mov_b32 s32, 0
	s_swap_pc_i64 s[30:31], s[0:1]
	.section	.rodata,"a",@progbits
	.p2align	6, 0x0
	.amdhsa_kernel _Z38paged_attention_ll4mi_QKV_mfma4_kernelI14__hip_bfloat16hLN4vllm18Fp8KVCacheDataTypeE1EhLi16ELi64ELi256ELb1ELi4EEvPKT_PKT0_S8_ifPKiSA_SA_iPKfiiiPfSD_PS3_PT2_iSC_SC_
		.amdhsa_group_segment_fixed_size 0
		.amdhsa_private_segment_fixed_size 64
		.amdhsa_kernarg_size 400
		.amdhsa_user_sgpr_count 2
		.amdhsa_user_sgpr_dispatch_ptr 0
		.amdhsa_user_sgpr_queue_ptr 0
		.amdhsa_user_sgpr_kernarg_segment_ptr 1
		.amdhsa_user_sgpr_dispatch_id 0
		.amdhsa_user_sgpr_kernarg_preload_length 0
		.amdhsa_user_sgpr_kernarg_preload_offset 0
		.amdhsa_user_sgpr_private_segment_size 0
		.amdhsa_wavefront_size32 1
		.amdhsa_uses_dynamic_stack 0
		.amdhsa_enable_private_segment 1
		.amdhsa_system_sgpr_workgroup_id_x 1
		.amdhsa_system_sgpr_workgroup_id_y 0
		.amdhsa_system_sgpr_workgroup_id_z 0
		.amdhsa_system_sgpr_workgroup_info 0
		.amdhsa_system_vgpr_workitem_id 0
		.amdhsa_next_free_vgpr 51
		.amdhsa_next_free_sgpr 34
		.amdhsa_named_barrier_count 0
		.amdhsa_reserve_vcc 1
		.amdhsa_float_round_mode_32 0
		.amdhsa_float_round_mode_16_64 0
		.amdhsa_float_denorm_mode_32 3
		.amdhsa_float_denorm_mode_16_64 3
		.amdhsa_fp16_overflow 0
		.amdhsa_memory_ordered 1
		.amdhsa_forward_progress 1
		.amdhsa_inst_pref_size 1
		.amdhsa_round_robin_scheduling 0
		.amdhsa_exception_fp_ieee_invalid_op 0
		.amdhsa_exception_fp_denorm_src 0
		.amdhsa_exception_fp_ieee_div_zero 0
		.amdhsa_exception_fp_ieee_overflow 0
		.amdhsa_exception_fp_ieee_underflow 0
		.amdhsa_exception_fp_ieee_inexact 0
		.amdhsa_exception_int_div_zero 0
	.end_amdhsa_kernel
	.section	.text._Z38paged_attention_ll4mi_QKV_mfma4_kernelI14__hip_bfloat16hLN4vllm18Fp8KVCacheDataTypeE1EhLi16ELi64ELi256ELb1ELi4EEvPKT_PKT0_S8_ifPKiSA_SA_iPKfiiiPfSD_PS3_PT2_iSC_SC_,"axG",@progbits,_Z38paged_attention_ll4mi_QKV_mfma4_kernelI14__hip_bfloat16hLN4vllm18Fp8KVCacheDataTypeE1EhLi16ELi64ELi256ELb1ELi4EEvPKT_PKT0_S8_ifPKiSA_SA_iPKfiiiPfSD_PS3_PT2_iSC_SC_,comdat
.Lfunc_end1093:
	.size	_Z38paged_attention_ll4mi_QKV_mfma4_kernelI14__hip_bfloat16hLN4vllm18Fp8KVCacheDataTypeE1EhLi16ELi64ELi256ELb1ELi4EEvPKT_PKT0_S8_ifPKiSA_SA_iPKfiiiPfSD_PS3_PT2_iSC_SC_, .Lfunc_end1093-_Z38paged_attention_ll4mi_QKV_mfma4_kernelI14__hip_bfloat16hLN4vllm18Fp8KVCacheDataTypeE1EhLi16ELi64ELi256ELb1ELi4EEvPKT_PKT0_S8_ifPKiSA_SA_iPKfiiiPfSD_PS3_PT2_iSC_SC_
                                        ; -- End function
	.set _Z38paged_attention_ll4mi_QKV_mfma4_kernelI14__hip_bfloat16hLN4vllm18Fp8KVCacheDataTypeE1EhLi16ELi64ELi256ELb1ELi4EEvPKT_PKT0_S8_ifPKiSA_SA_iPKfiiiPfSD_PS3_PT2_iSC_SC_.num_vgpr, max(3, .L__assert_fail.num_vgpr)
	.set _Z38paged_attention_ll4mi_QKV_mfma4_kernelI14__hip_bfloat16hLN4vllm18Fp8KVCacheDataTypeE1EhLi16ELi64ELi256ELb1ELi4EEvPKT_PKT0_S8_ifPKiSA_SA_iPKfiiiPfSD_PS3_PT2_iSC_SC_.num_agpr, max(0, .L__assert_fail.num_agpr)
	.set _Z38paged_attention_ll4mi_QKV_mfma4_kernelI14__hip_bfloat16hLN4vllm18Fp8KVCacheDataTypeE1EhLi16ELi64ELi256ELb1ELi4EEvPKT_PKT0_S8_ifPKiSA_SA_iPKfiiiPfSD_PS3_PT2_iSC_SC_.numbered_sgpr, max(33, .L__assert_fail.numbered_sgpr)
	.set _Z38paged_attention_ll4mi_QKV_mfma4_kernelI14__hip_bfloat16hLN4vllm18Fp8KVCacheDataTypeE1EhLi16ELi64ELi256ELb1ELi4EEvPKT_PKT0_S8_ifPKiSA_SA_iPKfiiiPfSD_PS3_PT2_iSC_SC_.num_named_barrier, max(0, .L__assert_fail.num_named_barrier)
	.set _Z38paged_attention_ll4mi_QKV_mfma4_kernelI14__hip_bfloat16hLN4vllm18Fp8KVCacheDataTypeE1EhLi16ELi64ELi256ELb1ELi4EEvPKT_PKT0_S8_ifPKiSA_SA_iPKfiiiPfSD_PS3_PT2_iSC_SC_.private_seg_size, 0+max(.L__assert_fail.private_seg_size)
	.set _Z38paged_attention_ll4mi_QKV_mfma4_kernelI14__hip_bfloat16hLN4vllm18Fp8KVCacheDataTypeE1EhLi16ELi64ELi256ELb1ELi4EEvPKT_PKT0_S8_ifPKiSA_SA_iPKfiiiPfSD_PS3_PT2_iSC_SC_.uses_vcc, or(1, .L__assert_fail.uses_vcc)
	.set _Z38paged_attention_ll4mi_QKV_mfma4_kernelI14__hip_bfloat16hLN4vllm18Fp8KVCacheDataTypeE1EhLi16ELi64ELi256ELb1ELi4EEvPKT_PKT0_S8_ifPKiSA_SA_iPKfiiiPfSD_PS3_PT2_iSC_SC_.uses_flat_scratch, or(0, .L__assert_fail.uses_flat_scratch)
	.set _Z38paged_attention_ll4mi_QKV_mfma4_kernelI14__hip_bfloat16hLN4vllm18Fp8KVCacheDataTypeE1EhLi16ELi64ELi256ELb1ELi4EEvPKT_PKT0_S8_ifPKiSA_SA_iPKfiiiPfSD_PS3_PT2_iSC_SC_.has_dyn_sized_stack, or(0, .L__assert_fail.has_dyn_sized_stack)
	.set _Z38paged_attention_ll4mi_QKV_mfma4_kernelI14__hip_bfloat16hLN4vllm18Fp8KVCacheDataTypeE1EhLi16ELi64ELi256ELb1ELi4EEvPKT_PKT0_S8_ifPKiSA_SA_iPKfiiiPfSD_PS3_PT2_iSC_SC_.has_recursion, or(0, .L__assert_fail.has_recursion)
	.set _Z38paged_attention_ll4mi_QKV_mfma4_kernelI14__hip_bfloat16hLN4vllm18Fp8KVCacheDataTypeE1EhLi16ELi64ELi256ELb1ELi4EEvPKT_PKT0_S8_ifPKiSA_SA_iPKfiiiPfSD_PS3_PT2_iSC_SC_.has_indirect_call, or(0, .L__assert_fail.has_indirect_call)
	.section	.AMDGPU.csdata,"",@progbits
; Kernel info:
; codeLenInByte = 68
; TotalNumSgprs: 36
; NumVgprs: 51
; ScratchSize: 64
; MemoryBound: 0
; FloatMode: 240
; IeeeMode: 1
; LDSByteSize: 0 bytes/workgroup (compile time only)
; SGPRBlocks: 0
; VGPRBlocks: 3
; NumSGPRsForWavesPerEU: 36
; NumVGPRsForWavesPerEU: 51
; NamedBarCnt: 0
; Occupancy: 16
; WaveLimiterHint : 1
; COMPUTE_PGM_RSRC2:SCRATCH_EN: 1
; COMPUTE_PGM_RSRC2:USER_SGPR: 2
; COMPUTE_PGM_RSRC2:TRAP_HANDLER: 0
; COMPUTE_PGM_RSRC2:TGID_X_EN: 1
; COMPUTE_PGM_RSRC2:TGID_Y_EN: 0
; COMPUTE_PGM_RSRC2:TGID_Z_EN: 0
; COMPUTE_PGM_RSRC2:TIDIG_COMP_CNT: 0
	.section	.text._Z39paged_attention_ll4mi_QKV_mfma16_kernelI14__hip_bfloat16hLN4vllm18Fp8KVCacheDataTypeE1EhLi16ELi64ELi256ELb1ELi5EEvPKT_PKT0_S8_ifPKiSA_SA_iPKfiiiPfSD_PS3_PT2_iSC_SC_,"axG",@progbits,_Z39paged_attention_ll4mi_QKV_mfma16_kernelI14__hip_bfloat16hLN4vllm18Fp8KVCacheDataTypeE1EhLi16ELi64ELi256ELb1ELi5EEvPKT_PKT0_S8_ifPKiSA_SA_iPKfiiiPfSD_PS3_PT2_iSC_SC_,comdat
	.protected	_Z39paged_attention_ll4mi_QKV_mfma16_kernelI14__hip_bfloat16hLN4vllm18Fp8KVCacheDataTypeE1EhLi16ELi64ELi256ELb1ELi5EEvPKT_PKT0_S8_ifPKiSA_SA_iPKfiiiPfSD_PS3_PT2_iSC_SC_ ; -- Begin function _Z39paged_attention_ll4mi_QKV_mfma16_kernelI14__hip_bfloat16hLN4vllm18Fp8KVCacheDataTypeE1EhLi16ELi64ELi256ELb1ELi5EEvPKT_PKT0_S8_ifPKiSA_SA_iPKfiiiPfSD_PS3_PT2_iSC_SC_
	.globl	_Z39paged_attention_ll4mi_QKV_mfma16_kernelI14__hip_bfloat16hLN4vllm18Fp8KVCacheDataTypeE1EhLi16ELi64ELi256ELb1ELi5EEvPKT_PKT0_S8_ifPKiSA_SA_iPKfiiiPfSD_PS3_PT2_iSC_SC_
	.p2align	8
	.type	_Z39paged_attention_ll4mi_QKV_mfma16_kernelI14__hip_bfloat16hLN4vllm18Fp8KVCacheDataTypeE1EhLi16ELi64ELi256ELb1ELi5EEvPKT_PKT0_S8_ifPKiSA_SA_iPKfiiiPfSD_PS3_PT2_iSC_SC_,@function
_Z39paged_attention_ll4mi_QKV_mfma16_kernelI14__hip_bfloat16hLN4vllm18Fp8KVCacheDataTypeE1EhLi16ELi64ELi256ELb1ELi5EEvPKT_PKT0_S8_ifPKiSA_SA_iPKfiiiPfSD_PS3_PT2_iSC_SC_: ; @_Z39paged_attention_ll4mi_QKV_mfma16_kernelI14__hip_bfloat16hLN4vllm18Fp8KVCacheDataTypeE1EhLi16ELi64ELi256ELb1ELi5EEvPKT_PKT0_S8_ifPKiSA_SA_iPKfiiiPfSD_PS3_PT2_iSC_SC_
; %bb.0:
	s_get_pc_i64 s[2:3]
	s_add_nc_u64 s[2:3], s[2:3], __PRETTY_FUNCTION__._Z39paged_attention_ll4mi_QKV_mfma16_kernelI14__hip_bfloat16hLN4vllm18Fp8KVCacheDataTypeE1EhLi16ELi64ELi256ELb1ELi5EEvPKT_PKT0_S8_ifPKiSA_SA_iPKfiiiPfSD_PS3_PT2_iSC_SC_@rel64+4
	s_delay_alu instid0(SALU_CYCLE_1)
	v_dual_mov_b32 v0, 0xbb3 :: v_dual_mov_b32 v1, s2
	v_mov_b32_e32 v2, s3
	s_add_nc_u64 s[8:9], s[0:1], 0x90
	s_get_pc_i64 s[0:1]
	s_add_nc_u64 s[0:1], s[0:1], __assert_fail@rel64+4
	s_mov_b32 s32, 0
	s_swap_pc_i64 s[30:31], s[0:1]
	.section	.rodata,"a",@progbits
	.p2align	6, 0x0
	.amdhsa_kernel _Z39paged_attention_ll4mi_QKV_mfma16_kernelI14__hip_bfloat16hLN4vllm18Fp8KVCacheDataTypeE1EhLi16ELi64ELi256ELb1ELi5EEvPKT_PKT0_S8_ifPKiSA_SA_iPKfiiiPfSD_PS3_PT2_iSC_SC_
		.amdhsa_group_segment_fixed_size 0
		.amdhsa_private_segment_fixed_size 64
		.amdhsa_kernarg_size 400
		.amdhsa_user_sgpr_count 2
		.amdhsa_user_sgpr_dispatch_ptr 0
		.amdhsa_user_sgpr_queue_ptr 0
		.amdhsa_user_sgpr_kernarg_segment_ptr 1
		.amdhsa_user_sgpr_dispatch_id 0
		.amdhsa_user_sgpr_kernarg_preload_length 0
		.amdhsa_user_sgpr_kernarg_preload_offset 0
		.amdhsa_user_sgpr_private_segment_size 0
		.amdhsa_wavefront_size32 1
		.amdhsa_uses_dynamic_stack 0
		.amdhsa_enable_private_segment 1
		.amdhsa_system_sgpr_workgroup_id_x 1
		.amdhsa_system_sgpr_workgroup_id_y 0
		.amdhsa_system_sgpr_workgroup_id_z 0
		.amdhsa_system_sgpr_workgroup_info 0
		.amdhsa_system_vgpr_workitem_id 0
		.amdhsa_next_free_vgpr 51
		.amdhsa_next_free_sgpr 34
		.amdhsa_named_barrier_count 0
		.amdhsa_reserve_vcc 1
		.amdhsa_float_round_mode_32 0
		.amdhsa_float_round_mode_16_64 0
		.amdhsa_float_denorm_mode_32 3
		.amdhsa_float_denorm_mode_16_64 3
		.amdhsa_fp16_overflow 0
		.amdhsa_memory_ordered 1
		.amdhsa_forward_progress 1
		.amdhsa_inst_pref_size 1
		.amdhsa_round_robin_scheduling 0
		.amdhsa_exception_fp_ieee_invalid_op 0
		.amdhsa_exception_fp_denorm_src 0
		.amdhsa_exception_fp_ieee_div_zero 0
		.amdhsa_exception_fp_ieee_overflow 0
		.amdhsa_exception_fp_ieee_underflow 0
		.amdhsa_exception_fp_ieee_inexact 0
		.amdhsa_exception_int_div_zero 0
	.end_amdhsa_kernel
	.section	.text._Z39paged_attention_ll4mi_QKV_mfma16_kernelI14__hip_bfloat16hLN4vllm18Fp8KVCacheDataTypeE1EhLi16ELi64ELi256ELb1ELi5EEvPKT_PKT0_S8_ifPKiSA_SA_iPKfiiiPfSD_PS3_PT2_iSC_SC_,"axG",@progbits,_Z39paged_attention_ll4mi_QKV_mfma16_kernelI14__hip_bfloat16hLN4vllm18Fp8KVCacheDataTypeE1EhLi16ELi64ELi256ELb1ELi5EEvPKT_PKT0_S8_ifPKiSA_SA_iPKfiiiPfSD_PS3_PT2_iSC_SC_,comdat
.Lfunc_end1094:
	.size	_Z39paged_attention_ll4mi_QKV_mfma16_kernelI14__hip_bfloat16hLN4vllm18Fp8KVCacheDataTypeE1EhLi16ELi64ELi256ELb1ELi5EEvPKT_PKT0_S8_ifPKiSA_SA_iPKfiiiPfSD_PS3_PT2_iSC_SC_, .Lfunc_end1094-_Z39paged_attention_ll4mi_QKV_mfma16_kernelI14__hip_bfloat16hLN4vllm18Fp8KVCacheDataTypeE1EhLi16ELi64ELi256ELb1ELi5EEvPKT_PKT0_S8_ifPKiSA_SA_iPKfiiiPfSD_PS3_PT2_iSC_SC_
                                        ; -- End function
	.set _Z39paged_attention_ll4mi_QKV_mfma16_kernelI14__hip_bfloat16hLN4vllm18Fp8KVCacheDataTypeE1EhLi16ELi64ELi256ELb1ELi5EEvPKT_PKT0_S8_ifPKiSA_SA_iPKfiiiPfSD_PS3_PT2_iSC_SC_.num_vgpr, max(3, .L__assert_fail.num_vgpr)
	.set _Z39paged_attention_ll4mi_QKV_mfma16_kernelI14__hip_bfloat16hLN4vllm18Fp8KVCacheDataTypeE1EhLi16ELi64ELi256ELb1ELi5EEvPKT_PKT0_S8_ifPKiSA_SA_iPKfiiiPfSD_PS3_PT2_iSC_SC_.num_agpr, max(0, .L__assert_fail.num_agpr)
	.set _Z39paged_attention_ll4mi_QKV_mfma16_kernelI14__hip_bfloat16hLN4vllm18Fp8KVCacheDataTypeE1EhLi16ELi64ELi256ELb1ELi5EEvPKT_PKT0_S8_ifPKiSA_SA_iPKfiiiPfSD_PS3_PT2_iSC_SC_.numbered_sgpr, max(33, .L__assert_fail.numbered_sgpr)
	.set _Z39paged_attention_ll4mi_QKV_mfma16_kernelI14__hip_bfloat16hLN4vllm18Fp8KVCacheDataTypeE1EhLi16ELi64ELi256ELb1ELi5EEvPKT_PKT0_S8_ifPKiSA_SA_iPKfiiiPfSD_PS3_PT2_iSC_SC_.num_named_barrier, max(0, .L__assert_fail.num_named_barrier)
	.set _Z39paged_attention_ll4mi_QKV_mfma16_kernelI14__hip_bfloat16hLN4vllm18Fp8KVCacheDataTypeE1EhLi16ELi64ELi256ELb1ELi5EEvPKT_PKT0_S8_ifPKiSA_SA_iPKfiiiPfSD_PS3_PT2_iSC_SC_.private_seg_size, 0+max(.L__assert_fail.private_seg_size)
	.set _Z39paged_attention_ll4mi_QKV_mfma16_kernelI14__hip_bfloat16hLN4vllm18Fp8KVCacheDataTypeE1EhLi16ELi64ELi256ELb1ELi5EEvPKT_PKT0_S8_ifPKiSA_SA_iPKfiiiPfSD_PS3_PT2_iSC_SC_.uses_vcc, or(1, .L__assert_fail.uses_vcc)
	.set _Z39paged_attention_ll4mi_QKV_mfma16_kernelI14__hip_bfloat16hLN4vllm18Fp8KVCacheDataTypeE1EhLi16ELi64ELi256ELb1ELi5EEvPKT_PKT0_S8_ifPKiSA_SA_iPKfiiiPfSD_PS3_PT2_iSC_SC_.uses_flat_scratch, or(0, .L__assert_fail.uses_flat_scratch)
	.set _Z39paged_attention_ll4mi_QKV_mfma16_kernelI14__hip_bfloat16hLN4vllm18Fp8KVCacheDataTypeE1EhLi16ELi64ELi256ELb1ELi5EEvPKT_PKT0_S8_ifPKiSA_SA_iPKfiiiPfSD_PS3_PT2_iSC_SC_.has_dyn_sized_stack, or(0, .L__assert_fail.has_dyn_sized_stack)
	.set _Z39paged_attention_ll4mi_QKV_mfma16_kernelI14__hip_bfloat16hLN4vllm18Fp8KVCacheDataTypeE1EhLi16ELi64ELi256ELb1ELi5EEvPKT_PKT0_S8_ifPKiSA_SA_iPKfiiiPfSD_PS3_PT2_iSC_SC_.has_recursion, or(0, .L__assert_fail.has_recursion)
	.set _Z39paged_attention_ll4mi_QKV_mfma16_kernelI14__hip_bfloat16hLN4vllm18Fp8KVCacheDataTypeE1EhLi16ELi64ELi256ELb1ELi5EEvPKT_PKT0_S8_ifPKiSA_SA_iPKfiiiPfSD_PS3_PT2_iSC_SC_.has_indirect_call, or(0, .L__assert_fail.has_indirect_call)
	.section	.AMDGPU.csdata,"",@progbits
; Kernel info:
; codeLenInByte = 68
; TotalNumSgprs: 36
; NumVgprs: 51
; ScratchSize: 64
; MemoryBound: 0
; FloatMode: 240
; IeeeMode: 1
; LDSByteSize: 0 bytes/workgroup (compile time only)
; SGPRBlocks: 0
; VGPRBlocks: 3
; NumSGPRsForWavesPerEU: 36
; NumVGPRsForWavesPerEU: 51
; NamedBarCnt: 0
; Occupancy: 16
; WaveLimiterHint : 1
; COMPUTE_PGM_RSRC2:SCRATCH_EN: 1
; COMPUTE_PGM_RSRC2:USER_SGPR: 2
; COMPUTE_PGM_RSRC2:TRAP_HANDLER: 0
; COMPUTE_PGM_RSRC2:TGID_X_EN: 1
; COMPUTE_PGM_RSRC2:TGID_Y_EN: 0
; COMPUTE_PGM_RSRC2:TGID_Z_EN: 0
; COMPUTE_PGM_RSRC2:TIDIG_COMP_CNT: 0
	.section	.text._Z39paged_attention_ll4mi_QKV_mfma16_kernelI14__hip_bfloat16hLN4vllm18Fp8KVCacheDataTypeE1EhLi16ELi64ELi256ELb1ELi6EEvPKT_PKT0_S8_ifPKiSA_SA_iPKfiiiPfSD_PS3_PT2_iSC_SC_,"axG",@progbits,_Z39paged_attention_ll4mi_QKV_mfma16_kernelI14__hip_bfloat16hLN4vllm18Fp8KVCacheDataTypeE1EhLi16ELi64ELi256ELb1ELi6EEvPKT_PKT0_S8_ifPKiSA_SA_iPKfiiiPfSD_PS3_PT2_iSC_SC_,comdat
	.protected	_Z39paged_attention_ll4mi_QKV_mfma16_kernelI14__hip_bfloat16hLN4vllm18Fp8KVCacheDataTypeE1EhLi16ELi64ELi256ELb1ELi6EEvPKT_PKT0_S8_ifPKiSA_SA_iPKfiiiPfSD_PS3_PT2_iSC_SC_ ; -- Begin function _Z39paged_attention_ll4mi_QKV_mfma16_kernelI14__hip_bfloat16hLN4vllm18Fp8KVCacheDataTypeE1EhLi16ELi64ELi256ELb1ELi6EEvPKT_PKT0_S8_ifPKiSA_SA_iPKfiiiPfSD_PS3_PT2_iSC_SC_
	.globl	_Z39paged_attention_ll4mi_QKV_mfma16_kernelI14__hip_bfloat16hLN4vllm18Fp8KVCacheDataTypeE1EhLi16ELi64ELi256ELb1ELi6EEvPKT_PKT0_S8_ifPKiSA_SA_iPKfiiiPfSD_PS3_PT2_iSC_SC_
	.p2align	8
	.type	_Z39paged_attention_ll4mi_QKV_mfma16_kernelI14__hip_bfloat16hLN4vllm18Fp8KVCacheDataTypeE1EhLi16ELi64ELi256ELb1ELi6EEvPKT_PKT0_S8_ifPKiSA_SA_iPKfiiiPfSD_PS3_PT2_iSC_SC_,@function
_Z39paged_attention_ll4mi_QKV_mfma16_kernelI14__hip_bfloat16hLN4vllm18Fp8KVCacheDataTypeE1EhLi16ELi64ELi256ELb1ELi6EEvPKT_PKT0_S8_ifPKiSA_SA_iPKfiiiPfSD_PS3_PT2_iSC_SC_: ; @_Z39paged_attention_ll4mi_QKV_mfma16_kernelI14__hip_bfloat16hLN4vllm18Fp8KVCacheDataTypeE1EhLi16ELi64ELi256ELb1ELi6EEvPKT_PKT0_S8_ifPKiSA_SA_iPKfiiiPfSD_PS3_PT2_iSC_SC_
; %bb.0:
	s_get_pc_i64 s[2:3]
	s_add_nc_u64 s[2:3], s[2:3], __PRETTY_FUNCTION__._Z39paged_attention_ll4mi_QKV_mfma16_kernelI14__hip_bfloat16hLN4vllm18Fp8KVCacheDataTypeE1EhLi16ELi64ELi256ELb1ELi6EEvPKT_PKT0_S8_ifPKiSA_SA_iPKfiiiPfSD_PS3_PT2_iSC_SC_@rel64+4
	s_delay_alu instid0(SALU_CYCLE_1)
	v_dual_mov_b32 v0, 0xbb3 :: v_dual_mov_b32 v1, s2
	v_mov_b32_e32 v2, s3
	s_add_nc_u64 s[8:9], s[0:1], 0x90
	s_get_pc_i64 s[0:1]
	s_add_nc_u64 s[0:1], s[0:1], __assert_fail@rel64+4
	s_mov_b32 s32, 0
	s_swap_pc_i64 s[30:31], s[0:1]
	.section	.rodata,"a",@progbits
	.p2align	6, 0x0
	.amdhsa_kernel _Z39paged_attention_ll4mi_QKV_mfma16_kernelI14__hip_bfloat16hLN4vllm18Fp8KVCacheDataTypeE1EhLi16ELi64ELi256ELb1ELi6EEvPKT_PKT0_S8_ifPKiSA_SA_iPKfiiiPfSD_PS3_PT2_iSC_SC_
		.amdhsa_group_segment_fixed_size 0
		.amdhsa_private_segment_fixed_size 64
		.amdhsa_kernarg_size 400
		.amdhsa_user_sgpr_count 2
		.amdhsa_user_sgpr_dispatch_ptr 0
		.amdhsa_user_sgpr_queue_ptr 0
		.amdhsa_user_sgpr_kernarg_segment_ptr 1
		.amdhsa_user_sgpr_dispatch_id 0
		.amdhsa_user_sgpr_kernarg_preload_length 0
		.amdhsa_user_sgpr_kernarg_preload_offset 0
		.amdhsa_user_sgpr_private_segment_size 0
		.amdhsa_wavefront_size32 1
		.amdhsa_uses_dynamic_stack 0
		.amdhsa_enable_private_segment 1
		.amdhsa_system_sgpr_workgroup_id_x 1
		.amdhsa_system_sgpr_workgroup_id_y 0
		.amdhsa_system_sgpr_workgroup_id_z 0
		.amdhsa_system_sgpr_workgroup_info 0
		.amdhsa_system_vgpr_workitem_id 0
		.amdhsa_next_free_vgpr 51
		.amdhsa_next_free_sgpr 34
		.amdhsa_named_barrier_count 0
		.amdhsa_reserve_vcc 1
		.amdhsa_float_round_mode_32 0
		.amdhsa_float_round_mode_16_64 0
		.amdhsa_float_denorm_mode_32 3
		.amdhsa_float_denorm_mode_16_64 3
		.amdhsa_fp16_overflow 0
		.amdhsa_memory_ordered 1
		.amdhsa_forward_progress 1
		.amdhsa_inst_pref_size 1
		.amdhsa_round_robin_scheduling 0
		.amdhsa_exception_fp_ieee_invalid_op 0
		.amdhsa_exception_fp_denorm_src 0
		.amdhsa_exception_fp_ieee_div_zero 0
		.amdhsa_exception_fp_ieee_overflow 0
		.amdhsa_exception_fp_ieee_underflow 0
		.amdhsa_exception_fp_ieee_inexact 0
		.amdhsa_exception_int_div_zero 0
	.end_amdhsa_kernel
	.section	.text._Z39paged_attention_ll4mi_QKV_mfma16_kernelI14__hip_bfloat16hLN4vllm18Fp8KVCacheDataTypeE1EhLi16ELi64ELi256ELb1ELi6EEvPKT_PKT0_S8_ifPKiSA_SA_iPKfiiiPfSD_PS3_PT2_iSC_SC_,"axG",@progbits,_Z39paged_attention_ll4mi_QKV_mfma16_kernelI14__hip_bfloat16hLN4vllm18Fp8KVCacheDataTypeE1EhLi16ELi64ELi256ELb1ELi6EEvPKT_PKT0_S8_ifPKiSA_SA_iPKfiiiPfSD_PS3_PT2_iSC_SC_,comdat
.Lfunc_end1095:
	.size	_Z39paged_attention_ll4mi_QKV_mfma16_kernelI14__hip_bfloat16hLN4vllm18Fp8KVCacheDataTypeE1EhLi16ELi64ELi256ELb1ELi6EEvPKT_PKT0_S8_ifPKiSA_SA_iPKfiiiPfSD_PS3_PT2_iSC_SC_, .Lfunc_end1095-_Z39paged_attention_ll4mi_QKV_mfma16_kernelI14__hip_bfloat16hLN4vllm18Fp8KVCacheDataTypeE1EhLi16ELi64ELi256ELb1ELi6EEvPKT_PKT0_S8_ifPKiSA_SA_iPKfiiiPfSD_PS3_PT2_iSC_SC_
                                        ; -- End function
	.set _Z39paged_attention_ll4mi_QKV_mfma16_kernelI14__hip_bfloat16hLN4vllm18Fp8KVCacheDataTypeE1EhLi16ELi64ELi256ELb1ELi6EEvPKT_PKT0_S8_ifPKiSA_SA_iPKfiiiPfSD_PS3_PT2_iSC_SC_.num_vgpr, max(3, .L__assert_fail.num_vgpr)
	.set _Z39paged_attention_ll4mi_QKV_mfma16_kernelI14__hip_bfloat16hLN4vllm18Fp8KVCacheDataTypeE1EhLi16ELi64ELi256ELb1ELi6EEvPKT_PKT0_S8_ifPKiSA_SA_iPKfiiiPfSD_PS3_PT2_iSC_SC_.num_agpr, max(0, .L__assert_fail.num_agpr)
	.set _Z39paged_attention_ll4mi_QKV_mfma16_kernelI14__hip_bfloat16hLN4vllm18Fp8KVCacheDataTypeE1EhLi16ELi64ELi256ELb1ELi6EEvPKT_PKT0_S8_ifPKiSA_SA_iPKfiiiPfSD_PS3_PT2_iSC_SC_.numbered_sgpr, max(33, .L__assert_fail.numbered_sgpr)
	.set _Z39paged_attention_ll4mi_QKV_mfma16_kernelI14__hip_bfloat16hLN4vllm18Fp8KVCacheDataTypeE1EhLi16ELi64ELi256ELb1ELi6EEvPKT_PKT0_S8_ifPKiSA_SA_iPKfiiiPfSD_PS3_PT2_iSC_SC_.num_named_barrier, max(0, .L__assert_fail.num_named_barrier)
	.set _Z39paged_attention_ll4mi_QKV_mfma16_kernelI14__hip_bfloat16hLN4vllm18Fp8KVCacheDataTypeE1EhLi16ELi64ELi256ELb1ELi6EEvPKT_PKT0_S8_ifPKiSA_SA_iPKfiiiPfSD_PS3_PT2_iSC_SC_.private_seg_size, 0+max(.L__assert_fail.private_seg_size)
	.set _Z39paged_attention_ll4mi_QKV_mfma16_kernelI14__hip_bfloat16hLN4vllm18Fp8KVCacheDataTypeE1EhLi16ELi64ELi256ELb1ELi6EEvPKT_PKT0_S8_ifPKiSA_SA_iPKfiiiPfSD_PS3_PT2_iSC_SC_.uses_vcc, or(1, .L__assert_fail.uses_vcc)
	.set _Z39paged_attention_ll4mi_QKV_mfma16_kernelI14__hip_bfloat16hLN4vllm18Fp8KVCacheDataTypeE1EhLi16ELi64ELi256ELb1ELi6EEvPKT_PKT0_S8_ifPKiSA_SA_iPKfiiiPfSD_PS3_PT2_iSC_SC_.uses_flat_scratch, or(0, .L__assert_fail.uses_flat_scratch)
	.set _Z39paged_attention_ll4mi_QKV_mfma16_kernelI14__hip_bfloat16hLN4vllm18Fp8KVCacheDataTypeE1EhLi16ELi64ELi256ELb1ELi6EEvPKT_PKT0_S8_ifPKiSA_SA_iPKfiiiPfSD_PS3_PT2_iSC_SC_.has_dyn_sized_stack, or(0, .L__assert_fail.has_dyn_sized_stack)
	.set _Z39paged_attention_ll4mi_QKV_mfma16_kernelI14__hip_bfloat16hLN4vllm18Fp8KVCacheDataTypeE1EhLi16ELi64ELi256ELb1ELi6EEvPKT_PKT0_S8_ifPKiSA_SA_iPKfiiiPfSD_PS3_PT2_iSC_SC_.has_recursion, or(0, .L__assert_fail.has_recursion)
	.set _Z39paged_attention_ll4mi_QKV_mfma16_kernelI14__hip_bfloat16hLN4vllm18Fp8KVCacheDataTypeE1EhLi16ELi64ELi256ELb1ELi6EEvPKT_PKT0_S8_ifPKiSA_SA_iPKfiiiPfSD_PS3_PT2_iSC_SC_.has_indirect_call, or(0, .L__assert_fail.has_indirect_call)
	.section	.AMDGPU.csdata,"",@progbits
; Kernel info:
; codeLenInByte = 68
; TotalNumSgprs: 36
; NumVgprs: 51
; ScratchSize: 64
; MemoryBound: 0
; FloatMode: 240
; IeeeMode: 1
; LDSByteSize: 0 bytes/workgroup (compile time only)
; SGPRBlocks: 0
; VGPRBlocks: 3
; NumSGPRsForWavesPerEU: 36
; NumVGPRsForWavesPerEU: 51
; NamedBarCnt: 0
; Occupancy: 16
; WaveLimiterHint : 1
; COMPUTE_PGM_RSRC2:SCRATCH_EN: 1
; COMPUTE_PGM_RSRC2:USER_SGPR: 2
; COMPUTE_PGM_RSRC2:TRAP_HANDLER: 0
; COMPUTE_PGM_RSRC2:TGID_X_EN: 1
; COMPUTE_PGM_RSRC2:TGID_Y_EN: 0
; COMPUTE_PGM_RSRC2:TGID_Z_EN: 0
; COMPUTE_PGM_RSRC2:TIDIG_COMP_CNT: 0
	.section	.text._Z39paged_attention_ll4mi_QKV_mfma16_kernelI14__hip_bfloat16hLN4vllm18Fp8KVCacheDataTypeE1EhLi16ELi64ELi256ELb1ELi7EEvPKT_PKT0_S8_ifPKiSA_SA_iPKfiiiPfSD_PS3_PT2_iSC_SC_,"axG",@progbits,_Z39paged_attention_ll4mi_QKV_mfma16_kernelI14__hip_bfloat16hLN4vllm18Fp8KVCacheDataTypeE1EhLi16ELi64ELi256ELb1ELi7EEvPKT_PKT0_S8_ifPKiSA_SA_iPKfiiiPfSD_PS3_PT2_iSC_SC_,comdat
	.protected	_Z39paged_attention_ll4mi_QKV_mfma16_kernelI14__hip_bfloat16hLN4vllm18Fp8KVCacheDataTypeE1EhLi16ELi64ELi256ELb1ELi7EEvPKT_PKT0_S8_ifPKiSA_SA_iPKfiiiPfSD_PS3_PT2_iSC_SC_ ; -- Begin function _Z39paged_attention_ll4mi_QKV_mfma16_kernelI14__hip_bfloat16hLN4vllm18Fp8KVCacheDataTypeE1EhLi16ELi64ELi256ELb1ELi7EEvPKT_PKT0_S8_ifPKiSA_SA_iPKfiiiPfSD_PS3_PT2_iSC_SC_
	.globl	_Z39paged_attention_ll4mi_QKV_mfma16_kernelI14__hip_bfloat16hLN4vllm18Fp8KVCacheDataTypeE1EhLi16ELi64ELi256ELb1ELi7EEvPKT_PKT0_S8_ifPKiSA_SA_iPKfiiiPfSD_PS3_PT2_iSC_SC_
	.p2align	8
	.type	_Z39paged_attention_ll4mi_QKV_mfma16_kernelI14__hip_bfloat16hLN4vllm18Fp8KVCacheDataTypeE1EhLi16ELi64ELi256ELb1ELi7EEvPKT_PKT0_S8_ifPKiSA_SA_iPKfiiiPfSD_PS3_PT2_iSC_SC_,@function
_Z39paged_attention_ll4mi_QKV_mfma16_kernelI14__hip_bfloat16hLN4vllm18Fp8KVCacheDataTypeE1EhLi16ELi64ELi256ELb1ELi7EEvPKT_PKT0_S8_ifPKiSA_SA_iPKfiiiPfSD_PS3_PT2_iSC_SC_: ; @_Z39paged_attention_ll4mi_QKV_mfma16_kernelI14__hip_bfloat16hLN4vllm18Fp8KVCacheDataTypeE1EhLi16ELi64ELi256ELb1ELi7EEvPKT_PKT0_S8_ifPKiSA_SA_iPKfiiiPfSD_PS3_PT2_iSC_SC_
; %bb.0:
	s_get_pc_i64 s[2:3]
	s_add_nc_u64 s[2:3], s[2:3], __PRETTY_FUNCTION__._Z39paged_attention_ll4mi_QKV_mfma16_kernelI14__hip_bfloat16hLN4vllm18Fp8KVCacheDataTypeE1EhLi16ELi64ELi256ELb1ELi7EEvPKT_PKT0_S8_ifPKiSA_SA_iPKfiiiPfSD_PS3_PT2_iSC_SC_@rel64+4
	s_delay_alu instid0(SALU_CYCLE_1)
	v_dual_mov_b32 v0, 0xbb3 :: v_dual_mov_b32 v1, s2
	v_mov_b32_e32 v2, s3
	s_add_nc_u64 s[8:9], s[0:1], 0x90
	s_get_pc_i64 s[0:1]
	s_add_nc_u64 s[0:1], s[0:1], __assert_fail@rel64+4
	s_mov_b32 s32, 0
	s_swap_pc_i64 s[30:31], s[0:1]
	.section	.rodata,"a",@progbits
	.p2align	6, 0x0
	.amdhsa_kernel _Z39paged_attention_ll4mi_QKV_mfma16_kernelI14__hip_bfloat16hLN4vllm18Fp8KVCacheDataTypeE1EhLi16ELi64ELi256ELb1ELi7EEvPKT_PKT0_S8_ifPKiSA_SA_iPKfiiiPfSD_PS3_PT2_iSC_SC_
		.amdhsa_group_segment_fixed_size 0
		.amdhsa_private_segment_fixed_size 64
		.amdhsa_kernarg_size 400
		.amdhsa_user_sgpr_count 2
		.amdhsa_user_sgpr_dispatch_ptr 0
		.amdhsa_user_sgpr_queue_ptr 0
		.amdhsa_user_sgpr_kernarg_segment_ptr 1
		.amdhsa_user_sgpr_dispatch_id 0
		.amdhsa_user_sgpr_kernarg_preload_length 0
		.amdhsa_user_sgpr_kernarg_preload_offset 0
		.amdhsa_user_sgpr_private_segment_size 0
		.amdhsa_wavefront_size32 1
		.amdhsa_uses_dynamic_stack 0
		.amdhsa_enable_private_segment 1
		.amdhsa_system_sgpr_workgroup_id_x 1
		.amdhsa_system_sgpr_workgroup_id_y 0
		.amdhsa_system_sgpr_workgroup_id_z 0
		.amdhsa_system_sgpr_workgroup_info 0
		.amdhsa_system_vgpr_workitem_id 0
		.amdhsa_next_free_vgpr 51
		.amdhsa_next_free_sgpr 34
		.amdhsa_named_barrier_count 0
		.amdhsa_reserve_vcc 1
		.amdhsa_float_round_mode_32 0
		.amdhsa_float_round_mode_16_64 0
		.amdhsa_float_denorm_mode_32 3
		.amdhsa_float_denorm_mode_16_64 3
		.amdhsa_fp16_overflow 0
		.amdhsa_memory_ordered 1
		.amdhsa_forward_progress 1
		.amdhsa_inst_pref_size 1
		.amdhsa_round_robin_scheduling 0
		.amdhsa_exception_fp_ieee_invalid_op 0
		.amdhsa_exception_fp_denorm_src 0
		.amdhsa_exception_fp_ieee_div_zero 0
		.amdhsa_exception_fp_ieee_overflow 0
		.amdhsa_exception_fp_ieee_underflow 0
		.amdhsa_exception_fp_ieee_inexact 0
		.amdhsa_exception_int_div_zero 0
	.end_amdhsa_kernel
	.section	.text._Z39paged_attention_ll4mi_QKV_mfma16_kernelI14__hip_bfloat16hLN4vllm18Fp8KVCacheDataTypeE1EhLi16ELi64ELi256ELb1ELi7EEvPKT_PKT0_S8_ifPKiSA_SA_iPKfiiiPfSD_PS3_PT2_iSC_SC_,"axG",@progbits,_Z39paged_attention_ll4mi_QKV_mfma16_kernelI14__hip_bfloat16hLN4vllm18Fp8KVCacheDataTypeE1EhLi16ELi64ELi256ELb1ELi7EEvPKT_PKT0_S8_ifPKiSA_SA_iPKfiiiPfSD_PS3_PT2_iSC_SC_,comdat
.Lfunc_end1096:
	.size	_Z39paged_attention_ll4mi_QKV_mfma16_kernelI14__hip_bfloat16hLN4vllm18Fp8KVCacheDataTypeE1EhLi16ELi64ELi256ELb1ELi7EEvPKT_PKT0_S8_ifPKiSA_SA_iPKfiiiPfSD_PS3_PT2_iSC_SC_, .Lfunc_end1096-_Z39paged_attention_ll4mi_QKV_mfma16_kernelI14__hip_bfloat16hLN4vllm18Fp8KVCacheDataTypeE1EhLi16ELi64ELi256ELb1ELi7EEvPKT_PKT0_S8_ifPKiSA_SA_iPKfiiiPfSD_PS3_PT2_iSC_SC_
                                        ; -- End function
	.set _Z39paged_attention_ll4mi_QKV_mfma16_kernelI14__hip_bfloat16hLN4vllm18Fp8KVCacheDataTypeE1EhLi16ELi64ELi256ELb1ELi7EEvPKT_PKT0_S8_ifPKiSA_SA_iPKfiiiPfSD_PS3_PT2_iSC_SC_.num_vgpr, max(3, .L__assert_fail.num_vgpr)
	.set _Z39paged_attention_ll4mi_QKV_mfma16_kernelI14__hip_bfloat16hLN4vllm18Fp8KVCacheDataTypeE1EhLi16ELi64ELi256ELb1ELi7EEvPKT_PKT0_S8_ifPKiSA_SA_iPKfiiiPfSD_PS3_PT2_iSC_SC_.num_agpr, max(0, .L__assert_fail.num_agpr)
	.set _Z39paged_attention_ll4mi_QKV_mfma16_kernelI14__hip_bfloat16hLN4vllm18Fp8KVCacheDataTypeE1EhLi16ELi64ELi256ELb1ELi7EEvPKT_PKT0_S8_ifPKiSA_SA_iPKfiiiPfSD_PS3_PT2_iSC_SC_.numbered_sgpr, max(33, .L__assert_fail.numbered_sgpr)
	.set _Z39paged_attention_ll4mi_QKV_mfma16_kernelI14__hip_bfloat16hLN4vllm18Fp8KVCacheDataTypeE1EhLi16ELi64ELi256ELb1ELi7EEvPKT_PKT0_S8_ifPKiSA_SA_iPKfiiiPfSD_PS3_PT2_iSC_SC_.num_named_barrier, max(0, .L__assert_fail.num_named_barrier)
	.set _Z39paged_attention_ll4mi_QKV_mfma16_kernelI14__hip_bfloat16hLN4vllm18Fp8KVCacheDataTypeE1EhLi16ELi64ELi256ELb1ELi7EEvPKT_PKT0_S8_ifPKiSA_SA_iPKfiiiPfSD_PS3_PT2_iSC_SC_.private_seg_size, 0+max(.L__assert_fail.private_seg_size)
	.set _Z39paged_attention_ll4mi_QKV_mfma16_kernelI14__hip_bfloat16hLN4vllm18Fp8KVCacheDataTypeE1EhLi16ELi64ELi256ELb1ELi7EEvPKT_PKT0_S8_ifPKiSA_SA_iPKfiiiPfSD_PS3_PT2_iSC_SC_.uses_vcc, or(1, .L__assert_fail.uses_vcc)
	.set _Z39paged_attention_ll4mi_QKV_mfma16_kernelI14__hip_bfloat16hLN4vllm18Fp8KVCacheDataTypeE1EhLi16ELi64ELi256ELb1ELi7EEvPKT_PKT0_S8_ifPKiSA_SA_iPKfiiiPfSD_PS3_PT2_iSC_SC_.uses_flat_scratch, or(0, .L__assert_fail.uses_flat_scratch)
	.set _Z39paged_attention_ll4mi_QKV_mfma16_kernelI14__hip_bfloat16hLN4vllm18Fp8KVCacheDataTypeE1EhLi16ELi64ELi256ELb1ELi7EEvPKT_PKT0_S8_ifPKiSA_SA_iPKfiiiPfSD_PS3_PT2_iSC_SC_.has_dyn_sized_stack, or(0, .L__assert_fail.has_dyn_sized_stack)
	.set _Z39paged_attention_ll4mi_QKV_mfma16_kernelI14__hip_bfloat16hLN4vllm18Fp8KVCacheDataTypeE1EhLi16ELi64ELi256ELb1ELi7EEvPKT_PKT0_S8_ifPKiSA_SA_iPKfiiiPfSD_PS3_PT2_iSC_SC_.has_recursion, or(0, .L__assert_fail.has_recursion)
	.set _Z39paged_attention_ll4mi_QKV_mfma16_kernelI14__hip_bfloat16hLN4vllm18Fp8KVCacheDataTypeE1EhLi16ELi64ELi256ELb1ELi7EEvPKT_PKT0_S8_ifPKiSA_SA_iPKfiiiPfSD_PS3_PT2_iSC_SC_.has_indirect_call, or(0, .L__assert_fail.has_indirect_call)
	.section	.AMDGPU.csdata,"",@progbits
; Kernel info:
; codeLenInByte = 68
; TotalNumSgprs: 36
; NumVgprs: 51
; ScratchSize: 64
; MemoryBound: 0
; FloatMode: 240
; IeeeMode: 1
; LDSByteSize: 0 bytes/workgroup (compile time only)
; SGPRBlocks: 0
; VGPRBlocks: 3
; NumSGPRsForWavesPerEU: 36
; NumVGPRsForWavesPerEU: 51
; NamedBarCnt: 0
; Occupancy: 16
; WaveLimiterHint : 1
; COMPUTE_PGM_RSRC2:SCRATCH_EN: 1
; COMPUTE_PGM_RSRC2:USER_SGPR: 2
; COMPUTE_PGM_RSRC2:TRAP_HANDLER: 0
; COMPUTE_PGM_RSRC2:TGID_X_EN: 1
; COMPUTE_PGM_RSRC2:TGID_Y_EN: 0
; COMPUTE_PGM_RSRC2:TGID_Z_EN: 0
; COMPUTE_PGM_RSRC2:TIDIG_COMP_CNT: 0
	.section	.text._Z39paged_attention_ll4mi_QKV_mfma16_kernelI14__hip_bfloat16hLN4vllm18Fp8KVCacheDataTypeE1EhLi16ELi64ELi256ELb1ELi8EEvPKT_PKT0_S8_ifPKiSA_SA_iPKfiiiPfSD_PS3_PT2_iSC_SC_,"axG",@progbits,_Z39paged_attention_ll4mi_QKV_mfma16_kernelI14__hip_bfloat16hLN4vllm18Fp8KVCacheDataTypeE1EhLi16ELi64ELi256ELb1ELi8EEvPKT_PKT0_S8_ifPKiSA_SA_iPKfiiiPfSD_PS3_PT2_iSC_SC_,comdat
	.protected	_Z39paged_attention_ll4mi_QKV_mfma16_kernelI14__hip_bfloat16hLN4vllm18Fp8KVCacheDataTypeE1EhLi16ELi64ELi256ELb1ELi8EEvPKT_PKT0_S8_ifPKiSA_SA_iPKfiiiPfSD_PS3_PT2_iSC_SC_ ; -- Begin function _Z39paged_attention_ll4mi_QKV_mfma16_kernelI14__hip_bfloat16hLN4vllm18Fp8KVCacheDataTypeE1EhLi16ELi64ELi256ELb1ELi8EEvPKT_PKT0_S8_ifPKiSA_SA_iPKfiiiPfSD_PS3_PT2_iSC_SC_
	.globl	_Z39paged_attention_ll4mi_QKV_mfma16_kernelI14__hip_bfloat16hLN4vllm18Fp8KVCacheDataTypeE1EhLi16ELi64ELi256ELb1ELi8EEvPKT_PKT0_S8_ifPKiSA_SA_iPKfiiiPfSD_PS3_PT2_iSC_SC_
	.p2align	8
	.type	_Z39paged_attention_ll4mi_QKV_mfma16_kernelI14__hip_bfloat16hLN4vllm18Fp8KVCacheDataTypeE1EhLi16ELi64ELi256ELb1ELi8EEvPKT_PKT0_S8_ifPKiSA_SA_iPKfiiiPfSD_PS3_PT2_iSC_SC_,@function
_Z39paged_attention_ll4mi_QKV_mfma16_kernelI14__hip_bfloat16hLN4vllm18Fp8KVCacheDataTypeE1EhLi16ELi64ELi256ELb1ELi8EEvPKT_PKT0_S8_ifPKiSA_SA_iPKfiiiPfSD_PS3_PT2_iSC_SC_: ; @_Z39paged_attention_ll4mi_QKV_mfma16_kernelI14__hip_bfloat16hLN4vllm18Fp8KVCacheDataTypeE1EhLi16ELi64ELi256ELb1ELi8EEvPKT_PKT0_S8_ifPKiSA_SA_iPKfiiiPfSD_PS3_PT2_iSC_SC_
; %bb.0:
	s_get_pc_i64 s[2:3]
	s_add_nc_u64 s[2:3], s[2:3], __PRETTY_FUNCTION__._Z39paged_attention_ll4mi_QKV_mfma16_kernelI14__hip_bfloat16hLN4vllm18Fp8KVCacheDataTypeE1EhLi16ELi64ELi256ELb1ELi8EEvPKT_PKT0_S8_ifPKiSA_SA_iPKfiiiPfSD_PS3_PT2_iSC_SC_@rel64+4
	s_delay_alu instid0(SALU_CYCLE_1)
	v_dual_mov_b32 v0, 0xbb3 :: v_dual_mov_b32 v1, s2
	v_mov_b32_e32 v2, s3
	s_add_nc_u64 s[8:9], s[0:1], 0x90
	s_get_pc_i64 s[0:1]
	s_add_nc_u64 s[0:1], s[0:1], __assert_fail@rel64+4
	s_mov_b32 s32, 0
	s_swap_pc_i64 s[30:31], s[0:1]
	.section	.rodata,"a",@progbits
	.p2align	6, 0x0
	.amdhsa_kernel _Z39paged_attention_ll4mi_QKV_mfma16_kernelI14__hip_bfloat16hLN4vllm18Fp8KVCacheDataTypeE1EhLi16ELi64ELi256ELb1ELi8EEvPKT_PKT0_S8_ifPKiSA_SA_iPKfiiiPfSD_PS3_PT2_iSC_SC_
		.amdhsa_group_segment_fixed_size 0
		.amdhsa_private_segment_fixed_size 64
		.amdhsa_kernarg_size 400
		.amdhsa_user_sgpr_count 2
		.amdhsa_user_sgpr_dispatch_ptr 0
		.amdhsa_user_sgpr_queue_ptr 0
		.amdhsa_user_sgpr_kernarg_segment_ptr 1
		.amdhsa_user_sgpr_dispatch_id 0
		.amdhsa_user_sgpr_kernarg_preload_length 0
		.amdhsa_user_sgpr_kernarg_preload_offset 0
		.amdhsa_user_sgpr_private_segment_size 0
		.amdhsa_wavefront_size32 1
		.amdhsa_uses_dynamic_stack 0
		.amdhsa_enable_private_segment 1
		.amdhsa_system_sgpr_workgroup_id_x 1
		.amdhsa_system_sgpr_workgroup_id_y 0
		.amdhsa_system_sgpr_workgroup_id_z 0
		.amdhsa_system_sgpr_workgroup_info 0
		.amdhsa_system_vgpr_workitem_id 0
		.amdhsa_next_free_vgpr 51
		.amdhsa_next_free_sgpr 34
		.amdhsa_named_barrier_count 0
		.amdhsa_reserve_vcc 1
		.amdhsa_float_round_mode_32 0
		.amdhsa_float_round_mode_16_64 0
		.amdhsa_float_denorm_mode_32 3
		.amdhsa_float_denorm_mode_16_64 3
		.amdhsa_fp16_overflow 0
		.amdhsa_memory_ordered 1
		.amdhsa_forward_progress 1
		.amdhsa_inst_pref_size 1
		.amdhsa_round_robin_scheduling 0
		.amdhsa_exception_fp_ieee_invalid_op 0
		.amdhsa_exception_fp_denorm_src 0
		.amdhsa_exception_fp_ieee_div_zero 0
		.amdhsa_exception_fp_ieee_overflow 0
		.amdhsa_exception_fp_ieee_underflow 0
		.amdhsa_exception_fp_ieee_inexact 0
		.amdhsa_exception_int_div_zero 0
	.end_amdhsa_kernel
	.section	.text._Z39paged_attention_ll4mi_QKV_mfma16_kernelI14__hip_bfloat16hLN4vllm18Fp8KVCacheDataTypeE1EhLi16ELi64ELi256ELb1ELi8EEvPKT_PKT0_S8_ifPKiSA_SA_iPKfiiiPfSD_PS3_PT2_iSC_SC_,"axG",@progbits,_Z39paged_attention_ll4mi_QKV_mfma16_kernelI14__hip_bfloat16hLN4vllm18Fp8KVCacheDataTypeE1EhLi16ELi64ELi256ELb1ELi8EEvPKT_PKT0_S8_ifPKiSA_SA_iPKfiiiPfSD_PS3_PT2_iSC_SC_,comdat
.Lfunc_end1097:
	.size	_Z39paged_attention_ll4mi_QKV_mfma16_kernelI14__hip_bfloat16hLN4vllm18Fp8KVCacheDataTypeE1EhLi16ELi64ELi256ELb1ELi8EEvPKT_PKT0_S8_ifPKiSA_SA_iPKfiiiPfSD_PS3_PT2_iSC_SC_, .Lfunc_end1097-_Z39paged_attention_ll4mi_QKV_mfma16_kernelI14__hip_bfloat16hLN4vllm18Fp8KVCacheDataTypeE1EhLi16ELi64ELi256ELb1ELi8EEvPKT_PKT0_S8_ifPKiSA_SA_iPKfiiiPfSD_PS3_PT2_iSC_SC_
                                        ; -- End function
	.set _Z39paged_attention_ll4mi_QKV_mfma16_kernelI14__hip_bfloat16hLN4vllm18Fp8KVCacheDataTypeE1EhLi16ELi64ELi256ELb1ELi8EEvPKT_PKT0_S8_ifPKiSA_SA_iPKfiiiPfSD_PS3_PT2_iSC_SC_.num_vgpr, max(3, .L__assert_fail.num_vgpr)
	.set _Z39paged_attention_ll4mi_QKV_mfma16_kernelI14__hip_bfloat16hLN4vllm18Fp8KVCacheDataTypeE1EhLi16ELi64ELi256ELb1ELi8EEvPKT_PKT0_S8_ifPKiSA_SA_iPKfiiiPfSD_PS3_PT2_iSC_SC_.num_agpr, max(0, .L__assert_fail.num_agpr)
	.set _Z39paged_attention_ll4mi_QKV_mfma16_kernelI14__hip_bfloat16hLN4vllm18Fp8KVCacheDataTypeE1EhLi16ELi64ELi256ELb1ELi8EEvPKT_PKT0_S8_ifPKiSA_SA_iPKfiiiPfSD_PS3_PT2_iSC_SC_.numbered_sgpr, max(33, .L__assert_fail.numbered_sgpr)
	.set _Z39paged_attention_ll4mi_QKV_mfma16_kernelI14__hip_bfloat16hLN4vllm18Fp8KVCacheDataTypeE1EhLi16ELi64ELi256ELb1ELi8EEvPKT_PKT0_S8_ifPKiSA_SA_iPKfiiiPfSD_PS3_PT2_iSC_SC_.num_named_barrier, max(0, .L__assert_fail.num_named_barrier)
	.set _Z39paged_attention_ll4mi_QKV_mfma16_kernelI14__hip_bfloat16hLN4vllm18Fp8KVCacheDataTypeE1EhLi16ELi64ELi256ELb1ELi8EEvPKT_PKT0_S8_ifPKiSA_SA_iPKfiiiPfSD_PS3_PT2_iSC_SC_.private_seg_size, 0+max(.L__assert_fail.private_seg_size)
	.set _Z39paged_attention_ll4mi_QKV_mfma16_kernelI14__hip_bfloat16hLN4vllm18Fp8KVCacheDataTypeE1EhLi16ELi64ELi256ELb1ELi8EEvPKT_PKT0_S8_ifPKiSA_SA_iPKfiiiPfSD_PS3_PT2_iSC_SC_.uses_vcc, or(1, .L__assert_fail.uses_vcc)
	.set _Z39paged_attention_ll4mi_QKV_mfma16_kernelI14__hip_bfloat16hLN4vllm18Fp8KVCacheDataTypeE1EhLi16ELi64ELi256ELb1ELi8EEvPKT_PKT0_S8_ifPKiSA_SA_iPKfiiiPfSD_PS3_PT2_iSC_SC_.uses_flat_scratch, or(0, .L__assert_fail.uses_flat_scratch)
	.set _Z39paged_attention_ll4mi_QKV_mfma16_kernelI14__hip_bfloat16hLN4vllm18Fp8KVCacheDataTypeE1EhLi16ELi64ELi256ELb1ELi8EEvPKT_PKT0_S8_ifPKiSA_SA_iPKfiiiPfSD_PS3_PT2_iSC_SC_.has_dyn_sized_stack, or(0, .L__assert_fail.has_dyn_sized_stack)
	.set _Z39paged_attention_ll4mi_QKV_mfma16_kernelI14__hip_bfloat16hLN4vllm18Fp8KVCacheDataTypeE1EhLi16ELi64ELi256ELb1ELi8EEvPKT_PKT0_S8_ifPKiSA_SA_iPKfiiiPfSD_PS3_PT2_iSC_SC_.has_recursion, or(0, .L__assert_fail.has_recursion)
	.set _Z39paged_attention_ll4mi_QKV_mfma16_kernelI14__hip_bfloat16hLN4vllm18Fp8KVCacheDataTypeE1EhLi16ELi64ELi256ELb1ELi8EEvPKT_PKT0_S8_ifPKiSA_SA_iPKfiiiPfSD_PS3_PT2_iSC_SC_.has_indirect_call, or(0, .L__assert_fail.has_indirect_call)
	.section	.AMDGPU.csdata,"",@progbits
; Kernel info:
; codeLenInByte = 68
; TotalNumSgprs: 36
; NumVgprs: 51
; ScratchSize: 64
; MemoryBound: 0
; FloatMode: 240
; IeeeMode: 1
; LDSByteSize: 0 bytes/workgroup (compile time only)
; SGPRBlocks: 0
; VGPRBlocks: 3
; NumSGPRsForWavesPerEU: 36
; NumVGPRsForWavesPerEU: 51
; NamedBarCnt: 0
; Occupancy: 16
; WaveLimiterHint : 1
; COMPUTE_PGM_RSRC2:SCRATCH_EN: 1
; COMPUTE_PGM_RSRC2:USER_SGPR: 2
; COMPUTE_PGM_RSRC2:TRAP_HANDLER: 0
; COMPUTE_PGM_RSRC2:TGID_X_EN: 1
; COMPUTE_PGM_RSRC2:TGID_Y_EN: 0
; COMPUTE_PGM_RSRC2:TGID_Z_EN: 0
; COMPUTE_PGM_RSRC2:TIDIG_COMP_CNT: 0
	.section	.text._Z39paged_attention_ll4mi_QKV_mfma16_kernelI14__hip_bfloat16hLN4vllm18Fp8KVCacheDataTypeE1EhLi16ELi64ELi256ELb1ELi9EEvPKT_PKT0_S8_ifPKiSA_SA_iPKfiiiPfSD_PS3_PT2_iSC_SC_,"axG",@progbits,_Z39paged_attention_ll4mi_QKV_mfma16_kernelI14__hip_bfloat16hLN4vllm18Fp8KVCacheDataTypeE1EhLi16ELi64ELi256ELb1ELi9EEvPKT_PKT0_S8_ifPKiSA_SA_iPKfiiiPfSD_PS3_PT2_iSC_SC_,comdat
	.protected	_Z39paged_attention_ll4mi_QKV_mfma16_kernelI14__hip_bfloat16hLN4vllm18Fp8KVCacheDataTypeE1EhLi16ELi64ELi256ELb1ELi9EEvPKT_PKT0_S8_ifPKiSA_SA_iPKfiiiPfSD_PS3_PT2_iSC_SC_ ; -- Begin function _Z39paged_attention_ll4mi_QKV_mfma16_kernelI14__hip_bfloat16hLN4vllm18Fp8KVCacheDataTypeE1EhLi16ELi64ELi256ELb1ELi9EEvPKT_PKT0_S8_ifPKiSA_SA_iPKfiiiPfSD_PS3_PT2_iSC_SC_
	.globl	_Z39paged_attention_ll4mi_QKV_mfma16_kernelI14__hip_bfloat16hLN4vllm18Fp8KVCacheDataTypeE1EhLi16ELi64ELi256ELb1ELi9EEvPKT_PKT0_S8_ifPKiSA_SA_iPKfiiiPfSD_PS3_PT2_iSC_SC_
	.p2align	8
	.type	_Z39paged_attention_ll4mi_QKV_mfma16_kernelI14__hip_bfloat16hLN4vllm18Fp8KVCacheDataTypeE1EhLi16ELi64ELi256ELb1ELi9EEvPKT_PKT0_S8_ifPKiSA_SA_iPKfiiiPfSD_PS3_PT2_iSC_SC_,@function
_Z39paged_attention_ll4mi_QKV_mfma16_kernelI14__hip_bfloat16hLN4vllm18Fp8KVCacheDataTypeE1EhLi16ELi64ELi256ELb1ELi9EEvPKT_PKT0_S8_ifPKiSA_SA_iPKfiiiPfSD_PS3_PT2_iSC_SC_: ; @_Z39paged_attention_ll4mi_QKV_mfma16_kernelI14__hip_bfloat16hLN4vllm18Fp8KVCacheDataTypeE1EhLi16ELi64ELi256ELb1ELi9EEvPKT_PKT0_S8_ifPKiSA_SA_iPKfiiiPfSD_PS3_PT2_iSC_SC_
; %bb.0:
	s_get_pc_i64 s[2:3]
	s_add_nc_u64 s[2:3], s[2:3], __PRETTY_FUNCTION__._Z39paged_attention_ll4mi_QKV_mfma16_kernelI14__hip_bfloat16hLN4vllm18Fp8KVCacheDataTypeE1EhLi16ELi64ELi256ELb1ELi9EEvPKT_PKT0_S8_ifPKiSA_SA_iPKfiiiPfSD_PS3_PT2_iSC_SC_@rel64+4
	s_delay_alu instid0(SALU_CYCLE_1)
	v_dual_mov_b32 v0, 0xbb3 :: v_dual_mov_b32 v1, s2
	v_mov_b32_e32 v2, s3
	s_add_nc_u64 s[8:9], s[0:1], 0x90
	s_get_pc_i64 s[0:1]
	s_add_nc_u64 s[0:1], s[0:1], __assert_fail@rel64+4
	s_mov_b32 s32, 0
	s_swap_pc_i64 s[30:31], s[0:1]
	.section	.rodata,"a",@progbits
	.p2align	6, 0x0
	.amdhsa_kernel _Z39paged_attention_ll4mi_QKV_mfma16_kernelI14__hip_bfloat16hLN4vllm18Fp8KVCacheDataTypeE1EhLi16ELi64ELi256ELb1ELi9EEvPKT_PKT0_S8_ifPKiSA_SA_iPKfiiiPfSD_PS3_PT2_iSC_SC_
		.amdhsa_group_segment_fixed_size 0
		.amdhsa_private_segment_fixed_size 64
		.amdhsa_kernarg_size 400
		.amdhsa_user_sgpr_count 2
		.amdhsa_user_sgpr_dispatch_ptr 0
		.amdhsa_user_sgpr_queue_ptr 0
		.amdhsa_user_sgpr_kernarg_segment_ptr 1
		.amdhsa_user_sgpr_dispatch_id 0
		.amdhsa_user_sgpr_kernarg_preload_length 0
		.amdhsa_user_sgpr_kernarg_preload_offset 0
		.amdhsa_user_sgpr_private_segment_size 0
		.amdhsa_wavefront_size32 1
		.amdhsa_uses_dynamic_stack 0
		.amdhsa_enable_private_segment 1
		.amdhsa_system_sgpr_workgroup_id_x 1
		.amdhsa_system_sgpr_workgroup_id_y 0
		.amdhsa_system_sgpr_workgroup_id_z 0
		.amdhsa_system_sgpr_workgroup_info 0
		.amdhsa_system_vgpr_workitem_id 0
		.amdhsa_next_free_vgpr 51
		.amdhsa_next_free_sgpr 34
		.amdhsa_named_barrier_count 0
		.amdhsa_reserve_vcc 1
		.amdhsa_float_round_mode_32 0
		.amdhsa_float_round_mode_16_64 0
		.amdhsa_float_denorm_mode_32 3
		.amdhsa_float_denorm_mode_16_64 3
		.amdhsa_fp16_overflow 0
		.amdhsa_memory_ordered 1
		.amdhsa_forward_progress 1
		.amdhsa_inst_pref_size 1
		.amdhsa_round_robin_scheduling 0
		.amdhsa_exception_fp_ieee_invalid_op 0
		.amdhsa_exception_fp_denorm_src 0
		.amdhsa_exception_fp_ieee_div_zero 0
		.amdhsa_exception_fp_ieee_overflow 0
		.amdhsa_exception_fp_ieee_underflow 0
		.amdhsa_exception_fp_ieee_inexact 0
		.amdhsa_exception_int_div_zero 0
	.end_amdhsa_kernel
	.section	.text._Z39paged_attention_ll4mi_QKV_mfma16_kernelI14__hip_bfloat16hLN4vllm18Fp8KVCacheDataTypeE1EhLi16ELi64ELi256ELb1ELi9EEvPKT_PKT0_S8_ifPKiSA_SA_iPKfiiiPfSD_PS3_PT2_iSC_SC_,"axG",@progbits,_Z39paged_attention_ll4mi_QKV_mfma16_kernelI14__hip_bfloat16hLN4vllm18Fp8KVCacheDataTypeE1EhLi16ELi64ELi256ELb1ELi9EEvPKT_PKT0_S8_ifPKiSA_SA_iPKfiiiPfSD_PS3_PT2_iSC_SC_,comdat
.Lfunc_end1098:
	.size	_Z39paged_attention_ll4mi_QKV_mfma16_kernelI14__hip_bfloat16hLN4vllm18Fp8KVCacheDataTypeE1EhLi16ELi64ELi256ELb1ELi9EEvPKT_PKT0_S8_ifPKiSA_SA_iPKfiiiPfSD_PS3_PT2_iSC_SC_, .Lfunc_end1098-_Z39paged_attention_ll4mi_QKV_mfma16_kernelI14__hip_bfloat16hLN4vllm18Fp8KVCacheDataTypeE1EhLi16ELi64ELi256ELb1ELi9EEvPKT_PKT0_S8_ifPKiSA_SA_iPKfiiiPfSD_PS3_PT2_iSC_SC_
                                        ; -- End function
	.set _Z39paged_attention_ll4mi_QKV_mfma16_kernelI14__hip_bfloat16hLN4vllm18Fp8KVCacheDataTypeE1EhLi16ELi64ELi256ELb1ELi9EEvPKT_PKT0_S8_ifPKiSA_SA_iPKfiiiPfSD_PS3_PT2_iSC_SC_.num_vgpr, max(3, .L__assert_fail.num_vgpr)
	.set _Z39paged_attention_ll4mi_QKV_mfma16_kernelI14__hip_bfloat16hLN4vllm18Fp8KVCacheDataTypeE1EhLi16ELi64ELi256ELb1ELi9EEvPKT_PKT0_S8_ifPKiSA_SA_iPKfiiiPfSD_PS3_PT2_iSC_SC_.num_agpr, max(0, .L__assert_fail.num_agpr)
	.set _Z39paged_attention_ll4mi_QKV_mfma16_kernelI14__hip_bfloat16hLN4vllm18Fp8KVCacheDataTypeE1EhLi16ELi64ELi256ELb1ELi9EEvPKT_PKT0_S8_ifPKiSA_SA_iPKfiiiPfSD_PS3_PT2_iSC_SC_.numbered_sgpr, max(33, .L__assert_fail.numbered_sgpr)
	.set _Z39paged_attention_ll4mi_QKV_mfma16_kernelI14__hip_bfloat16hLN4vllm18Fp8KVCacheDataTypeE1EhLi16ELi64ELi256ELb1ELi9EEvPKT_PKT0_S8_ifPKiSA_SA_iPKfiiiPfSD_PS3_PT2_iSC_SC_.num_named_barrier, max(0, .L__assert_fail.num_named_barrier)
	.set _Z39paged_attention_ll4mi_QKV_mfma16_kernelI14__hip_bfloat16hLN4vllm18Fp8KVCacheDataTypeE1EhLi16ELi64ELi256ELb1ELi9EEvPKT_PKT0_S8_ifPKiSA_SA_iPKfiiiPfSD_PS3_PT2_iSC_SC_.private_seg_size, 0+max(.L__assert_fail.private_seg_size)
	.set _Z39paged_attention_ll4mi_QKV_mfma16_kernelI14__hip_bfloat16hLN4vllm18Fp8KVCacheDataTypeE1EhLi16ELi64ELi256ELb1ELi9EEvPKT_PKT0_S8_ifPKiSA_SA_iPKfiiiPfSD_PS3_PT2_iSC_SC_.uses_vcc, or(1, .L__assert_fail.uses_vcc)
	.set _Z39paged_attention_ll4mi_QKV_mfma16_kernelI14__hip_bfloat16hLN4vllm18Fp8KVCacheDataTypeE1EhLi16ELi64ELi256ELb1ELi9EEvPKT_PKT0_S8_ifPKiSA_SA_iPKfiiiPfSD_PS3_PT2_iSC_SC_.uses_flat_scratch, or(0, .L__assert_fail.uses_flat_scratch)
	.set _Z39paged_attention_ll4mi_QKV_mfma16_kernelI14__hip_bfloat16hLN4vllm18Fp8KVCacheDataTypeE1EhLi16ELi64ELi256ELb1ELi9EEvPKT_PKT0_S8_ifPKiSA_SA_iPKfiiiPfSD_PS3_PT2_iSC_SC_.has_dyn_sized_stack, or(0, .L__assert_fail.has_dyn_sized_stack)
	.set _Z39paged_attention_ll4mi_QKV_mfma16_kernelI14__hip_bfloat16hLN4vllm18Fp8KVCacheDataTypeE1EhLi16ELi64ELi256ELb1ELi9EEvPKT_PKT0_S8_ifPKiSA_SA_iPKfiiiPfSD_PS3_PT2_iSC_SC_.has_recursion, or(0, .L__assert_fail.has_recursion)
	.set _Z39paged_attention_ll4mi_QKV_mfma16_kernelI14__hip_bfloat16hLN4vllm18Fp8KVCacheDataTypeE1EhLi16ELi64ELi256ELb1ELi9EEvPKT_PKT0_S8_ifPKiSA_SA_iPKfiiiPfSD_PS3_PT2_iSC_SC_.has_indirect_call, or(0, .L__assert_fail.has_indirect_call)
	.section	.AMDGPU.csdata,"",@progbits
; Kernel info:
; codeLenInByte = 68
; TotalNumSgprs: 36
; NumVgprs: 51
; ScratchSize: 64
; MemoryBound: 0
; FloatMode: 240
; IeeeMode: 1
; LDSByteSize: 0 bytes/workgroup (compile time only)
; SGPRBlocks: 0
; VGPRBlocks: 3
; NumSGPRsForWavesPerEU: 36
; NumVGPRsForWavesPerEU: 51
; NamedBarCnt: 0
; Occupancy: 16
; WaveLimiterHint : 1
; COMPUTE_PGM_RSRC2:SCRATCH_EN: 1
; COMPUTE_PGM_RSRC2:USER_SGPR: 2
; COMPUTE_PGM_RSRC2:TRAP_HANDLER: 0
; COMPUTE_PGM_RSRC2:TGID_X_EN: 1
; COMPUTE_PGM_RSRC2:TGID_Y_EN: 0
; COMPUTE_PGM_RSRC2:TGID_Z_EN: 0
; COMPUTE_PGM_RSRC2:TIDIG_COMP_CNT: 0
	.section	.text._Z39paged_attention_ll4mi_QKV_mfma16_kernelI14__hip_bfloat16hLN4vllm18Fp8KVCacheDataTypeE1EhLi16ELi64ELi256ELb1ELi10EEvPKT_PKT0_S8_ifPKiSA_SA_iPKfiiiPfSD_PS3_PT2_iSC_SC_,"axG",@progbits,_Z39paged_attention_ll4mi_QKV_mfma16_kernelI14__hip_bfloat16hLN4vllm18Fp8KVCacheDataTypeE1EhLi16ELi64ELi256ELb1ELi10EEvPKT_PKT0_S8_ifPKiSA_SA_iPKfiiiPfSD_PS3_PT2_iSC_SC_,comdat
	.protected	_Z39paged_attention_ll4mi_QKV_mfma16_kernelI14__hip_bfloat16hLN4vllm18Fp8KVCacheDataTypeE1EhLi16ELi64ELi256ELb1ELi10EEvPKT_PKT0_S8_ifPKiSA_SA_iPKfiiiPfSD_PS3_PT2_iSC_SC_ ; -- Begin function _Z39paged_attention_ll4mi_QKV_mfma16_kernelI14__hip_bfloat16hLN4vllm18Fp8KVCacheDataTypeE1EhLi16ELi64ELi256ELb1ELi10EEvPKT_PKT0_S8_ifPKiSA_SA_iPKfiiiPfSD_PS3_PT2_iSC_SC_
	.globl	_Z39paged_attention_ll4mi_QKV_mfma16_kernelI14__hip_bfloat16hLN4vllm18Fp8KVCacheDataTypeE1EhLi16ELi64ELi256ELb1ELi10EEvPKT_PKT0_S8_ifPKiSA_SA_iPKfiiiPfSD_PS3_PT2_iSC_SC_
	.p2align	8
	.type	_Z39paged_attention_ll4mi_QKV_mfma16_kernelI14__hip_bfloat16hLN4vllm18Fp8KVCacheDataTypeE1EhLi16ELi64ELi256ELb1ELi10EEvPKT_PKT0_S8_ifPKiSA_SA_iPKfiiiPfSD_PS3_PT2_iSC_SC_,@function
_Z39paged_attention_ll4mi_QKV_mfma16_kernelI14__hip_bfloat16hLN4vllm18Fp8KVCacheDataTypeE1EhLi16ELi64ELi256ELb1ELi10EEvPKT_PKT0_S8_ifPKiSA_SA_iPKfiiiPfSD_PS3_PT2_iSC_SC_: ; @_Z39paged_attention_ll4mi_QKV_mfma16_kernelI14__hip_bfloat16hLN4vllm18Fp8KVCacheDataTypeE1EhLi16ELi64ELi256ELb1ELi10EEvPKT_PKT0_S8_ifPKiSA_SA_iPKfiiiPfSD_PS3_PT2_iSC_SC_
; %bb.0:
	s_get_pc_i64 s[2:3]
	s_add_nc_u64 s[2:3], s[2:3], __PRETTY_FUNCTION__._Z39paged_attention_ll4mi_QKV_mfma16_kernelI14__hip_bfloat16hLN4vllm18Fp8KVCacheDataTypeE1EhLi16ELi64ELi256ELb1ELi10EEvPKT_PKT0_S8_ifPKiSA_SA_iPKfiiiPfSD_PS3_PT2_iSC_SC_@rel64+4
	s_delay_alu instid0(SALU_CYCLE_1)
	v_dual_mov_b32 v0, 0xbb3 :: v_dual_mov_b32 v1, s2
	v_mov_b32_e32 v2, s3
	s_add_nc_u64 s[8:9], s[0:1], 0x90
	s_get_pc_i64 s[0:1]
	s_add_nc_u64 s[0:1], s[0:1], __assert_fail@rel64+4
	s_mov_b32 s32, 0
	s_swap_pc_i64 s[30:31], s[0:1]
	.section	.rodata,"a",@progbits
	.p2align	6, 0x0
	.amdhsa_kernel _Z39paged_attention_ll4mi_QKV_mfma16_kernelI14__hip_bfloat16hLN4vllm18Fp8KVCacheDataTypeE1EhLi16ELi64ELi256ELb1ELi10EEvPKT_PKT0_S8_ifPKiSA_SA_iPKfiiiPfSD_PS3_PT2_iSC_SC_
		.amdhsa_group_segment_fixed_size 0
		.amdhsa_private_segment_fixed_size 64
		.amdhsa_kernarg_size 400
		.amdhsa_user_sgpr_count 2
		.amdhsa_user_sgpr_dispatch_ptr 0
		.amdhsa_user_sgpr_queue_ptr 0
		.amdhsa_user_sgpr_kernarg_segment_ptr 1
		.amdhsa_user_sgpr_dispatch_id 0
		.amdhsa_user_sgpr_kernarg_preload_length 0
		.amdhsa_user_sgpr_kernarg_preload_offset 0
		.amdhsa_user_sgpr_private_segment_size 0
		.amdhsa_wavefront_size32 1
		.amdhsa_uses_dynamic_stack 0
		.amdhsa_enable_private_segment 1
		.amdhsa_system_sgpr_workgroup_id_x 1
		.amdhsa_system_sgpr_workgroup_id_y 0
		.amdhsa_system_sgpr_workgroup_id_z 0
		.amdhsa_system_sgpr_workgroup_info 0
		.amdhsa_system_vgpr_workitem_id 0
		.amdhsa_next_free_vgpr 51
		.amdhsa_next_free_sgpr 34
		.amdhsa_named_barrier_count 0
		.amdhsa_reserve_vcc 1
		.amdhsa_float_round_mode_32 0
		.amdhsa_float_round_mode_16_64 0
		.amdhsa_float_denorm_mode_32 3
		.amdhsa_float_denorm_mode_16_64 3
		.amdhsa_fp16_overflow 0
		.amdhsa_memory_ordered 1
		.amdhsa_forward_progress 1
		.amdhsa_inst_pref_size 1
		.amdhsa_round_robin_scheduling 0
		.amdhsa_exception_fp_ieee_invalid_op 0
		.amdhsa_exception_fp_denorm_src 0
		.amdhsa_exception_fp_ieee_div_zero 0
		.amdhsa_exception_fp_ieee_overflow 0
		.amdhsa_exception_fp_ieee_underflow 0
		.amdhsa_exception_fp_ieee_inexact 0
		.amdhsa_exception_int_div_zero 0
	.end_amdhsa_kernel
	.section	.text._Z39paged_attention_ll4mi_QKV_mfma16_kernelI14__hip_bfloat16hLN4vllm18Fp8KVCacheDataTypeE1EhLi16ELi64ELi256ELb1ELi10EEvPKT_PKT0_S8_ifPKiSA_SA_iPKfiiiPfSD_PS3_PT2_iSC_SC_,"axG",@progbits,_Z39paged_attention_ll4mi_QKV_mfma16_kernelI14__hip_bfloat16hLN4vllm18Fp8KVCacheDataTypeE1EhLi16ELi64ELi256ELb1ELi10EEvPKT_PKT0_S8_ifPKiSA_SA_iPKfiiiPfSD_PS3_PT2_iSC_SC_,comdat
.Lfunc_end1099:
	.size	_Z39paged_attention_ll4mi_QKV_mfma16_kernelI14__hip_bfloat16hLN4vllm18Fp8KVCacheDataTypeE1EhLi16ELi64ELi256ELb1ELi10EEvPKT_PKT0_S8_ifPKiSA_SA_iPKfiiiPfSD_PS3_PT2_iSC_SC_, .Lfunc_end1099-_Z39paged_attention_ll4mi_QKV_mfma16_kernelI14__hip_bfloat16hLN4vllm18Fp8KVCacheDataTypeE1EhLi16ELi64ELi256ELb1ELi10EEvPKT_PKT0_S8_ifPKiSA_SA_iPKfiiiPfSD_PS3_PT2_iSC_SC_
                                        ; -- End function
	.set _Z39paged_attention_ll4mi_QKV_mfma16_kernelI14__hip_bfloat16hLN4vllm18Fp8KVCacheDataTypeE1EhLi16ELi64ELi256ELb1ELi10EEvPKT_PKT0_S8_ifPKiSA_SA_iPKfiiiPfSD_PS3_PT2_iSC_SC_.num_vgpr, max(3, .L__assert_fail.num_vgpr)
	.set _Z39paged_attention_ll4mi_QKV_mfma16_kernelI14__hip_bfloat16hLN4vllm18Fp8KVCacheDataTypeE1EhLi16ELi64ELi256ELb1ELi10EEvPKT_PKT0_S8_ifPKiSA_SA_iPKfiiiPfSD_PS3_PT2_iSC_SC_.num_agpr, max(0, .L__assert_fail.num_agpr)
	.set _Z39paged_attention_ll4mi_QKV_mfma16_kernelI14__hip_bfloat16hLN4vllm18Fp8KVCacheDataTypeE1EhLi16ELi64ELi256ELb1ELi10EEvPKT_PKT0_S8_ifPKiSA_SA_iPKfiiiPfSD_PS3_PT2_iSC_SC_.numbered_sgpr, max(33, .L__assert_fail.numbered_sgpr)
	.set _Z39paged_attention_ll4mi_QKV_mfma16_kernelI14__hip_bfloat16hLN4vllm18Fp8KVCacheDataTypeE1EhLi16ELi64ELi256ELb1ELi10EEvPKT_PKT0_S8_ifPKiSA_SA_iPKfiiiPfSD_PS3_PT2_iSC_SC_.num_named_barrier, max(0, .L__assert_fail.num_named_barrier)
	.set _Z39paged_attention_ll4mi_QKV_mfma16_kernelI14__hip_bfloat16hLN4vllm18Fp8KVCacheDataTypeE1EhLi16ELi64ELi256ELb1ELi10EEvPKT_PKT0_S8_ifPKiSA_SA_iPKfiiiPfSD_PS3_PT2_iSC_SC_.private_seg_size, 0+max(.L__assert_fail.private_seg_size)
	.set _Z39paged_attention_ll4mi_QKV_mfma16_kernelI14__hip_bfloat16hLN4vllm18Fp8KVCacheDataTypeE1EhLi16ELi64ELi256ELb1ELi10EEvPKT_PKT0_S8_ifPKiSA_SA_iPKfiiiPfSD_PS3_PT2_iSC_SC_.uses_vcc, or(1, .L__assert_fail.uses_vcc)
	.set _Z39paged_attention_ll4mi_QKV_mfma16_kernelI14__hip_bfloat16hLN4vllm18Fp8KVCacheDataTypeE1EhLi16ELi64ELi256ELb1ELi10EEvPKT_PKT0_S8_ifPKiSA_SA_iPKfiiiPfSD_PS3_PT2_iSC_SC_.uses_flat_scratch, or(0, .L__assert_fail.uses_flat_scratch)
	.set _Z39paged_attention_ll4mi_QKV_mfma16_kernelI14__hip_bfloat16hLN4vllm18Fp8KVCacheDataTypeE1EhLi16ELi64ELi256ELb1ELi10EEvPKT_PKT0_S8_ifPKiSA_SA_iPKfiiiPfSD_PS3_PT2_iSC_SC_.has_dyn_sized_stack, or(0, .L__assert_fail.has_dyn_sized_stack)
	.set _Z39paged_attention_ll4mi_QKV_mfma16_kernelI14__hip_bfloat16hLN4vllm18Fp8KVCacheDataTypeE1EhLi16ELi64ELi256ELb1ELi10EEvPKT_PKT0_S8_ifPKiSA_SA_iPKfiiiPfSD_PS3_PT2_iSC_SC_.has_recursion, or(0, .L__assert_fail.has_recursion)
	.set _Z39paged_attention_ll4mi_QKV_mfma16_kernelI14__hip_bfloat16hLN4vllm18Fp8KVCacheDataTypeE1EhLi16ELi64ELi256ELb1ELi10EEvPKT_PKT0_S8_ifPKiSA_SA_iPKfiiiPfSD_PS3_PT2_iSC_SC_.has_indirect_call, or(0, .L__assert_fail.has_indirect_call)
	.section	.AMDGPU.csdata,"",@progbits
; Kernel info:
; codeLenInByte = 68
; TotalNumSgprs: 36
; NumVgprs: 51
; ScratchSize: 64
; MemoryBound: 0
; FloatMode: 240
; IeeeMode: 1
; LDSByteSize: 0 bytes/workgroup (compile time only)
; SGPRBlocks: 0
; VGPRBlocks: 3
; NumSGPRsForWavesPerEU: 36
; NumVGPRsForWavesPerEU: 51
; NamedBarCnt: 0
; Occupancy: 16
; WaveLimiterHint : 1
; COMPUTE_PGM_RSRC2:SCRATCH_EN: 1
; COMPUTE_PGM_RSRC2:USER_SGPR: 2
; COMPUTE_PGM_RSRC2:TRAP_HANDLER: 0
; COMPUTE_PGM_RSRC2:TGID_X_EN: 1
; COMPUTE_PGM_RSRC2:TGID_Y_EN: 0
; COMPUTE_PGM_RSRC2:TGID_Z_EN: 0
; COMPUTE_PGM_RSRC2:TIDIG_COMP_CNT: 0
	.section	.text._Z39paged_attention_ll4mi_QKV_mfma16_kernelI14__hip_bfloat16hLN4vllm18Fp8KVCacheDataTypeE1EhLi16ELi64ELi256ELb1ELi11EEvPKT_PKT0_S8_ifPKiSA_SA_iPKfiiiPfSD_PS3_PT2_iSC_SC_,"axG",@progbits,_Z39paged_attention_ll4mi_QKV_mfma16_kernelI14__hip_bfloat16hLN4vllm18Fp8KVCacheDataTypeE1EhLi16ELi64ELi256ELb1ELi11EEvPKT_PKT0_S8_ifPKiSA_SA_iPKfiiiPfSD_PS3_PT2_iSC_SC_,comdat
	.protected	_Z39paged_attention_ll4mi_QKV_mfma16_kernelI14__hip_bfloat16hLN4vllm18Fp8KVCacheDataTypeE1EhLi16ELi64ELi256ELb1ELi11EEvPKT_PKT0_S8_ifPKiSA_SA_iPKfiiiPfSD_PS3_PT2_iSC_SC_ ; -- Begin function _Z39paged_attention_ll4mi_QKV_mfma16_kernelI14__hip_bfloat16hLN4vllm18Fp8KVCacheDataTypeE1EhLi16ELi64ELi256ELb1ELi11EEvPKT_PKT0_S8_ifPKiSA_SA_iPKfiiiPfSD_PS3_PT2_iSC_SC_
	.globl	_Z39paged_attention_ll4mi_QKV_mfma16_kernelI14__hip_bfloat16hLN4vllm18Fp8KVCacheDataTypeE1EhLi16ELi64ELi256ELb1ELi11EEvPKT_PKT0_S8_ifPKiSA_SA_iPKfiiiPfSD_PS3_PT2_iSC_SC_
	.p2align	8
	.type	_Z39paged_attention_ll4mi_QKV_mfma16_kernelI14__hip_bfloat16hLN4vllm18Fp8KVCacheDataTypeE1EhLi16ELi64ELi256ELb1ELi11EEvPKT_PKT0_S8_ifPKiSA_SA_iPKfiiiPfSD_PS3_PT2_iSC_SC_,@function
_Z39paged_attention_ll4mi_QKV_mfma16_kernelI14__hip_bfloat16hLN4vllm18Fp8KVCacheDataTypeE1EhLi16ELi64ELi256ELb1ELi11EEvPKT_PKT0_S8_ifPKiSA_SA_iPKfiiiPfSD_PS3_PT2_iSC_SC_: ; @_Z39paged_attention_ll4mi_QKV_mfma16_kernelI14__hip_bfloat16hLN4vllm18Fp8KVCacheDataTypeE1EhLi16ELi64ELi256ELb1ELi11EEvPKT_PKT0_S8_ifPKiSA_SA_iPKfiiiPfSD_PS3_PT2_iSC_SC_
; %bb.0:
	s_get_pc_i64 s[2:3]
	s_add_nc_u64 s[2:3], s[2:3], __PRETTY_FUNCTION__._Z39paged_attention_ll4mi_QKV_mfma16_kernelI14__hip_bfloat16hLN4vllm18Fp8KVCacheDataTypeE1EhLi16ELi64ELi256ELb1ELi11EEvPKT_PKT0_S8_ifPKiSA_SA_iPKfiiiPfSD_PS3_PT2_iSC_SC_@rel64+4
	s_delay_alu instid0(SALU_CYCLE_1)
	v_dual_mov_b32 v0, 0xbb3 :: v_dual_mov_b32 v1, s2
	v_mov_b32_e32 v2, s3
	s_add_nc_u64 s[8:9], s[0:1], 0x90
	s_get_pc_i64 s[0:1]
	s_add_nc_u64 s[0:1], s[0:1], __assert_fail@rel64+4
	s_mov_b32 s32, 0
	s_swap_pc_i64 s[30:31], s[0:1]
	.section	.rodata,"a",@progbits
	.p2align	6, 0x0
	.amdhsa_kernel _Z39paged_attention_ll4mi_QKV_mfma16_kernelI14__hip_bfloat16hLN4vllm18Fp8KVCacheDataTypeE1EhLi16ELi64ELi256ELb1ELi11EEvPKT_PKT0_S8_ifPKiSA_SA_iPKfiiiPfSD_PS3_PT2_iSC_SC_
		.amdhsa_group_segment_fixed_size 0
		.amdhsa_private_segment_fixed_size 64
		.amdhsa_kernarg_size 400
		.amdhsa_user_sgpr_count 2
		.amdhsa_user_sgpr_dispatch_ptr 0
		.amdhsa_user_sgpr_queue_ptr 0
		.amdhsa_user_sgpr_kernarg_segment_ptr 1
		.amdhsa_user_sgpr_dispatch_id 0
		.amdhsa_user_sgpr_kernarg_preload_length 0
		.amdhsa_user_sgpr_kernarg_preload_offset 0
		.amdhsa_user_sgpr_private_segment_size 0
		.amdhsa_wavefront_size32 1
		.amdhsa_uses_dynamic_stack 0
		.amdhsa_enable_private_segment 1
		.amdhsa_system_sgpr_workgroup_id_x 1
		.amdhsa_system_sgpr_workgroup_id_y 0
		.amdhsa_system_sgpr_workgroup_id_z 0
		.amdhsa_system_sgpr_workgroup_info 0
		.amdhsa_system_vgpr_workitem_id 0
		.amdhsa_next_free_vgpr 51
		.amdhsa_next_free_sgpr 34
		.amdhsa_named_barrier_count 0
		.amdhsa_reserve_vcc 1
		.amdhsa_float_round_mode_32 0
		.amdhsa_float_round_mode_16_64 0
		.amdhsa_float_denorm_mode_32 3
		.amdhsa_float_denorm_mode_16_64 3
		.amdhsa_fp16_overflow 0
		.amdhsa_memory_ordered 1
		.amdhsa_forward_progress 1
		.amdhsa_inst_pref_size 1
		.amdhsa_round_robin_scheduling 0
		.amdhsa_exception_fp_ieee_invalid_op 0
		.amdhsa_exception_fp_denorm_src 0
		.amdhsa_exception_fp_ieee_div_zero 0
		.amdhsa_exception_fp_ieee_overflow 0
		.amdhsa_exception_fp_ieee_underflow 0
		.amdhsa_exception_fp_ieee_inexact 0
		.amdhsa_exception_int_div_zero 0
	.end_amdhsa_kernel
	.section	.text._Z39paged_attention_ll4mi_QKV_mfma16_kernelI14__hip_bfloat16hLN4vllm18Fp8KVCacheDataTypeE1EhLi16ELi64ELi256ELb1ELi11EEvPKT_PKT0_S8_ifPKiSA_SA_iPKfiiiPfSD_PS3_PT2_iSC_SC_,"axG",@progbits,_Z39paged_attention_ll4mi_QKV_mfma16_kernelI14__hip_bfloat16hLN4vllm18Fp8KVCacheDataTypeE1EhLi16ELi64ELi256ELb1ELi11EEvPKT_PKT0_S8_ifPKiSA_SA_iPKfiiiPfSD_PS3_PT2_iSC_SC_,comdat
.Lfunc_end1100:
	.size	_Z39paged_attention_ll4mi_QKV_mfma16_kernelI14__hip_bfloat16hLN4vllm18Fp8KVCacheDataTypeE1EhLi16ELi64ELi256ELb1ELi11EEvPKT_PKT0_S8_ifPKiSA_SA_iPKfiiiPfSD_PS3_PT2_iSC_SC_, .Lfunc_end1100-_Z39paged_attention_ll4mi_QKV_mfma16_kernelI14__hip_bfloat16hLN4vllm18Fp8KVCacheDataTypeE1EhLi16ELi64ELi256ELb1ELi11EEvPKT_PKT0_S8_ifPKiSA_SA_iPKfiiiPfSD_PS3_PT2_iSC_SC_
                                        ; -- End function
	.set _Z39paged_attention_ll4mi_QKV_mfma16_kernelI14__hip_bfloat16hLN4vllm18Fp8KVCacheDataTypeE1EhLi16ELi64ELi256ELb1ELi11EEvPKT_PKT0_S8_ifPKiSA_SA_iPKfiiiPfSD_PS3_PT2_iSC_SC_.num_vgpr, max(3, .L__assert_fail.num_vgpr)
	.set _Z39paged_attention_ll4mi_QKV_mfma16_kernelI14__hip_bfloat16hLN4vllm18Fp8KVCacheDataTypeE1EhLi16ELi64ELi256ELb1ELi11EEvPKT_PKT0_S8_ifPKiSA_SA_iPKfiiiPfSD_PS3_PT2_iSC_SC_.num_agpr, max(0, .L__assert_fail.num_agpr)
	.set _Z39paged_attention_ll4mi_QKV_mfma16_kernelI14__hip_bfloat16hLN4vllm18Fp8KVCacheDataTypeE1EhLi16ELi64ELi256ELb1ELi11EEvPKT_PKT0_S8_ifPKiSA_SA_iPKfiiiPfSD_PS3_PT2_iSC_SC_.numbered_sgpr, max(33, .L__assert_fail.numbered_sgpr)
	.set _Z39paged_attention_ll4mi_QKV_mfma16_kernelI14__hip_bfloat16hLN4vllm18Fp8KVCacheDataTypeE1EhLi16ELi64ELi256ELb1ELi11EEvPKT_PKT0_S8_ifPKiSA_SA_iPKfiiiPfSD_PS3_PT2_iSC_SC_.num_named_barrier, max(0, .L__assert_fail.num_named_barrier)
	.set _Z39paged_attention_ll4mi_QKV_mfma16_kernelI14__hip_bfloat16hLN4vllm18Fp8KVCacheDataTypeE1EhLi16ELi64ELi256ELb1ELi11EEvPKT_PKT0_S8_ifPKiSA_SA_iPKfiiiPfSD_PS3_PT2_iSC_SC_.private_seg_size, 0+max(.L__assert_fail.private_seg_size)
	.set _Z39paged_attention_ll4mi_QKV_mfma16_kernelI14__hip_bfloat16hLN4vllm18Fp8KVCacheDataTypeE1EhLi16ELi64ELi256ELb1ELi11EEvPKT_PKT0_S8_ifPKiSA_SA_iPKfiiiPfSD_PS3_PT2_iSC_SC_.uses_vcc, or(1, .L__assert_fail.uses_vcc)
	.set _Z39paged_attention_ll4mi_QKV_mfma16_kernelI14__hip_bfloat16hLN4vllm18Fp8KVCacheDataTypeE1EhLi16ELi64ELi256ELb1ELi11EEvPKT_PKT0_S8_ifPKiSA_SA_iPKfiiiPfSD_PS3_PT2_iSC_SC_.uses_flat_scratch, or(0, .L__assert_fail.uses_flat_scratch)
	.set _Z39paged_attention_ll4mi_QKV_mfma16_kernelI14__hip_bfloat16hLN4vllm18Fp8KVCacheDataTypeE1EhLi16ELi64ELi256ELb1ELi11EEvPKT_PKT0_S8_ifPKiSA_SA_iPKfiiiPfSD_PS3_PT2_iSC_SC_.has_dyn_sized_stack, or(0, .L__assert_fail.has_dyn_sized_stack)
	.set _Z39paged_attention_ll4mi_QKV_mfma16_kernelI14__hip_bfloat16hLN4vllm18Fp8KVCacheDataTypeE1EhLi16ELi64ELi256ELb1ELi11EEvPKT_PKT0_S8_ifPKiSA_SA_iPKfiiiPfSD_PS3_PT2_iSC_SC_.has_recursion, or(0, .L__assert_fail.has_recursion)
	.set _Z39paged_attention_ll4mi_QKV_mfma16_kernelI14__hip_bfloat16hLN4vllm18Fp8KVCacheDataTypeE1EhLi16ELi64ELi256ELb1ELi11EEvPKT_PKT0_S8_ifPKiSA_SA_iPKfiiiPfSD_PS3_PT2_iSC_SC_.has_indirect_call, or(0, .L__assert_fail.has_indirect_call)
	.section	.AMDGPU.csdata,"",@progbits
; Kernel info:
; codeLenInByte = 68
; TotalNumSgprs: 36
; NumVgprs: 51
; ScratchSize: 64
; MemoryBound: 0
; FloatMode: 240
; IeeeMode: 1
; LDSByteSize: 0 bytes/workgroup (compile time only)
; SGPRBlocks: 0
; VGPRBlocks: 3
; NumSGPRsForWavesPerEU: 36
; NumVGPRsForWavesPerEU: 51
; NamedBarCnt: 0
; Occupancy: 16
; WaveLimiterHint : 1
; COMPUTE_PGM_RSRC2:SCRATCH_EN: 1
; COMPUTE_PGM_RSRC2:USER_SGPR: 2
; COMPUTE_PGM_RSRC2:TRAP_HANDLER: 0
; COMPUTE_PGM_RSRC2:TGID_X_EN: 1
; COMPUTE_PGM_RSRC2:TGID_Y_EN: 0
; COMPUTE_PGM_RSRC2:TGID_Z_EN: 0
; COMPUTE_PGM_RSRC2:TIDIG_COMP_CNT: 0
	.section	.text._Z39paged_attention_ll4mi_QKV_mfma16_kernelI14__hip_bfloat16hLN4vllm18Fp8KVCacheDataTypeE1EhLi16ELi64ELi256ELb1ELi12EEvPKT_PKT0_S8_ifPKiSA_SA_iPKfiiiPfSD_PS3_PT2_iSC_SC_,"axG",@progbits,_Z39paged_attention_ll4mi_QKV_mfma16_kernelI14__hip_bfloat16hLN4vllm18Fp8KVCacheDataTypeE1EhLi16ELi64ELi256ELb1ELi12EEvPKT_PKT0_S8_ifPKiSA_SA_iPKfiiiPfSD_PS3_PT2_iSC_SC_,comdat
	.protected	_Z39paged_attention_ll4mi_QKV_mfma16_kernelI14__hip_bfloat16hLN4vllm18Fp8KVCacheDataTypeE1EhLi16ELi64ELi256ELb1ELi12EEvPKT_PKT0_S8_ifPKiSA_SA_iPKfiiiPfSD_PS3_PT2_iSC_SC_ ; -- Begin function _Z39paged_attention_ll4mi_QKV_mfma16_kernelI14__hip_bfloat16hLN4vllm18Fp8KVCacheDataTypeE1EhLi16ELi64ELi256ELb1ELi12EEvPKT_PKT0_S8_ifPKiSA_SA_iPKfiiiPfSD_PS3_PT2_iSC_SC_
	.globl	_Z39paged_attention_ll4mi_QKV_mfma16_kernelI14__hip_bfloat16hLN4vllm18Fp8KVCacheDataTypeE1EhLi16ELi64ELi256ELb1ELi12EEvPKT_PKT0_S8_ifPKiSA_SA_iPKfiiiPfSD_PS3_PT2_iSC_SC_
	.p2align	8
	.type	_Z39paged_attention_ll4mi_QKV_mfma16_kernelI14__hip_bfloat16hLN4vllm18Fp8KVCacheDataTypeE1EhLi16ELi64ELi256ELb1ELi12EEvPKT_PKT0_S8_ifPKiSA_SA_iPKfiiiPfSD_PS3_PT2_iSC_SC_,@function
_Z39paged_attention_ll4mi_QKV_mfma16_kernelI14__hip_bfloat16hLN4vllm18Fp8KVCacheDataTypeE1EhLi16ELi64ELi256ELb1ELi12EEvPKT_PKT0_S8_ifPKiSA_SA_iPKfiiiPfSD_PS3_PT2_iSC_SC_: ; @_Z39paged_attention_ll4mi_QKV_mfma16_kernelI14__hip_bfloat16hLN4vllm18Fp8KVCacheDataTypeE1EhLi16ELi64ELi256ELb1ELi12EEvPKT_PKT0_S8_ifPKiSA_SA_iPKfiiiPfSD_PS3_PT2_iSC_SC_
; %bb.0:
	s_get_pc_i64 s[2:3]
	s_add_nc_u64 s[2:3], s[2:3], __PRETTY_FUNCTION__._Z39paged_attention_ll4mi_QKV_mfma16_kernelI14__hip_bfloat16hLN4vllm18Fp8KVCacheDataTypeE1EhLi16ELi64ELi256ELb1ELi12EEvPKT_PKT0_S8_ifPKiSA_SA_iPKfiiiPfSD_PS3_PT2_iSC_SC_@rel64+4
	s_delay_alu instid0(SALU_CYCLE_1)
	v_dual_mov_b32 v0, 0xbb3 :: v_dual_mov_b32 v1, s2
	v_mov_b32_e32 v2, s3
	s_add_nc_u64 s[8:9], s[0:1], 0x90
	s_get_pc_i64 s[0:1]
	s_add_nc_u64 s[0:1], s[0:1], __assert_fail@rel64+4
	s_mov_b32 s32, 0
	s_swap_pc_i64 s[30:31], s[0:1]
	.section	.rodata,"a",@progbits
	.p2align	6, 0x0
	.amdhsa_kernel _Z39paged_attention_ll4mi_QKV_mfma16_kernelI14__hip_bfloat16hLN4vllm18Fp8KVCacheDataTypeE1EhLi16ELi64ELi256ELb1ELi12EEvPKT_PKT0_S8_ifPKiSA_SA_iPKfiiiPfSD_PS3_PT2_iSC_SC_
		.amdhsa_group_segment_fixed_size 0
		.amdhsa_private_segment_fixed_size 64
		.amdhsa_kernarg_size 400
		.amdhsa_user_sgpr_count 2
		.amdhsa_user_sgpr_dispatch_ptr 0
		.amdhsa_user_sgpr_queue_ptr 0
		.amdhsa_user_sgpr_kernarg_segment_ptr 1
		.amdhsa_user_sgpr_dispatch_id 0
		.amdhsa_user_sgpr_kernarg_preload_length 0
		.amdhsa_user_sgpr_kernarg_preload_offset 0
		.amdhsa_user_sgpr_private_segment_size 0
		.amdhsa_wavefront_size32 1
		.amdhsa_uses_dynamic_stack 0
		.amdhsa_enable_private_segment 1
		.amdhsa_system_sgpr_workgroup_id_x 1
		.amdhsa_system_sgpr_workgroup_id_y 0
		.amdhsa_system_sgpr_workgroup_id_z 0
		.amdhsa_system_sgpr_workgroup_info 0
		.amdhsa_system_vgpr_workitem_id 0
		.amdhsa_next_free_vgpr 51
		.amdhsa_next_free_sgpr 34
		.amdhsa_named_barrier_count 0
		.amdhsa_reserve_vcc 1
		.amdhsa_float_round_mode_32 0
		.amdhsa_float_round_mode_16_64 0
		.amdhsa_float_denorm_mode_32 3
		.amdhsa_float_denorm_mode_16_64 3
		.amdhsa_fp16_overflow 0
		.amdhsa_memory_ordered 1
		.amdhsa_forward_progress 1
		.amdhsa_inst_pref_size 1
		.amdhsa_round_robin_scheduling 0
		.amdhsa_exception_fp_ieee_invalid_op 0
		.amdhsa_exception_fp_denorm_src 0
		.amdhsa_exception_fp_ieee_div_zero 0
		.amdhsa_exception_fp_ieee_overflow 0
		.amdhsa_exception_fp_ieee_underflow 0
		.amdhsa_exception_fp_ieee_inexact 0
		.amdhsa_exception_int_div_zero 0
	.end_amdhsa_kernel
	.section	.text._Z39paged_attention_ll4mi_QKV_mfma16_kernelI14__hip_bfloat16hLN4vllm18Fp8KVCacheDataTypeE1EhLi16ELi64ELi256ELb1ELi12EEvPKT_PKT0_S8_ifPKiSA_SA_iPKfiiiPfSD_PS3_PT2_iSC_SC_,"axG",@progbits,_Z39paged_attention_ll4mi_QKV_mfma16_kernelI14__hip_bfloat16hLN4vllm18Fp8KVCacheDataTypeE1EhLi16ELi64ELi256ELb1ELi12EEvPKT_PKT0_S8_ifPKiSA_SA_iPKfiiiPfSD_PS3_PT2_iSC_SC_,comdat
.Lfunc_end1101:
	.size	_Z39paged_attention_ll4mi_QKV_mfma16_kernelI14__hip_bfloat16hLN4vllm18Fp8KVCacheDataTypeE1EhLi16ELi64ELi256ELb1ELi12EEvPKT_PKT0_S8_ifPKiSA_SA_iPKfiiiPfSD_PS3_PT2_iSC_SC_, .Lfunc_end1101-_Z39paged_attention_ll4mi_QKV_mfma16_kernelI14__hip_bfloat16hLN4vllm18Fp8KVCacheDataTypeE1EhLi16ELi64ELi256ELb1ELi12EEvPKT_PKT0_S8_ifPKiSA_SA_iPKfiiiPfSD_PS3_PT2_iSC_SC_
                                        ; -- End function
	.set _Z39paged_attention_ll4mi_QKV_mfma16_kernelI14__hip_bfloat16hLN4vllm18Fp8KVCacheDataTypeE1EhLi16ELi64ELi256ELb1ELi12EEvPKT_PKT0_S8_ifPKiSA_SA_iPKfiiiPfSD_PS3_PT2_iSC_SC_.num_vgpr, max(3, .L__assert_fail.num_vgpr)
	.set _Z39paged_attention_ll4mi_QKV_mfma16_kernelI14__hip_bfloat16hLN4vllm18Fp8KVCacheDataTypeE1EhLi16ELi64ELi256ELb1ELi12EEvPKT_PKT0_S8_ifPKiSA_SA_iPKfiiiPfSD_PS3_PT2_iSC_SC_.num_agpr, max(0, .L__assert_fail.num_agpr)
	.set _Z39paged_attention_ll4mi_QKV_mfma16_kernelI14__hip_bfloat16hLN4vllm18Fp8KVCacheDataTypeE1EhLi16ELi64ELi256ELb1ELi12EEvPKT_PKT0_S8_ifPKiSA_SA_iPKfiiiPfSD_PS3_PT2_iSC_SC_.numbered_sgpr, max(33, .L__assert_fail.numbered_sgpr)
	.set _Z39paged_attention_ll4mi_QKV_mfma16_kernelI14__hip_bfloat16hLN4vllm18Fp8KVCacheDataTypeE1EhLi16ELi64ELi256ELb1ELi12EEvPKT_PKT0_S8_ifPKiSA_SA_iPKfiiiPfSD_PS3_PT2_iSC_SC_.num_named_barrier, max(0, .L__assert_fail.num_named_barrier)
	.set _Z39paged_attention_ll4mi_QKV_mfma16_kernelI14__hip_bfloat16hLN4vllm18Fp8KVCacheDataTypeE1EhLi16ELi64ELi256ELb1ELi12EEvPKT_PKT0_S8_ifPKiSA_SA_iPKfiiiPfSD_PS3_PT2_iSC_SC_.private_seg_size, 0+max(.L__assert_fail.private_seg_size)
	.set _Z39paged_attention_ll4mi_QKV_mfma16_kernelI14__hip_bfloat16hLN4vllm18Fp8KVCacheDataTypeE1EhLi16ELi64ELi256ELb1ELi12EEvPKT_PKT0_S8_ifPKiSA_SA_iPKfiiiPfSD_PS3_PT2_iSC_SC_.uses_vcc, or(1, .L__assert_fail.uses_vcc)
	.set _Z39paged_attention_ll4mi_QKV_mfma16_kernelI14__hip_bfloat16hLN4vllm18Fp8KVCacheDataTypeE1EhLi16ELi64ELi256ELb1ELi12EEvPKT_PKT0_S8_ifPKiSA_SA_iPKfiiiPfSD_PS3_PT2_iSC_SC_.uses_flat_scratch, or(0, .L__assert_fail.uses_flat_scratch)
	.set _Z39paged_attention_ll4mi_QKV_mfma16_kernelI14__hip_bfloat16hLN4vllm18Fp8KVCacheDataTypeE1EhLi16ELi64ELi256ELb1ELi12EEvPKT_PKT0_S8_ifPKiSA_SA_iPKfiiiPfSD_PS3_PT2_iSC_SC_.has_dyn_sized_stack, or(0, .L__assert_fail.has_dyn_sized_stack)
	.set _Z39paged_attention_ll4mi_QKV_mfma16_kernelI14__hip_bfloat16hLN4vllm18Fp8KVCacheDataTypeE1EhLi16ELi64ELi256ELb1ELi12EEvPKT_PKT0_S8_ifPKiSA_SA_iPKfiiiPfSD_PS3_PT2_iSC_SC_.has_recursion, or(0, .L__assert_fail.has_recursion)
	.set _Z39paged_attention_ll4mi_QKV_mfma16_kernelI14__hip_bfloat16hLN4vllm18Fp8KVCacheDataTypeE1EhLi16ELi64ELi256ELb1ELi12EEvPKT_PKT0_S8_ifPKiSA_SA_iPKfiiiPfSD_PS3_PT2_iSC_SC_.has_indirect_call, or(0, .L__assert_fail.has_indirect_call)
	.section	.AMDGPU.csdata,"",@progbits
; Kernel info:
; codeLenInByte = 68
; TotalNumSgprs: 36
; NumVgprs: 51
; ScratchSize: 64
; MemoryBound: 0
; FloatMode: 240
; IeeeMode: 1
; LDSByteSize: 0 bytes/workgroup (compile time only)
; SGPRBlocks: 0
; VGPRBlocks: 3
; NumSGPRsForWavesPerEU: 36
; NumVGPRsForWavesPerEU: 51
; NamedBarCnt: 0
; Occupancy: 16
; WaveLimiterHint : 1
; COMPUTE_PGM_RSRC2:SCRATCH_EN: 1
; COMPUTE_PGM_RSRC2:USER_SGPR: 2
; COMPUTE_PGM_RSRC2:TRAP_HANDLER: 0
; COMPUTE_PGM_RSRC2:TGID_X_EN: 1
; COMPUTE_PGM_RSRC2:TGID_Y_EN: 0
; COMPUTE_PGM_RSRC2:TGID_Z_EN: 0
; COMPUTE_PGM_RSRC2:TIDIG_COMP_CNT: 0
	.section	.text._Z39paged_attention_ll4mi_QKV_mfma16_kernelI14__hip_bfloat16hLN4vllm18Fp8KVCacheDataTypeE1EhLi16ELi64ELi256ELb1ELi13EEvPKT_PKT0_S8_ifPKiSA_SA_iPKfiiiPfSD_PS3_PT2_iSC_SC_,"axG",@progbits,_Z39paged_attention_ll4mi_QKV_mfma16_kernelI14__hip_bfloat16hLN4vllm18Fp8KVCacheDataTypeE1EhLi16ELi64ELi256ELb1ELi13EEvPKT_PKT0_S8_ifPKiSA_SA_iPKfiiiPfSD_PS3_PT2_iSC_SC_,comdat
	.protected	_Z39paged_attention_ll4mi_QKV_mfma16_kernelI14__hip_bfloat16hLN4vllm18Fp8KVCacheDataTypeE1EhLi16ELi64ELi256ELb1ELi13EEvPKT_PKT0_S8_ifPKiSA_SA_iPKfiiiPfSD_PS3_PT2_iSC_SC_ ; -- Begin function _Z39paged_attention_ll4mi_QKV_mfma16_kernelI14__hip_bfloat16hLN4vllm18Fp8KVCacheDataTypeE1EhLi16ELi64ELi256ELb1ELi13EEvPKT_PKT0_S8_ifPKiSA_SA_iPKfiiiPfSD_PS3_PT2_iSC_SC_
	.globl	_Z39paged_attention_ll4mi_QKV_mfma16_kernelI14__hip_bfloat16hLN4vllm18Fp8KVCacheDataTypeE1EhLi16ELi64ELi256ELb1ELi13EEvPKT_PKT0_S8_ifPKiSA_SA_iPKfiiiPfSD_PS3_PT2_iSC_SC_
	.p2align	8
	.type	_Z39paged_attention_ll4mi_QKV_mfma16_kernelI14__hip_bfloat16hLN4vllm18Fp8KVCacheDataTypeE1EhLi16ELi64ELi256ELb1ELi13EEvPKT_PKT0_S8_ifPKiSA_SA_iPKfiiiPfSD_PS3_PT2_iSC_SC_,@function
_Z39paged_attention_ll4mi_QKV_mfma16_kernelI14__hip_bfloat16hLN4vllm18Fp8KVCacheDataTypeE1EhLi16ELi64ELi256ELb1ELi13EEvPKT_PKT0_S8_ifPKiSA_SA_iPKfiiiPfSD_PS3_PT2_iSC_SC_: ; @_Z39paged_attention_ll4mi_QKV_mfma16_kernelI14__hip_bfloat16hLN4vllm18Fp8KVCacheDataTypeE1EhLi16ELi64ELi256ELb1ELi13EEvPKT_PKT0_S8_ifPKiSA_SA_iPKfiiiPfSD_PS3_PT2_iSC_SC_
; %bb.0:
	s_get_pc_i64 s[2:3]
	s_add_nc_u64 s[2:3], s[2:3], __PRETTY_FUNCTION__._Z39paged_attention_ll4mi_QKV_mfma16_kernelI14__hip_bfloat16hLN4vllm18Fp8KVCacheDataTypeE1EhLi16ELi64ELi256ELb1ELi13EEvPKT_PKT0_S8_ifPKiSA_SA_iPKfiiiPfSD_PS3_PT2_iSC_SC_@rel64+4
	s_delay_alu instid0(SALU_CYCLE_1)
	v_dual_mov_b32 v0, 0xbb3 :: v_dual_mov_b32 v1, s2
	v_mov_b32_e32 v2, s3
	s_add_nc_u64 s[8:9], s[0:1], 0x90
	s_get_pc_i64 s[0:1]
	s_add_nc_u64 s[0:1], s[0:1], __assert_fail@rel64+4
	s_mov_b32 s32, 0
	s_swap_pc_i64 s[30:31], s[0:1]
	.section	.rodata,"a",@progbits
	.p2align	6, 0x0
	.amdhsa_kernel _Z39paged_attention_ll4mi_QKV_mfma16_kernelI14__hip_bfloat16hLN4vllm18Fp8KVCacheDataTypeE1EhLi16ELi64ELi256ELb1ELi13EEvPKT_PKT0_S8_ifPKiSA_SA_iPKfiiiPfSD_PS3_PT2_iSC_SC_
		.amdhsa_group_segment_fixed_size 0
		.amdhsa_private_segment_fixed_size 64
		.amdhsa_kernarg_size 400
		.amdhsa_user_sgpr_count 2
		.amdhsa_user_sgpr_dispatch_ptr 0
		.amdhsa_user_sgpr_queue_ptr 0
		.amdhsa_user_sgpr_kernarg_segment_ptr 1
		.amdhsa_user_sgpr_dispatch_id 0
		.amdhsa_user_sgpr_kernarg_preload_length 0
		.amdhsa_user_sgpr_kernarg_preload_offset 0
		.amdhsa_user_sgpr_private_segment_size 0
		.amdhsa_wavefront_size32 1
		.amdhsa_uses_dynamic_stack 0
		.amdhsa_enable_private_segment 1
		.amdhsa_system_sgpr_workgroup_id_x 1
		.amdhsa_system_sgpr_workgroup_id_y 0
		.amdhsa_system_sgpr_workgroup_id_z 0
		.amdhsa_system_sgpr_workgroup_info 0
		.amdhsa_system_vgpr_workitem_id 0
		.amdhsa_next_free_vgpr 51
		.amdhsa_next_free_sgpr 34
		.amdhsa_named_barrier_count 0
		.amdhsa_reserve_vcc 1
		.amdhsa_float_round_mode_32 0
		.amdhsa_float_round_mode_16_64 0
		.amdhsa_float_denorm_mode_32 3
		.amdhsa_float_denorm_mode_16_64 3
		.amdhsa_fp16_overflow 0
		.amdhsa_memory_ordered 1
		.amdhsa_forward_progress 1
		.amdhsa_inst_pref_size 1
		.amdhsa_round_robin_scheduling 0
		.amdhsa_exception_fp_ieee_invalid_op 0
		.amdhsa_exception_fp_denorm_src 0
		.amdhsa_exception_fp_ieee_div_zero 0
		.amdhsa_exception_fp_ieee_overflow 0
		.amdhsa_exception_fp_ieee_underflow 0
		.amdhsa_exception_fp_ieee_inexact 0
		.amdhsa_exception_int_div_zero 0
	.end_amdhsa_kernel
	.section	.text._Z39paged_attention_ll4mi_QKV_mfma16_kernelI14__hip_bfloat16hLN4vllm18Fp8KVCacheDataTypeE1EhLi16ELi64ELi256ELb1ELi13EEvPKT_PKT0_S8_ifPKiSA_SA_iPKfiiiPfSD_PS3_PT2_iSC_SC_,"axG",@progbits,_Z39paged_attention_ll4mi_QKV_mfma16_kernelI14__hip_bfloat16hLN4vllm18Fp8KVCacheDataTypeE1EhLi16ELi64ELi256ELb1ELi13EEvPKT_PKT0_S8_ifPKiSA_SA_iPKfiiiPfSD_PS3_PT2_iSC_SC_,comdat
.Lfunc_end1102:
	.size	_Z39paged_attention_ll4mi_QKV_mfma16_kernelI14__hip_bfloat16hLN4vllm18Fp8KVCacheDataTypeE1EhLi16ELi64ELi256ELb1ELi13EEvPKT_PKT0_S8_ifPKiSA_SA_iPKfiiiPfSD_PS3_PT2_iSC_SC_, .Lfunc_end1102-_Z39paged_attention_ll4mi_QKV_mfma16_kernelI14__hip_bfloat16hLN4vllm18Fp8KVCacheDataTypeE1EhLi16ELi64ELi256ELb1ELi13EEvPKT_PKT0_S8_ifPKiSA_SA_iPKfiiiPfSD_PS3_PT2_iSC_SC_
                                        ; -- End function
	.set _Z39paged_attention_ll4mi_QKV_mfma16_kernelI14__hip_bfloat16hLN4vllm18Fp8KVCacheDataTypeE1EhLi16ELi64ELi256ELb1ELi13EEvPKT_PKT0_S8_ifPKiSA_SA_iPKfiiiPfSD_PS3_PT2_iSC_SC_.num_vgpr, max(3, .L__assert_fail.num_vgpr)
	.set _Z39paged_attention_ll4mi_QKV_mfma16_kernelI14__hip_bfloat16hLN4vllm18Fp8KVCacheDataTypeE1EhLi16ELi64ELi256ELb1ELi13EEvPKT_PKT0_S8_ifPKiSA_SA_iPKfiiiPfSD_PS3_PT2_iSC_SC_.num_agpr, max(0, .L__assert_fail.num_agpr)
	.set _Z39paged_attention_ll4mi_QKV_mfma16_kernelI14__hip_bfloat16hLN4vllm18Fp8KVCacheDataTypeE1EhLi16ELi64ELi256ELb1ELi13EEvPKT_PKT0_S8_ifPKiSA_SA_iPKfiiiPfSD_PS3_PT2_iSC_SC_.numbered_sgpr, max(33, .L__assert_fail.numbered_sgpr)
	.set _Z39paged_attention_ll4mi_QKV_mfma16_kernelI14__hip_bfloat16hLN4vllm18Fp8KVCacheDataTypeE1EhLi16ELi64ELi256ELb1ELi13EEvPKT_PKT0_S8_ifPKiSA_SA_iPKfiiiPfSD_PS3_PT2_iSC_SC_.num_named_barrier, max(0, .L__assert_fail.num_named_barrier)
	.set _Z39paged_attention_ll4mi_QKV_mfma16_kernelI14__hip_bfloat16hLN4vllm18Fp8KVCacheDataTypeE1EhLi16ELi64ELi256ELb1ELi13EEvPKT_PKT0_S8_ifPKiSA_SA_iPKfiiiPfSD_PS3_PT2_iSC_SC_.private_seg_size, 0+max(.L__assert_fail.private_seg_size)
	.set _Z39paged_attention_ll4mi_QKV_mfma16_kernelI14__hip_bfloat16hLN4vllm18Fp8KVCacheDataTypeE1EhLi16ELi64ELi256ELb1ELi13EEvPKT_PKT0_S8_ifPKiSA_SA_iPKfiiiPfSD_PS3_PT2_iSC_SC_.uses_vcc, or(1, .L__assert_fail.uses_vcc)
	.set _Z39paged_attention_ll4mi_QKV_mfma16_kernelI14__hip_bfloat16hLN4vllm18Fp8KVCacheDataTypeE1EhLi16ELi64ELi256ELb1ELi13EEvPKT_PKT0_S8_ifPKiSA_SA_iPKfiiiPfSD_PS3_PT2_iSC_SC_.uses_flat_scratch, or(0, .L__assert_fail.uses_flat_scratch)
	.set _Z39paged_attention_ll4mi_QKV_mfma16_kernelI14__hip_bfloat16hLN4vllm18Fp8KVCacheDataTypeE1EhLi16ELi64ELi256ELb1ELi13EEvPKT_PKT0_S8_ifPKiSA_SA_iPKfiiiPfSD_PS3_PT2_iSC_SC_.has_dyn_sized_stack, or(0, .L__assert_fail.has_dyn_sized_stack)
	.set _Z39paged_attention_ll4mi_QKV_mfma16_kernelI14__hip_bfloat16hLN4vllm18Fp8KVCacheDataTypeE1EhLi16ELi64ELi256ELb1ELi13EEvPKT_PKT0_S8_ifPKiSA_SA_iPKfiiiPfSD_PS3_PT2_iSC_SC_.has_recursion, or(0, .L__assert_fail.has_recursion)
	.set _Z39paged_attention_ll4mi_QKV_mfma16_kernelI14__hip_bfloat16hLN4vllm18Fp8KVCacheDataTypeE1EhLi16ELi64ELi256ELb1ELi13EEvPKT_PKT0_S8_ifPKiSA_SA_iPKfiiiPfSD_PS3_PT2_iSC_SC_.has_indirect_call, or(0, .L__assert_fail.has_indirect_call)
	.section	.AMDGPU.csdata,"",@progbits
; Kernel info:
; codeLenInByte = 68
; TotalNumSgprs: 36
; NumVgprs: 51
; ScratchSize: 64
; MemoryBound: 0
; FloatMode: 240
; IeeeMode: 1
; LDSByteSize: 0 bytes/workgroup (compile time only)
; SGPRBlocks: 0
; VGPRBlocks: 3
; NumSGPRsForWavesPerEU: 36
; NumVGPRsForWavesPerEU: 51
; NamedBarCnt: 0
; Occupancy: 16
; WaveLimiterHint : 1
; COMPUTE_PGM_RSRC2:SCRATCH_EN: 1
; COMPUTE_PGM_RSRC2:USER_SGPR: 2
; COMPUTE_PGM_RSRC2:TRAP_HANDLER: 0
; COMPUTE_PGM_RSRC2:TGID_X_EN: 1
; COMPUTE_PGM_RSRC2:TGID_Y_EN: 0
; COMPUTE_PGM_RSRC2:TGID_Z_EN: 0
; COMPUTE_PGM_RSRC2:TIDIG_COMP_CNT: 0
	.section	.text._Z39paged_attention_ll4mi_QKV_mfma16_kernelI14__hip_bfloat16hLN4vllm18Fp8KVCacheDataTypeE1EhLi16ELi64ELi256ELb1ELi14EEvPKT_PKT0_S8_ifPKiSA_SA_iPKfiiiPfSD_PS3_PT2_iSC_SC_,"axG",@progbits,_Z39paged_attention_ll4mi_QKV_mfma16_kernelI14__hip_bfloat16hLN4vllm18Fp8KVCacheDataTypeE1EhLi16ELi64ELi256ELb1ELi14EEvPKT_PKT0_S8_ifPKiSA_SA_iPKfiiiPfSD_PS3_PT2_iSC_SC_,comdat
	.protected	_Z39paged_attention_ll4mi_QKV_mfma16_kernelI14__hip_bfloat16hLN4vllm18Fp8KVCacheDataTypeE1EhLi16ELi64ELi256ELb1ELi14EEvPKT_PKT0_S8_ifPKiSA_SA_iPKfiiiPfSD_PS3_PT2_iSC_SC_ ; -- Begin function _Z39paged_attention_ll4mi_QKV_mfma16_kernelI14__hip_bfloat16hLN4vllm18Fp8KVCacheDataTypeE1EhLi16ELi64ELi256ELb1ELi14EEvPKT_PKT0_S8_ifPKiSA_SA_iPKfiiiPfSD_PS3_PT2_iSC_SC_
	.globl	_Z39paged_attention_ll4mi_QKV_mfma16_kernelI14__hip_bfloat16hLN4vllm18Fp8KVCacheDataTypeE1EhLi16ELi64ELi256ELb1ELi14EEvPKT_PKT0_S8_ifPKiSA_SA_iPKfiiiPfSD_PS3_PT2_iSC_SC_
	.p2align	8
	.type	_Z39paged_attention_ll4mi_QKV_mfma16_kernelI14__hip_bfloat16hLN4vllm18Fp8KVCacheDataTypeE1EhLi16ELi64ELi256ELb1ELi14EEvPKT_PKT0_S8_ifPKiSA_SA_iPKfiiiPfSD_PS3_PT2_iSC_SC_,@function
_Z39paged_attention_ll4mi_QKV_mfma16_kernelI14__hip_bfloat16hLN4vllm18Fp8KVCacheDataTypeE1EhLi16ELi64ELi256ELb1ELi14EEvPKT_PKT0_S8_ifPKiSA_SA_iPKfiiiPfSD_PS3_PT2_iSC_SC_: ; @_Z39paged_attention_ll4mi_QKV_mfma16_kernelI14__hip_bfloat16hLN4vllm18Fp8KVCacheDataTypeE1EhLi16ELi64ELi256ELb1ELi14EEvPKT_PKT0_S8_ifPKiSA_SA_iPKfiiiPfSD_PS3_PT2_iSC_SC_
; %bb.0:
	s_get_pc_i64 s[2:3]
	s_add_nc_u64 s[2:3], s[2:3], __PRETTY_FUNCTION__._Z39paged_attention_ll4mi_QKV_mfma16_kernelI14__hip_bfloat16hLN4vllm18Fp8KVCacheDataTypeE1EhLi16ELi64ELi256ELb1ELi14EEvPKT_PKT0_S8_ifPKiSA_SA_iPKfiiiPfSD_PS3_PT2_iSC_SC_@rel64+4
	s_delay_alu instid0(SALU_CYCLE_1)
	v_dual_mov_b32 v0, 0xbb3 :: v_dual_mov_b32 v1, s2
	v_mov_b32_e32 v2, s3
	s_add_nc_u64 s[8:9], s[0:1], 0x90
	s_get_pc_i64 s[0:1]
	s_add_nc_u64 s[0:1], s[0:1], __assert_fail@rel64+4
	s_mov_b32 s32, 0
	s_swap_pc_i64 s[30:31], s[0:1]
	.section	.rodata,"a",@progbits
	.p2align	6, 0x0
	.amdhsa_kernel _Z39paged_attention_ll4mi_QKV_mfma16_kernelI14__hip_bfloat16hLN4vllm18Fp8KVCacheDataTypeE1EhLi16ELi64ELi256ELb1ELi14EEvPKT_PKT0_S8_ifPKiSA_SA_iPKfiiiPfSD_PS3_PT2_iSC_SC_
		.amdhsa_group_segment_fixed_size 0
		.amdhsa_private_segment_fixed_size 64
		.amdhsa_kernarg_size 400
		.amdhsa_user_sgpr_count 2
		.amdhsa_user_sgpr_dispatch_ptr 0
		.amdhsa_user_sgpr_queue_ptr 0
		.amdhsa_user_sgpr_kernarg_segment_ptr 1
		.amdhsa_user_sgpr_dispatch_id 0
		.amdhsa_user_sgpr_kernarg_preload_length 0
		.amdhsa_user_sgpr_kernarg_preload_offset 0
		.amdhsa_user_sgpr_private_segment_size 0
		.amdhsa_wavefront_size32 1
		.amdhsa_uses_dynamic_stack 0
		.amdhsa_enable_private_segment 1
		.amdhsa_system_sgpr_workgroup_id_x 1
		.amdhsa_system_sgpr_workgroup_id_y 0
		.amdhsa_system_sgpr_workgroup_id_z 0
		.amdhsa_system_sgpr_workgroup_info 0
		.amdhsa_system_vgpr_workitem_id 0
		.amdhsa_next_free_vgpr 51
		.amdhsa_next_free_sgpr 34
		.amdhsa_named_barrier_count 0
		.amdhsa_reserve_vcc 1
		.amdhsa_float_round_mode_32 0
		.amdhsa_float_round_mode_16_64 0
		.amdhsa_float_denorm_mode_32 3
		.amdhsa_float_denorm_mode_16_64 3
		.amdhsa_fp16_overflow 0
		.amdhsa_memory_ordered 1
		.amdhsa_forward_progress 1
		.amdhsa_inst_pref_size 1
		.amdhsa_round_robin_scheduling 0
		.amdhsa_exception_fp_ieee_invalid_op 0
		.amdhsa_exception_fp_denorm_src 0
		.amdhsa_exception_fp_ieee_div_zero 0
		.amdhsa_exception_fp_ieee_overflow 0
		.amdhsa_exception_fp_ieee_underflow 0
		.amdhsa_exception_fp_ieee_inexact 0
		.amdhsa_exception_int_div_zero 0
	.end_amdhsa_kernel
	.section	.text._Z39paged_attention_ll4mi_QKV_mfma16_kernelI14__hip_bfloat16hLN4vllm18Fp8KVCacheDataTypeE1EhLi16ELi64ELi256ELb1ELi14EEvPKT_PKT0_S8_ifPKiSA_SA_iPKfiiiPfSD_PS3_PT2_iSC_SC_,"axG",@progbits,_Z39paged_attention_ll4mi_QKV_mfma16_kernelI14__hip_bfloat16hLN4vllm18Fp8KVCacheDataTypeE1EhLi16ELi64ELi256ELb1ELi14EEvPKT_PKT0_S8_ifPKiSA_SA_iPKfiiiPfSD_PS3_PT2_iSC_SC_,comdat
.Lfunc_end1103:
	.size	_Z39paged_attention_ll4mi_QKV_mfma16_kernelI14__hip_bfloat16hLN4vllm18Fp8KVCacheDataTypeE1EhLi16ELi64ELi256ELb1ELi14EEvPKT_PKT0_S8_ifPKiSA_SA_iPKfiiiPfSD_PS3_PT2_iSC_SC_, .Lfunc_end1103-_Z39paged_attention_ll4mi_QKV_mfma16_kernelI14__hip_bfloat16hLN4vllm18Fp8KVCacheDataTypeE1EhLi16ELi64ELi256ELb1ELi14EEvPKT_PKT0_S8_ifPKiSA_SA_iPKfiiiPfSD_PS3_PT2_iSC_SC_
                                        ; -- End function
	.set _Z39paged_attention_ll4mi_QKV_mfma16_kernelI14__hip_bfloat16hLN4vllm18Fp8KVCacheDataTypeE1EhLi16ELi64ELi256ELb1ELi14EEvPKT_PKT0_S8_ifPKiSA_SA_iPKfiiiPfSD_PS3_PT2_iSC_SC_.num_vgpr, max(3, .L__assert_fail.num_vgpr)
	.set _Z39paged_attention_ll4mi_QKV_mfma16_kernelI14__hip_bfloat16hLN4vllm18Fp8KVCacheDataTypeE1EhLi16ELi64ELi256ELb1ELi14EEvPKT_PKT0_S8_ifPKiSA_SA_iPKfiiiPfSD_PS3_PT2_iSC_SC_.num_agpr, max(0, .L__assert_fail.num_agpr)
	.set _Z39paged_attention_ll4mi_QKV_mfma16_kernelI14__hip_bfloat16hLN4vllm18Fp8KVCacheDataTypeE1EhLi16ELi64ELi256ELb1ELi14EEvPKT_PKT0_S8_ifPKiSA_SA_iPKfiiiPfSD_PS3_PT2_iSC_SC_.numbered_sgpr, max(33, .L__assert_fail.numbered_sgpr)
	.set _Z39paged_attention_ll4mi_QKV_mfma16_kernelI14__hip_bfloat16hLN4vllm18Fp8KVCacheDataTypeE1EhLi16ELi64ELi256ELb1ELi14EEvPKT_PKT0_S8_ifPKiSA_SA_iPKfiiiPfSD_PS3_PT2_iSC_SC_.num_named_barrier, max(0, .L__assert_fail.num_named_barrier)
	.set _Z39paged_attention_ll4mi_QKV_mfma16_kernelI14__hip_bfloat16hLN4vllm18Fp8KVCacheDataTypeE1EhLi16ELi64ELi256ELb1ELi14EEvPKT_PKT0_S8_ifPKiSA_SA_iPKfiiiPfSD_PS3_PT2_iSC_SC_.private_seg_size, 0+max(.L__assert_fail.private_seg_size)
	.set _Z39paged_attention_ll4mi_QKV_mfma16_kernelI14__hip_bfloat16hLN4vllm18Fp8KVCacheDataTypeE1EhLi16ELi64ELi256ELb1ELi14EEvPKT_PKT0_S8_ifPKiSA_SA_iPKfiiiPfSD_PS3_PT2_iSC_SC_.uses_vcc, or(1, .L__assert_fail.uses_vcc)
	.set _Z39paged_attention_ll4mi_QKV_mfma16_kernelI14__hip_bfloat16hLN4vllm18Fp8KVCacheDataTypeE1EhLi16ELi64ELi256ELb1ELi14EEvPKT_PKT0_S8_ifPKiSA_SA_iPKfiiiPfSD_PS3_PT2_iSC_SC_.uses_flat_scratch, or(0, .L__assert_fail.uses_flat_scratch)
	.set _Z39paged_attention_ll4mi_QKV_mfma16_kernelI14__hip_bfloat16hLN4vllm18Fp8KVCacheDataTypeE1EhLi16ELi64ELi256ELb1ELi14EEvPKT_PKT0_S8_ifPKiSA_SA_iPKfiiiPfSD_PS3_PT2_iSC_SC_.has_dyn_sized_stack, or(0, .L__assert_fail.has_dyn_sized_stack)
	.set _Z39paged_attention_ll4mi_QKV_mfma16_kernelI14__hip_bfloat16hLN4vllm18Fp8KVCacheDataTypeE1EhLi16ELi64ELi256ELb1ELi14EEvPKT_PKT0_S8_ifPKiSA_SA_iPKfiiiPfSD_PS3_PT2_iSC_SC_.has_recursion, or(0, .L__assert_fail.has_recursion)
	.set _Z39paged_attention_ll4mi_QKV_mfma16_kernelI14__hip_bfloat16hLN4vllm18Fp8KVCacheDataTypeE1EhLi16ELi64ELi256ELb1ELi14EEvPKT_PKT0_S8_ifPKiSA_SA_iPKfiiiPfSD_PS3_PT2_iSC_SC_.has_indirect_call, or(0, .L__assert_fail.has_indirect_call)
	.section	.AMDGPU.csdata,"",@progbits
; Kernel info:
; codeLenInByte = 68
; TotalNumSgprs: 36
; NumVgprs: 51
; ScratchSize: 64
; MemoryBound: 0
; FloatMode: 240
; IeeeMode: 1
; LDSByteSize: 0 bytes/workgroup (compile time only)
; SGPRBlocks: 0
; VGPRBlocks: 3
; NumSGPRsForWavesPerEU: 36
; NumVGPRsForWavesPerEU: 51
; NamedBarCnt: 0
; Occupancy: 16
; WaveLimiterHint : 1
; COMPUTE_PGM_RSRC2:SCRATCH_EN: 1
; COMPUTE_PGM_RSRC2:USER_SGPR: 2
; COMPUTE_PGM_RSRC2:TRAP_HANDLER: 0
; COMPUTE_PGM_RSRC2:TGID_X_EN: 1
; COMPUTE_PGM_RSRC2:TGID_Y_EN: 0
; COMPUTE_PGM_RSRC2:TGID_Z_EN: 0
; COMPUTE_PGM_RSRC2:TIDIG_COMP_CNT: 0
	.section	.text._Z39paged_attention_ll4mi_QKV_mfma16_kernelI14__hip_bfloat16hLN4vllm18Fp8KVCacheDataTypeE1EhLi16ELi64ELi256ELb1ELi15EEvPKT_PKT0_S8_ifPKiSA_SA_iPKfiiiPfSD_PS3_PT2_iSC_SC_,"axG",@progbits,_Z39paged_attention_ll4mi_QKV_mfma16_kernelI14__hip_bfloat16hLN4vllm18Fp8KVCacheDataTypeE1EhLi16ELi64ELi256ELb1ELi15EEvPKT_PKT0_S8_ifPKiSA_SA_iPKfiiiPfSD_PS3_PT2_iSC_SC_,comdat
	.protected	_Z39paged_attention_ll4mi_QKV_mfma16_kernelI14__hip_bfloat16hLN4vllm18Fp8KVCacheDataTypeE1EhLi16ELi64ELi256ELb1ELi15EEvPKT_PKT0_S8_ifPKiSA_SA_iPKfiiiPfSD_PS3_PT2_iSC_SC_ ; -- Begin function _Z39paged_attention_ll4mi_QKV_mfma16_kernelI14__hip_bfloat16hLN4vllm18Fp8KVCacheDataTypeE1EhLi16ELi64ELi256ELb1ELi15EEvPKT_PKT0_S8_ifPKiSA_SA_iPKfiiiPfSD_PS3_PT2_iSC_SC_
	.globl	_Z39paged_attention_ll4mi_QKV_mfma16_kernelI14__hip_bfloat16hLN4vllm18Fp8KVCacheDataTypeE1EhLi16ELi64ELi256ELb1ELi15EEvPKT_PKT0_S8_ifPKiSA_SA_iPKfiiiPfSD_PS3_PT2_iSC_SC_
	.p2align	8
	.type	_Z39paged_attention_ll4mi_QKV_mfma16_kernelI14__hip_bfloat16hLN4vllm18Fp8KVCacheDataTypeE1EhLi16ELi64ELi256ELb1ELi15EEvPKT_PKT0_S8_ifPKiSA_SA_iPKfiiiPfSD_PS3_PT2_iSC_SC_,@function
_Z39paged_attention_ll4mi_QKV_mfma16_kernelI14__hip_bfloat16hLN4vllm18Fp8KVCacheDataTypeE1EhLi16ELi64ELi256ELb1ELi15EEvPKT_PKT0_S8_ifPKiSA_SA_iPKfiiiPfSD_PS3_PT2_iSC_SC_: ; @_Z39paged_attention_ll4mi_QKV_mfma16_kernelI14__hip_bfloat16hLN4vllm18Fp8KVCacheDataTypeE1EhLi16ELi64ELi256ELb1ELi15EEvPKT_PKT0_S8_ifPKiSA_SA_iPKfiiiPfSD_PS3_PT2_iSC_SC_
; %bb.0:
	s_get_pc_i64 s[2:3]
	s_add_nc_u64 s[2:3], s[2:3], __PRETTY_FUNCTION__._Z39paged_attention_ll4mi_QKV_mfma16_kernelI14__hip_bfloat16hLN4vllm18Fp8KVCacheDataTypeE1EhLi16ELi64ELi256ELb1ELi15EEvPKT_PKT0_S8_ifPKiSA_SA_iPKfiiiPfSD_PS3_PT2_iSC_SC_@rel64+4
	s_delay_alu instid0(SALU_CYCLE_1)
	v_dual_mov_b32 v0, 0xbb3 :: v_dual_mov_b32 v1, s2
	v_mov_b32_e32 v2, s3
	s_add_nc_u64 s[8:9], s[0:1], 0x90
	s_get_pc_i64 s[0:1]
	s_add_nc_u64 s[0:1], s[0:1], __assert_fail@rel64+4
	s_mov_b32 s32, 0
	s_swap_pc_i64 s[30:31], s[0:1]
	.section	.rodata,"a",@progbits
	.p2align	6, 0x0
	.amdhsa_kernel _Z39paged_attention_ll4mi_QKV_mfma16_kernelI14__hip_bfloat16hLN4vllm18Fp8KVCacheDataTypeE1EhLi16ELi64ELi256ELb1ELi15EEvPKT_PKT0_S8_ifPKiSA_SA_iPKfiiiPfSD_PS3_PT2_iSC_SC_
		.amdhsa_group_segment_fixed_size 0
		.amdhsa_private_segment_fixed_size 64
		.amdhsa_kernarg_size 400
		.amdhsa_user_sgpr_count 2
		.amdhsa_user_sgpr_dispatch_ptr 0
		.amdhsa_user_sgpr_queue_ptr 0
		.amdhsa_user_sgpr_kernarg_segment_ptr 1
		.amdhsa_user_sgpr_dispatch_id 0
		.amdhsa_user_sgpr_kernarg_preload_length 0
		.amdhsa_user_sgpr_kernarg_preload_offset 0
		.amdhsa_user_sgpr_private_segment_size 0
		.amdhsa_wavefront_size32 1
		.amdhsa_uses_dynamic_stack 0
		.amdhsa_enable_private_segment 1
		.amdhsa_system_sgpr_workgroup_id_x 1
		.amdhsa_system_sgpr_workgroup_id_y 0
		.amdhsa_system_sgpr_workgroup_id_z 0
		.amdhsa_system_sgpr_workgroup_info 0
		.amdhsa_system_vgpr_workitem_id 0
		.amdhsa_next_free_vgpr 51
		.amdhsa_next_free_sgpr 34
		.amdhsa_named_barrier_count 0
		.amdhsa_reserve_vcc 1
		.amdhsa_float_round_mode_32 0
		.amdhsa_float_round_mode_16_64 0
		.amdhsa_float_denorm_mode_32 3
		.amdhsa_float_denorm_mode_16_64 3
		.amdhsa_fp16_overflow 0
		.amdhsa_memory_ordered 1
		.amdhsa_forward_progress 1
		.amdhsa_inst_pref_size 1
		.amdhsa_round_robin_scheduling 0
		.amdhsa_exception_fp_ieee_invalid_op 0
		.amdhsa_exception_fp_denorm_src 0
		.amdhsa_exception_fp_ieee_div_zero 0
		.amdhsa_exception_fp_ieee_overflow 0
		.amdhsa_exception_fp_ieee_underflow 0
		.amdhsa_exception_fp_ieee_inexact 0
		.amdhsa_exception_int_div_zero 0
	.end_amdhsa_kernel
	.section	.text._Z39paged_attention_ll4mi_QKV_mfma16_kernelI14__hip_bfloat16hLN4vllm18Fp8KVCacheDataTypeE1EhLi16ELi64ELi256ELb1ELi15EEvPKT_PKT0_S8_ifPKiSA_SA_iPKfiiiPfSD_PS3_PT2_iSC_SC_,"axG",@progbits,_Z39paged_attention_ll4mi_QKV_mfma16_kernelI14__hip_bfloat16hLN4vllm18Fp8KVCacheDataTypeE1EhLi16ELi64ELi256ELb1ELi15EEvPKT_PKT0_S8_ifPKiSA_SA_iPKfiiiPfSD_PS3_PT2_iSC_SC_,comdat
.Lfunc_end1104:
	.size	_Z39paged_attention_ll4mi_QKV_mfma16_kernelI14__hip_bfloat16hLN4vllm18Fp8KVCacheDataTypeE1EhLi16ELi64ELi256ELb1ELi15EEvPKT_PKT0_S8_ifPKiSA_SA_iPKfiiiPfSD_PS3_PT2_iSC_SC_, .Lfunc_end1104-_Z39paged_attention_ll4mi_QKV_mfma16_kernelI14__hip_bfloat16hLN4vllm18Fp8KVCacheDataTypeE1EhLi16ELi64ELi256ELb1ELi15EEvPKT_PKT0_S8_ifPKiSA_SA_iPKfiiiPfSD_PS3_PT2_iSC_SC_
                                        ; -- End function
	.set _Z39paged_attention_ll4mi_QKV_mfma16_kernelI14__hip_bfloat16hLN4vllm18Fp8KVCacheDataTypeE1EhLi16ELi64ELi256ELb1ELi15EEvPKT_PKT0_S8_ifPKiSA_SA_iPKfiiiPfSD_PS3_PT2_iSC_SC_.num_vgpr, max(3, .L__assert_fail.num_vgpr)
	.set _Z39paged_attention_ll4mi_QKV_mfma16_kernelI14__hip_bfloat16hLN4vllm18Fp8KVCacheDataTypeE1EhLi16ELi64ELi256ELb1ELi15EEvPKT_PKT0_S8_ifPKiSA_SA_iPKfiiiPfSD_PS3_PT2_iSC_SC_.num_agpr, max(0, .L__assert_fail.num_agpr)
	.set _Z39paged_attention_ll4mi_QKV_mfma16_kernelI14__hip_bfloat16hLN4vllm18Fp8KVCacheDataTypeE1EhLi16ELi64ELi256ELb1ELi15EEvPKT_PKT0_S8_ifPKiSA_SA_iPKfiiiPfSD_PS3_PT2_iSC_SC_.numbered_sgpr, max(33, .L__assert_fail.numbered_sgpr)
	.set _Z39paged_attention_ll4mi_QKV_mfma16_kernelI14__hip_bfloat16hLN4vllm18Fp8KVCacheDataTypeE1EhLi16ELi64ELi256ELb1ELi15EEvPKT_PKT0_S8_ifPKiSA_SA_iPKfiiiPfSD_PS3_PT2_iSC_SC_.num_named_barrier, max(0, .L__assert_fail.num_named_barrier)
	.set _Z39paged_attention_ll4mi_QKV_mfma16_kernelI14__hip_bfloat16hLN4vllm18Fp8KVCacheDataTypeE1EhLi16ELi64ELi256ELb1ELi15EEvPKT_PKT0_S8_ifPKiSA_SA_iPKfiiiPfSD_PS3_PT2_iSC_SC_.private_seg_size, 0+max(.L__assert_fail.private_seg_size)
	.set _Z39paged_attention_ll4mi_QKV_mfma16_kernelI14__hip_bfloat16hLN4vllm18Fp8KVCacheDataTypeE1EhLi16ELi64ELi256ELb1ELi15EEvPKT_PKT0_S8_ifPKiSA_SA_iPKfiiiPfSD_PS3_PT2_iSC_SC_.uses_vcc, or(1, .L__assert_fail.uses_vcc)
	.set _Z39paged_attention_ll4mi_QKV_mfma16_kernelI14__hip_bfloat16hLN4vllm18Fp8KVCacheDataTypeE1EhLi16ELi64ELi256ELb1ELi15EEvPKT_PKT0_S8_ifPKiSA_SA_iPKfiiiPfSD_PS3_PT2_iSC_SC_.uses_flat_scratch, or(0, .L__assert_fail.uses_flat_scratch)
	.set _Z39paged_attention_ll4mi_QKV_mfma16_kernelI14__hip_bfloat16hLN4vllm18Fp8KVCacheDataTypeE1EhLi16ELi64ELi256ELb1ELi15EEvPKT_PKT0_S8_ifPKiSA_SA_iPKfiiiPfSD_PS3_PT2_iSC_SC_.has_dyn_sized_stack, or(0, .L__assert_fail.has_dyn_sized_stack)
	.set _Z39paged_attention_ll4mi_QKV_mfma16_kernelI14__hip_bfloat16hLN4vllm18Fp8KVCacheDataTypeE1EhLi16ELi64ELi256ELb1ELi15EEvPKT_PKT0_S8_ifPKiSA_SA_iPKfiiiPfSD_PS3_PT2_iSC_SC_.has_recursion, or(0, .L__assert_fail.has_recursion)
	.set _Z39paged_attention_ll4mi_QKV_mfma16_kernelI14__hip_bfloat16hLN4vllm18Fp8KVCacheDataTypeE1EhLi16ELi64ELi256ELb1ELi15EEvPKT_PKT0_S8_ifPKiSA_SA_iPKfiiiPfSD_PS3_PT2_iSC_SC_.has_indirect_call, or(0, .L__assert_fail.has_indirect_call)
	.section	.AMDGPU.csdata,"",@progbits
; Kernel info:
; codeLenInByte = 68
; TotalNumSgprs: 36
; NumVgprs: 51
; ScratchSize: 64
; MemoryBound: 0
; FloatMode: 240
; IeeeMode: 1
; LDSByteSize: 0 bytes/workgroup (compile time only)
; SGPRBlocks: 0
; VGPRBlocks: 3
; NumSGPRsForWavesPerEU: 36
; NumVGPRsForWavesPerEU: 51
; NamedBarCnt: 0
; Occupancy: 16
; WaveLimiterHint : 1
; COMPUTE_PGM_RSRC2:SCRATCH_EN: 1
; COMPUTE_PGM_RSRC2:USER_SGPR: 2
; COMPUTE_PGM_RSRC2:TRAP_HANDLER: 0
; COMPUTE_PGM_RSRC2:TGID_X_EN: 1
; COMPUTE_PGM_RSRC2:TGID_Y_EN: 0
; COMPUTE_PGM_RSRC2:TGID_Z_EN: 0
; COMPUTE_PGM_RSRC2:TIDIG_COMP_CNT: 0
	.section	.text._Z39paged_attention_ll4mi_QKV_mfma16_kernelI14__hip_bfloat16hLN4vllm18Fp8KVCacheDataTypeE1EhLi16ELi64ELi256ELb1ELi16EEvPKT_PKT0_S8_ifPKiSA_SA_iPKfiiiPfSD_PS3_PT2_iSC_SC_,"axG",@progbits,_Z39paged_attention_ll4mi_QKV_mfma16_kernelI14__hip_bfloat16hLN4vllm18Fp8KVCacheDataTypeE1EhLi16ELi64ELi256ELb1ELi16EEvPKT_PKT0_S8_ifPKiSA_SA_iPKfiiiPfSD_PS3_PT2_iSC_SC_,comdat
	.protected	_Z39paged_attention_ll4mi_QKV_mfma16_kernelI14__hip_bfloat16hLN4vllm18Fp8KVCacheDataTypeE1EhLi16ELi64ELi256ELb1ELi16EEvPKT_PKT0_S8_ifPKiSA_SA_iPKfiiiPfSD_PS3_PT2_iSC_SC_ ; -- Begin function _Z39paged_attention_ll4mi_QKV_mfma16_kernelI14__hip_bfloat16hLN4vllm18Fp8KVCacheDataTypeE1EhLi16ELi64ELi256ELb1ELi16EEvPKT_PKT0_S8_ifPKiSA_SA_iPKfiiiPfSD_PS3_PT2_iSC_SC_
	.globl	_Z39paged_attention_ll4mi_QKV_mfma16_kernelI14__hip_bfloat16hLN4vllm18Fp8KVCacheDataTypeE1EhLi16ELi64ELi256ELb1ELi16EEvPKT_PKT0_S8_ifPKiSA_SA_iPKfiiiPfSD_PS3_PT2_iSC_SC_
	.p2align	8
	.type	_Z39paged_attention_ll4mi_QKV_mfma16_kernelI14__hip_bfloat16hLN4vllm18Fp8KVCacheDataTypeE1EhLi16ELi64ELi256ELb1ELi16EEvPKT_PKT0_S8_ifPKiSA_SA_iPKfiiiPfSD_PS3_PT2_iSC_SC_,@function
_Z39paged_attention_ll4mi_QKV_mfma16_kernelI14__hip_bfloat16hLN4vllm18Fp8KVCacheDataTypeE1EhLi16ELi64ELi256ELb1ELi16EEvPKT_PKT0_S8_ifPKiSA_SA_iPKfiiiPfSD_PS3_PT2_iSC_SC_: ; @_Z39paged_attention_ll4mi_QKV_mfma16_kernelI14__hip_bfloat16hLN4vllm18Fp8KVCacheDataTypeE1EhLi16ELi64ELi256ELb1ELi16EEvPKT_PKT0_S8_ifPKiSA_SA_iPKfiiiPfSD_PS3_PT2_iSC_SC_
; %bb.0:
	s_get_pc_i64 s[2:3]
	s_add_nc_u64 s[2:3], s[2:3], __PRETTY_FUNCTION__._Z39paged_attention_ll4mi_QKV_mfma16_kernelI14__hip_bfloat16hLN4vllm18Fp8KVCacheDataTypeE1EhLi16ELi64ELi256ELb1ELi16EEvPKT_PKT0_S8_ifPKiSA_SA_iPKfiiiPfSD_PS3_PT2_iSC_SC_@rel64+4
	s_delay_alu instid0(SALU_CYCLE_1)
	v_dual_mov_b32 v0, 0xbb3 :: v_dual_mov_b32 v1, s2
	v_mov_b32_e32 v2, s3
	s_add_nc_u64 s[8:9], s[0:1], 0x90
	s_get_pc_i64 s[0:1]
	s_add_nc_u64 s[0:1], s[0:1], __assert_fail@rel64+4
	s_mov_b32 s32, 0
	s_swap_pc_i64 s[30:31], s[0:1]
	.section	.rodata,"a",@progbits
	.p2align	6, 0x0
	.amdhsa_kernel _Z39paged_attention_ll4mi_QKV_mfma16_kernelI14__hip_bfloat16hLN4vllm18Fp8KVCacheDataTypeE1EhLi16ELi64ELi256ELb1ELi16EEvPKT_PKT0_S8_ifPKiSA_SA_iPKfiiiPfSD_PS3_PT2_iSC_SC_
		.amdhsa_group_segment_fixed_size 0
		.amdhsa_private_segment_fixed_size 64
		.amdhsa_kernarg_size 400
		.amdhsa_user_sgpr_count 2
		.amdhsa_user_sgpr_dispatch_ptr 0
		.amdhsa_user_sgpr_queue_ptr 0
		.amdhsa_user_sgpr_kernarg_segment_ptr 1
		.amdhsa_user_sgpr_dispatch_id 0
		.amdhsa_user_sgpr_kernarg_preload_length 0
		.amdhsa_user_sgpr_kernarg_preload_offset 0
		.amdhsa_user_sgpr_private_segment_size 0
		.amdhsa_wavefront_size32 1
		.amdhsa_uses_dynamic_stack 0
		.amdhsa_enable_private_segment 1
		.amdhsa_system_sgpr_workgroup_id_x 1
		.amdhsa_system_sgpr_workgroup_id_y 0
		.amdhsa_system_sgpr_workgroup_id_z 0
		.amdhsa_system_sgpr_workgroup_info 0
		.amdhsa_system_vgpr_workitem_id 0
		.amdhsa_next_free_vgpr 51
		.amdhsa_next_free_sgpr 34
		.amdhsa_named_barrier_count 0
		.amdhsa_reserve_vcc 1
		.amdhsa_float_round_mode_32 0
		.amdhsa_float_round_mode_16_64 0
		.amdhsa_float_denorm_mode_32 3
		.amdhsa_float_denorm_mode_16_64 3
		.amdhsa_fp16_overflow 0
		.amdhsa_memory_ordered 1
		.amdhsa_forward_progress 1
		.amdhsa_inst_pref_size 1
		.amdhsa_round_robin_scheduling 0
		.amdhsa_exception_fp_ieee_invalid_op 0
		.amdhsa_exception_fp_denorm_src 0
		.amdhsa_exception_fp_ieee_div_zero 0
		.amdhsa_exception_fp_ieee_overflow 0
		.amdhsa_exception_fp_ieee_underflow 0
		.amdhsa_exception_fp_ieee_inexact 0
		.amdhsa_exception_int_div_zero 0
	.end_amdhsa_kernel
	.section	.text._Z39paged_attention_ll4mi_QKV_mfma16_kernelI14__hip_bfloat16hLN4vllm18Fp8KVCacheDataTypeE1EhLi16ELi64ELi256ELb1ELi16EEvPKT_PKT0_S8_ifPKiSA_SA_iPKfiiiPfSD_PS3_PT2_iSC_SC_,"axG",@progbits,_Z39paged_attention_ll4mi_QKV_mfma16_kernelI14__hip_bfloat16hLN4vllm18Fp8KVCacheDataTypeE1EhLi16ELi64ELi256ELb1ELi16EEvPKT_PKT0_S8_ifPKiSA_SA_iPKfiiiPfSD_PS3_PT2_iSC_SC_,comdat
.Lfunc_end1105:
	.size	_Z39paged_attention_ll4mi_QKV_mfma16_kernelI14__hip_bfloat16hLN4vllm18Fp8KVCacheDataTypeE1EhLi16ELi64ELi256ELb1ELi16EEvPKT_PKT0_S8_ifPKiSA_SA_iPKfiiiPfSD_PS3_PT2_iSC_SC_, .Lfunc_end1105-_Z39paged_attention_ll4mi_QKV_mfma16_kernelI14__hip_bfloat16hLN4vllm18Fp8KVCacheDataTypeE1EhLi16ELi64ELi256ELb1ELi16EEvPKT_PKT0_S8_ifPKiSA_SA_iPKfiiiPfSD_PS3_PT2_iSC_SC_
                                        ; -- End function
	.set _Z39paged_attention_ll4mi_QKV_mfma16_kernelI14__hip_bfloat16hLN4vllm18Fp8KVCacheDataTypeE1EhLi16ELi64ELi256ELb1ELi16EEvPKT_PKT0_S8_ifPKiSA_SA_iPKfiiiPfSD_PS3_PT2_iSC_SC_.num_vgpr, max(3, .L__assert_fail.num_vgpr)
	.set _Z39paged_attention_ll4mi_QKV_mfma16_kernelI14__hip_bfloat16hLN4vllm18Fp8KVCacheDataTypeE1EhLi16ELi64ELi256ELb1ELi16EEvPKT_PKT0_S8_ifPKiSA_SA_iPKfiiiPfSD_PS3_PT2_iSC_SC_.num_agpr, max(0, .L__assert_fail.num_agpr)
	.set _Z39paged_attention_ll4mi_QKV_mfma16_kernelI14__hip_bfloat16hLN4vllm18Fp8KVCacheDataTypeE1EhLi16ELi64ELi256ELb1ELi16EEvPKT_PKT0_S8_ifPKiSA_SA_iPKfiiiPfSD_PS3_PT2_iSC_SC_.numbered_sgpr, max(33, .L__assert_fail.numbered_sgpr)
	.set _Z39paged_attention_ll4mi_QKV_mfma16_kernelI14__hip_bfloat16hLN4vllm18Fp8KVCacheDataTypeE1EhLi16ELi64ELi256ELb1ELi16EEvPKT_PKT0_S8_ifPKiSA_SA_iPKfiiiPfSD_PS3_PT2_iSC_SC_.num_named_barrier, max(0, .L__assert_fail.num_named_barrier)
	.set _Z39paged_attention_ll4mi_QKV_mfma16_kernelI14__hip_bfloat16hLN4vllm18Fp8KVCacheDataTypeE1EhLi16ELi64ELi256ELb1ELi16EEvPKT_PKT0_S8_ifPKiSA_SA_iPKfiiiPfSD_PS3_PT2_iSC_SC_.private_seg_size, 0+max(.L__assert_fail.private_seg_size)
	.set _Z39paged_attention_ll4mi_QKV_mfma16_kernelI14__hip_bfloat16hLN4vllm18Fp8KVCacheDataTypeE1EhLi16ELi64ELi256ELb1ELi16EEvPKT_PKT0_S8_ifPKiSA_SA_iPKfiiiPfSD_PS3_PT2_iSC_SC_.uses_vcc, or(1, .L__assert_fail.uses_vcc)
	.set _Z39paged_attention_ll4mi_QKV_mfma16_kernelI14__hip_bfloat16hLN4vllm18Fp8KVCacheDataTypeE1EhLi16ELi64ELi256ELb1ELi16EEvPKT_PKT0_S8_ifPKiSA_SA_iPKfiiiPfSD_PS3_PT2_iSC_SC_.uses_flat_scratch, or(0, .L__assert_fail.uses_flat_scratch)
	.set _Z39paged_attention_ll4mi_QKV_mfma16_kernelI14__hip_bfloat16hLN4vllm18Fp8KVCacheDataTypeE1EhLi16ELi64ELi256ELb1ELi16EEvPKT_PKT0_S8_ifPKiSA_SA_iPKfiiiPfSD_PS3_PT2_iSC_SC_.has_dyn_sized_stack, or(0, .L__assert_fail.has_dyn_sized_stack)
	.set _Z39paged_attention_ll4mi_QKV_mfma16_kernelI14__hip_bfloat16hLN4vllm18Fp8KVCacheDataTypeE1EhLi16ELi64ELi256ELb1ELi16EEvPKT_PKT0_S8_ifPKiSA_SA_iPKfiiiPfSD_PS3_PT2_iSC_SC_.has_recursion, or(0, .L__assert_fail.has_recursion)
	.set _Z39paged_attention_ll4mi_QKV_mfma16_kernelI14__hip_bfloat16hLN4vllm18Fp8KVCacheDataTypeE1EhLi16ELi64ELi256ELb1ELi16EEvPKT_PKT0_S8_ifPKiSA_SA_iPKfiiiPfSD_PS3_PT2_iSC_SC_.has_indirect_call, or(0, .L__assert_fail.has_indirect_call)
	.section	.AMDGPU.csdata,"",@progbits
; Kernel info:
; codeLenInByte = 68
; TotalNumSgprs: 36
; NumVgprs: 51
; ScratchSize: 64
; MemoryBound: 0
; FloatMode: 240
; IeeeMode: 1
; LDSByteSize: 0 bytes/workgroup (compile time only)
; SGPRBlocks: 0
; VGPRBlocks: 3
; NumSGPRsForWavesPerEU: 36
; NumVGPRsForWavesPerEU: 51
; NamedBarCnt: 0
; Occupancy: 16
; WaveLimiterHint : 1
; COMPUTE_PGM_RSRC2:SCRATCH_EN: 1
; COMPUTE_PGM_RSRC2:USER_SGPR: 2
; COMPUTE_PGM_RSRC2:TRAP_HANDLER: 0
; COMPUTE_PGM_RSRC2:TGID_X_EN: 1
; COMPUTE_PGM_RSRC2:TGID_Y_EN: 0
; COMPUTE_PGM_RSRC2:TGID_Z_EN: 0
; COMPUTE_PGM_RSRC2:TIDIG_COMP_CNT: 0
	.section	.text._Z39paged_attention_ll4mi_QKV_mfma16_kernelI14__hip_bfloat16hLN4vllm18Fp8KVCacheDataTypeE1EhLi16ELi64ELi256ELb1ELi1EEvPKT_PKT0_S8_ifPKiSA_SA_iPKfiiiPfSD_PS3_PT2_iSC_SC_,"axG",@progbits,_Z39paged_attention_ll4mi_QKV_mfma16_kernelI14__hip_bfloat16hLN4vllm18Fp8KVCacheDataTypeE1EhLi16ELi64ELi256ELb1ELi1EEvPKT_PKT0_S8_ifPKiSA_SA_iPKfiiiPfSD_PS3_PT2_iSC_SC_,comdat
	.protected	_Z39paged_attention_ll4mi_QKV_mfma16_kernelI14__hip_bfloat16hLN4vllm18Fp8KVCacheDataTypeE1EhLi16ELi64ELi256ELb1ELi1EEvPKT_PKT0_S8_ifPKiSA_SA_iPKfiiiPfSD_PS3_PT2_iSC_SC_ ; -- Begin function _Z39paged_attention_ll4mi_QKV_mfma16_kernelI14__hip_bfloat16hLN4vllm18Fp8KVCacheDataTypeE1EhLi16ELi64ELi256ELb1ELi1EEvPKT_PKT0_S8_ifPKiSA_SA_iPKfiiiPfSD_PS3_PT2_iSC_SC_
	.globl	_Z39paged_attention_ll4mi_QKV_mfma16_kernelI14__hip_bfloat16hLN4vllm18Fp8KVCacheDataTypeE1EhLi16ELi64ELi256ELb1ELi1EEvPKT_PKT0_S8_ifPKiSA_SA_iPKfiiiPfSD_PS3_PT2_iSC_SC_
	.p2align	8
	.type	_Z39paged_attention_ll4mi_QKV_mfma16_kernelI14__hip_bfloat16hLN4vllm18Fp8KVCacheDataTypeE1EhLi16ELi64ELi256ELb1ELi1EEvPKT_PKT0_S8_ifPKiSA_SA_iPKfiiiPfSD_PS3_PT2_iSC_SC_,@function
_Z39paged_attention_ll4mi_QKV_mfma16_kernelI14__hip_bfloat16hLN4vllm18Fp8KVCacheDataTypeE1EhLi16ELi64ELi256ELb1ELi1EEvPKT_PKT0_S8_ifPKiSA_SA_iPKfiiiPfSD_PS3_PT2_iSC_SC_: ; @_Z39paged_attention_ll4mi_QKV_mfma16_kernelI14__hip_bfloat16hLN4vllm18Fp8KVCacheDataTypeE1EhLi16ELi64ELi256ELb1ELi1EEvPKT_PKT0_S8_ifPKiSA_SA_iPKfiiiPfSD_PS3_PT2_iSC_SC_
; %bb.0:
	s_get_pc_i64 s[2:3]
	s_add_nc_u64 s[2:3], s[2:3], __PRETTY_FUNCTION__._Z39paged_attention_ll4mi_QKV_mfma16_kernelI14__hip_bfloat16hLN4vllm18Fp8KVCacheDataTypeE1EhLi16ELi64ELi256ELb1ELi1EEvPKT_PKT0_S8_ifPKiSA_SA_iPKfiiiPfSD_PS3_PT2_iSC_SC_@rel64+4
	s_delay_alu instid0(SALU_CYCLE_1)
	v_dual_mov_b32 v0, 0xbb3 :: v_dual_mov_b32 v1, s2
	v_mov_b32_e32 v2, s3
	s_add_nc_u64 s[8:9], s[0:1], 0x90
	s_get_pc_i64 s[0:1]
	s_add_nc_u64 s[0:1], s[0:1], __assert_fail@rel64+4
	s_mov_b32 s32, 0
	s_swap_pc_i64 s[30:31], s[0:1]
	.section	.rodata,"a",@progbits
	.p2align	6, 0x0
	.amdhsa_kernel _Z39paged_attention_ll4mi_QKV_mfma16_kernelI14__hip_bfloat16hLN4vllm18Fp8KVCacheDataTypeE1EhLi16ELi64ELi256ELb1ELi1EEvPKT_PKT0_S8_ifPKiSA_SA_iPKfiiiPfSD_PS3_PT2_iSC_SC_
		.amdhsa_group_segment_fixed_size 0
		.amdhsa_private_segment_fixed_size 64
		.amdhsa_kernarg_size 400
		.amdhsa_user_sgpr_count 2
		.amdhsa_user_sgpr_dispatch_ptr 0
		.amdhsa_user_sgpr_queue_ptr 0
		.amdhsa_user_sgpr_kernarg_segment_ptr 1
		.amdhsa_user_sgpr_dispatch_id 0
		.amdhsa_user_sgpr_kernarg_preload_length 0
		.amdhsa_user_sgpr_kernarg_preload_offset 0
		.amdhsa_user_sgpr_private_segment_size 0
		.amdhsa_wavefront_size32 1
		.amdhsa_uses_dynamic_stack 0
		.amdhsa_enable_private_segment 1
		.amdhsa_system_sgpr_workgroup_id_x 1
		.amdhsa_system_sgpr_workgroup_id_y 0
		.amdhsa_system_sgpr_workgroup_id_z 0
		.amdhsa_system_sgpr_workgroup_info 0
		.amdhsa_system_vgpr_workitem_id 0
		.amdhsa_next_free_vgpr 51
		.amdhsa_next_free_sgpr 34
		.amdhsa_named_barrier_count 0
		.amdhsa_reserve_vcc 1
		.amdhsa_float_round_mode_32 0
		.amdhsa_float_round_mode_16_64 0
		.amdhsa_float_denorm_mode_32 3
		.amdhsa_float_denorm_mode_16_64 3
		.amdhsa_fp16_overflow 0
		.amdhsa_memory_ordered 1
		.amdhsa_forward_progress 1
		.amdhsa_inst_pref_size 1
		.amdhsa_round_robin_scheduling 0
		.amdhsa_exception_fp_ieee_invalid_op 0
		.amdhsa_exception_fp_denorm_src 0
		.amdhsa_exception_fp_ieee_div_zero 0
		.amdhsa_exception_fp_ieee_overflow 0
		.amdhsa_exception_fp_ieee_underflow 0
		.amdhsa_exception_fp_ieee_inexact 0
		.amdhsa_exception_int_div_zero 0
	.end_amdhsa_kernel
	.section	.text._Z39paged_attention_ll4mi_QKV_mfma16_kernelI14__hip_bfloat16hLN4vllm18Fp8KVCacheDataTypeE1EhLi16ELi64ELi256ELb1ELi1EEvPKT_PKT0_S8_ifPKiSA_SA_iPKfiiiPfSD_PS3_PT2_iSC_SC_,"axG",@progbits,_Z39paged_attention_ll4mi_QKV_mfma16_kernelI14__hip_bfloat16hLN4vllm18Fp8KVCacheDataTypeE1EhLi16ELi64ELi256ELb1ELi1EEvPKT_PKT0_S8_ifPKiSA_SA_iPKfiiiPfSD_PS3_PT2_iSC_SC_,comdat
.Lfunc_end1106:
	.size	_Z39paged_attention_ll4mi_QKV_mfma16_kernelI14__hip_bfloat16hLN4vllm18Fp8KVCacheDataTypeE1EhLi16ELi64ELi256ELb1ELi1EEvPKT_PKT0_S8_ifPKiSA_SA_iPKfiiiPfSD_PS3_PT2_iSC_SC_, .Lfunc_end1106-_Z39paged_attention_ll4mi_QKV_mfma16_kernelI14__hip_bfloat16hLN4vllm18Fp8KVCacheDataTypeE1EhLi16ELi64ELi256ELb1ELi1EEvPKT_PKT0_S8_ifPKiSA_SA_iPKfiiiPfSD_PS3_PT2_iSC_SC_
                                        ; -- End function
	.set _Z39paged_attention_ll4mi_QKV_mfma16_kernelI14__hip_bfloat16hLN4vllm18Fp8KVCacheDataTypeE1EhLi16ELi64ELi256ELb1ELi1EEvPKT_PKT0_S8_ifPKiSA_SA_iPKfiiiPfSD_PS3_PT2_iSC_SC_.num_vgpr, max(3, .L__assert_fail.num_vgpr)
	.set _Z39paged_attention_ll4mi_QKV_mfma16_kernelI14__hip_bfloat16hLN4vllm18Fp8KVCacheDataTypeE1EhLi16ELi64ELi256ELb1ELi1EEvPKT_PKT0_S8_ifPKiSA_SA_iPKfiiiPfSD_PS3_PT2_iSC_SC_.num_agpr, max(0, .L__assert_fail.num_agpr)
	.set _Z39paged_attention_ll4mi_QKV_mfma16_kernelI14__hip_bfloat16hLN4vllm18Fp8KVCacheDataTypeE1EhLi16ELi64ELi256ELb1ELi1EEvPKT_PKT0_S8_ifPKiSA_SA_iPKfiiiPfSD_PS3_PT2_iSC_SC_.numbered_sgpr, max(33, .L__assert_fail.numbered_sgpr)
	.set _Z39paged_attention_ll4mi_QKV_mfma16_kernelI14__hip_bfloat16hLN4vllm18Fp8KVCacheDataTypeE1EhLi16ELi64ELi256ELb1ELi1EEvPKT_PKT0_S8_ifPKiSA_SA_iPKfiiiPfSD_PS3_PT2_iSC_SC_.num_named_barrier, max(0, .L__assert_fail.num_named_barrier)
	.set _Z39paged_attention_ll4mi_QKV_mfma16_kernelI14__hip_bfloat16hLN4vllm18Fp8KVCacheDataTypeE1EhLi16ELi64ELi256ELb1ELi1EEvPKT_PKT0_S8_ifPKiSA_SA_iPKfiiiPfSD_PS3_PT2_iSC_SC_.private_seg_size, 0+max(.L__assert_fail.private_seg_size)
	.set _Z39paged_attention_ll4mi_QKV_mfma16_kernelI14__hip_bfloat16hLN4vllm18Fp8KVCacheDataTypeE1EhLi16ELi64ELi256ELb1ELi1EEvPKT_PKT0_S8_ifPKiSA_SA_iPKfiiiPfSD_PS3_PT2_iSC_SC_.uses_vcc, or(1, .L__assert_fail.uses_vcc)
	.set _Z39paged_attention_ll4mi_QKV_mfma16_kernelI14__hip_bfloat16hLN4vllm18Fp8KVCacheDataTypeE1EhLi16ELi64ELi256ELb1ELi1EEvPKT_PKT0_S8_ifPKiSA_SA_iPKfiiiPfSD_PS3_PT2_iSC_SC_.uses_flat_scratch, or(0, .L__assert_fail.uses_flat_scratch)
	.set _Z39paged_attention_ll4mi_QKV_mfma16_kernelI14__hip_bfloat16hLN4vllm18Fp8KVCacheDataTypeE1EhLi16ELi64ELi256ELb1ELi1EEvPKT_PKT0_S8_ifPKiSA_SA_iPKfiiiPfSD_PS3_PT2_iSC_SC_.has_dyn_sized_stack, or(0, .L__assert_fail.has_dyn_sized_stack)
	.set _Z39paged_attention_ll4mi_QKV_mfma16_kernelI14__hip_bfloat16hLN4vllm18Fp8KVCacheDataTypeE1EhLi16ELi64ELi256ELb1ELi1EEvPKT_PKT0_S8_ifPKiSA_SA_iPKfiiiPfSD_PS3_PT2_iSC_SC_.has_recursion, or(0, .L__assert_fail.has_recursion)
	.set _Z39paged_attention_ll4mi_QKV_mfma16_kernelI14__hip_bfloat16hLN4vllm18Fp8KVCacheDataTypeE1EhLi16ELi64ELi256ELb1ELi1EEvPKT_PKT0_S8_ifPKiSA_SA_iPKfiiiPfSD_PS3_PT2_iSC_SC_.has_indirect_call, or(0, .L__assert_fail.has_indirect_call)
	.section	.AMDGPU.csdata,"",@progbits
; Kernel info:
; codeLenInByte = 68
; TotalNumSgprs: 36
; NumVgprs: 51
; ScratchSize: 64
; MemoryBound: 0
; FloatMode: 240
; IeeeMode: 1
; LDSByteSize: 0 bytes/workgroup (compile time only)
; SGPRBlocks: 0
; VGPRBlocks: 3
; NumSGPRsForWavesPerEU: 36
; NumVGPRsForWavesPerEU: 51
; NamedBarCnt: 0
; Occupancy: 16
; WaveLimiterHint : 1
; COMPUTE_PGM_RSRC2:SCRATCH_EN: 1
; COMPUTE_PGM_RSRC2:USER_SGPR: 2
; COMPUTE_PGM_RSRC2:TRAP_HANDLER: 0
; COMPUTE_PGM_RSRC2:TGID_X_EN: 1
; COMPUTE_PGM_RSRC2:TGID_Y_EN: 0
; COMPUTE_PGM_RSRC2:TGID_Z_EN: 0
; COMPUTE_PGM_RSRC2:TIDIG_COMP_CNT: 0
	.section	.text._Z39paged_attention_ll4mi_QKV_mfma16_kernelI14__hip_bfloat16hLN4vllm18Fp8KVCacheDataTypeE1EhLi16ELi64ELi256ELb1ELi2EEvPKT_PKT0_S8_ifPKiSA_SA_iPKfiiiPfSD_PS3_PT2_iSC_SC_,"axG",@progbits,_Z39paged_attention_ll4mi_QKV_mfma16_kernelI14__hip_bfloat16hLN4vllm18Fp8KVCacheDataTypeE1EhLi16ELi64ELi256ELb1ELi2EEvPKT_PKT0_S8_ifPKiSA_SA_iPKfiiiPfSD_PS3_PT2_iSC_SC_,comdat
	.protected	_Z39paged_attention_ll4mi_QKV_mfma16_kernelI14__hip_bfloat16hLN4vllm18Fp8KVCacheDataTypeE1EhLi16ELi64ELi256ELb1ELi2EEvPKT_PKT0_S8_ifPKiSA_SA_iPKfiiiPfSD_PS3_PT2_iSC_SC_ ; -- Begin function _Z39paged_attention_ll4mi_QKV_mfma16_kernelI14__hip_bfloat16hLN4vllm18Fp8KVCacheDataTypeE1EhLi16ELi64ELi256ELb1ELi2EEvPKT_PKT0_S8_ifPKiSA_SA_iPKfiiiPfSD_PS3_PT2_iSC_SC_
	.globl	_Z39paged_attention_ll4mi_QKV_mfma16_kernelI14__hip_bfloat16hLN4vllm18Fp8KVCacheDataTypeE1EhLi16ELi64ELi256ELb1ELi2EEvPKT_PKT0_S8_ifPKiSA_SA_iPKfiiiPfSD_PS3_PT2_iSC_SC_
	.p2align	8
	.type	_Z39paged_attention_ll4mi_QKV_mfma16_kernelI14__hip_bfloat16hLN4vllm18Fp8KVCacheDataTypeE1EhLi16ELi64ELi256ELb1ELi2EEvPKT_PKT0_S8_ifPKiSA_SA_iPKfiiiPfSD_PS3_PT2_iSC_SC_,@function
_Z39paged_attention_ll4mi_QKV_mfma16_kernelI14__hip_bfloat16hLN4vllm18Fp8KVCacheDataTypeE1EhLi16ELi64ELi256ELb1ELi2EEvPKT_PKT0_S8_ifPKiSA_SA_iPKfiiiPfSD_PS3_PT2_iSC_SC_: ; @_Z39paged_attention_ll4mi_QKV_mfma16_kernelI14__hip_bfloat16hLN4vllm18Fp8KVCacheDataTypeE1EhLi16ELi64ELi256ELb1ELi2EEvPKT_PKT0_S8_ifPKiSA_SA_iPKfiiiPfSD_PS3_PT2_iSC_SC_
; %bb.0:
	s_get_pc_i64 s[2:3]
	s_add_nc_u64 s[2:3], s[2:3], __PRETTY_FUNCTION__._Z39paged_attention_ll4mi_QKV_mfma16_kernelI14__hip_bfloat16hLN4vllm18Fp8KVCacheDataTypeE1EhLi16ELi64ELi256ELb1ELi2EEvPKT_PKT0_S8_ifPKiSA_SA_iPKfiiiPfSD_PS3_PT2_iSC_SC_@rel64+4
	s_delay_alu instid0(SALU_CYCLE_1)
	v_dual_mov_b32 v0, 0xbb3 :: v_dual_mov_b32 v1, s2
	v_mov_b32_e32 v2, s3
	s_add_nc_u64 s[8:9], s[0:1], 0x90
	s_get_pc_i64 s[0:1]
	s_add_nc_u64 s[0:1], s[0:1], __assert_fail@rel64+4
	s_mov_b32 s32, 0
	s_swap_pc_i64 s[30:31], s[0:1]
	.section	.rodata,"a",@progbits
	.p2align	6, 0x0
	.amdhsa_kernel _Z39paged_attention_ll4mi_QKV_mfma16_kernelI14__hip_bfloat16hLN4vllm18Fp8KVCacheDataTypeE1EhLi16ELi64ELi256ELb1ELi2EEvPKT_PKT0_S8_ifPKiSA_SA_iPKfiiiPfSD_PS3_PT2_iSC_SC_
		.amdhsa_group_segment_fixed_size 0
		.amdhsa_private_segment_fixed_size 64
		.amdhsa_kernarg_size 400
		.amdhsa_user_sgpr_count 2
		.amdhsa_user_sgpr_dispatch_ptr 0
		.amdhsa_user_sgpr_queue_ptr 0
		.amdhsa_user_sgpr_kernarg_segment_ptr 1
		.amdhsa_user_sgpr_dispatch_id 0
		.amdhsa_user_sgpr_kernarg_preload_length 0
		.amdhsa_user_sgpr_kernarg_preload_offset 0
		.amdhsa_user_sgpr_private_segment_size 0
		.amdhsa_wavefront_size32 1
		.amdhsa_uses_dynamic_stack 0
		.amdhsa_enable_private_segment 1
		.amdhsa_system_sgpr_workgroup_id_x 1
		.amdhsa_system_sgpr_workgroup_id_y 0
		.amdhsa_system_sgpr_workgroup_id_z 0
		.amdhsa_system_sgpr_workgroup_info 0
		.amdhsa_system_vgpr_workitem_id 0
		.amdhsa_next_free_vgpr 51
		.amdhsa_next_free_sgpr 34
		.amdhsa_named_barrier_count 0
		.amdhsa_reserve_vcc 1
		.amdhsa_float_round_mode_32 0
		.amdhsa_float_round_mode_16_64 0
		.amdhsa_float_denorm_mode_32 3
		.amdhsa_float_denorm_mode_16_64 3
		.amdhsa_fp16_overflow 0
		.amdhsa_memory_ordered 1
		.amdhsa_forward_progress 1
		.amdhsa_inst_pref_size 1
		.amdhsa_round_robin_scheduling 0
		.amdhsa_exception_fp_ieee_invalid_op 0
		.amdhsa_exception_fp_denorm_src 0
		.amdhsa_exception_fp_ieee_div_zero 0
		.amdhsa_exception_fp_ieee_overflow 0
		.amdhsa_exception_fp_ieee_underflow 0
		.amdhsa_exception_fp_ieee_inexact 0
		.amdhsa_exception_int_div_zero 0
	.end_amdhsa_kernel
	.section	.text._Z39paged_attention_ll4mi_QKV_mfma16_kernelI14__hip_bfloat16hLN4vllm18Fp8KVCacheDataTypeE1EhLi16ELi64ELi256ELb1ELi2EEvPKT_PKT0_S8_ifPKiSA_SA_iPKfiiiPfSD_PS3_PT2_iSC_SC_,"axG",@progbits,_Z39paged_attention_ll4mi_QKV_mfma16_kernelI14__hip_bfloat16hLN4vllm18Fp8KVCacheDataTypeE1EhLi16ELi64ELi256ELb1ELi2EEvPKT_PKT0_S8_ifPKiSA_SA_iPKfiiiPfSD_PS3_PT2_iSC_SC_,comdat
.Lfunc_end1107:
	.size	_Z39paged_attention_ll4mi_QKV_mfma16_kernelI14__hip_bfloat16hLN4vllm18Fp8KVCacheDataTypeE1EhLi16ELi64ELi256ELb1ELi2EEvPKT_PKT0_S8_ifPKiSA_SA_iPKfiiiPfSD_PS3_PT2_iSC_SC_, .Lfunc_end1107-_Z39paged_attention_ll4mi_QKV_mfma16_kernelI14__hip_bfloat16hLN4vllm18Fp8KVCacheDataTypeE1EhLi16ELi64ELi256ELb1ELi2EEvPKT_PKT0_S8_ifPKiSA_SA_iPKfiiiPfSD_PS3_PT2_iSC_SC_
                                        ; -- End function
	.set _Z39paged_attention_ll4mi_QKV_mfma16_kernelI14__hip_bfloat16hLN4vllm18Fp8KVCacheDataTypeE1EhLi16ELi64ELi256ELb1ELi2EEvPKT_PKT0_S8_ifPKiSA_SA_iPKfiiiPfSD_PS3_PT2_iSC_SC_.num_vgpr, max(3, .L__assert_fail.num_vgpr)
	.set _Z39paged_attention_ll4mi_QKV_mfma16_kernelI14__hip_bfloat16hLN4vllm18Fp8KVCacheDataTypeE1EhLi16ELi64ELi256ELb1ELi2EEvPKT_PKT0_S8_ifPKiSA_SA_iPKfiiiPfSD_PS3_PT2_iSC_SC_.num_agpr, max(0, .L__assert_fail.num_agpr)
	.set _Z39paged_attention_ll4mi_QKV_mfma16_kernelI14__hip_bfloat16hLN4vllm18Fp8KVCacheDataTypeE1EhLi16ELi64ELi256ELb1ELi2EEvPKT_PKT0_S8_ifPKiSA_SA_iPKfiiiPfSD_PS3_PT2_iSC_SC_.numbered_sgpr, max(33, .L__assert_fail.numbered_sgpr)
	.set _Z39paged_attention_ll4mi_QKV_mfma16_kernelI14__hip_bfloat16hLN4vllm18Fp8KVCacheDataTypeE1EhLi16ELi64ELi256ELb1ELi2EEvPKT_PKT0_S8_ifPKiSA_SA_iPKfiiiPfSD_PS3_PT2_iSC_SC_.num_named_barrier, max(0, .L__assert_fail.num_named_barrier)
	.set _Z39paged_attention_ll4mi_QKV_mfma16_kernelI14__hip_bfloat16hLN4vllm18Fp8KVCacheDataTypeE1EhLi16ELi64ELi256ELb1ELi2EEvPKT_PKT0_S8_ifPKiSA_SA_iPKfiiiPfSD_PS3_PT2_iSC_SC_.private_seg_size, 0+max(.L__assert_fail.private_seg_size)
	.set _Z39paged_attention_ll4mi_QKV_mfma16_kernelI14__hip_bfloat16hLN4vllm18Fp8KVCacheDataTypeE1EhLi16ELi64ELi256ELb1ELi2EEvPKT_PKT0_S8_ifPKiSA_SA_iPKfiiiPfSD_PS3_PT2_iSC_SC_.uses_vcc, or(1, .L__assert_fail.uses_vcc)
	.set _Z39paged_attention_ll4mi_QKV_mfma16_kernelI14__hip_bfloat16hLN4vllm18Fp8KVCacheDataTypeE1EhLi16ELi64ELi256ELb1ELi2EEvPKT_PKT0_S8_ifPKiSA_SA_iPKfiiiPfSD_PS3_PT2_iSC_SC_.uses_flat_scratch, or(0, .L__assert_fail.uses_flat_scratch)
	.set _Z39paged_attention_ll4mi_QKV_mfma16_kernelI14__hip_bfloat16hLN4vllm18Fp8KVCacheDataTypeE1EhLi16ELi64ELi256ELb1ELi2EEvPKT_PKT0_S8_ifPKiSA_SA_iPKfiiiPfSD_PS3_PT2_iSC_SC_.has_dyn_sized_stack, or(0, .L__assert_fail.has_dyn_sized_stack)
	.set _Z39paged_attention_ll4mi_QKV_mfma16_kernelI14__hip_bfloat16hLN4vllm18Fp8KVCacheDataTypeE1EhLi16ELi64ELi256ELb1ELi2EEvPKT_PKT0_S8_ifPKiSA_SA_iPKfiiiPfSD_PS3_PT2_iSC_SC_.has_recursion, or(0, .L__assert_fail.has_recursion)
	.set _Z39paged_attention_ll4mi_QKV_mfma16_kernelI14__hip_bfloat16hLN4vllm18Fp8KVCacheDataTypeE1EhLi16ELi64ELi256ELb1ELi2EEvPKT_PKT0_S8_ifPKiSA_SA_iPKfiiiPfSD_PS3_PT2_iSC_SC_.has_indirect_call, or(0, .L__assert_fail.has_indirect_call)
	.section	.AMDGPU.csdata,"",@progbits
; Kernel info:
; codeLenInByte = 68
; TotalNumSgprs: 36
; NumVgprs: 51
; ScratchSize: 64
; MemoryBound: 0
; FloatMode: 240
; IeeeMode: 1
; LDSByteSize: 0 bytes/workgroup (compile time only)
; SGPRBlocks: 0
; VGPRBlocks: 3
; NumSGPRsForWavesPerEU: 36
; NumVGPRsForWavesPerEU: 51
; NamedBarCnt: 0
; Occupancy: 16
; WaveLimiterHint : 1
; COMPUTE_PGM_RSRC2:SCRATCH_EN: 1
; COMPUTE_PGM_RSRC2:USER_SGPR: 2
; COMPUTE_PGM_RSRC2:TRAP_HANDLER: 0
; COMPUTE_PGM_RSRC2:TGID_X_EN: 1
; COMPUTE_PGM_RSRC2:TGID_Y_EN: 0
; COMPUTE_PGM_RSRC2:TGID_Z_EN: 0
; COMPUTE_PGM_RSRC2:TIDIG_COMP_CNT: 0
	.section	.text._Z39paged_attention_ll4mi_QKV_mfma16_kernelI14__hip_bfloat16hLN4vllm18Fp8KVCacheDataTypeE1EhLi16ELi64ELi256ELb1ELi3EEvPKT_PKT0_S8_ifPKiSA_SA_iPKfiiiPfSD_PS3_PT2_iSC_SC_,"axG",@progbits,_Z39paged_attention_ll4mi_QKV_mfma16_kernelI14__hip_bfloat16hLN4vllm18Fp8KVCacheDataTypeE1EhLi16ELi64ELi256ELb1ELi3EEvPKT_PKT0_S8_ifPKiSA_SA_iPKfiiiPfSD_PS3_PT2_iSC_SC_,comdat
	.protected	_Z39paged_attention_ll4mi_QKV_mfma16_kernelI14__hip_bfloat16hLN4vllm18Fp8KVCacheDataTypeE1EhLi16ELi64ELi256ELb1ELi3EEvPKT_PKT0_S8_ifPKiSA_SA_iPKfiiiPfSD_PS3_PT2_iSC_SC_ ; -- Begin function _Z39paged_attention_ll4mi_QKV_mfma16_kernelI14__hip_bfloat16hLN4vllm18Fp8KVCacheDataTypeE1EhLi16ELi64ELi256ELb1ELi3EEvPKT_PKT0_S8_ifPKiSA_SA_iPKfiiiPfSD_PS3_PT2_iSC_SC_
	.globl	_Z39paged_attention_ll4mi_QKV_mfma16_kernelI14__hip_bfloat16hLN4vllm18Fp8KVCacheDataTypeE1EhLi16ELi64ELi256ELb1ELi3EEvPKT_PKT0_S8_ifPKiSA_SA_iPKfiiiPfSD_PS3_PT2_iSC_SC_
	.p2align	8
	.type	_Z39paged_attention_ll4mi_QKV_mfma16_kernelI14__hip_bfloat16hLN4vllm18Fp8KVCacheDataTypeE1EhLi16ELi64ELi256ELb1ELi3EEvPKT_PKT0_S8_ifPKiSA_SA_iPKfiiiPfSD_PS3_PT2_iSC_SC_,@function
_Z39paged_attention_ll4mi_QKV_mfma16_kernelI14__hip_bfloat16hLN4vllm18Fp8KVCacheDataTypeE1EhLi16ELi64ELi256ELb1ELi3EEvPKT_PKT0_S8_ifPKiSA_SA_iPKfiiiPfSD_PS3_PT2_iSC_SC_: ; @_Z39paged_attention_ll4mi_QKV_mfma16_kernelI14__hip_bfloat16hLN4vllm18Fp8KVCacheDataTypeE1EhLi16ELi64ELi256ELb1ELi3EEvPKT_PKT0_S8_ifPKiSA_SA_iPKfiiiPfSD_PS3_PT2_iSC_SC_
; %bb.0:
	s_get_pc_i64 s[2:3]
	s_add_nc_u64 s[2:3], s[2:3], __PRETTY_FUNCTION__._Z39paged_attention_ll4mi_QKV_mfma16_kernelI14__hip_bfloat16hLN4vllm18Fp8KVCacheDataTypeE1EhLi16ELi64ELi256ELb1ELi3EEvPKT_PKT0_S8_ifPKiSA_SA_iPKfiiiPfSD_PS3_PT2_iSC_SC_@rel64+4
	s_delay_alu instid0(SALU_CYCLE_1)
	v_dual_mov_b32 v0, 0xbb3 :: v_dual_mov_b32 v1, s2
	v_mov_b32_e32 v2, s3
	s_add_nc_u64 s[8:9], s[0:1], 0x90
	s_get_pc_i64 s[0:1]
	s_add_nc_u64 s[0:1], s[0:1], __assert_fail@rel64+4
	s_mov_b32 s32, 0
	s_swap_pc_i64 s[30:31], s[0:1]
	.section	.rodata,"a",@progbits
	.p2align	6, 0x0
	.amdhsa_kernel _Z39paged_attention_ll4mi_QKV_mfma16_kernelI14__hip_bfloat16hLN4vllm18Fp8KVCacheDataTypeE1EhLi16ELi64ELi256ELb1ELi3EEvPKT_PKT0_S8_ifPKiSA_SA_iPKfiiiPfSD_PS3_PT2_iSC_SC_
		.amdhsa_group_segment_fixed_size 0
		.amdhsa_private_segment_fixed_size 64
		.amdhsa_kernarg_size 400
		.amdhsa_user_sgpr_count 2
		.amdhsa_user_sgpr_dispatch_ptr 0
		.amdhsa_user_sgpr_queue_ptr 0
		.amdhsa_user_sgpr_kernarg_segment_ptr 1
		.amdhsa_user_sgpr_dispatch_id 0
		.amdhsa_user_sgpr_kernarg_preload_length 0
		.amdhsa_user_sgpr_kernarg_preload_offset 0
		.amdhsa_user_sgpr_private_segment_size 0
		.amdhsa_wavefront_size32 1
		.amdhsa_uses_dynamic_stack 0
		.amdhsa_enable_private_segment 1
		.amdhsa_system_sgpr_workgroup_id_x 1
		.amdhsa_system_sgpr_workgroup_id_y 0
		.amdhsa_system_sgpr_workgroup_id_z 0
		.amdhsa_system_sgpr_workgroup_info 0
		.amdhsa_system_vgpr_workitem_id 0
		.amdhsa_next_free_vgpr 51
		.amdhsa_next_free_sgpr 34
		.amdhsa_named_barrier_count 0
		.amdhsa_reserve_vcc 1
		.amdhsa_float_round_mode_32 0
		.amdhsa_float_round_mode_16_64 0
		.amdhsa_float_denorm_mode_32 3
		.amdhsa_float_denorm_mode_16_64 3
		.amdhsa_fp16_overflow 0
		.amdhsa_memory_ordered 1
		.amdhsa_forward_progress 1
		.amdhsa_inst_pref_size 1
		.amdhsa_round_robin_scheduling 0
		.amdhsa_exception_fp_ieee_invalid_op 0
		.amdhsa_exception_fp_denorm_src 0
		.amdhsa_exception_fp_ieee_div_zero 0
		.amdhsa_exception_fp_ieee_overflow 0
		.amdhsa_exception_fp_ieee_underflow 0
		.amdhsa_exception_fp_ieee_inexact 0
		.amdhsa_exception_int_div_zero 0
	.end_amdhsa_kernel
	.section	.text._Z39paged_attention_ll4mi_QKV_mfma16_kernelI14__hip_bfloat16hLN4vllm18Fp8KVCacheDataTypeE1EhLi16ELi64ELi256ELb1ELi3EEvPKT_PKT0_S8_ifPKiSA_SA_iPKfiiiPfSD_PS3_PT2_iSC_SC_,"axG",@progbits,_Z39paged_attention_ll4mi_QKV_mfma16_kernelI14__hip_bfloat16hLN4vllm18Fp8KVCacheDataTypeE1EhLi16ELi64ELi256ELb1ELi3EEvPKT_PKT0_S8_ifPKiSA_SA_iPKfiiiPfSD_PS3_PT2_iSC_SC_,comdat
.Lfunc_end1108:
	.size	_Z39paged_attention_ll4mi_QKV_mfma16_kernelI14__hip_bfloat16hLN4vllm18Fp8KVCacheDataTypeE1EhLi16ELi64ELi256ELb1ELi3EEvPKT_PKT0_S8_ifPKiSA_SA_iPKfiiiPfSD_PS3_PT2_iSC_SC_, .Lfunc_end1108-_Z39paged_attention_ll4mi_QKV_mfma16_kernelI14__hip_bfloat16hLN4vllm18Fp8KVCacheDataTypeE1EhLi16ELi64ELi256ELb1ELi3EEvPKT_PKT0_S8_ifPKiSA_SA_iPKfiiiPfSD_PS3_PT2_iSC_SC_
                                        ; -- End function
	.set _Z39paged_attention_ll4mi_QKV_mfma16_kernelI14__hip_bfloat16hLN4vllm18Fp8KVCacheDataTypeE1EhLi16ELi64ELi256ELb1ELi3EEvPKT_PKT0_S8_ifPKiSA_SA_iPKfiiiPfSD_PS3_PT2_iSC_SC_.num_vgpr, max(3, .L__assert_fail.num_vgpr)
	.set _Z39paged_attention_ll4mi_QKV_mfma16_kernelI14__hip_bfloat16hLN4vllm18Fp8KVCacheDataTypeE1EhLi16ELi64ELi256ELb1ELi3EEvPKT_PKT0_S8_ifPKiSA_SA_iPKfiiiPfSD_PS3_PT2_iSC_SC_.num_agpr, max(0, .L__assert_fail.num_agpr)
	.set _Z39paged_attention_ll4mi_QKV_mfma16_kernelI14__hip_bfloat16hLN4vllm18Fp8KVCacheDataTypeE1EhLi16ELi64ELi256ELb1ELi3EEvPKT_PKT0_S8_ifPKiSA_SA_iPKfiiiPfSD_PS3_PT2_iSC_SC_.numbered_sgpr, max(33, .L__assert_fail.numbered_sgpr)
	.set _Z39paged_attention_ll4mi_QKV_mfma16_kernelI14__hip_bfloat16hLN4vllm18Fp8KVCacheDataTypeE1EhLi16ELi64ELi256ELb1ELi3EEvPKT_PKT0_S8_ifPKiSA_SA_iPKfiiiPfSD_PS3_PT2_iSC_SC_.num_named_barrier, max(0, .L__assert_fail.num_named_barrier)
	.set _Z39paged_attention_ll4mi_QKV_mfma16_kernelI14__hip_bfloat16hLN4vllm18Fp8KVCacheDataTypeE1EhLi16ELi64ELi256ELb1ELi3EEvPKT_PKT0_S8_ifPKiSA_SA_iPKfiiiPfSD_PS3_PT2_iSC_SC_.private_seg_size, 0+max(.L__assert_fail.private_seg_size)
	.set _Z39paged_attention_ll4mi_QKV_mfma16_kernelI14__hip_bfloat16hLN4vllm18Fp8KVCacheDataTypeE1EhLi16ELi64ELi256ELb1ELi3EEvPKT_PKT0_S8_ifPKiSA_SA_iPKfiiiPfSD_PS3_PT2_iSC_SC_.uses_vcc, or(1, .L__assert_fail.uses_vcc)
	.set _Z39paged_attention_ll4mi_QKV_mfma16_kernelI14__hip_bfloat16hLN4vllm18Fp8KVCacheDataTypeE1EhLi16ELi64ELi256ELb1ELi3EEvPKT_PKT0_S8_ifPKiSA_SA_iPKfiiiPfSD_PS3_PT2_iSC_SC_.uses_flat_scratch, or(0, .L__assert_fail.uses_flat_scratch)
	.set _Z39paged_attention_ll4mi_QKV_mfma16_kernelI14__hip_bfloat16hLN4vllm18Fp8KVCacheDataTypeE1EhLi16ELi64ELi256ELb1ELi3EEvPKT_PKT0_S8_ifPKiSA_SA_iPKfiiiPfSD_PS3_PT2_iSC_SC_.has_dyn_sized_stack, or(0, .L__assert_fail.has_dyn_sized_stack)
	.set _Z39paged_attention_ll4mi_QKV_mfma16_kernelI14__hip_bfloat16hLN4vllm18Fp8KVCacheDataTypeE1EhLi16ELi64ELi256ELb1ELi3EEvPKT_PKT0_S8_ifPKiSA_SA_iPKfiiiPfSD_PS3_PT2_iSC_SC_.has_recursion, or(0, .L__assert_fail.has_recursion)
	.set _Z39paged_attention_ll4mi_QKV_mfma16_kernelI14__hip_bfloat16hLN4vllm18Fp8KVCacheDataTypeE1EhLi16ELi64ELi256ELb1ELi3EEvPKT_PKT0_S8_ifPKiSA_SA_iPKfiiiPfSD_PS3_PT2_iSC_SC_.has_indirect_call, or(0, .L__assert_fail.has_indirect_call)
	.section	.AMDGPU.csdata,"",@progbits
; Kernel info:
; codeLenInByte = 68
; TotalNumSgprs: 36
; NumVgprs: 51
; ScratchSize: 64
; MemoryBound: 0
; FloatMode: 240
; IeeeMode: 1
; LDSByteSize: 0 bytes/workgroup (compile time only)
; SGPRBlocks: 0
; VGPRBlocks: 3
; NumSGPRsForWavesPerEU: 36
; NumVGPRsForWavesPerEU: 51
; NamedBarCnt: 0
; Occupancy: 16
; WaveLimiterHint : 1
; COMPUTE_PGM_RSRC2:SCRATCH_EN: 1
; COMPUTE_PGM_RSRC2:USER_SGPR: 2
; COMPUTE_PGM_RSRC2:TRAP_HANDLER: 0
; COMPUTE_PGM_RSRC2:TGID_X_EN: 1
; COMPUTE_PGM_RSRC2:TGID_Y_EN: 0
; COMPUTE_PGM_RSRC2:TGID_Z_EN: 0
; COMPUTE_PGM_RSRC2:TIDIG_COMP_CNT: 0
	.section	.text._Z39paged_attention_ll4mi_QKV_mfma16_kernelI14__hip_bfloat16hLN4vllm18Fp8KVCacheDataTypeE1EhLi16ELi64ELi256ELb1ELi4EEvPKT_PKT0_S8_ifPKiSA_SA_iPKfiiiPfSD_PS3_PT2_iSC_SC_,"axG",@progbits,_Z39paged_attention_ll4mi_QKV_mfma16_kernelI14__hip_bfloat16hLN4vllm18Fp8KVCacheDataTypeE1EhLi16ELi64ELi256ELb1ELi4EEvPKT_PKT0_S8_ifPKiSA_SA_iPKfiiiPfSD_PS3_PT2_iSC_SC_,comdat
	.protected	_Z39paged_attention_ll4mi_QKV_mfma16_kernelI14__hip_bfloat16hLN4vllm18Fp8KVCacheDataTypeE1EhLi16ELi64ELi256ELb1ELi4EEvPKT_PKT0_S8_ifPKiSA_SA_iPKfiiiPfSD_PS3_PT2_iSC_SC_ ; -- Begin function _Z39paged_attention_ll4mi_QKV_mfma16_kernelI14__hip_bfloat16hLN4vllm18Fp8KVCacheDataTypeE1EhLi16ELi64ELi256ELb1ELi4EEvPKT_PKT0_S8_ifPKiSA_SA_iPKfiiiPfSD_PS3_PT2_iSC_SC_
	.globl	_Z39paged_attention_ll4mi_QKV_mfma16_kernelI14__hip_bfloat16hLN4vllm18Fp8KVCacheDataTypeE1EhLi16ELi64ELi256ELb1ELi4EEvPKT_PKT0_S8_ifPKiSA_SA_iPKfiiiPfSD_PS3_PT2_iSC_SC_
	.p2align	8
	.type	_Z39paged_attention_ll4mi_QKV_mfma16_kernelI14__hip_bfloat16hLN4vllm18Fp8KVCacheDataTypeE1EhLi16ELi64ELi256ELb1ELi4EEvPKT_PKT0_S8_ifPKiSA_SA_iPKfiiiPfSD_PS3_PT2_iSC_SC_,@function
_Z39paged_attention_ll4mi_QKV_mfma16_kernelI14__hip_bfloat16hLN4vllm18Fp8KVCacheDataTypeE1EhLi16ELi64ELi256ELb1ELi4EEvPKT_PKT0_S8_ifPKiSA_SA_iPKfiiiPfSD_PS3_PT2_iSC_SC_: ; @_Z39paged_attention_ll4mi_QKV_mfma16_kernelI14__hip_bfloat16hLN4vllm18Fp8KVCacheDataTypeE1EhLi16ELi64ELi256ELb1ELi4EEvPKT_PKT0_S8_ifPKiSA_SA_iPKfiiiPfSD_PS3_PT2_iSC_SC_
; %bb.0:
	s_get_pc_i64 s[2:3]
	s_add_nc_u64 s[2:3], s[2:3], __PRETTY_FUNCTION__._Z39paged_attention_ll4mi_QKV_mfma16_kernelI14__hip_bfloat16hLN4vllm18Fp8KVCacheDataTypeE1EhLi16ELi64ELi256ELb1ELi4EEvPKT_PKT0_S8_ifPKiSA_SA_iPKfiiiPfSD_PS3_PT2_iSC_SC_@rel64+4
	s_delay_alu instid0(SALU_CYCLE_1)
	v_dual_mov_b32 v0, 0xbb3 :: v_dual_mov_b32 v1, s2
	v_mov_b32_e32 v2, s3
	s_add_nc_u64 s[8:9], s[0:1], 0x90
	s_get_pc_i64 s[0:1]
	s_add_nc_u64 s[0:1], s[0:1], __assert_fail@rel64+4
	s_mov_b32 s32, 0
	s_swap_pc_i64 s[30:31], s[0:1]
	.section	.rodata,"a",@progbits
	.p2align	6, 0x0
	.amdhsa_kernel _Z39paged_attention_ll4mi_QKV_mfma16_kernelI14__hip_bfloat16hLN4vllm18Fp8KVCacheDataTypeE1EhLi16ELi64ELi256ELb1ELi4EEvPKT_PKT0_S8_ifPKiSA_SA_iPKfiiiPfSD_PS3_PT2_iSC_SC_
		.amdhsa_group_segment_fixed_size 0
		.amdhsa_private_segment_fixed_size 64
		.amdhsa_kernarg_size 400
		.amdhsa_user_sgpr_count 2
		.amdhsa_user_sgpr_dispatch_ptr 0
		.amdhsa_user_sgpr_queue_ptr 0
		.amdhsa_user_sgpr_kernarg_segment_ptr 1
		.amdhsa_user_sgpr_dispatch_id 0
		.amdhsa_user_sgpr_kernarg_preload_length 0
		.amdhsa_user_sgpr_kernarg_preload_offset 0
		.amdhsa_user_sgpr_private_segment_size 0
		.amdhsa_wavefront_size32 1
		.amdhsa_uses_dynamic_stack 0
		.amdhsa_enable_private_segment 1
		.amdhsa_system_sgpr_workgroup_id_x 1
		.amdhsa_system_sgpr_workgroup_id_y 0
		.amdhsa_system_sgpr_workgroup_id_z 0
		.amdhsa_system_sgpr_workgroup_info 0
		.amdhsa_system_vgpr_workitem_id 0
		.amdhsa_next_free_vgpr 51
		.amdhsa_next_free_sgpr 34
		.amdhsa_named_barrier_count 0
		.amdhsa_reserve_vcc 1
		.amdhsa_float_round_mode_32 0
		.amdhsa_float_round_mode_16_64 0
		.amdhsa_float_denorm_mode_32 3
		.amdhsa_float_denorm_mode_16_64 3
		.amdhsa_fp16_overflow 0
		.amdhsa_memory_ordered 1
		.amdhsa_forward_progress 1
		.amdhsa_inst_pref_size 1
		.amdhsa_round_robin_scheduling 0
		.amdhsa_exception_fp_ieee_invalid_op 0
		.amdhsa_exception_fp_denorm_src 0
		.amdhsa_exception_fp_ieee_div_zero 0
		.amdhsa_exception_fp_ieee_overflow 0
		.amdhsa_exception_fp_ieee_underflow 0
		.amdhsa_exception_fp_ieee_inexact 0
		.amdhsa_exception_int_div_zero 0
	.end_amdhsa_kernel
	.section	.text._Z39paged_attention_ll4mi_QKV_mfma16_kernelI14__hip_bfloat16hLN4vllm18Fp8KVCacheDataTypeE1EhLi16ELi64ELi256ELb1ELi4EEvPKT_PKT0_S8_ifPKiSA_SA_iPKfiiiPfSD_PS3_PT2_iSC_SC_,"axG",@progbits,_Z39paged_attention_ll4mi_QKV_mfma16_kernelI14__hip_bfloat16hLN4vllm18Fp8KVCacheDataTypeE1EhLi16ELi64ELi256ELb1ELi4EEvPKT_PKT0_S8_ifPKiSA_SA_iPKfiiiPfSD_PS3_PT2_iSC_SC_,comdat
.Lfunc_end1109:
	.size	_Z39paged_attention_ll4mi_QKV_mfma16_kernelI14__hip_bfloat16hLN4vllm18Fp8KVCacheDataTypeE1EhLi16ELi64ELi256ELb1ELi4EEvPKT_PKT0_S8_ifPKiSA_SA_iPKfiiiPfSD_PS3_PT2_iSC_SC_, .Lfunc_end1109-_Z39paged_attention_ll4mi_QKV_mfma16_kernelI14__hip_bfloat16hLN4vllm18Fp8KVCacheDataTypeE1EhLi16ELi64ELi256ELb1ELi4EEvPKT_PKT0_S8_ifPKiSA_SA_iPKfiiiPfSD_PS3_PT2_iSC_SC_
                                        ; -- End function
	.set _Z39paged_attention_ll4mi_QKV_mfma16_kernelI14__hip_bfloat16hLN4vllm18Fp8KVCacheDataTypeE1EhLi16ELi64ELi256ELb1ELi4EEvPKT_PKT0_S8_ifPKiSA_SA_iPKfiiiPfSD_PS3_PT2_iSC_SC_.num_vgpr, max(3, .L__assert_fail.num_vgpr)
	.set _Z39paged_attention_ll4mi_QKV_mfma16_kernelI14__hip_bfloat16hLN4vllm18Fp8KVCacheDataTypeE1EhLi16ELi64ELi256ELb1ELi4EEvPKT_PKT0_S8_ifPKiSA_SA_iPKfiiiPfSD_PS3_PT2_iSC_SC_.num_agpr, max(0, .L__assert_fail.num_agpr)
	.set _Z39paged_attention_ll4mi_QKV_mfma16_kernelI14__hip_bfloat16hLN4vllm18Fp8KVCacheDataTypeE1EhLi16ELi64ELi256ELb1ELi4EEvPKT_PKT0_S8_ifPKiSA_SA_iPKfiiiPfSD_PS3_PT2_iSC_SC_.numbered_sgpr, max(33, .L__assert_fail.numbered_sgpr)
	.set _Z39paged_attention_ll4mi_QKV_mfma16_kernelI14__hip_bfloat16hLN4vllm18Fp8KVCacheDataTypeE1EhLi16ELi64ELi256ELb1ELi4EEvPKT_PKT0_S8_ifPKiSA_SA_iPKfiiiPfSD_PS3_PT2_iSC_SC_.num_named_barrier, max(0, .L__assert_fail.num_named_barrier)
	.set _Z39paged_attention_ll4mi_QKV_mfma16_kernelI14__hip_bfloat16hLN4vllm18Fp8KVCacheDataTypeE1EhLi16ELi64ELi256ELb1ELi4EEvPKT_PKT0_S8_ifPKiSA_SA_iPKfiiiPfSD_PS3_PT2_iSC_SC_.private_seg_size, 0+max(.L__assert_fail.private_seg_size)
	.set _Z39paged_attention_ll4mi_QKV_mfma16_kernelI14__hip_bfloat16hLN4vllm18Fp8KVCacheDataTypeE1EhLi16ELi64ELi256ELb1ELi4EEvPKT_PKT0_S8_ifPKiSA_SA_iPKfiiiPfSD_PS3_PT2_iSC_SC_.uses_vcc, or(1, .L__assert_fail.uses_vcc)
	.set _Z39paged_attention_ll4mi_QKV_mfma16_kernelI14__hip_bfloat16hLN4vllm18Fp8KVCacheDataTypeE1EhLi16ELi64ELi256ELb1ELi4EEvPKT_PKT0_S8_ifPKiSA_SA_iPKfiiiPfSD_PS3_PT2_iSC_SC_.uses_flat_scratch, or(0, .L__assert_fail.uses_flat_scratch)
	.set _Z39paged_attention_ll4mi_QKV_mfma16_kernelI14__hip_bfloat16hLN4vllm18Fp8KVCacheDataTypeE1EhLi16ELi64ELi256ELb1ELi4EEvPKT_PKT0_S8_ifPKiSA_SA_iPKfiiiPfSD_PS3_PT2_iSC_SC_.has_dyn_sized_stack, or(0, .L__assert_fail.has_dyn_sized_stack)
	.set _Z39paged_attention_ll4mi_QKV_mfma16_kernelI14__hip_bfloat16hLN4vllm18Fp8KVCacheDataTypeE1EhLi16ELi64ELi256ELb1ELi4EEvPKT_PKT0_S8_ifPKiSA_SA_iPKfiiiPfSD_PS3_PT2_iSC_SC_.has_recursion, or(0, .L__assert_fail.has_recursion)
	.set _Z39paged_attention_ll4mi_QKV_mfma16_kernelI14__hip_bfloat16hLN4vllm18Fp8KVCacheDataTypeE1EhLi16ELi64ELi256ELb1ELi4EEvPKT_PKT0_S8_ifPKiSA_SA_iPKfiiiPfSD_PS3_PT2_iSC_SC_.has_indirect_call, or(0, .L__assert_fail.has_indirect_call)
	.section	.AMDGPU.csdata,"",@progbits
; Kernel info:
; codeLenInByte = 68
; TotalNumSgprs: 36
; NumVgprs: 51
; ScratchSize: 64
; MemoryBound: 0
; FloatMode: 240
; IeeeMode: 1
; LDSByteSize: 0 bytes/workgroup (compile time only)
; SGPRBlocks: 0
; VGPRBlocks: 3
; NumSGPRsForWavesPerEU: 36
; NumVGPRsForWavesPerEU: 51
; NamedBarCnt: 0
; Occupancy: 16
; WaveLimiterHint : 1
; COMPUTE_PGM_RSRC2:SCRATCH_EN: 1
; COMPUTE_PGM_RSRC2:USER_SGPR: 2
; COMPUTE_PGM_RSRC2:TRAP_HANDLER: 0
; COMPUTE_PGM_RSRC2:TGID_X_EN: 1
; COMPUTE_PGM_RSRC2:TGID_Y_EN: 0
; COMPUTE_PGM_RSRC2:TGID_Z_EN: 0
; COMPUTE_PGM_RSRC2:TIDIG_COMP_CNT: 0
	.section	.text._Z38paged_attention_ll4mi_QKV_mfma4_kernelI14__hip_bfloat16hLN4vllm18Fp8KVCacheDataTypeE1EhLi16ELi64ELi256ELb0ELi1EEvPKT_PKT0_S8_ifPKiSA_SA_iPKfiiiPfSD_PS3_PT2_iSC_SC_,"axG",@progbits,_Z38paged_attention_ll4mi_QKV_mfma4_kernelI14__hip_bfloat16hLN4vllm18Fp8KVCacheDataTypeE1EhLi16ELi64ELi256ELb0ELi1EEvPKT_PKT0_S8_ifPKiSA_SA_iPKfiiiPfSD_PS3_PT2_iSC_SC_,comdat
	.protected	_Z38paged_attention_ll4mi_QKV_mfma4_kernelI14__hip_bfloat16hLN4vllm18Fp8KVCacheDataTypeE1EhLi16ELi64ELi256ELb0ELi1EEvPKT_PKT0_S8_ifPKiSA_SA_iPKfiiiPfSD_PS3_PT2_iSC_SC_ ; -- Begin function _Z38paged_attention_ll4mi_QKV_mfma4_kernelI14__hip_bfloat16hLN4vllm18Fp8KVCacheDataTypeE1EhLi16ELi64ELi256ELb0ELi1EEvPKT_PKT0_S8_ifPKiSA_SA_iPKfiiiPfSD_PS3_PT2_iSC_SC_
	.globl	_Z38paged_attention_ll4mi_QKV_mfma4_kernelI14__hip_bfloat16hLN4vllm18Fp8KVCacheDataTypeE1EhLi16ELi64ELi256ELb0ELi1EEvPKT_PKT0_S8_ifPKiSA_SA_iPKfiiiPfSD_PS3_PT2_iSC_SC_
	.p2align	8
	.type	_Z38paged_attention_ll4mi_QKV_mfma4_kernelI14__hip_bfloat16hLN4vllm18Fp8KVCacheDataTypeE1EhLi16ELi64ELi256ELb0ELi1EEvPKT_PKT0_S8_ifPKiSA_SA_iPKfiiiPfSD_PS3_PT2_iSC_SC_,@function
_Z38paged_attention_ll4mi_QKV_mfma4_kernelI14__hip_bfloat16hLN4vllm18Fp8KVCacheDataTypeE1EhLi16ELi64ELi256ELb0ELi1EEvPKT_PKT0_S8_ifPKiSA_SA_iPKfiiiPfSD_PS3_PT2_iSC_SC_: ; @_Z38paged_attention_ll4mi_QKV_mfma4_kernelI14__hip_bfloat16hLN4vllm18Fp8KVCacheDataTypeE1EhLi16ELi64ELi256ELb0ELi1EEvPKT_PKT0_S8_ifPKiSA_SA_iPKfiiiPfSD_PS3_PT2_iSC_SC_
; %bb.0:
	s_get_pc_i64 s[2:3]
	s_add_nc_u64 s[2:3], s[2:3], __PRETTY_FUNCTION__._Z38paged_attention_ll4mi_QKV_mfma4_kernelI14__hip_bfloat16hLN4vllm18Fp8KVCacheDataTypeE1EhLi16ELi64ELi256ELb0ELi1EEvPKT_PKT0_S8_ifPKiSA_SA_iPKfiiiPfSD_PS3_PT2_iSC_SC_@rel64+4
	s_delay_alu instid0(SALU_CYCLE_1)
	v_dual_mov_b32 v0, 0xbce :: v_dual_mov_b32 v1, s2
	v_mov_b32_e32 v2, s3
	s_add_nc_u64 s[8:9], s[0:1], 0x90
	s_get_pc_i64 s[0:1]
	s_add_nc_u64 s[0:1], s[0:1], __assert_fail@rel64+4
	s_mov_b32 s32, 0
	s_swap_pc_i64 s[30:31], s[0:1]
	.section	.rodata,"a",@progbits
	.p2align	6, 0x0
	.amdhsa_kernel _Z38paged_attention_ll4mi_QKV_mfma4_kernelI14__hip_bfloat16hLN4vllm18Fp8KVCacheDataTypeE1EhLi16ELi64ELi256ELb0ELi1EEvPKT_PKT0_S8_ifPKiSA_SA_iPKfiiiPfSD_PS3_PT2_iSC_SC_
		.amdhsa_group_segment_fixed_size 0
		.amdhsa_private_segment_fixed_size 64
		.amdhsa_kernarg_size 400
		.amdhsa_user_sgpr_count 2
		.amdhsa_user_sgpr_dispatch_ptr 0
		.amdhsa_user_sgpr_queue_ptr 0
		.amdhsa_user_sgpr_kernarg_segment_ptr 1
		.amdhsa_user_sgpr_dispatch_id 0
		.amdhsa_user_sgpr_kernarg_preload_length 0
		.amdhsa_user_sgpr_kernarg_preload_offset 0
		.amdhsa_user_sgpr_private_segment_size 0
		.amdhsa_wavefront_size32 1
		.amdhsa_uses_dynamic_stack 0
		.amdhsa_enable_private_segment 1
		.amdhsa_system_sgpr_workgroup_id_x 1
		.amdhsa_system_sgpr_workgroup_id_y 0
		.amdhsa_system_sgpr_workgroup_id_z 0
		.amdhsa_system_sgpr_workgroup_info 0
		.amdhsa_system_vgpr_workitem_id 0
		.amdhsa_next_free_vgpr 51
		.amdhsa_next_free_sgpr 34
		.amdhsa_named_barrier_count 0
		.amdhsa_reserve_vcc 1
		.amdhsa_float_round_mode_32 0
		.amdhsa_float_round_mode_16_64 0
		.amdhsa_float_denorm_mode_32 3
		.amdhsa_float_denorm_mode_16_64 3
		.amdhsa_fp16_overflow 0
		.amdhsa_memory_ordered 1
		.amdhsa_forward_progress 1
		.amdhsa_inst_pref_size 1
		.amdhsa_round_robin_scheduling 0
		.amdhsa_exception_fp_ieee_invalid_op 0
		.amdhsa_exception_fp_denorm_src 0
		.amdhsa_exception_fp_ieee_div_zero 0
		.amdhsa_exception_fp_ieee_overflow 0
		.amdhsa_exception_fp_ieee_underflow 0
		.amdhsa_exception_fp_ieee_inexact 0
		.amdhsa_exception_int_div_zero 0
	.end_amdhsa_kernel
	.section	.text._Z38paged_attention_ll4mi_QKV_mfma4_kernelI14__hip_bfloat16hLN4vllm18Fp8KVCacheDataTypeE1EhLi16ELi64ELi256ELb0ELi1EEvPKT_PKT0_S8_ifPKiSA_SA_iPKfiiiPfSD_PS3_PT2_iSC_SC_,"axG",@progbits,_Z38paged_attention_ll4mi_QKV_mfma4_kernelI14__hip_bfloat16hLN4vllm18Fp8KVCacheDataTypeE1EhLi16ELi64ELi256ELb0ELi1EEvPKT_PKT0_S8_ifPKiSA_SA_iPKfiiiPfSD_PS3_PT2_iSC_SC_,comdat
.Lfunc_end1110:
	.size	_Z38paged_attention_ll4mi_QKV_mfma4_kernelI14__hip_bfloat16hLN4vllm18Fp8KVCacheDataTypeE1EhLi16ELi64ELi256ELb0ELi1EEvPKT_PKT0_S8_ifPKiSA_SA_iPKfiiiPfSD_PS3_PT2_iSC_SC_, .Lfunc_end1110-_Z38paged_attention_ll4mi_QKV_mfma4_kernelI14__hip_bfloat16hLN4vllm18Fp8KVCacheDataTypeE1EhLi16ELi64ELi256ELb0ELi1EEvPKT_PKT0_S8_ifPKiSA_SA_iPKfiiiPfSD_PS3_PT2_iSC_SC_
                                        ; -- End function
	.set _Z38paged_attention_ll4mi_QKV_mfma4_kernelI14__hip_bfloat16hLN4vllm18Fp8KVCacheDataTypeE1EhLi16ELi64ELi256ELb0ELi1EEvPKT_PKT0_S8_ifPKiSA_SA_iPKfiiiPfSD_PS3_PT2_iSC_SC_.num_vgpr, max(3, .L__assert_fail.num_vgpr)
	.set _Z38paged_attention_ll4mi_QKV_mfma4_kernelI14__hip_bfloat16hLN4vllm18Fp8KVCacheDataTypeE1EhLi16ELi64ELi256ELb0ELi1EEvPKT_PKT0_S8_ifPKiSA_SA_iPKfiiiPfSD_PS3_PT2_iSC_SC_.num_agpr, max(0, .L__assert_fail.num_agpr)
	.set _Z38paged_attention_ll4mi_QKV_mfma4_kernelI14__hip_bfloat16hLN4vllm18Fp8KVCacheDataTypeE1EhLi16ELi64ELi256ELb0ELi1EEvPKT_PKT0_S8_ifPKiSA_SA_iPKfiiiPfSD_PS3_PT2_iSC_SC_.numbered_sgpr, max(33, .L__assert_fail.numbered_sgpr)
	.set _Z38paged_attention_ll4mi_QKV_mfma4_kernelI14__hip_bfloat16hLN4vllm18Fp8KVCacheDataTypeE1EhLi16ELi64ELi256ELb0ELi1EEvPKT_PKT0_S8_ifPKiSA_SA_iPKfiiiPfSD_PS3_PT2_iSC_SC_.num_named_barrier, max(0, .L__assert_fail.num_named_barrier)
	.set _Z38paged_attention_ll4mi_QKV_mfma4_kernelI14__hip_bfloat16hLN4vllm18Fp8KVCacheDataTypeE1EhLi16ELi64ELi256ELb0ELi1EEvPKT_PKT0_S8_ifPKiSA_SA_iPKfiiiPfSD_PS3_PT2_iSC_SC_.private_seg_size, 0+max(.L__assert_fail.private_seg_size)
	.set _Z38paged_attention_ll4mi_QKV_mfma4_kernelI14__hip_bfloat16hLN4vllm18Fp8KVCacheDataTypeE1EhLi16ELi64ELi256ELb0ELi1EEvPKT_PKT0_S8_ifPKiSA_SA_iPKfiiiPfSD_PS3_PT2_iSC_SC_.uses_vcc, or(1, .L__assert_fail.uses_vcc)
	.set _Z38paged_attention_ll4mi_QKV_mfma4_kernelI14__hip_bfloat16hLN4vllm18Fp8KVCacheDataTypeE1EhLi16ELi64ELi256ELb0ELi1EEvPKT_PKT0_S8_ifPKiSA_SA_iPKfiiiPfSD_PS3_PT2_iSC_SC_.uses_flat_scratch, or(0, .L__assert_fail.uses_flat_scratch)
	.set _Z38paged_attention_ll4mi_QKV_mfma4_kernelI14__hip_bfloat16hLN4vllm18Fp8KVCacheDataTypeE1EhLi16ELi64ELi256ELb0ELi1EEvPKT_PKT0_S8_ifPKiSA_SA_iPKfiiiPfSD_PS3_PT2_iSC_SC_.has_dyn_sized_stack, or(0, .L__assert_fail.has_dyn_sized_stack)
	.set _Z38paged_attention_ll4mi_QKV_mfma4_kernelI14__hip_bfloat16hLN4vllm18Fp8KVCacheDataTypeE1EhLi16ELi64ELi256ELb0ELi1EEvPKT_PKT0_S8_ifPKiSA_SA_iPKfiiiPfSD_PS3_PT2_iSC_SC_.has_recursion, or(0, .L__assert_fail.has_recursion)
	.set _Z38paged_attention_ll4mi_QKV_mfma4_kernelI14__hip_bfloat16hLN4vllm18Fp8KVCacheDataTypeE1EhLi16ELi64ELi256ELb0ELi1EEvPKT_PKT0_S8_ifPKiSA_SA_iPKfiiiPfSD_PS3_PT2_iSC_SC_.has_indirect_call, or(0, .L__assert_fail.has_indirect_call)
	.section	.AMDGPU.csdata,"",@progbits
; Kernel info:
; codeLenInByte = 68
; TotalNumSgprs: 36
; NumVgprs: 51
; ScratchSize: 64
; MemoryBound: 0
; FloatMode: 240
; IeeeMode: 1
; LDSByteSize: 0 bytes/workgroup (compile time only)
; SGPRBlocks: 0
; VGPRBlocks: 3
; NumSGPRsForWavesPerEU: 36
; NumVGPRsForWavesPerEU: 51
; NamedBarCnt: 0
; Occupancy: 16
; WaveLimiterHint : 1
; COMPUTE_PGM_RSRC2:SCRATCH_EN: 1
; COMPUTE_PGM_RSRC2:USER_SGPR: 2
; COMPUTE_PGM_RSRC2:TRAP_HANDLER: 0
; COMPUTE_PGM_RSRC2:TGID_X_EN: 1
; COMPUTE_PGM_RSRC2:TGID_Y_EN: 0
; COMPUTE_PGM_RSRC2:TGID_Z_EN: 0
; COMPUTE_PGM_RSRC2:TIDIG_COMP_CNT: 0
	.section	.text._Z38paged_attention_ll4mi_QKV_mfma4_kernelI14__hip_bfloat16hLN4vllm18Fp8KVCacheDataTypeE1EhLi16ELi64ELi256ELb0ELi2EEvPKT_PKT0_S8_ifPKiSA_SA_iPKfiiiPfSD_PS3_PT2_iSC_SC_,"axG",@progbits,_Z38paged_attention_ll4mi_QKV_mfma4_kernelI14__hip_bfloat16hLN4vllm18Fp8KVCacheDataTypeE1EhLi16ELi64ELi256ELb0ELi2EEvPKT_PKT0_S8_ifPKiSA_SA_iPKfiiiPfSD_PS3_PT2_iSC_SC_,comdat
	.protected	_Z38paged_attention_ll4mi_QKV_mfma4_kernelI14__hip_bfloat16hLN4vllm18Fp8KVCacheDataTypeE1EhLi16ELi64ELi256ELb0ELi2EEvPKT_PKT0_S8_ifPKiSA_SA_iPKfiiiPfSD_PS3_PT2_iSC_SC_ ; -- Begin function _Z38paged_attention_ll4mi_QKV_mfma4_kernelI14__hip_bfloat16hLN4vllm18Fp8KVCacheDataTypeE1EhLi16ELi64ELi256ELb0ELi2EEvPKT_PKT0_S8_ifPKiSA_SA_iPKfiiiPfSD_PS3_PT2_iSC_SC_
	.globl	_Z38paged_attention_ll4mi_QKV_mfma4_kernelI14__hip_bfloat16hLN4vllm18Fp8KVCacheDataTypeE1EhLi16ELi64ELi256ELb0ELi2EEvPKT_PKT0_S8_ifPKiSA_SA_iPKfiiiPfSD_PS3_PT2_iSC_SC_
	.p2align	8
	.type	_Z38paged_attention_ll4mi_QKV_mfma4_kernelI14__hip_bfloat16hLN4vllm18Fp8KVCacheDataTypeE1EhLi16ELi64ELi256ELb0ELi2EEvPKT_PKT0_S8_ifPKiSA_SA_iPKfiiiPfSD_PS3_PT2_iSC_SC_,@function
_Z38paged_attention_ll4mi_QKV_mfma4_kernelI14__hip_bfloat16hLN4vllm18Fp8KVCacheDataTypeE1EhLi16ELi64ELi256ELb0ELi2EEvPKT_PKT0_S8_ifPKiSA_SA_iPKfiiiPfSD_PS3_PT2_iSC_SC_: ; @_Z38paged_attention_ll4mi_QKV_mfma4_kernelI14__hip_bfloat16hLN4vllm18Fp8KVCacheDataTypeE1EhLi16ELi64ELi256ELb0ELi2EEvPKT_PKT0_S8_ifPKiSA_SA_iPKfiiiPfSD_PS3_PT2_iSC_SC_
; %bb.0:
	s_get_pc_i64 s[2:3]
	s_add_nc_u64 s[2:3], s[2:3], __PRETTY_FUNCTION__._Z38paged_attention_ll4mi_QKV_mfma4_kernelI14__hip_bfloat16hLN4vllm18Fp8KVCacheDataTypeE1EhLi16ELi64ELi256ELb0ELi2EEvPKT_PKT0_S8_ifPKiSA_SA_iPKfiiiPfSD_PS3_PT2_iSC_SC_@rel64+4
	s_delay_alu instid0(SALU_CYCLE_1)
	v_dual_mov_b32 v0, 0xbce :: v_dual_mov_b32 v1, s2
	v_mov_b32_e32 v2, s3
	s_add_nc_u64 s[8:9], s[0:1], 0x90
	s_get_pc_i64 s[0:1]
	s_add_nc_u64 s[0:1], s[0:1], __assert_fail@rel64+4
	s_mov_b32 s32, 0
	s_swap_pc_i64 s[30:31], s[0:1]
	.section	.rodata,"a",@progbits
	.p2align	6, 0x0
	.amdhsa_kernel _Z38paged_attention_ll4mi_QKV_mfma4_kernelI14__hip_bfloat16hLN4vllm18Fp8KVCacheDataTypeE1EhLi16ELi64ELi256ELb0ELi2EEvPKT_PKT0_S8_ifPKiSA_SA_iPKfiiiPfSD_PS3_PT2_iSC_SC_
		.amdhsa_group_segment_fixed_size 0
		.amdhsa_private_segment_fixed_size 64
		.amdhsa_kernarg_size 400
		.amdhsa_user_sgpr_count 2
		.amdhsa_user_sgpr_dispatch_ptr 0
		.amdhsa_user_sgpr_queue_ptr 0
		.amdhsa_user_sgpr_kernarg_segment_ptr 1
		.amdhsa_user_sgpr_dispatch_id 0
		.amdhsa_user_sgpr_kernarg_preload_length 0
		.amdhsa_user_sgpr_kernarg_preload_offset 0
		.amdhsa_user_sgpr_private_segment_size 0
		.amdhsa_wavefront_size32 1
		.amdhsa_uses_dynamic_stack 0
		.amdhsa_enable_private_segment 1
		.amdhsa_system_sgpr_workgroup_id_x 1
		.amdhsa_system_sgpr_workgroup_id_y 0
		.amdhsa_system_sgpr_workgroup_id_z 0
		.amdhsa_system_sgpr_workgroup_info 0
		.amdhsa_system_vgpr_workitem_id 0
		.amdhsa_next_free_vgpr 51
		.amdhsa_next_free_sgpr 34
		.amdhsa_named_barrier_count 0
		.amdhsa_reserve_vcc 1
		.amdhsa_float_round_mode_32 0
		.amdhsa_float_round_mode_16_64 0
		.amdhsa_float_denorm_mode_32 3
		.amdhsa_float_denorm_mode_16_64 3
		.amdhsa_fp16_overflow 0
		.amdhsa_memory_ordered 1
		.amdhsa_forward_progress 1
		.amdhsa_inst_pref_size 1
		.amdhsa_round_robin_scheduling 0
		.amdhsa_exception_fp_ieee_invalid_op 0
		.amdhsa_exception_fp_denorm_src 0
		.amdhsa_exception_fp_ieee_div_zero 0
		.amdhsa_exception_fp_ieee_overflow 0
		.amdhsa_exception_fp_ieee_underflow 0
		.amdhsa_exception_fp_ieee_inexact 0
		.amdhsa_exception_int_div_zero 0
	.end_amdhsa_kernel
	.section	.text._Z38paged_attention_ll4mi_QKV_mfma4_kernelI14__hip_bfloat16hLN4vllm18Fp8KVCacheDataTypeE1EhLi16ELi64ELi256ELb0ELi2EEvPKT_PKT0_S8_ifPKiSA_SA_iPKfiiiPfSD_PS3_PT2_iSC_SC_,"axG",@progbits,_Z38paged_attention_ll4mi_QKV_mfma4_kernelI14__hip_bfloat16hLN4vllm18Fp8KVCacheDataTypeE1EhLi16ELi64ELi256ELb0ELi2EEvPKT_PKT0_S8_ifPKiSA_SA_iPKfiiiPfSD_PS3_PT2_iSC_SC_,comdat
.Lfunc_end1111:
	.size	_Z38paged_attention_ll4mi_QKV_mfma4_kernelI14__hip_bfloat16hLN4vllm18Fp8KVCacheDataTypeE1EhLi16ELi64ELi256ELb0ELi2EEvPKT_PKT0_S8_ifPKiSA_SA_iPKfiiiPfSD_PS3_PT2_iSC_SC_, .Lfunc_end1111-_Z38paged_attention_ll4mi_QKV_mfma4_kernelI14__hip_bfloat16hLN4vllm18Fp8KVCacheDataTypeE1EhLi16ELi64ELi256ELb0ELi2EEvPKT_PKT0_S8_ifPKiSA_SA_iPKfiiiPfSD_PS3_PT2_iSC_SC_
                                        ; -- End function
	.set _Z38paged_attention_ll4mi_QKV_mfma4_kernelI14__hip_bfloat16hLN4vllm18Fp8KVCacheDataTypeE1EhLi16ELi64ELi256ELb0ELi2EEvPKT_PKT0_S8_ifPKiSA_SA_iPKfiiiPfSD_PS3_PT2_iSC_SC_.num_vgpr, max(3, .L__assert_fail.num_vgpr)
	.set _Z38paged_attention_ll4mi_QKV_mfma4_kernelI14__hip_bfloat16hLN4vllm18Fp8KVCacheDataTypeE1EhLi16ELi64ELi256ELb0ELi2EEvPKT_PKT0_S8_ifPKiSA_SA_iPKfiiiPfSD_PS3_PT2_iSC_SC_.num_agpr, max(0, .L__assert_fail.num_agpr)
	.set _Z38paged_attention_ll4mi_QKV_mfma4_kernelI14__hip_bfloat16hLN4vllm18Fp8KVCacheDataTypeE1EhLi16ELi64ELi256ELb0ELi2EEvPKT_PKT0_S8_ifPKiSA_SA_iPKfiiiPfSD_PS3_PT2_iSC_SC_.numbered_sgpr, max(33, .L__assert_fail.numbered_sgpr)
	.set _Z38paged_attention_ll4mi_QKV_mfma4_kernelI14__hip_bfloat16hLN4vllm18Fp8KVCacheDataTypeE1EhLi16ELi64ELi256ELb0ELi2EEvPKT_PKT0_S8_ifPKiSA_SA_iPKfiiiPfSD_PS3_PT2_iSC_SC_.num_named_barrier, max(0, .L__assert_fail.num_named_barrier)
	.set _Z38paged_attention_ll4mi_QKV_mfma4_kernelI14__hip_bfloat16hLN4vllm18Fp8KVCacheDataTypeE1EhLi16ELi64ELi256ELb0ELi2EEvPKT_PKT0_S8_ifPKiSA_SA_iPKfiiiPfSD_PS3_PT2_iSC_SC_.private_seg_size, 0+max(.L__assert_fail.private_seg_size)
	.set _Z38paged_attention_ll4mi_QKV_mfma4_kernelI14__hip_bfloat16hLN4vllm18Fp8KVCacheDataTypeE1EhLi16ELi64ELi256ELb0ELi2EEvPKT_PKT0_S8_ifPKiSA_SA_iPKfiiiPfSD_PS3_PT2_iSC_SC_.uses_vcc, or(1, .L__assert_fail.uses_vcc)
	.set _Z38paged_attention_ll4mi_QKV_mfma4_kernelI14__hip_bfloat16hLN4vllm18Fp8KVCacheDataTypeE1EhLi16ELi64ELi256ELb0ELi2EEvPKT_PKT0_S8_ifPKiSA_SA_iPKfiiiPfSD_PS3_PT2_iSC_SC_.uses_flat_scratch, or(0, .L__assert_fail.uses_flat_scratch)
	.set _Z38paged_attention_ll4mi_QKV_mfma4_kernelI14__hip_bfloat16hLN4vllm18Fp8KVCacheDataTypeE1EhLi16ELi64ELi256ELb0ELi2EEvPKT_PKT0_S8_ifPKiSA_SA_iPKfiiiPfSD_PS3_PT2_iSC_SC_.has_dyn_sized_stack, or(0, .L__assert_fail.has_dyn_sized_stack)
	.set _Z38paged_attention_ll4mi_QKV_mfma4_kernelI14__hip_bfloat16hLN4vllm18Fp8KVCacheDataTypeE1EhLi16ELi64ELi256ELb0ELi2EEvPKT_PKT0_S8_ifPKiSA_SA_iPKfiiiPfSD_PS3_PT2_iSC_SC_.has_recursion, or(0, .L__assert_fail.has_recursion)
	.set _Z38paged_attention_ll4mi_QKV_mfma4_kernelI14__hip_bfloat16hLN4vllm18Fp8KVCacheDataTypeE1EhLi16ELi64ELi256ELb0ELi2EEvPKT_PKT0_S8_ifPKiSA_SA_iPKfiiiPfSD_PS3_PT2_iSC_SC_.has_indirect_call, or(0, .L__assert_fail.has_indirect_call)
	.section	.AMDGPU.csdata,"",@progbits
; Kernel info:
; codeLenInByte = 68
; TotalNumSgprs: 36
; NumVgprs: 51
; ScratchSize: 64
; MemoryBound: 0
; FloatMode: 240
; IeeeMode: 1
; LDSByteSize: 0 bytes/workgroup (compile time only)
; SGPRBlocks: 0
; VGPRBlocks: 3
; NumSGPRsForWavesPerEU: 36
; NumVGPRsForWavesPerEU: 51
; NamedBarCnt: 0
; Occupancy: 16
; WaveLimiterHint : 1
; COMPUTE_PGM_RSRC2:SCRATCH_EN: 1
; COMPUTE_PGM_RSRC2:USER_SGPR: 2
; COMPUTE_PGM_RSRC2:TRAP_HANDLER: 0
; COMPUTE_PGM_RSRC2:TGID_X_EN: 1
; COMPUTE_PGM_RSRC2:TGID_Y_EN: 0
; COMPUTE_PGM_RSRC2:TGID_Z_EN: 0
; COMPUTE_PGM_RSRC2:TIDIG_COMP_CNT: 0
	.section	.text._Z38paged_attention_ll4mi_QKV_mfma4_kernelI14__hip_bfloat16hLN4vllm18Fp8KVCacheDataTypeE1EhLi16ELi64ELi256ELb0ELi3EEvPKT_PKT0_S8_ifPKiSA_SA_iPKfiiiPfSD_PS3_PT2_iSC_SC_,"axG",@progbits,_Z38paged_attention_ll4mi_QKV_mfma4_kernelI14__hip_bfloat16hLN4vllm18Fp8KVCacheDataTypeE1EhLi16ELi64ELi256ELb0ELi3EEvPKT_PKT0_S8_ifPKiSA_SA_iPKfiiiPfSD_PS3_PT2_iSC_SC_,comdat
	.protected	_Z38paged_attention_ll4mi_QKV_mfma4_kernelI14__hip_bfloat16hLN4vllm18Fp8KVCacheDataTypeE1EhLi16ELi64ELi256ELb0ELi3EEvPKT_PKT0_S8_ifPKiSA_SA_iPKfiiiPfSD_PS3_PT2_iSC_SC_ ; -- Begin function _Z38paged_attention_ll4mi_QKV_mfma4_kernelI14__hip_bfloat16hLN4vllm18Fp8KVCacheDataTypeE1EhLi16ELi64ELi256ELb0ELi3EEvPKT_PKT0_S8_ifPKiSA_SA_iPKfiiiPfSD_PS3_PT2_iSC_SC_
	.globl	_Z38paged_attention_ll4mi_QKV_mfma4_kernelI14__hip_bfloat16hLN4vllm18Fp8KVCacheDataTypeE1EhLi16ELi64ELi256ELb0ELi3EEvPKT_PKT0_S8_ifPKiSA_SA_iPKfiiiPfSD_PS3_PT2_iSC_SC_
	.p2align	8
	.type	_Z38paged_attention_ll4mi_QKV_mfma4_kernelI14__hip_bfloat16hLN4vllm18Fp8KVCacheDataTypeE1EhLi16ELi64ELi256ELb0ELi3EEvPKT_PKT0_S8_ifPKiSA_SA_iPKfiiiPfSD_PS3_PT2_iSC_SC_,@function
_Z38paged_attention_ll4mi_QKV_mfma4_kernelI14__hip_bfloat16hLN4vllm18Fp8KVCacheDataTypeE1EhLi16ELi64ELi256ELb0ELi3EEvPKT_PKT0_S8_ifPKiSA_SA_iPKfiiiPfSD_PS3_PT2_iSC_SC_: ; @_Z38paged_attention_ll4mi_QKV_mfma4_kernelI14__hip_bfloat16hLN4vllm18Fp8KVCacheDataTypeE1EhLi16ELi64ELi256ELb0ELi3EEvPKT_PKT0_S8_ifPKiSA_SA_iPKfiiiPfSD_PS3_PT2_iSC_SC_
; %bb.0:
	s_get_pc_i64 s[2:3]
	s_add_nc_u64 s[2:3], s[2:3], __PRETTY_FUNCTION__._Z38paged_attention_ll4mi_QKV_mfma4_kernelI14__hip_bfloat16hLN4vllm18Fp8KVCacheDataTypeE1EhLi16ELi64ELi256ELb0ELi3EEvPKT_PKT0_S8_ifPKiSA_SA_iPKfiiiPfSD_PS3_PT2_iSC_SC_@rel64+4
	s_delay_alu instid0(SALU_CYCLE_1)
	v_dual_mov_b32 v0, 0xbce :: v_dual_mov_b32 v1, s2
	v_mov_b32_e32 v2, s3
	s_add_nc_u64 s[8:9], s[0:1], 0x90
	s_get_pc_i64 s[0:1]
	s_add_nc_u64 s[0:1], s[0:1], __assert_fail@rel64+4
	s_mov_b32 s32, 0
	s_swap_pc_i64 s[30:31], s[0:1]
	.section	.rodata,"a",@progbits
	.p2align	6, 0x0
	.amdhsa_kernel _Z38paged_attention_ll4mi_QKV_mfma4_kernelI14__hip_bfloat16hLN4vllm18Fp8KVCacheDataTypeE1EhLi16ELi64ELi256ELb0ELi3EEvPKT_PKT0_S8_ifPKiSA_SA_iPKfiiiPfSD_PS3_PT2_iSC_SC_
		.amdhsa_group_segment_fixed_size 0
		.amdhsa_private_segment_fixed_size 64
		.amdhsa_kernarg_size 400
		.amdhsa_user_sgpr_count 2
		.amdhsa_user_sgpr_dispatch_ptr 0
		.amdhsa_user_sgpr_queue_ptr 0
		.amdhsa_user_sgpr_kernarg_segment_ptr 1
		.amdhsa_user_sgpr_dispatch_id 0
		.amdhsa_user_sgpr_kernarg_preload_length 0
		.amdhsa_user_sgpr_kernarg_preload_offset 0
		.amdhsa_user_sgpr_private_segment_size 0
		.amdhsa_wavefront_size32 1
		.amdhsa_uses_dynamic_stack 0
		.amdhsa_enable_private_segment 1
		.amdhsa_system_sgpr_workgroup_id_x 1
		.amdhsa_system_sgpr_workgroup_id_y 0
		.amdhsa_system_sgpr_workgroup_id_z 0
		.amdhsa_system_sgpr_workgroup_info 0
		.amdhsa_system_vgpr_workitem_id 0
		.amdhsa_next_free_vgpr 51
		.amdhsa_next_free_sgpr 34
		.amdhsa_named_barrier_count 0
		.amdhsa_reserve_vcc 1
		.amdhsa_float_round_mode_32 0
		.amdhsa_float_round_mode_16_64 0
		.amdhsa_float_denorm_mode_32 3
		.amdhsa_float_denorm_mode_16_64 3
		.amdhsa_fp16_overflow 0
		.amdhsa_memory_ordered 1
		.amdhsa_forward_progress 1
		.amdhsa_inst_pref_size 1
		.amdhsa_round_robin_scheduling 0
		.amdhsa_exception_fp_ieee_invalid_op 0
		.amdhsa_exception_fp_denorm_src 0
		.amdhsa_exception_fp_ieee_div_zero 0
		.amdhsa_exception_fp_ieee_overflow 0
		.amdhsa_exception_fp_ieee_underflow 0
		.amdhsa_exception_fp_ieee_inexact 0
		.amdhsa_exception_int_div_zero 0
	.end_amdhsa_kernel
	.section	.text._Z38paged_attention_ll4mi_QKV_mfma4_kernelI14__hip_bfloat16hLN4vllm18Fp8KVCacheDataTypeE1EhLi16ELi64ELi256ELb0ELi3EEvPKT_PKT0_S8_ifPKiSA_SA_iPKfiiiPfSD_PS3_PT2_iSC_SC_,"axG",@progbits,_Z38paged_attention_ll4mi_QKV_mfma4_kernelI14__hip_bfloat16hLN4vllm18Fp8KVCacheDataTypeE1EhLi16ELi64ELi256ELb0ELi3EEvPKT_PKT0_S8_ifPKiSA_SA_iPKfiiiPfSD_PS3_PT2_iSC_SC_,comdat
.Lfunc_end1112:
	.size	_Z38paged_attention_ll4mi_QKV_mfma4_kernelI14__hip_bfloat16hLN4vllm18Fp8KVCacheDataTypeE1EhLi16ELi64ELi256ELb0ELi3EEvPKT_PKT0_S8_ifPKiSA_SA_iPKfiiiPfSD_PS3_PT2_iSC_SC_, .Lfunc_end1112-_Z38paged_attention_ll4mi_QKV_mfma4_kernelI14__hip_bfloat16hLN4vllm18Fp8KVCacheDataTypeE1EhLi16ELi64ELi256ELb0ELi3EEvPKT_PKT0_S8_ifPKiSA_SA_iPKfiiiPfSD_PS3_PT2_iSC_SC_
                                        ; -- End function
	.set _Z38paged_attention_ll4mi_QKV_mfma4_kernelI14__hip_bfloat16hLN4vllm18Fp8KVCacheDataTypeE1EhLi16ELi64ELi256ELb0ELi3EEvPKT_PKT0_S8_ifPKiSA_SA_iPKfiiiPfSD_PS3_PT2_iSC_SC_.num_vgpr, max(3, .L__assert_fail.num_vgpr)
	.set _Z38paged_attention_ll4mi_QKV_mfma4_kernelI14__hip_bfloat16hLN4vllm18Fp8KVCacheDataTypeE1EhLi16ELi64ELi256ELb0ELi3EEvPKT_PKT0_S8_ifPKiSA_SA_iPKfiiiPfSD_PS3_PT2_iSC_SC_.num_agpr, max(0, .L__assert_fail.num_agpr)
	.set _Z38paged_attention_ll4mi_QKV_mfma4_kernelI14__hip_bfloat16hLN4vllm18Fp8KVCacheDataTypeE1EhLi16ELi64ELi256ELb0ELi3EEvPKT_PKT0_S8_ifPKiSA_SA_iPKfiiiPfSD_PS3_PT2_iSC_SC_.numbered_sgpr, max(33, .L__assert_fail.numbered_sgpr)
	.set _Z38paged_attention_ll4mi_QKV_mfma4_kernelI14__hip_bfloat16hLN4vllm18Fp8KVCacheDataTypeE1EhLi16ELi64ELi256ELb0ELi3EEvPKT_PKT0_S8_ifPKiSA_SA_iPKfiiiPfSD_PS3_PT2_iSC_SC_.num_named_barrier, max(0, .L__assert_fail.num_named_barrier)
	.set _Z38paged_attention_ll4mi_QKV_mfma4_kernelI14__hip_bfloat16hLN4vllm18Fp8KVCacheDataTypeE1EhLi16ELi64ELi256ELb0ELi3EEvPKT_PKT0_S8_ifPKiSA_SA_iPKfiiiPfSD_PS3_PT2_iSC_SC_.private_seg_size, 0+max(.L__assert_fail.private_seg_size)
	.set _Z38paged_attention_ll4mi_QKV_mfma4_kernelI14__hip_bfloat16hLN4vllm18Fp8KVCacheDataTypeE1EhLi16ELi64ELi256ELb0ELi3EEvPKT_PKT0_S8_ifPKiSA_SA_iPKfiiiPfSD_PS3_PT2_iSC_SC_.uses_vcc, or(1, .L__assert_fail.uses_vcc)
	.set _Z38paged_attention_ll4mi_QKV_mfma4_kernelI14__hip_bfloat16hLN4vllm18Fp8KVCacheDataTypeE1EhLi16ELi64ELi256ELb0ELi3EEvPKT_PKT0_S8_ifPKiSA_SA_iPKfiiiPfSD_PS3_PT2_iSC_SC_.uses_flat_scratch, or(0, .L__assert_fail.uses_flat_scratch)
	.set _Z38paged_attention_ll4mi_QKV_mfma4_kernelI14__hip_bfloat16hLN4vllm18Fp8KVCacheDataTypeE1EhLi16ELi64ELi256ELb0ELi3EEvPKT_PKT0_S8_ifPKiSA_SA_iPKfiiiPfSD_PS3_PT2_iSC_SC_.has_dyn_sized_stack, or(0, .L__assert_fail.has_dyn_sized_stack)
	.set _Z38paged_attention_ll4mi_QKV_mfma4_kernelI14__hip_bfloat16hLN4vllm18Fp8KVCacheDataTypeE1EhLi16ELi64ELi256ELb0ELi3EEvPKT_PKT0_S8_ifPKiSA_SA_iPKfiiiPfSD_PS3_PT2_iSC_SC_.has_recursion, or(0, .L__assert_fail.has_recursion)
	.set _Z38paged_attention_ll4mi_QKV_mfma4_kernelI14__hip_bfloat16hLN4vllm18Fp8KVCacheDataTypeE1EhLi16ELi64ELi256ELb0ELi3EEvPKT_PKT0_S8_ifPKiSA_SA_iPKfiiiPfSD_PS3_PT2_iSC_SC_.has_indirect_call, or(0, .L__assert_fail.has_indirect_call)
	.section	.AMDGPU.csdata,"",@progbits
; Kernel info:
; codeLenInByte = 68
; TotalNumSgprs: 36
; NumVgprs: 51
; ScratchSize: 64
; MemoryBound: 0
; FloatMode: 240
; IeeeMode: 1
; LDSByteSize: 0 bytes/workgroup (compile time only)
; SGPRBlocks: 0
; VGPRBlocks: 3
; NumSGPRsForWavesPerEU: 36
; NumVGPRsForWavesPerEU: 51
; NamedBarCnt: 0
; Occupancy: 16
; WaveLimiterHint : 1
; COMPUTE_PGM_RSRC2:SCRATCH_EN: 1
; COMPUTE_PGM_RSRC2:USER_SGPR: 2
; COMPUTE_PGM_RSRC2:TRAP_HANDLER: 0
; COMPUTE_PGM_RSRC2:TGID_X_EN: 1
; COMPUTE_PGM_RSRC2:TGID_Y_EN: 0
; COMPUTE_PGM_RSRC2:TGID_Z_EN: 0
; COMPUTE_PGM_RSRC2:TIDIG_COMP_CNT: 0
	.section	.text._Z38paged_attention_ll4mi_QKV_mfma4_kernelI14__hip_bfloat16hLN4vllm18Fp8KVCacheDataTypeE1EhLi16ELi64ELi256ELb0ELi4EEvPKT_PKT0_S8_ifPKiSA_SA_iPKfiiiPfSD_PS3_PT2_iSC_SC_,"axG",@progbits,_Z38paged_attention_ll4mi_QKV_mfma4_kernelI14__hip_bfloat16hLN4vllm18Fp8KVCacheDataTypeE1EhLi16ELi64ELi256ELb0ELi4EEvPKT_PKT0_S8_ifPKiSA_SA_iPKfiiiPfSD_PS3_PT2_iSC_SC_,comdat
	.protected	_Z38paged_attention_ll4mi_QKV_mfma4_kernelI14__hip_bfloat16hLN4vllm18Fp8KVCacheDataTypeE1EhLi16ELi64ELi256ELb0ELi4EEvPKT_PKT0_S8_ifPKiSA_SA_iPKfiiiPfSD_PS3_PT2_iSC_SC_ ; -- Begin function _Z38paged_attention_ll4mi_QKV_mfma4_kernelI14__hip_bfloat16hLN4vllm18Fp8KVCacheDataTypeE1EhLi16ELi64ELi256ELb0ELi4EEvPKT_PKT0_S8_ifPKiSA_SA_iPKfiiiPfSD_PS3_PT2_iSC_SC_
	.globl	_Z38paged_attention_ll4mi_QKV_mfma4_kernelI14__hip_bfloat16hLN4vllm18Fp8KVCacheDataTypeE1EhLi16ELi64ELi256ELb0ELi4EEvPKT_PKT0_S8_ifPKiSA_SA_iPKfiiiPfSD_PS3_PT2_iSC_SC_
	.p2align	8
	.type	_Z38paged_attention_ll4mi_QKV_mfma4_kernelI14__hip_bfloat16hLN4vllm18Fp8KVCacheDataTypeE1EhLi16ELi64ELi256ELb0ELi4EEvPKT_PKT0_S8_ifPKiSA_SA_iPKfiiiPfSD_PS3_PT2_iSC_SC_,@function
_Z38paged_attention_ll4mi_QKV_mfma4_kernelI14__hip_bfloat16hLN4vllm18Fp8KVCacheDataTypeE1EhLi16ELi64ELi256ELb0ELi4EEvPKT_PKT0_S8_ifPKiSA_SA_iPKfiiiPfSD_PS3_PT2_iSC_SC_: ; @_Z38paged_attention_ll4mi_QKV_mfma4_kernelI14__hip_bfloat16hLN4vllm18Fp8KVCacheDataTypeE1EhLi16ELi64ELi256ELb0ELi4EEvPKT_PKT0_S8_ifPKiSA_SA_iPKfiiiPfSD_PS3_PT2_iSC_SC_
; %bb.0:
	s_get_pc_i64 s[2:3]
	s_add_nc_u64 s[2:3], s[2:3], __PRETTY_FUNCTION__._Z38paged_attention_ll4mi_QKV_mfma4_kernelI14__hip_bfloat16hLN4vllm18Fp8KVCacheDataTypeE1EhLi16ELi64ELi256ELb0ELi4EEvPKT_PKT0_S8_ifPKiSA_SA_iPKfiiiPfSD_PS3_PT2_iSC_SC_@rel64+4
	s_delay_alu instid0(SALU_CYCLE_1)
	v_dual_mov_b32 v0, 0xbce :: v_dual_mov_b32 v1, s2
	v_mov_b32_e32 v2, s3
	s_add_nc_u64 s[8:9], s[0:1], 0x90
	s_get_pc_i64 s[0:1]
	s_add_nc_u64 s[0:1], s[0:1], __assert_fail@rel64+4
	s_mov_b32 s32, 0
	s_swap_pc_i64 s[30:31], s[0:1]
	.section	.rodata,"a",@progbits
	.p2align	6, 0x0
	.amdhsa_kernel _Z38paged_attention_ll4mi_QKV_mfma4_kernelI14__hip_bfloat16hLN4vllm18Fp8KVCacheDataTypeE1EhLi16ELi64ELi256ELb0ELi4EEvPKT_PKT0_S8_ifPKiSA_SA_iPKfiiiPfSD_PS3_PT2_iSC_SC_
		.amdhsa_group_segment_fixed_size 0
		.amdhsa_private_segment_fixed_size 64
		.amdhsa_kernarg_size 400
		.amdhsa_user_sgpr_count 2
		.amdhsa_user_sgpr_dispatch_ptr 0
		.amdhsa_user_sgpr_queue_ptr 0
		.amdhsa_user_sgpr_kernarg_segment_ptr 1
		.amdhsa_user_sgpr_dispatch_id 0
		.amdhsa_user_sgpr_kernarg_preload_length 0
		.amdhsa_user_sgpr_kernarg_preload_offset 0
		.amdhsa_user_sgpr_private_segment_size 0
		.amdhsa_wavefront_size32 1
		.amdhsa_uses_dynamic_stack 0
		.amdhsa_enable_private_segment 1
		.amdhsa_system_sgpr_workgroup_id_x 1
		.amdhsa_system_sgpr_workgroup_id_y 0
		.amdhsa_system_sgpr_workgroup_id_z 0
		.amdhsa_system_sgpr_workgroup_info 0
		.amdhsa_system_vgpr_workitem_id 0
		.amdhsa_next_free_vgpr 51
		.amdhsa_next_free_sgpr 34
		.amdhsa_named_barrier_count 0
		.amdhsa_reserve_vcc 1
		.amdhsa_float_round_mode_32 0
		.amdhsa_float_round_mode_16_64 0
		.amdhsa_float_denorm_mode_32 3
		.amdhsa_float_denorm_mode_16_64 3
		.amdhsa_fp16_overflow 0
		.amdhsa_memory_ordered 1
		.amdhsa_forward_progress 1
		.amdhsa_inst_pref_size 1
		.amdhsa_round_robin_scheduling 0
		.amdhsa_exception_fp_ieee_invalid_op 0
		.amdhsa_exception_fp_denorm_src 0
		.amdhsa_exception_fp_ieee_div_zero 0
		.amdhsa_exception_fp_ieee_overflow 0
		.amdhsa_exception_fp_ieee_underflow 0
		.amdhsa_exception_fp_ieee_inexact 0
		.amdhsa_exception_int_div_zero 0
	.end_amdhsa_kernel
	.section	.text._Z38paged_attention_ll4mi_QKV_mfma4_kernelI14__hip_bfloat16hLN4vllm18Fp8KVCacheDataTypeE1EhLi16ELi64ELi256ELb0ELi4EEvPKT_PKT0_S8_ifPKiSA_SA_iPKfiiiPfSD_PS3_PT2_iSC_SC_,"axG",@progbits,_Z38paged_attention_ll4mi_QKV_mfma4_kernelI14__hip_bfloat16hLN4vllm18Fp8KVCacheDataTypeE1EhLi16ELi64ELi256ELb0ELi4EEvPKT_PKT0_S8_ifPKiSA_SA_iPKfiiiPfSD_PS3_PT2_iSC_SC_,comdat
.Lfunc_end1113:
	.size	_Z38paged_attention_ll4mi_QKV_mfma4_kernelI14__hip_bfloat16hLN4vllm18Fp8KVCacheDataTypeE1EhLi16ELi64ELi256ELb0ELi4EEvPKT_PKT0_S8_ifPKiSA_SA_iPKfiiiPfSD_PS3_PT2_iSC_SC_, .Lfunc_end1113-_Z38paged_attention_ll4mi_QKV_mfma4_kernelI14__hip_bfloat16hLN4vllm18Fp8KVCacheDataTypeE1EhLi16ELi64ELi256ELb0ELi4EEvPKT_PKT0_S8_ifPKiSA_SA_iPKfiiiPfSD_PS3_PT2_iSC_SC_
                                        ; -- End function
	.set _Z38paged_attention_ll4mi_QKV_mfma4_kernelI14__hip_bfloat16hLN4vllm18Fp8KVCacheDataTypeE1EhLi16ELi64ELi256ELb0ELi4EEvPKT_PKT0_S8_ifPKiSA_SA_iPKfiiiPfSD_PS3_PT2_iSC_SC_.num_vgpr, max(3, .L__assert_fail.num_vgpr)
	.set _Z38paged_attention_ll4mi_QKV_mfma4_kernelI14__hip_bfloat16hLN4vllm18Fp8KVCacheDataTypeE1EhLi16ELi64ELi256ELb0ELi4EEvPKT_PKT0_S8_ifPKiSA_SA_iPKfiiiPfSD_PS3_PT2_iSC_SC_.num_agpr, max(0, .L__assert_fail.num_agpr)
	.set _Z38paged_attention_ll4mi_QKV_mfma4_kernelI14__hip_bfloat16hLN4vllm18Fp8KVCacheDataTypeE1EhLi16ELi64ELi256ELb0ELi4EEvPKT_PKT0_S8_ifPKiSA_SA_iPKfiiiPfSD_PS3_PT2_iSC_SC_.numbered_sgpr, max(33, .L__assert_fail.numbered_sgpr)
	.set _Z38paged_attention_ll4mi_QKV_mfma4_kernelI14__hip_bfloat16hLN4vllm18Fp8KVCacheDataTypeE1EhLi16ELi64ELi256ELb0ELi4EEvPKT_PKT0_S8_ifPKiSA_SA_iPKfiiiPfSD_PS3_PT2_iSC_SC_.num_named_barrier, max(0, .L__assert_fail.num_named_barrier)
	.set _Z38paged_attention_ll4mi_QKV_mfma4_kernelI14__hip_bfloat16hLN4vllm18Fp8KVCacheDataTypeE1EhLi16ELi64ELi256ELb0ELi4EEvPKT_PKT0_S8_ifPKiSA_SA_iPKfiiiPfSD_PS3_PT2_iSC_SC_.private_seg_size, 0+max(.L__assert_fail.private_seg_size)
	.set _Z38paged_attention_ll4mi_QKV_mfma4_kernelI14__hip_bfloat16hLN4vllm18Fp8KVCacheDataTypeE1EhLi16ELi64ELi256ELb0ELi4EEvPKT_PKT0_S8_ifPKiSA_SA_iPKfiiiPfSD_PS3_PT2_iSC_SC_.uses_vcc, or(1, .L__assert_fail.uses_vcc)
	.set _Z38paged_attention_ll4mi_QKV_mfma4_kernelI14__hip_bfloat16hLN4vllm18Fp8KVCacheDataTypeE1EhLi16ELi64ELi256ELb0ELi4EEvPKT_PKT0_S8_ifPKiSA_SA_iPKfiiiPfSD_PS3_PT2_iSC_SC_.uses_flat_scratch, or(0, .L__assert_fail.uses_flat_scratch)
	.set _Z38paged_attention_ll4mi_QKV_mfma4_kernelI14__hip_bfloat16hLN4vllm18Fp8KVCacheDataTypeE1EhLi16ELi64ELi256ELb0ELi4EEvPKT_PKT0_S8_ifPKiSA_SA_iPKfiiiPfSD_PS3_PT2_iSC_SC_.has_dyn_sized_stack, or(0, .L__assert_fail.has_dyn_sized_stack)
	.set _Z38paged_attention_ll4mi_QKV_mfma4_kernelI14__hip_bfloat16hLN4vllm18Fp8KVCacheDataTypeE1EhLi16ELi64ELi256ELb0ELi4EEvPKT_PKT0_S8_ifPKiSA_SA_iPKfiiiPfSD_PS3_PT2_iSC_SC_.has_recursion, or(0, .L__assert_fail.has_recursion)
	.set _Z38paged_attention_ll4mi_QKV_mfma4_kernelI14__hip_bfloat16hLN4vllm18Fp8KVCacheDataTypeE1EhLi16ELi64ELi256ELb0ELi4EEvPKT_PKT0_S8_ifPKiSA_SA_iPKfiiiPfSD_PS3_PT2_iSC_SC_.has_indirect_call, or(0, .L__assert_fail.has_indirect_call)
	.section	.AMDGPU.csdata,"",@progbits
; Kernel info:
; codeLenInByte = 68
; TotalNumSgprs: 36
; NumVgprs: 51
; ScratchSize: 64
; MemoryBound: 0
; FloatMode: 240
; IeeeMode: 1
; LDSByteSize: 0 bytes/workgroup (compile time only)
; SGPRBlocks: 0
; VGPRBlocks: 3
; NumSGPRsForWavesPerEU: 36
; NumVGPRsForWavesPerEU: 51
; NamedBarCnt: 0
; Occupancy: 16
; WaveLimiterHint : 1
; COMPUTE_PGM_RSRC2:SCRATCH_EN: 1
; COMPUTE_PGM_RSRC2:USER_SGPR: 2
; COMPUTE_PGM_RSRC2:TRAP_HANDLER: 0
; COMPUTE_PGM_RSRC2:TGID_X_EN: 1
; COMPUTE_PGM_RSRC2:TGID_Y_EN: 0
; COMPUTE_PGM_RSRC2:TGID_Z_EN: 0
; COMPUTE_PGM_RSRC2:TIDIG_COMP_CNT: 0
	.section	.text._Z39paged_attention_ll4mi_QKV_mfma16_kernelI14__hip_bfloat16hLN4vllm18Fp8KVCacheDataTypeE1EhLi16ELi64ELi256ELb0ELi5EEvPKT_PKT0_S8_ifPKiSA_SA_iPKfiiiPfSD_PS3_PT2_iSC_SC_,"axG",@progbits,_Z39paged_attention_ll4mi_QKV_mfma16_kernelI14__hip_bfloat16hLN4vllm18Fp8KVCacheDataTypeE1EhLi16ELi64ELi256ELb0ELi5EEvPKT_PKT0_S8_ifPKiSA_SA_iPKfiiiPfSD_PS3_PT2_iSC_SC_,comdat
	.protected	_Z39paged_attention_ll4mi_QKV_mfma16_kernelI14__hip_bfloat16hLN4vllm18Fp8KVCacheDataTypeE1EhLi16ELi64ELi256ELb0ELi5EEvPKT_PKT0_S8_ifPKiSA_SA_iPKfiiiPfSD_PS3_PT2_iSC_SC_ ; -- Begin function _Z39paged_attention_ll4mi_QKV_mfma16_kernelI14__hip_bfloat16hLN4vllm18Fp8KVCacheDataTypeE1EhLi16ELi64ELi256ELb0ELi5EEvPKT_PKT0_S8_ifPKiSA_SA_iPKfiiiPfSD_PS3_PT2_iSC_SC_
	.globl	_Z39paged_attention_ll4mi_QKV_mfma16_kernelI14__hip_bfloat16hLN4vllm18Fp8KVCacheDataTypeE1EhLi16ELi64ELi256ELb0ELi5EEvPKT_PKT0_S8_ifPKiSA_SA_iPKfiiiPfSD_PS3_PT2_iSC_SC_
	.p2align	8
	.type	_Z39paged_attention_ll4mi_QKV_mfma16_kernelI14__hip_bfloat16hLN4vllm18Fp8KVCacheDataTypeE1EhLi16ELi64ELi256ELb0ELi5EEvPKT_PKT0_S8_ifPKiSA_SA_iPKfiiiPfSD_PS3_PT2_iSC_SC_,@function
_Z39paged_attention_ll4mi_QKV_mfma16_kernelI14__hip_bfloat16hLN4vllm18Fp8KVCacheDataTypeE1EhLi16ELi64ELi256ELb0ELi5EEvPKT_PKT0_S8_ifPKiSA_SA_iPKfiiiPfSD_PS3_PT2_iSC_SC_: ; @_Z39paged_attention_ll4mi_QKV_mfma16_kernelI14__hip_bfloat16hLN4vllm18Fp8KVCacheDataTypeE1EhLi16ELi64ELi256ELb0ELi5EEvPKT_PKT0_S8_ifPKiSA_SA_iPKfiiiPfSD_PS3_PT2_iSC_SC_
; %bb.0:
	s_get_pc_i64 s[2:3]
	s_add_nc_u64 s[2:3], s[2:3], __PRETTY_FUNCTION__._Z39paged_attention_ll4mi_QKV_mfma16_kernelI14__hip_bfloat16hLN4vllm18Fp8KVCacheDataTypeE1EhLi16ELi64ELi256ELb0ELi5EEvPKT_PKT0_S8_ifPKiSA_SA_iPKfiiiPfSD_PS3_PT2_iSC_SC_@rel64+4
	s_delay_alu instid0(SALU_CYCLE_1)
	v_dual_mov_b32 v0, 0xbb3 :: v_dual_mov_b32 v1, s2
	v_mov_b32_e32 v2, s3
	s_add_nc_u64 s[8:9], s[0:1], 0x90
	s_get_pc_i64 s[0:1]
	s_add_nc_u64 s[0:1], s[0:1], __assert_fail@rel64+4
	s_mov_b32 s32, 0
	s_swap_pc_i64 s[30:31], s[0:1]
	.section	.rodata,"a",@progbits
	.p2align	6, 0x0
	.amdhsa_kernel _Z39paged_attention_ll4mi_QKV_mfma16_kernelI14__hip_bfloat16hLN4vllm18Fp8KVCacheDataTypeE1EhLi16ELi64ELi256ELb0ELi5EEvPKT_PKT0_S8_ifPKiSA_SA_iPKfiiiPfSD_PS3_PT2_iSC_SC_
		.amdhsa_group_segment_fixed_size 0
		.amdhsa_private_segment_fixed_size 64
		.amdhsa_kernarg_size 400
		.amdhsa_user_sgpr_count 2
		.amdhsa_user_sgpr_dispatch_ptr 0
		.amdhsa_user_sgpr_queue_ptr 0
		.amdhsa_user_sgpr_kernarg_segment_ptr 1
		.amdhsa_user_sgpr_dispatch_id 0
		.amdhsa_user_sgpr_kernarg_preload_length 0
		.amdhsa_user_sgpr_kernarg_preload_offset 0
		.amdhsa_user_sgpr_private_segment_size 0
		.amdhsa_wavefront_size32 1
		.amdhsa_uses_dynamic_stack 0
		.amdhsa_enable_private_segment 1
		.amdhsa_system_sgpr_workgroup_id_x 1
		.amdhsa_system_sgpr_workgroup_id_y 0
		.amdhsa_system_sgpr_workgroup_id_z 0
		.amdhsa_system_sgpr_workgroup_info 0
		.amdhsa_system_vgpr_workitem_id 0
		.amdhsa_next_free_vgpr 51
		.amdhsa_next_free_sgpr 34
		.amdhsa_named_barrier_count 0
		.amdhsa_reserve_vcc 1
		.amdhsa_float_round_mode_32 0
		.amdhsa_float_round_mode_16_64 0
		.amdhsa_float_denorm_mode_32 3
		.amdhsa_float_denorm_mode_16_64 3
		.amdhsa_fp16_overflow 0
		.amdhsa_memory_ordered 1
		.amdhsa_forward_progress 1
		.amdhsa_inst_pref_size 1
		.amdhsa_round_robin_scheduling 0
		.amdhsa_exception_fp_ieee_invalid_op 0
		.amdhsa_exception_fp_denorm_src 0
		.amdhsa_exception_fp_ieee_div_zero 0
		.amdhsa_exception_fp_ieee_overflow 0
		.amdhsa_exception_fp_ieee_underflow 0
		.amdhsa_exception_fp_ieee_inexact 0
		.amdhsa_exception_int_div_zero 0
	.end_amdhsa_kernel
	.section	.text._Z39paged_attention_ll4mi_QKV_mfma16_kernelI14__hip_bfloat16hLN4vllm18Fp8KVCacheDataTypeE1EhLi16ELi64ELi256ELb0ELi5EEvPKT_PKT0_S8_ifPKiSA_SA_iPKfiiiPfSD_PS3_PT2_iSC_SC_,"axG",@progbits,_Z39paged_attention_ll4mi_QKV_mfma16_kernelI14__hip_bfloat16hLN4vllm18Fp8KVCacheDataTypeE1EhLi16ELi64ELi256ELb0ELi5EEvPKT_PKT0_S8_ifPKiSA_SA_iPKfiiiPfSD_PS3_PT2_iSC_SC_,comdat
.Lfunc_end1114:
	.size	_Z39paged_attention_ll4mi_QKV_mfma16_kernelI14__hip_bfloat16hLN4vllm18Fp8KVCacheDataTypeE1EhLi16ELi64ELi256ELb0ELi5EEvPKT_PKT0_S8_ifPKiSA_SA_iPKfiiiPfSD_PS3_PT2_iSC_SC_, .Lfunc_end1114-_Z39paged_attention_ll4mi_QKV_mfma16_kernelI14__hip_bfloat16hLN4vllm18Fp8KVCacheDataTypeE1EhLi16ELi64ELi256ELb0ELi5EEvPKT_PKT0_S8_ifPKiSA_SA_iPKfiiiPfSD_PS3_PT2_iSC_SC_
                                        ; -- End function
	.set _Z39paged_attention_ll4mi_QKV_mfma16_kernelI14__hip_bfloat16hLN4vllm18Fp8KVCacheDataTypeE1EhLi16ELi64ELi256ELb0ELi5EEvPKT_PKT0_S8_ifPKiSA_SA_iPKfiiiPfSD_PS3_PT2_iSC_SC_.num_vgpr, max(3, .L__assert_fail.num_vgpr)
	.set _Z39paged_attention_ll4mi_QKV_mfma16_kernelI14__hip_bfloat16hLN4vllm18Fp8KVCacheDataTypeE1EhLi16ELi64ELi256ELb0ELi5EEvPKT_PKT0_S8_ifPKiSA_SA_iPKfiiiPfSD_PS3_PT2_iSC_SC_.num_agpr, max(0, .L__assert_fail.num_agpr)
	.set _Z39paged_attention_ll4mi_QKV_mfma16_kernelI14__hip_bfloat16hLN4vllm18Fp8KVCacheDataTypeE1EhLi16ELi64ELi256ELb0ELi5EEvPKT_PKT0_S8_ifPKiSA_SA_iPKfiiiPfSD_PS3_PT2_iSC_SC_.numbered_sgpr, max(33, .L__assert_fail.numbered_sgpr)
	.set _Z39paged_attention_ll4mi_QKV_mfma16_kernelI14__hip_bfloat16hLN4vllm18Fp8KVCacheDataTypeE1EhLi16ELi64ELi256ELb0ELi5EEvPKT_PKT0_S8_ifPKiSA_SA_iPKfiiiPfSD_PS3_PT2_iSC_SC_.num_named_barrier, max(0, .L__assert_fail.num_named_barrier)
	.set _Z39paged_attention_ll4mi_QKV_mfma16_kernelI14__hip_bfloat16hLN4vllm18Fp8KVCacheDataTypeE1EhLi16ELi64ELi256ELb0ELi5EEvPKT_PKT0_S8_ifPKiSA_SA_iPKfiiiPfSD_PS3_PT2_iSC_SC_.private_seg_size, 0+max(.L__assert_fail.private_seg_size)
	.set _Z39paged_attention_ll4mi_QKV_mfma16_kernelI14__hip_bfloat16hLN4vllm18Fp8KVCacheDataTypeE1EhLi16ELi64ELi256ELb0ELi5EEvPKT_PKT0_S8_ifPKiSA_SA_iPKfiiiPfSD_PS3_PT2_iSC_SC_.uses_vcc, or(1, .L__assert_fail.uses_vcc)
	.set _Z39paged_attention_ll4mi_QKV_mfma16_kernelI14__hip_bfloat16hLN4vllm18Fp8KVCacheDataTypeE1EhLi16ELi64ELi256ELb0ELi5EEvPKT_PKT0_S8_ifPKiSA_SA_iPKfiiiPfSD_PS3_PT2_iSC_SC_.uses_flat_scratch, or(0, .L__assert_fail.uses_flat_scratch)
	.set _Z39paged_attention_ll4mi_QKV_mfma16_kernelI14__hip_bfloat16hLN4vllm18Fp8KVCacheDataTypeE1EhLi16ELi64ELi256ELb0ELi5EEvPKT_PKT0_S8_ifPKiSA_SA_iPKfiiiPfSD_PS3_PT2_iSC_SC_.has_dyn_sized_stack, or(0, .L__assert_fail.has_dyn_sized_stack)
	.set _Z39paged_attention_ll4mi_QKV_mfma16_kernelI14__hip_bfloat16hLN4vllm18Fp8KVCacheDataTypeE1EhLi16ELi64ELi256ELb0ELi5EEvPKT_PKT0_S8_ifPKiSA_SA_iPKfiiiPfSD_PS3_PT2_iSC_SC_.has_recursion, or(0, .L__assert_fail.has_recursion)
	.set _Z39paged_attention_ll4mi_QKV_mfma16_kernelI14__hip_bfloat16hLN4vllm18Fp8KVCacheDataTypeE1EhLi16ELi64ELi256ELb0ELi5EEvPKT_PKT0_S8_ifPKiSA_SA_iPKfiiiPfSD_PS3_PT2_iSC_SC_.has_indirect_call, or(0, .L__assert_fail.has_indirect_call)
	.section	.AMDGPU.csdata,"",@progbits
; Kernel info:
; codeLenInByte = 68
; TotalNumSgprs: 36
; NumVgprs: 51
; ScratchSize: 64
; MemoryBound: 0
; FloatMode: 240
; IeeeMode: 1
; LDSByteSize: 0 bytes/workgroup (compile time only)
; SGPRBlocks: 0
; VGPRBlocks: 3
; NumSGPRsForWavesPerEU: 36
; NumVGPRsForWavesPerEU: 51
; NamedBarCnt: 0
; Occupancy: 16
; WaveLimiterHint : 1
; COMPUTE_PGM_RSRC2:SCRATCH_EN: 1
; COMPUTE_PGM_RSRC2:USER_SGPR: 2
; COMPUTE_PGM_RSRC2:TRAP_HANDLER: 0
; COMPUTE_PGM_RSRC2:TGID_X_EN: 1
; COMPUTE_PGM_RSRC2:TGID_Y_EN: 0
; COMPUTE_PGM_RSRC2:TGID_Z_EN: 0
; COMPUTE_PGM_RSRC2:TIDIG_COMP_CNT: 0
	.section	.text._Z39paged_attention_ll4mi_QKV_mfma16_kernelI14__hip_bfloat16hLN4vllm18Fp8KVCacheDataTypeE1EhLi16ELi64ELi256ELb0ELi6EEvPKT_PKT0_S8_ifPKiSA_SA_iPKfiiiPfSD_PS3_PT2_iSC_SC_,"axG",@progbits,_Z39paged_attention_ll4mi_QKV_mfma16_kernelI14__hip_bfloat16hLN4vllm18Fp8KVCacheDataTypeE1EhLi16ELi64ELi256ELb0ELi6EEvPKT_PKT0_S8_ifPKiSA_SA_iPKfiiiPfSD_PS3_PT2_iSC_SC_,comdat
	.protected	_Z39paged_attention_ll4mi_QKV_mfma16_kernelI14__hip_bfloat16hLN4vllm18Fp8KVCacheDataTypeE1EhLi16ELi64ELi256ELb0ELi6EEvPKT_PKT0_S8_ifPKiSA_SA_iPKfiiiPfSD_PS3_PT2_iSC_SC_ ; -- Begin function _Z39paged_attention_ll4mi_QKV_mfma16_kernelI14__hip_bfloat16hLN4vllm18Fp8KVCacheDataTypeE1EhLi16ELi64ELi256ELb0ELi6EEvPKT_PKT0_S8_ifPKiSA_SA_iPKfiiiPfSD_PS3_PT2_iSC_SC_
	.globl	_Z39paged_attention_ll4mi_QKV_mfma16_kernelI14__hip_bfloat16hLN4vllm18Fp8KVCacheDataTypeE1EhLi16ELi64ELi256ELb0ELi6EEvPKT_PKT0_S8_ifPKiSA_SA_iPKfiiiPfSD_PS3_PT2_iSC_SC_
	.p2align	8
	.type	_Z39paged_attention_ll4mi_QKV_mfma16_kernelI14__hip_bfloat16hLN4vllm18Fp8KVCacheDataTypeE1EhLi16ELi64ELi256ELb0ELi6EEvPKT_PKT0_S8_ifPKiSA_SA_iPKfiiiPfSD_PS3_PT2_iSC_SC_,@function
_Z39paged_attention_ll4mi_QKV_mfma16_kernelI14__hip_bfloat16hLN4vllm18Fp8KVCacheDataTypeE1EhLi16ELi64ELi256ELb0ELi6EEvPKT_PKT0_S8_ifPKiSA_SA_iPKfiiiPfSD_PS3_PT2_iSC_SC_: ; @_Z39paged_attention_ll4mi_QKV_mfma16_kernelI14__hip_bfloat16hLN4vllm18Fp8KVCacheDataTypeE1EhLi16ELi64ELi256ELb0ELi6EEvPKT_PKT0_S8_ifPKiSA_SA_iPKfiiiPfSD_PS3_PT2_iSC_SC_
; %bb.0:
	s_get_pc_i64 s[2:3]
	s_add_nc_u64 s[2:3], s[2:3], __PRETTY_FUNCTION__._Z39paged_attention_ll4mi_QKV_mfma16_kernelI14__hip_bfloat16hLN4vllm18Fp8KVCacheDataTypeE1EhLi16ELi64ELi256ELb0ELi6EEvPKT_PKT0_S8_ifPKiSA_SA_iPKfiiiPfSD_PS3_PT2_iSC_SC_@rel64+4
	s_delay_alu instid0(SALU_CYCLE_1)
	v_dual_mov_b32 v0, 0xbb3 :: v_dual_mov_b32 v1, s2
	v_mov_b32_e32 v2, s3
	s_add_nc_u64 s[8:9], s[0:1], 0x90
	s_get_pc_i64 s[0:1]
	s_add_nc_u64 s[0:1], s[0:1], __assert_fail@rel64+4
	s_mov_b32 s32, 0
	s_swap_pc_i64 s[30:31], s[0:1]
	.section	.rodata,"a",@progbits
	.p2align	6, 0x0
	.amdhsa_kernel _Z39paged_attention_ll4mi_QKV_mfma16_kernelI14__hip_bfloat16hLN4vllm18Fp8KVCacheDataTypeE1EhLi16ELi64ELi256ELb0ELi6EEvPKT_PKT0_S8_ifPKiSA_SA_iPKfiiiPfSD_PS3_PT2_iSC_SC_
		.amdhsa_group_segment_fixed_size 0
		.amdhsa_private_segment_fixed_size 64
		.amdhsa_kernarg_size 400
		.amdhsa_user_sgpr_count 2
		.amdhsa_user_sgpr_dispatch_ptr 0
		.amdhsa_user_sgpr_queue_ptr 0
		.amdhsa_user_sgpr_kernarg_segment_ptr 1
		.amdhsa_user_sgpr_dispatch_id 0
		.amdhsa_user_sgpr_kernarg_preload_length 0
		.amdhsa_user_sgpr_kernarg_preload_offset 0
		.amdhsa_user_sgpr_private_segment_size 0
		.amdhsa_wavefront_size32 1
		.amdhsa_uses_dynamic_stack 0
		.amdhsa_enable_private_segment 1
		.amdhsa_system_sgpr_workgroup_id_x 1
		.amdhsa_system_sgpr_workgroup_id_y 0
		.amdhsa_system_sgpr_workgroup_id_z 0
		.amdhsa_system_sgpr_workgroup_info 0
		.amdhsa_system_vgpr_workitem_id 0
		.amdhsa_next_free_vgpr 51
		.amdhsa_next_free_sgpr 34
		.amdhsa_named_barrier_count 0
		.amdhsa_reserve_vcc 1
		.amdhsa_float_round_mode_32 0
		.amdhsa_float_round_mode_16_64 0
		.amdhsa_float_denorm_mode_32 3
		.amdhsa_float_denorm_mode_16_64 3
		.amdhsa_fp16_overflow 0
		.amdhsa_memory_ordered 1
		.amdhsa_forward_progress 1
		.amdhsa_inst_pref_size 1
		.amdhsa_round_robin_scheduling 0
		.amdhsa_exception_fp_ieee_invalid_op 0
		.amdhsa_exception_fp_denorm_src 0
		.amdhsa_exception_fp_ieee_div_zero 0
		.amdhsa_exception_fp_ieee_overflow 0
		.amdhsa_exception_fp_ieee_underflow 0
		.amdhsa_exception_fp_ieee_inexact 0
		.amdhsa_exception_int_div_zero 0
	.end_amdhsa_kernel
	.section	.text._Z39paged_attention_ll4mi_QKV_mfma16_kernelI14__hip_bfloat16hLN4vllm18Fp8KVCacheDataTypeE1EhLi16ELi64ELi256ELb0ELi6EEvPKT_PKT0_S8_ifPKiSA_SA_iPKfiiiPfSD_PS3_PT2_iSC_SC_,"axG",@progbits,_Z39paged_attention_ll4mi_QKV_mfma16_kernelI14__hip_bfloat16hLN4vllm18Fp8KVCacheDataTypeE1EhLi16ELi64ELi256ELb0ELi6EEvPKT_PKT0_S8_ifPKiSA_SA_iPKfiiiPfSD_PS3_PT2_iSC_SC_,comdat
.Lfunc_end1115:
	.size	_Z39paged_attention_ll4mi_QKV_mfma16_kernelI14__hip_bfloat16hLN4vllm18Fp8KVCacheDataTypeE1EhLi16ELi64ELi256ELb0ELi6EEvPKT_PKT0_S8_ifPKiSA_SA_iPKfiiiPfSD_PS3_PT2_iSC_SC_, .Lfunc_end1115-_Z39paged_attention_ll4mi_QKV_mfma16_kernelI14__hip_bfloat16hLN4vllm18Fp8KVCacheDataTypeE1EhLi16ELi64ELi256ELb0ELi6EEvPKT_PKT0_S8_ifPKiSA_SA_iPKfiiiPfSD_PS3_PT2_iSC_SC_
                                        ; -- End function
	.set _Z39paged_attention_ll4mi_QKV_mfma16_kernelI14__hip_bfloat16hLN4vllm18Fp8KVCacheDataTypeE1EhLi16ELi64ELi256ELb0ELi6EEvPKT_PKT0_S8_ifPKiSA_SA_iPKfiiiPfSD_PS3_PT2_iSC_SC_.num_vgpr, max(3, .L__assert_fail.num_vgpr)
	.set _Z39paged_attention_ll4mi_QKV_mfma16_kernelI14__hip_bfloat16hLN4vllm18Fp8KVCacheDataTypeE1EhLi16ELi64ELi256ELb0ELi6EEvPKT_PKT0_S8_ifPKiSA_SA_iPKfiiiPfSD_PS3_PT2_iSC_SC_.num_agpr, max(0, .L__assert_fail.num_agpr)
	.set _Z39paged_attention_ll4mi_QKV_mfma16_kernelI14__hip_bfloat16hLN4vllm18Fp8KVCacheDataTypeE1EhLi16ELi64ELi256ELb0ELi6EEvPKT_PKT0_S8_ifPKiSA_SA_iPKfiiiPfSD_PS3_PT2_iSC_SC_.numbered_sgpr, max(33, .L__assert_fail.numbered_sgpr)
	.set _Z39paged_attention_ll4mi_QKV_mfma16_kernelI14__hip_bfloat16hLN4vllm18Fp8KVCacheDataTypeE1EhLi16ELi64ELi256ELb0ELi6EEvPKT_PKT0_S8_ifPKiSA_SA_iPKfiiiPfSD_PS3_PT2_iSC_SC_.num_named_barrier, max(0, .L__assert_fail.num_named_barrier)
	.set _Z39paged_attention_ll4mi_QKV_mfma16_kernelI14__hip_bfloat16hLN4vllm18Fp8KVCacheDataTypeE1EhLi16ELi64ELi256ELb0ELi6EEvPKT_PKT0_S8_ifPKiSA_SA_iPKfiiiPfSD_PS3_PT2_iSC_SC_.private_seg_size, 0+max(.L__assert_fail.private_seg_size)
	.set _Z39paged_attention_ll4mi_QKV_mfma16_kernelI14__hip_bfloat16hLN4vllm18Fp8KVCacheDataTypeE1EhLi16ELi64ELi256ELb0ELi6EEvPKT_PKT0_S8_ifPKiSA_SA_iPKfiiiPfSD_PS3_PT2_iSC_SC_.uses_vcc, or(1, .L__assert_fail.uses_vcc)
	.set _Z39paged_attention_ll4mi_QKV_mfma16_kernelI14__hip_bfloat16hLN4vllm18Fp8KVCacheDataTypeE1EhLi16ELi64ELi256ELb0ELi6EEvPKT_PKT0_S8_ifPKiSA_SA_iPKfiiiPfSD_PS3_PT2_iSC_SC_.uses_flat_scratch, or(0, .L__assert_fail.uses_flat_scratch)
	.set _Z39paged_attention_ll4mi_QKV_mfma16_kernelI14__hip_bfloat16hLN4vllm18Fp8KVCacheDataTypeE1EhLi16ELi64ELi256ELb0ELi6EEvPKT_PKT0_S8_ifPKiSA_SA_iPKfiiiPfSD_PS3_PT2_iSC_SC_.has_dyn_sized_stack, or(0, .L__assert_fail.has_dyn_sized_stack)
	.set _Z39paged_attention_ll4mi_QKV_mfma16_kernelI14__hip_bfloat16hLN4vllm18Fp8KVCacheDataTypeE1EhLi16ELi64ELi256ELb0ELi6EEvPKT_PKT0_S8_ifPKiSA_SA_iPKfiiiPfSD_PS3_PT2_iSC_SC_.has_recursion, or(0, .L__assert_fail.has_recursion)
	.set _Z39paged_attention_ll4mi_QKV_mfma16_kernelI14__hip_bfloat16hLN4vllm18Fp8KVCacheDataTypeE1EhLi16ELi64ELi256ELb0ELi6EEvPKT_PKT0_S8_ifPKiSA_SA_iPKfiiiPfSD_PS3_PT2_iSC_SC_.has_indirect_call, or(0, .L__assert_fail.has_indirect_call)
	.section	.AMDGPU.csdata,"",@progbits
; Kernel info:
; codeLenInByte = 68
; TotalNumSgprs: 36
; NumVgprs: 51
; ScratchSize: 64
; MemoryBound: 0
; FloatMode: 240
; IeeeMode: 1
; LDSByteSize: 0 bytes/workgroup (compile time only)
; SGPRBlocks: 0
; VGPRBlocks: 3
; NumSGPRsForWavesPerEU: 36
; NumVGPRsForWavesPerEU: 51
; NamedBarCnt: 0
; Occupancy: 16
; WaveLimiterHint : 1
; COMPUTE_PGM_RSRC2:SCRATCH_EN: 1
; COMPUTE_PGM_RSRC2:USER_SGPR: 2
; COMPUTE_PGM_RSRC2:TRAP_HANDLER: 0
; COMPUTE_PGM_RSRC2:TGID_X_EN: 1
; COMPUTE_PGM_RSRC2:TGID_Y_EN: 0
; COMPUTE_PGM_RSRC2:TGID_Z_EN: 0
; COMPUTE_PGM_RSRC2:TIDIG_COMP_CNT: 0
	.section	.text._Z39paged_attention_ll4mi_QKV_mfma16_kernelI14__hip_bfloat16hLN4vllm18Fp8KVCacheDataTypeE1EhLi16ELi64ELi256ELb0ELi7EEvPKT_PKT0_S8_ifPKiSA_SA_iPKfiiiPfSD_PS3_PT2_iSC_SC_,"axG",@progbits,_Z39paged_attention_ll4mi_QKV_mfma16_kernelI14__hip_bfloat16hLN4vllm18Fp8KVCacheDataTypeE1EhLi16ELi64ELi256ELb0ELi7EEvPKT_PKT0_S8_ifPKiSA_SA_iPKfiiiPfSD_PS3_PT2_iSC_SC_,comdat
	.protected	_Z39paged_attention_ll4mi_QKV_mfma16_kernelI14__hip_bfloat16hLN4vllm18Fp8KVCacheDataTypeE1EhLi16ELi64ELi256ELb0ELi7EEvPKT_PKT0_S8_ifPKiSA_SA_iPKfiiiPfSD_PS3_PT2_iSC_SC_ ; -- Begin function _Z39paged_attention_ll4mi_QKV_mfma16_kernelI14__hip_bfloat16hLN4vllm18Fp8KVCacheDataTypeE1EhLi16ELi64ELi256ELb0ELi7EEvPKT_PKT0_S8_ifPKiSA_SA_iPKfiiiPfSD_PS3_PT2_iSC_SC_
	.globl	_Z39paged_attention_ll4mi_QKV_mfma16_kernelI14__hip_bfloat16hLN4vllm18Fp8KVCacheDataTypeE1EhLi16ELi64ELi256ELb0ELi7EEvPKT_PKT0_S8_ifPKiSA_SA_iPKfiiiPfSD_PS3_PT2_iSC_SC_
	.p2align	8
	.type	_Z39paged_attention_ll4mi_QKV_mfma16_kernelI14__hip_bfloat16hLN4vllm18Fp8KVCacheDataTypeE1EhLi16ELi64ELi256ELb0ELi7EEvPKT_PKT0_S8_ifPKiSA_SA_iPKfiiiPfSD_PS3_PT2_iSC_SC_,@function
_Z39paged_attention_ll4mi_QKV_mfma16_kernelI14__hip_bfloat16hLN4vllm18Fp8KVCacheDataTypeE1EhLi16ELi64ELi256ELb0ELi7EEvPKT_PKT0_S8_ifPKiSA_SA_iPKfiiiPfSD_PS3_PT2_iSC_SC_: ; @_Z39paged_attention_ll4mi_QKV_mfma16_kernelI14__hip_bfloat16hLN4vllm18Fp8KVCacheDataTypeE1EhLi16ELi64ELi256ELb0ELi7EEvPKT_PKT0_S8_ifPKiSA_SA_iPKfiiiPfSD_PS3_PT2_iSC_SC_
; %bb.0:
	s_get_pc_i64 s[2:3]
	s_add_nc_u64 s[2:3], s[2:3], __PRETTY_FUNCTION__._Z39paged_attention_ll4mi_QKV_mfma16_kernelI14__hip_bfloat16hLN4vllm18Fp8KVCacheDataTypeE1EhLi16ELi64ELi256ELb0ELi7EEvPKT_PKT0_S8_ifPKiSA_SA_iPKfiiiPfSD_PS3_PT2_iSC_SC_@rel64+4
	s_delay_alu instid0(SALU_CYCLE_1)
	v_dual_mov_b32 v0, 0xbb3 :: v_dual_mov_b32 v1, s2
	v_mov_b32_e32 v2, s3
	s_add_nc_u64 s[8:9], s[0:1], 0x90
	s_get_pc_i64 s[0:1]
	s_add_nc_u64 s[0:1], s[0:1], __assert_fail@rel64+4
	s_mov_b32 s32, 0
	s_swap_pc_i64 s[30:31], s[0:1]
	.section	.rodata,"a",@progbits
	.p2align	6, 0x0
	.amdhsa_kernel _Z39paged_attention_ll4mi_QKV_mfma16_kernelI14__hip_bfloat16hLN4vllm18Fp8KVCacheDataTypeE1EhLi16ELi64ELi256ELb0ELi7EEvPKT_PKT0_S8_ifPKiSA_SA_iPKfiiiPfSD_PS3_PT2_iSC_SC_
		.amdhsa_group_segment_fixed_size 0
		.amdhsa_private_segment_fixed_size 64
		.amdhsa_kernarg_size 400
		.amdhsa_user_sgpr_count 2
		.amdhsa_user_sgpr_dispatch_ptr 0
		.amdhsa_user_sgpr_queue_ptr 0
		.amdhsa_user_sgpr_kernarg_segment_ptr 1
		.amdhsa_user_sgpr_dispatch_id 0
		.amdhsa_user_sgpr_kernarg_preload_length 0
		.amdhsa_user_sgpr_kernarg_preload_offset 0
		.amdhsa_user_sgpr_private_segment_size 0
		.amdhsa_wavefront_size32 1
		.amdhsa_uses_dynamic_stack 0
		.amdhsa_enable_private_segment 1
		.amdhsa_system_sgpr_workgroup_id_x 1
		.amdhsa_system_sgpr_workgroup_id_y 0
		.amdhsa_system_sgpr_workgroup_id_z 0
		.amdhsa_system_sgpr_workgroup_info 0
		.amdhsa_system_vgpr_workitem_id 0
		.amdhsa_next_free_vgpr 51
		.amdhsa_next_free_sgpr 34
		.amdhsa_named_barrier_count 0
		.amdhsa_reserve_vcc 1
		.amdhsa_float_round_mode_32 0
		.amdhsa_float_round_mode_16_64 0
		.amdhsa_float_denorm_mode_32 3
		.amdhsa_float_denorm_mode_16_64 3
		.amdhsa_fp16_overflow 0
		.amdhsa_memory_ordered 1
		.amdhsa_forward_progress 1
		.amdhsa_inst_pref_size 1
		.amdhsa_round_robin_scheduling 0
		.amdhsa_exception_fp_ieee_invalid_op 0
		.amdhsa_exception_fp_denorm_src 0
		.amdhsa_exception_fp_ieee_div_zero 0
		.amdhsa_exception_fp_ieee_overflow 0
		.amdhsa_exception_fp_ieee_underflow 0
		.amdhsa_exception_fp_ieee_inexact 0
		.amdhsa_exception_int_div_zero 0
	.end_amdhsa_kernel
	.section	.text._Z39paged_attention_ll4mi_QKV_mfma16_kernelI14__hip_bfloat16hLN4vllm18Fp8KVCacheDataTypeE1EhLi16ELi64ELi256ELb0ELi7EEvPKT_PKT0_S8_ifPKiSA_SA_iPKfiiiPfSD_PS3_PT2_iSC_SC_,"axG",@progbits,_Z39paged_attention_ll4mi_QKV_mfma16_kernelI14__hip_bfloat16hLN4vllm18Fp8KVCacheDataTypeE1EhLi16ELi64ELi256ELb0ELi7EEvPKT_PKT0_S8_ifPKiSA_SA_iPKfiiiPfSD_PS3_PT2_iSC_SC_,comdat
.Lfunc_end1116:
	.size	_Z39paged_attention_ll4mi_QKV_mfma16_kernelI14__hip_bfloat16hLN4vllm18Fp8KVCacheDataTypeE1EhLi16ELi64ELi256ELb0ELi7EEvPKT_PKT0_S8_ifPKiSA_SA_iPKfiiiPfSD_PS3_PT2_iSC_SC_, .Lfunc_end1116-_Z39paged_attention_ll4mi_QKV_mfma16_kernelI14__hip_bfloat16hLN4vllm18Fp8KVCacheDataTypeE1EhLi16ELi64ELi256ELb0ELi7EEvPKT_PKT0_S8_ifPKiSA_SA_iPKfiiiPfSD_PS3_PT2_iSC_SC_
                                        ; -- End function
	.set _Z39paged_attention_ll4mi_QKV_mfma16_kernelI14__hip_bfloat16hLN4vllm18Fp8KVCacheDataTypeE1EhLi16ELi64ELi256ELb0ELi7EEvPKT_PKT0_S8_ifPKiSA_SA_iPKfiiiPfSD_PS3_PT2_iSC_SC_.num_vgpr, max(3, .L__assert_fail.num_vgpr)
	.set _Z39paged_attention_ll4mi_QKV_mfma16_kernelI14__hip_bfloat16hLN4vllm18Fp8KVCacheDataTypeE1EhLi16ELi64ELi256ELb0ELi7EEvPKT_PKT0_S8_ifPKiSA_SA_iPKfiiiPfSD_PS3_PT2_iSC_SC_.num_agpr, max(0, .L__assert_fail.num_agpr)
	.set _Z39paged_attention_ll4mi_QKV_mfma16_kernelI14__hip_bfloat16hLN4vllm18Fp8KVCacheDataTypeE1EhLi16ELi64ELi256ELb0ELi7EEvPKT_PKT0_S8_ifPKiSA_SA_iPKfiiiPfSD_PS3_PT2_iSC_SC_.numbered_sgpr, max(33, .L__assert_fail.numbered_sgpr)
	.set _Z39paged_attention_ll4mi_QKV_mfma16_kernelI14__hip_bfloat16hLN4vllm18Fp8KVCacheDataTypeE1EhLi16ELi64ELi256ELb0ELi7EEvPKT_PKT0_S8_ifPKiSA_SA_iPKfiiiPfSD_PS3_PT2_iSC_SC_.num_named_barrier, max(0, .L__assert_fail.num_named_barrier)
	.set _Z39paged_attention_ll4mi_QKV_mfma16_kernelI14__hip_bfloat16hLN4vllm18Fp8KVCacheDataTypeE1EhLi16ELi64ELi256ELb0ELi7EEvPKT_PKT0_S8_ifPKiSA_SA_iPKfiiiPfSD_PS3_PT2_iSC_SC_.private_seg_size, 0+max(.L__assert_fail.private_seg_size)
	.set _Z39paged_attention_ll4mi_QKV_mfma16_kernelI14__hip_bfloat16hLN4vllm18Fp8KVCacheDataTypeE1EhLi16ELi64ELi256ELb0ELi7EEvPKT_PKT0_S8_ifPKiSA_SA_iPKfiiiPfSD_PS3_PT2_iSC_SC_.uses_vcc, or(1, .L__assert_fail.uses_vcc)
	.set _Z39paged_attention_ll4mi_QKV_mfma16_kernelI14__hip_bfloat16hLN4vllm18Fp8KVCacheDataTypeE1EhLi16ELi64ELi256ELb0ELi7EEvPKT_PKT0_S8_ifPKiSA_SA_iPKfiiiPfSD_PS3_PT2_iSC_SC_.uses_flat_scratch, or(0, .L__assert_fail.uses_flat_scratch)
	.set _Z39paged_attention_ll4mi_QKV_mfma16_kernelI14__hip_bfloat16hLN4vllm18Fp8KVCacheDataTypeE1EhLi16ELi64ELi256ELb0ELi7EEvPKT_PKT0_S8_ifPKiSA_SA_iPKfiiiPfSD_PS3_PT2_iSC_SC_.has_dyn_sized_stack, or(0, .L__assert_fail.has_dyn_sized_stack)
	.set _Z39paged_attention_ll4mi_QKV_mfma16_kernelI14__hip_bfloat16hLN4vllm18Fp8KVCacheDataTypeE1EhLi16ELi64ELi256ELb0ELi7EEvPKT_PKT0_S8_ifPKiSA_SA_iPKfiiiPfSD_PS3_PT2_iSC_SC_.has_recursion, or(0, .L__assert_fail.has_recursion)
	.set _Z39paged_attention_ll4mi_QKV_mfma16_kernelI14__hip_bfloat16hLN4vllm18Fp8KVCacheDataTypeE1EhLi16ELi64ELi256ELb0ELi7EEvPKT_PKT0_S8_ifPKiSA_SA_iPKfiiiPfSD_PS3_PT2_iSC_SC_.has_indirect_call, or(0, .L__assert_fail.has_indirect_call)
	.section	.AMDGPU.csdata,"",@progbits
; Kernel info:
; codeLenInByte = 68
; TotalNumSgprs: 36
; NumVgprs: 51
; ScratchSize: 64
; MemoryBound: 0
; FloatMode: 240
; IeeeMode: 1
; LDSByteSize: 0 bytes/workgroup (compile time only)
; SGPRBlocks: 0
; VGPRBlocks: 3
; NumSGPRsForWavesPerEU: 36
; NumVGPRsForWavesPerEU: 51
; NamedBarCnt: 0
; Occupancy: 16
; WaveLimiterHint : 1
; COMPUTE_PGM_RSRC2:SCRATCH_EN: 1
; COMPUTE_PGM_RSRC2:USER_SGPR: 2
; COMPUTE_PGM_RSRC2:TRAP_HANDLER: 0
; COMPUTE_PGM_RSRC2:TGID_X_EN: 1
; COMPUTE_PGM_RSRC2:TGID_Y_EN: 0
; COMPUTE_PGM_RSRC2:TGID_Z_EN: 0
; COMPUTE_PGM_RSRC2:TIDIG_COMP_CNT: 0
	.section	.text._Z39paged_attention_ll4mi_QKV_mfma16_kernelI14__hip_bfloat16hLN4vllm18Fp8KVCacheDataTypeE1EhLi16ELi64ELi256ELb0ELi8EEvPKT_PKT0_S8_ifPKiSA_SA_iPKfiiiPfSD_PS3_PT2_iSC_SC_,"axG",@progbits,_Z39paged_attention_ll4mi_QKV_mfma16_kernelI14__hip_bfloat16hLN4vllm18Fp8KVCacheDataTypeE1EhLi16ELi64ELi256ELb0ELi8EEvPKT_PKT0_S8_ifPKiSA_SA_iPKfiiiPfSD_PS3_PT2_iSC_SC_,comdat
	.protected	_Z39paged_attention_ll4mi_QKV_mfma16_kernelI14__hip_bfloat16hLN4vllm18Fp8KVCacheDataTypeE1EhLi16ELi64ELi256ELb0ELi8EEvPKT_PKT0_S8_ifPKiSA_SA_iPKfiiiPfSD_PS3_PT2_iSC_SC_ ; -- Begin function _Z39paged_attention_ll4mi_QKV_mfma16_kernelI14__hip_bfloat16hLN4vllm18Fp8KVCacheDataTypeE1EhLi16ELi64ELi256ELb0ELi8EEvPKT_PKT0_S8_ifPKiSA_SA_iPKfiiiPfSD_PS3_PT2_iSC_SC_
	.globl	_Z39paged_attention_ll4mi_QKV_mfma16_kernelI14__hip_bfloat16hLN4vllm18Fp8KVCacheDataTypeE1EhLi16ELi64ELi256ELb0ELi8EEvPKT_PKT0_S8_ifPKiSA_SA_iPKfiiiPfSD_PS3_PT2_iSC_SC_
	.p2align	8
	.type	_Z39paged_attention_ll4mi_QKV_mfma16_kernelI14__hip_bfloat16hLN4vllm18Fp8KVCacheDataTypeE1EhLi16ELi64ELi256ELb0ELi8EEvPKT_PKT0_S8_ifPKiSA_SA_iPKfiiiPfSD_PS3_PT2_iSC_SC_,@function
_Z39paged_attention_ll4mi_QKV_mfma16_kernelI14__hip_bfloat16hLN4vllm18Fp8KVCacheDataTypeE1EhLi16ELi64ELi256ELb0ELi8EEvPKT_PKT0_S8_ifPKiSA_SA_iPKfiiiPfSD_PS3_PT2_iSC_SC_: ; @_Z39paged_attention_ll4mi_QKV_mfma16_kernelI14__hip_bfloat16hLN4vllm18Fp8KVCacheDataTypeE1EhLi16ELi64ELi256ELb0ELi8EEvPKT_PKT0_S8_ifPKiSA_SA_iPKfiiiPfSD_PS3_PT2_iSC_SC_
; %bb.0:
	s_get_pc_i64 s[2:3]
	s_add_nc_u64 s[2:3], s[2:3], __PRETTY_FUNCTION__._Z39paged_attention_ll4mi_QKV_mfma16_kernelI14__hip_bfloat16hLN4vllm18Fp8KVCacheDataTypeE1EhLi16ELi64ELi256ELb0ELi8EEvPKT_PKT0_S8_ifPKiSA_SA_iPKfiiiPfSD_PS3_PT2_iSC_SC_@rel64+4
	s_delay_alu instid0(SALU_CYCLE_1)
	v_dual_mov_b32 v0, 0xbb3 :: v_dual_mov_b32 v1, s2
	v_mov_b32_e32 v2, s3
	s_add_nc_u64 s[8:9], s[0:1], 0x90
	s_get_pc_i64 s[0:1]
	s_add_nc_u64 s[0:1], s[0:1], __assert_fail@rel64+4
	s_mov_b32 s32, 0
	s_swap_pc_i64 s[30:31], s[0:1]
	.section	.rodata,"a",@progbits
	.p2align	6, 0x0
	.amdhsa_kernel _Z39paged_attention_ll4mi_QKV_mfma16_kernelI14__hip_bfloat16hLN4vllm18Fp8KVCacheDataTypeE1EhLi16ELi64ELi256ELb0ELi8EEvPKT_PKT0_S8_ifPKiSA_SA_iPKfiiiPfSD_PS3_PT2_iSC_SC_
		.amdhsa_group_segment_fixed_size 0
		.amdhsa_private_segment_fixed_size 64
		.amdhsa_kernarg_size 400
		.amdhsa_user_sgpr_count 2
		.amdhsa_user_sgpr_dispatch_ptr 0
		.amdhsa_user_sgpr_queue_ptr 0
		.amdhsa_user_sgpr_kernarg_segment_ptr 1
		.amdhsa_user_sgpr_dispatch_id 0
		.amdhsa_user_sgpr_kernarg_preload_length 0
		.amdhsa_user_sgpr_kernarg_preload_offset 0
		.amdhsa_user_sgpr_private_segment_size 0
		.amdhsa_wavefront_size32 1
		.amdhsa_uses_dynamic_stack 0
		.amdhsa_enable_private_segment 1
		.amdhsa_system_sgpr_workgroup_id_x 1
		.amdhsa_system_sgpr_workgroup_id_y 0
		.amdhsa_system_sgpr_workgroup_id_z 0
		.amdhsa_system_sgpr_workgroup_info 0
		.amdhsa_system_vgpr_workitem_id 0
		.amdhsa_next_free_vgpr 51
		.amdhsa_next_free_sgpr 34
		.amdhsa_named_barrier_count 0
		.amdhsa_reserve_vcc 1
		.amdhsa_float_round_mode_32 0
		.amdhsa_float_round_mode_16_64 0
		.amdhsa_float_denorm_mode_32 3
		.amdhsa_float_denorm_mode_16_64 3
		.amdhsa_fp16_overflow 0
		.amdhsa_memory_ordered 1
		.amdhsa_forward_progress 1
		.amdhsa_inst_pref_size 1
		.amdhsa_round_robin_scheduling 0
		.amdhsa_exception_fp_ieee_invalid_op 0
		.amdhsa_exception_fp_denorm_src 0
		.amdhsa_exception_fp_ieee_div_zero 0
		.amdhsa_exception_fp_ieee_overflow 0
		.amdhsa_exception_fp_ieee_underflow 0
		.amdhsa_exception_fp_ieee_inexact 0
		.amdhsa_exception_int_div_zero 0
	.end_amdhsa_kernel
	.section	.text._Z39paged_attention_ll4mi_QKV_mfma16_kernelI14__hip_bfloat16hLN4vllm18Fp8KVCacheDataTypeE1EhLi16ELi64ELi256ELb0ELi8EEvPKT_PKT0_S8_ifPKiSA_SA_iPKfiiiPfSD_PS3_PT2_iSC_SC_,"axG",@progbits,_Z39paged_attention_ll4mi_QKV_mfma16_kernelI14__hip_bfloat16hLN4vllm18Fp8KVCacheDataTypeE1EhLi16ELi64ELi256ELb0ELi8EEvPKT_PKT0_S8_ifPKiSA_SA_iPKfiiiPfSD_PS3_PT2_iSC_SC_,comdat
.Lfunc_end1117:
	.size	_Z39paged_attention_ll4mi_QKV_mfma16_kernelI14__hip_bfloat16hLN4vllm18Fp8KVCacheDataTypeE1EhLi16ELi64ELi256ELb0ELi8EEvPKT_PKT0_S8_ifPKiSA_SA_iPKfiiiPfSD_PS3_PT2_iSC_SC_, .Lfunc_end1117-_Z39paged_attention_ll4mi_QKV_mfma16_kernelI14__hip_bfloat16hLN4vllm18Fp8KVCacheDataTypeE1EhLi16ELi64ELi256ELb0ELi8EEvPKT_PKT0_S8_ifPKiSA_SA_iPKfiiiPfSD_PS3_PT2_iSC_SC_
                                        ; -- End function
	.set _Z39paged_attention_ll4mi_QKV_mfma16_kernelI14__hip_bfloat16hLN4vllm18Fp8KVCacheDataTypeE1EhLi16ELi64ELi256ELb0ELi8EEvPKT_PKT0_S8_ifPKiSA_SA_iPKfiiiPfSD_PS3_PT2_iSC_SC_.num_vgpr, max(3, .L__assert_fail.num_vgpr)
	.set _Z39paged_attention_ll4mi_QKV_mfma16_kernelI14__hip_bfloat16hLN4vllm18Fp8KVCacheDataTypeE1EhLi16ELi64ELi256ELb0ELi8EEvPKT_PKT0_S8_ifPKiSA_SA_iPKfiiiPfSD_PS3_PT2_iSC_SC_.num_agpr, max(0, .L__assert_fail.num_agpr)
	.set _Z39paged_attention_ll4mi_QKV_mfma16_kernelI14__hip_bfloat16hLN4vllm18Fp8KVCacheDataTypeE1EhLi16ELi64ELi256ELb0ELi8EEvPKT_PKT0_S8_ifPKiSA_SA_iPKfiiiPfSD_PS3_PT2_iSC_SC_.numbered_sgpr, max(33, .L__assert_fail.numbered_sgpr)
	.set _Z39paged_attention_ll4mi_QKV_mfma16_kernelI14__hip_bfloat16hLN4vllm18Fp8KVCacheDataTypeE1EhLi16ELi64ELi256ELb0ELi8EEvPKT_PKT0_S8_ifPKiSA_SA_iPKfiiiPfSD_PS3_PT2_iSC_SC_.num_named_barrier, max(0, .L__assert_fail.num_named_barrier)
	.set _Z39paged_attention_ll4mi_QKV_mfma16_kernelI14__hip_bfloat16hLN4vllm18Fp8KVCacheDataTypeE1EhLi16ELi64ELi256ELb0ELi8EEvPKT_PKT0_S8_ifPKiSA_SA_iPKfiiiPfSD_PS3_PT2_iSC_SC_.private_seg_size, 0+max(.L__assert_fail.private_seg_size)
	.set _Z39paged_attention_ll4mi_QKV_mfma16_kernelI14__hip_bfloat16hLN4vllm18Fp8KVCacheDataTypeE1EhLi16ELi64ELi256ELb0ELi8EEvPKT_PKT0_S8_ifPKiSA_SA_iPKfiiiPfSD_PS3_PT2_iSC_SC_.uses_vcc, or(1, .L__assert_fail.uses_vcc)
	.set _Z39paged_attention_ll4mi_QKV_mfma16_kernelI14__hip_bfloat16hLN4vllm18Fp8KVCacheDataTypeE1EhLi16ELi64ELi256ELb0ELi8EEvPKT_PKT0_S8_ifPKiSA_SA_iPKfiiiPfSD_PS3_PT2_iSC_SC_.uses_flat_scratch, or(0, .L__assert_fail.uses_flat_scratch)
	.set _Z39paged_attention_ll4mi_QKV_mfma16_kernelI14__hip_bfloat16hLN4vllm18Fp8KVCacheDataTypeE1EhLi16ELi64ELi256ELb0ELi8EEvPKT_PKT0_S8_ifPKiSA_SA_iPKfiiiPfSD_PS3_PT2_iSC_SC_.has_dyn_sized_stack, or(0, .L__assert_fail.has_dyn_sized_stack)
	.set _Z39paged_attention_ll4mi_QKV_mfma16_kernelI14__hip_bfloat16hLN4vllm18Fp8KVCacheDataTypeE1EhLi16ELi64ELi256ELb0ELi8EEvPKT_PKT0_S8_ifPKiSA_SA_iPKfiiiPfSD_PS3_PT2_iSC_SC_.has_recursion, or(0, .L__assert_fail.has_recursion)
	.set _Z39paged_attention_ll4mi_QKV_mfma16_kernelI14__hip_bfloat16hLN4vllm18Fp8KVCacheDataTypeE1EhLi16ELi64ELi256ELb0ELi8EEvPKT_PKT0_S8_ifPKiSA_SA_iPKfiiiPfSD_PS3_PT2_iSC_SC_.has_indirect_call, or(0, .L__assert_fail.has_indirect_call)
	.section	.AMDGPU.csdata,"",@progbits
; Kernel info:
; codeLenInByte = 68
; TotalNumSgprs: 36
; NumVgprs: 51
; ScratchSize: 64
; MemoryBound: 0
; FloatMode: 240
; IeeeMode: 1
; LDSByteSize: 0 bytes/workgroup (compile time only)
; SGPRBlocks: 0
; VGPRBlocks: 3
; NumSGPRsForWavesPerEU: 36
; NumVGPRsForWavesPerEU: 51
; NamedBarCnt: 0
; Occupancy: 16
; WaveLimiterHint : 1
; COMPUTE_PGM_RSRC2:SCRATCH_EN: 1
; COMPUTE_PGM_RSRC2:USER_SGPR: 2
; COMPUTE_PGM_RSRC2:TRAP_HANDLER: 0
; COMPUTE_PGM_RSRC2:TGID_X_EN: 1
; COMPUTE_PGM_RSRC2:TGID_Y_EN: 0
; COMPUTE_PGM_RSRC2:TGID_Z_EN: 0
; COMPUTE_PGM_RSRC2:TIDIG_COMP_CNT: 0
	.section	.text._Z39paged_attention_ll4mi_QKV_mfma16_kernelI14__hip_bfloat16hLN4vllm18Fp8KVCacheDataTypeE1EhLi16ELi64ELi256ELb0ELi9EEvPKT_PKT0_S8_ifPKiSA_SA_iPKfiiiPfSD_PS3_PT2_iSC_SC_,"axG",@progbits,_Z39paged_attention_ll4mi_QKV_mfma16_kernelI14__hip_bfloat16hLN4vllm18Fp8KVCacheDataTypeE1EhLi16ELi64ELi256ELb0ELi9EEvPKT_PKT0_S8_ifPKiSA_SA_iPKfiiiPfSD_PS3_PT2_iSC_SC_,comdat
	.protected	_Z39paged_attention_ll4mi_QKV_mfma16_kernelI14__hip_bfloat16hLN4vllm18Fp8KVCacheDataTypeE1EhLi16ELi64ELi256ELb0ELi9EEvPKT_PKT0_S8_ifPKiSA_SA_iPKfiiiPfSD_PS3_PT2_iSC_SC_ ; -- Begin function _Z39paged_attention_ll4mi_QKV_mfma16_kernelI14__hip_bfloat16hLN4vllm18Fp8KVCacheDataTypeE1EhLi16ELi64ELi256ELb0ELi9EEvPKT_PKT0_S8_ifPKiSA_SA_iPKfiiiPfSD_PS3_PT2_iSC_SC_
	.globl	_Z39paged_attention_ll4mi_QKV_mfma16_kernelI14__hip_bfloat16hLN4vllm18Fp8KVCacheDataTypeE1EhLi16ELi64ELi256ELb0ELi9EEvPKT_PKT0_S8_ifPKiSA_SA_iPKfiiiPfSD_PS3_PT2_iSC_SC_
	.p2align	8
	.type	_Z39paged_attention_ll4mi_QKV_mfma16_kernelI14__hip_bfloat16hLN4vllm18Fp8KVCacheDataTypeE1EhLi16ELi64ELi256ELb0ELi9EEvPKT_PKT0_S8_ifPKiSA_SA_iPKfiiiPfSD_PS3_PT2_iSC_SC_,@function
_Z39paged_attention_ll4mi_QKV_mfma16_kernelI14__hip_bfloat16hLN4vllm18Fp8KVCacheDataTypeE1EhLi16ELi64ELi256ELb0ELi9EEvPKT_PKT0_S8_ifPKiSA_SA_iPKfiiiPfSD_PS3_PT2_iSC_SC_: ; @_Z39paged_attention_ll4mi_QKV_mfma16_kernelI14__hip_bfloat16hLN4vllm18Fp8KVCacheDataTypeE1EhLi16ELi64ELi256ELb0ELi9EEvPKT_PKT0_S8_ifPKiSA_SA_iPKfiiiPfSD_PS3_PT2_iSC_SC_
; %bb.0:
	s_get_pc_i64 s[2:3]
	s_add_nc_u64 s[2:3], s[2:3], __PRETTY_FUNCTION__._Z39paged_attention_ll4mi_QKV_mfma16_kernelI14__hip_bfloat16hLN4vllm18Fp8KVCacheDataTypeE1EhLi16ELi64ELi256ELb0ELi9EEvPKT_PKT0_S8_ifPKiSA_SA_iPKfiiiPfSD_PS3_PT2_iSC_SC_@rel64+4
	s_delay_alu instid0(SALU_CYCLE_1)
	v_dual_mov_b32 v0, 0xbb3 :: v_dual_mov_b32 v1, s2
	v_mov_b32_e32 v2, s3
	s_add_nc_u64 s[8:9], s[0:1], 0x90
	s_get_pc_i64 s[0:1]
	s_add_nc_u64 s[0:1], s[0:1], __assert_fail@rel64+4
	s_mov_b32 s32, 0
	s_swap_pc_i64 s[30:31], s[0:1]
	.section	.rodata,"a",@progbits
	.p2align	6, 0x0
	.amdhsa_kernel _Z39paged_attention_ll4mi_QKV_mfma16_kernelI14__hip_bfloat16hLN4vllm18Fp8KVCacheDataTypeE1EhLi16ELi64ELi256ELb0ELi9EEvPKT_PKT0_S8_ifPKiSA_SA_iPKfiiiPfSD_PS3_PT2_iSC_SC_
		.amdhsa_group_segment_fixed_size 0
		.amdhsa_private_segment_fixed_size 64
		.amdhsa_kernarg_size 400
		.amdhsa_user_sgpr_count 2
		.amdhsa_user_sgpr_dispatch_ptr 0
		.amdhsa_user_sgpr_queue_ptr 0
		.amdhsa_user_sgpr_kernarg_segment_ptr 1
		.amdhsa_user_sgpr_dispatch_id 0
		.amdhsa_user_sgpr_kernarg_preload_length 0
		.amdhsa_user_sgpr_kernarg_preload_offset 0
		.amdhsa_user_sgpr_private_segment_size 0
		.amdhsa_wavefront_size32 1
		.amdhsa_uses_dynamic_stack 0
		.amdhsa_enable_private_segment 1
		.amdhsa_system_sgpr_workgroup_id_x 1
		.amdhsa_system_sgpr_workgroup_id_y 0
		.amdhsa_system_sgpr_workgroup_id_z 0
		.amdhsa_system_sgpr_workgroup_info 0
		.amdhsa_system_vgpr_workitem_id 0
		.amdhsa_next_free_vgpr 51
		.amdhsa_next_free_sgpr 34
		.amdhsa_named_barrier_count 0
		.amdhsa_reserve_vcc 1
		.amdhsa_float_round_mode_32 0
		.amdhsa_float_round_mode_16_64 0
		.amdhsa_float_denorm_mode_32 3
		.amdhsa_float_denorm_mode_16_64 3
		.amdhsa_fp16_overflow 0
		.amdhsa_memory_ordered 1
		.amdhsa_forward_progress 1
		.amdhsa_inst_pref_size 1
		.amdhsa_round_robin_scheduling 0
		.amdhsa_exception_fp_ieee_invalid_op 0
		.amdhsa_exception_fp_denorm_src 0
		.amdhsa_exception_fp_ieee_div_zero 0
		.amdhsa_exception_fp_ieee_overflow 0
		.amdhsa_exception_fp_ieee_underflow 0
		.amdhsa_exception_fp_ieee_inexact 0
		.amdhsa_exception_int_div_zero 0
	.end_amdhsa_kernel
	.section	.text._Z39paged_attention_ll4mi_QKV_mfma16_kernelI14__hip_bfloat16hLN4vllm18Fp8KVCacheDataTypeE1EhLi16ELi64ELi256ELb0ELi9EEvPKT_PKT0_S8_ifPKiSA_SA_iPKfiiiPfSD_PS3_PT2_iSC_SC_,"axG",@progbits,_Z39paged_attention_ll4mi_QKV_mfma16_kernelI14__hip_bfloat16hLN4vllm18Fp8KVCacheDataTypeE1EhLi16ELi64ELi256ELb0ELi9EEvPKT_PKT0_S8_ifPKiSA_SA_iPKfiiiPfSD_PS3_PT2_iSC_SC_,comdat
.Lfunc_end1118:
	.size	_Z39paged_attention_ll4mi_QKV_mfma16_kernelI14__hip_bfloat16hLN4vllm18Fp8KVCacheDataTypeE1EhLi16ELi64ELi256ELb0ELi9EEvPKT_PKT0_S8_ifPKiSA_SA_iPKfiiiPfSD_PS3_PT2_iSC_SC_, .Lfunc_end1118-_Z39paged_attention_ll4mi_QKV_mfma16_kernelI14__hip_bfloat16hLN4vllm18Fp8KVCacheDataTypeE1EhLi16ELi64ELi256ELb0ELi9EEvPKT_PKT0_S8_ifPKiSA_SA_iPKfiiiPfSD_PS3_PT2_iSC_SC_
                                        ; -- End function
	.set _Z39paged_attention_ll4mi_QKV_mfma16_kernelI14__hip_bfloat16hLN4vllm18Fp8KVCacheDataTypeE1EhLi16ELi64ELi256ELb0ELi9EEvPKT_PKT0_S8_ifPKiSA_SA_iPKfiiiPfSD_PS3_PT2_iSC_SC_.num_vgpr, max(3, .L__assert_fail.num_vgpr)
	.set _Z39paged_attention_ll4mi_QKV_mfma16_kernelI14__hip_bfloat16hLN4vllm18Fp8KVCacheDataTypeE1EhLi16ELi64ELi256ELb0ELi9EEvPKT_PKT0_S8_ifPKiSA_SA_iPKfiiiPfSD_PS3_PT2_iSC_SC_.num_agpr, max(0, .L__assert_fail.num_agpr)
	.set _Z39paged_attention_ll4mi_QKV_mfma16_kernelI14__hip_bfloat16hLN4vllm18Fp8KVCacheDataTypeE1EhLi16ELi64ELi256ELb0ELi9EEvPKT_PKT0_S8_ifPKiSA_SA_iPKfiiiPfSD_PS3_PT2_iSC_SC_.numbered_sgpr, max(33, .L__assert_fail.numbered_sgpr)
	.set _Z39paged_attention_ll4mi_QKV_mfma16_kernelI14__hip_bfloat16hLN4vllm18Fp8KVCacheDataTypeE1EhLi16ELi64ELi256ELb0ELi9EEvPKT_PKT0_S8_ifPKiSA_SA_iPKfiiiPfSD_PS3_PT2_iSC_SC_.num_named_barrier, max(0, .L__assert_fail.num_named_barrier)
	.set _Z39paged_attention_ll4mi_QKV_mfma16_kernelI14__hip_bfloat16hLN4vllm18Fp8KVCacheDataTypeE1EhLi16ELi64ELi256ELb0ELi9EEvPKT_PKT0_S8_ifPKiSA_SA_iPKfiiiPfSD_PS3_PT2_iSC_SC_.private_seg_size, 0+max(.L__assert_fail.private_seg_size)
	.set _Z39paged_attention_ll4mi_QKV_mfma16_kernelI14__hip_bfloat16hLN4vllm18Fp8KVCacheDataTypeE1EhLi16ELi64ELi256ELb0ELi9EEvPKT_PKT0_S8_ifPKiSA_SA_iPKfiiiPfSD_PS3_PT2_iSC_SC_.uses_vcc, or(1, .L__assert_fail.uses_vcc)
	.set _Z39paged_attention_ll4mi_QKV_mfma16_kernelI14__hip_bfloat16hLN4vllm18Fp8KVCacheDataTypeE1EhLi16ELi64ELi256ELb0ELi9EEvPKT_PKT0_S8_ifPKiSA_SA_iPKfiiiPfSD_PS3_PT2_iSC_SC_.uses_flat_scratch, or(0, .L__assert_fail.uses_flat_scratch)
	.set _Z39paged_attention_ll4mi_QKV_mfma16_kernelI14__hip_bfloat16hLN4vllm18Fp8KVCacheDataTypeE1EhLi16ELi64ELi256ELb0ELi9EEvPKT_PKT0_S8_ifPKiSA_SA_iPKfiiiPfSD_PS3_PT2_iSC_SC_.has_dyn_sized_stack, or(0, .L__assert_fail.has_dyn_sized_stack)
	.set _Z39paged_attention_ll4mi_QKV_mfma16_kernelI14__hip_bfloat16hLN4vllm18Fp8KVCacheDataTypeE1EhLi16ELi64ELi256ELb0ELi9EEvPKT_PKT0_S8_ifPKiSA_SA_iPKfiiiPfSD_PS3_PT2_iSC_SC_.has_recursion, or(0, .L__assert_fail.has_recursion)
	.set _Z39paged_attention_ll4mi_QKV_mfma16_kernelI14__hip_bfloat16hLN4vllm18Fp8KVCacheDataTypeE1EhLi16ELi64ELi256ELb0ELi9EEvPKT_PKT0_S8_ifPKiSA_SA_iPKfiiiPfSD_PS3_PT2_iSC_SC_.has_indirect_call, or(0, .L__assert_fail.has_indirect_call)
	.section	.AMDGPU.csdata,"",@progbits
; Kernel info:
; codeLenInByte = 68
; TotalNumSgprs: 36
; NumVgprs: 51
; ScratchSize: 64
; MemoryBound: 0
; FloatMode: 240
; IeeeMode: 1
; LDSByteSize: 0 bytes/workgroup (compile time only)
; SGPRBlocks: 0
; VGPRBlocks: 3
; NumSGPRsForWavesPerEU: 36
; NumVGPRsForWavesPerEU: 51
; NamedBarCnt: 0
; Occupancy: 16
; WaveLimiterHint : 1
; COMPUTE_PGM_RSRC2:SCRATCH_EN: 1
; COMPUTE_PGM_RSRC2:USER_SGPR: 2
; COMPUTE_PGM_RSRC2:TRAP_HANDLER: 0
; COMPUTE_PGM_RSRC2:TGID_X_EN: 1
; COMPUTE_PGM_RSRC2:TGID_Y_EN: 0
; COMPUTE_PGM_RSRC2:TGID_Z_EN: 0
; COMPUTE_PGM_RSRC2:TIDIG_COMP_CNT: 0
	.section	.text._Z39paged_attention_ll4mi_QKV_mfma16_kernelI14__hip_bfloat16hLN4vllm18Fp8KVCacheDataTypeE1EhLi16ELi64ELi256ELb0ELi10EEvPKT_PKT0_S8_ifPKiSA_SA_iPKfiiiPfSD_PS3_PT2_iSC_SC_,"axG",@progbits,_Z39paged_attention_ll4mi_QKV_mfma16_kernelI14__hip_bfloat16hLN4vllm18Fp8KVCacheDataTypeE1EhLi16ELi64ELi256ELb0ELi10EEvPKT_PKT0_S8_ifPKiSA_SA_iPKfiiiPfSD_PS3_PT2_iSC_SC_,comdat
	.protected	_Z39paged_attention_ll4mi_QKV_mfma16_kernelI14__hip_bfloat16hLN4vllm18Fp8KVCacheDataTypeE1EhLi16ELi64ELi256ELb0ELi10EEvPKT_PKT0_S8_ifPKiSA_SA_iPKfiiiPfSD_PS3_PT2_iSC_SC_ ; -- Begin function _Z39paged_attention_ll4mi_QKV_mfma16_kernelI14__hip_bfloat16hLN4vllm18Fp8KVCacheDataTypeE1EhLi16ELi64ELi256ELb0ELi10EEvPKT_PKT0_S8_ifPKiSA_SA_iPKfiiiPfSD_PS3_PT2_iSC_SC_
	.globl	_Z39paged_attention_ll4mi_QKV_mfma16_kernelI14__hip_bfloat16hLN4vllm18Fp8KVCacheDataTypeE1EhLi16ELi64ELi256ELb0ELi10EEvPKT_PKT0_S8_ifPKiSA_SA_iPKfiiiPfSD_PS3_PT2_iSC_SC_
	.p2align	8
	.type	_Z39paged_attention_ll4mi_QKV_mfma16_kernelI14__hip_bfloat16hLN4vllm18Fp8KVCacheDataTypeE1EhLi16ELi64ELi256ELb0ELi10EEvPKT_PKT0_S8_ifPKiSA_SA_iPKfiiiPfSD_PS3_PT2_iSC_SC_,@function
_Z39paged_attention_ll4mi_QKV_mfma16_kernelI14__hip_bfloat16hLN4vllm18Fp8KVCacheDataTypeE1EhLi16ELi64ELi256ELb0ELi10EEvPKT_PKT0_S8_ifPKiSA_SA_iPKfiiiPfSD_PS3_PT2_iSC_SC_: ; @_Z39paged_attention_ll4mi_QKV_mfma16_kernelI14__hip_bfloat16hLN4vllm18Fp8KVCacheDataTypeE1EhLi16ELi64ELi256ELb0ELi10EEvPKT_PKT0_S8_ifPKiSA_SA_iPKfiiiPfSD_PS3_PT2_iSC_SC_
; %bb.0:
	s_get_pc_i64 s[2:3]
	s_add_nc_u64 s[2:3], s[2:3], __PRETTY_FUNCTION__._Z39paged_attention_ll4mi_QKV_mfma16_kernelI14__hip_bfloat16hLN4vllm18Fp8KVCacheDataTypeE1EhLi16ELi64ELi256ELb0ELi10EEvPKT_PKT0_S8_ifPKiSA_SA_iPKfiiiPfSD_PS3_PT2_iSC_SC_@rel64+4
	s_delay_alu instid0(SALU_CYCLE_1)
	v_dual_mov_b32 v0, 0xbb3 :: v_dual_mov_b32 v1, s2
	v_mov_b32_e32 v2, s3
	s_add_nc_u64 s[8:9], s[0:1], 0x90
	s_get_pc_i64 s[0:1]
	s_add_nc_u64 s[0:1], s[0:1], __assert_fail@rel64+4
	s_mov_b32 s32, 0
	s_swap_pc_i64 s[30:31], s[0:1]
	.section	.rodata,"a",@progbits
	.p2align	6, 0x0
	.amdhsa_kernel _Z39paged_attention_ll4mi_QKV_mfma16_kernelI14__hip_bfloat16hLN4vllm18Fp8KVCacheDataTypeE1EhLi16ELi64ELi256ELb0ELi10EEvPKT_PKT0_S8_ifPKiSA_SA_iPKfiiiPfSD_PS3_PT2_iSC_SC_
		.amdhsa_group_segment_fixed_size 0
		.amdhsa_private_segment_fixed_size 64
		.amdhsa_kernarg_size 400
		.amdhsa_user_sgpr_count 2
		.amdhsa_user_sgpr_dispatch_ptr 0
		.amdhsa_user_sgpr_queue_ptr 0
		.amdhsa_user_sgpr_kernarg_segment_ptr 1
		.amdhsa_user_sgpr_dispatch_id 0
		.amdhsa_user_sgpr_kernarg_preload_length 0
		.amdhsa_user_sgpr_kernarg_preload_offset 0
		.amdhsa_user_sgpr_private_segment_size 0
		.amdhsa_wavefront_size32 1
		.amdhsa_uses_dynamic_stack 0
		.amdhsa_enable_private_segment 1
		.amdhsa_system_sgpr_workgroup_id_x 1
		.amdhsa_system_sgpr_workgroup_id_y 0
		.amdhsa_system_sgpr_workgroup_id_z 0
		.amdhsa_system_sgpr_workgroup_info 0
		.amdhsa_system_vgpr_workitem_id 0
		.amdhsa_next_free_vgpr 51
		.amdhsa_next_free_sgpr 34
		.amdhsa_named_barrier_count 0
		.amdhsa_reserve_vcc 1
		.amdhsa_float_round_mode_32 0
		.amdhsa_float_round_mode_16_64 0
		.amdhsa_float_denorm_mode_32 3
		.amdhsa_float_denorm_mode_16_64 3
		.amdhsa_fp16_overflow 0
		.amdhsa_memory_ordered 1
		.amdhsa_forward_progress 1
		.amdhsa_inst_pref_size 1
		.amdhsa_round_robin_scheduling 0
		.amdhsa_exception_fp_ieee_invalid_op 0
		.amdhsa_exception_fp_denorm_src 0
		.amdhsa_exception_fp_ieee_div_zero 0
		.amdhsa_exception_fp_ieee_overflow 0
		.amdhsa_exception_fp_ieee_underflow 0
		.amdhsa_exception_fp_ieee_inexact 0
		.amdhsa_exception_int_div_zero 0
	.end_amdhsa_kernel
	.section	.text._Z39paged_attention_ll4mi_QKV_mfma16_kernelI14__hip_bfloat16hLN4vllm18Fp8KVCacheDataTypeE1EhLi16ELi64ELi256ELb0ELi10EEvPKT_PKT0_S8_ifPKiSA_SA_iPKfiiiPfSD_PS3_PT2_iSC_SC_,"axG",@progbits,_Z39paged_attention_ll4mi_QKV_mfma16_kernelI14__hip_bfloat16hLN4vllm18Fp8KVCacheDataTypeE1EhLi16ELi64ELi256ELb0ELi10EEvPKT_PKT0_S8_ifPKiSA_SA_iPKfiiiPfSD_PS3_PT2_iSC_SC_,comdat
.Lfunc_end1119:
	.size	_Z39paged_attention_ll4mi_QKV_mfma16_kernelI14__hip_bfloat16hLN4vllm18Fp8KVCacheDataTypeE1EhLi16ELi64ELi256ELb0ELi10EEvPKT_PKT0_S8_ifPKiSA_SA_iPKfiiiPfSD_PS3_PT2_iSC_SC_, .Lfunc_end1119-_Z39paged_attention_ll4mi_QKV_mfma16_kernelI14__hip_bfloat16hLN4vllm18Fp8KVCacheDataTypeE1EhLi16ELi64ELi256ELb0ELi10EEvPKT_PKT0_S8_ifPKiSA_SA_iPKfiiiPfSD_PS3_PT2_iSC_SC_
                                        ; -- End function
	.set _Z39paged_attention_ll4mi_QKV_mfma16_kernelI14__hip_bfloat16hLN4vllm18Fp8KVCacheDataTypeE1EhLi16ELi64ELi256ELb0ELi10EEvPKT_PKT0_S8_ifPKiSA_SA_iPKfiiiPfSD_PS3_PT2_iSC_SC_.num_vgpr, max(3, .L__assert_fail.num_vgpr)
	.set _Z39paged_attention_ll4mi_QKV_mfma16_kernelI14__hip_bfloat16hLN4vllm18Fp8KVCacheDataTypeE1EhLi16ELi64ELi256ELb0ELi10EEvPKT_PKT0_S8_ifPKiSA_SA_iPKfiiiPfSD_PS3_PT2_iSC_SC_.num_agpr, max(0, .L__assert_fail.num_agpr)
	.set _Z39paged_attention_ll4mi_QKV_mfma16_kernelI14__hip_bfloat16hLN4vllm18Fp8KVCacheDataTypeE1EhLi16ELi64ELi256ELb0ELi10EEvPKT_PKT0_S8_ifPKiSA_SA_iPKfiiiPfSD_PS3_PT2_iSC_SC_.numbered_sgpr, max(33, .L__assert_fail.numbered_sgpr)
	.set _Z39paged_attention_ll4mi_QKV_mfma16_kernelI14__hip_bfloat16hLN4vllm18Fp8KVCacheDataTypeE1EhLi16ELi64ELi256ELb0ELi10EEvPKT_PKT0_S8_ifPKiSA_SA_iPKfiiiPfSD_PS3_PT2_iSC_SC_.num_named_barrier, max(0, .L__assert_fail.num_named_barrier)
	.set _Z39paged_attention_ll4mi_QKV_mfma16_kernelI14__hip_bfloat16hLN4vllm18Fp8KVCacheDataTypeE1EhLi16ELi64ELi256ELb0ELi10EEvPKT_PKT0_S8_ifPKiSA_SA_iPKfiiiPfSD_PS3_PT2_iSC_SC_.private_seg_size, 0+max(.L__assert_fail.private_seg_size)
	.set _Z39paged_attention_ll4mi_QKV_mfma16_kernelI14__hip_bfloat16hLN4vllm18Fp8KVCacheDataTypeE1EhLi16ELi64ELi256ELb0ELi10EEvPKT_PKT0_S8_ifPKiSA_SA_iPKfiiiPfSD_PS3_PT2_iSC_SC_.uses_vcc, or(1, .L__assert_fail.uses_vcc)
	.set _Z39paged_attention_ll4mi_QKV_mfma16_kernelI14__hip_bfloat16hLN4vllm18Fp8KVCacheDataTypeE1EhLi16ELi64ELi256ELb0ELi10EEvPKT_PKT0_S8_ifPKiSA_SA_iPKfiiiPfSD_PS3_PT2_iSC_SC_.uses_flat_scratch, or(0, .L__assert_fail.uses_flat_scratch)
	.set _Z39paged_attention_ll4mi_QKV_mfma16_kernelI14__hip_bfloat16hLN4vllm18Fp8KVCacheDataTypeE1EhLi16ELi64ELi256ELb0ELi10EEvPKT_PKT0_S8_ifPKiSA_SA_iPKfiiiPfSD_PS3_PT2_iSC_SC_.has_dyn_sized_stack, or(0, .L__assert_fail.has_dyn_sized_stack)
	.set _Z39paged_attention_ll4mi_QKV_mfma16_kernelI14__hip_bfloat16hLN4vllm18Fp8KVCacheDataTypeE1EhLi16ELi64ELi256ELb0ELi10EEvPKT_PKT0_S8_ifPKiSA_SA_iPKfiiiPfSD_PS3_PT2_iSC_SC_.has_recursion, or(0, .L__assert_fail.has_recursion)
	.set _Z39paged_attention_ll4mi_QKV_mfma16_kernelI14__hip_bfloat16hLN4vllm18Fp8KVCacheDataTypeE1EhLi16ELi64ELi256ELb0ELi10EEvPKT_PKT0_S8_ifPKiSA_SA_iPKfiiiPfSD_PS3_PT2_iSC_SC_.has_indirect_call, or(0, .L__assert_fail.has_indirect_call)
	.section	.AMDGPU.csdata,"",@progbits
; Kernel info:
; codeLenInByte = 68
; TotalNumSgprs: 36
; NumVgprs: 51
; ScratchSize: 64
; MemoryBound: 0
; FloatMode: 240
; IeeeMode: 1
; LDSByteSize: 0 bytes/workgroup (compile time only)
; SGPRBlocks: 0
; VGPRBlocks: 3
; NumSGPRsForWavesPerEU: 36
; NumVGPRsForWavesPerEU: 51
; NamedBarCnt: 0
; Occupancy: 16
; WaveLimiterHint : 1
; COMPUTE_PGM_RSRC2:SCRATCH_EN: 1
; COMPUTE_PGM_RSRC2:USER_SGPR: 2
; COMPUTE_PGM_RSRC2:TRAP_HANDLER: 0
; COMPUTE_PGM_RSRC2:TGID_X_EN: 1
; COMPUTE_PGM_RSRC2:TGID_Y_EN: 0
; COMPUTE_PGM_RSRC2:TGID_Z_EN: 0
; COMPUTE_PGM_RSRC2:TIDIG_COMP_CNT: 0
	.section	.text._Z39paged_attention_ll4mi_QKV_mfma16_kernelI14__hip_bfloat16hLN4vllm18Fp8KVCacheDataTypeE1EhLi16ELi64ELi256ELb0ELi11EEvPKT_PKT0_S8_ifPKiSA_SA_iPKfiiiPfSD_PS3_PT2_iSC_SC_,"axG",@progbits,_Z39paged_attention_ll4mi_QKV_mfma16_kernelI14__hip_bfloat16hLN4vllm18Fp8KVCacheDataTypeE1EhLi16ELi64ELi256ELb0ELi11EEvPKT_PKT0_S8_ifPKiSA_SA_iPKfiiiPfSD_PS3_PT2_iSC_SC_,comdat
	.protected	_Z39paged_attention_ll4mi_QKV_mfma16_kernelI14__hip_bfloat16hLN4vllm18Fp8KVCacheDataTypeE1EhLi16ELi64ELi256ELb0ELi11EEvPKT_PKT0_S8_ifPKiSA_SA_iPKfiiiPfSD_PS3_PT2_iSC_SC_ ; -- Begin function _Z39paged_attention_ll4mi_QKV_mfma16_kernelI14__hip_bfloat16hLN4vllm18Fp8KVCacheDataTypeE1EhLi16ELi64ELi256ELb0ELi11EEvPKT_PKT0_S8_ifPKiSA_SA_iPKfiiiPfSD_PS3_PT2_iSC_SC_
	.globl	_Z39paged_attention_ll4mi_QKV_mfma16_kernelI14__hip_bfloat16hLN4vllm18Fp8KVCacheDataTypeE1EhLi16ELi64ELi256ELb0ELi11EEvPKT_PKT0_S8_ifPKiSA_SA_iPKfiiiPfSD_PS3_PT2_iSC_SC_
	.p2align	8
	.type	_Z39paged_attention_ll4mi_QKV_mfma16_kernelI14__hip_bfloat16hLN4vllm18Fp8KVCacheDataTypeE1EhLi16ELi64ELi256ELb0ELi11EEvPKT_PKT0_S8_ifPKiSA_SA_iPKfiiiPfSD_PS3_PT2_iSC_SC_,@function
_Z39paged_attention_ll4mi_QKV_mfma16_kernelI14__hip_bfloat16hLN4vllm18Fp8KVCacheDataTypeE1EhLi16ELi64ELi256ELb0ELi11EEvPKT_PKT0_S8_ifPKiSA_SA_iPKfiiiPfSD_PS3_PT2_iSC_SC_: ; @_Z39paged_attention_ll4mi_QKV_mfma16_kernelI14__hip_bfloat16hLN4vllm18Fp8KVCacheDataTypeE1EhLi16ELi64ELi256ELb0ELi11EEvPKT_PKT0_S8_ifPKiSA_SA_iPKfiiiPfSD_PS3_PT2_iSC_SC_
; %bb.0:
	s_get_pc_i64 s[2:3]
	s_add_nc_u64 s[2:3], s[2:3], __PRETTY_FUNCTION__._Z39paged_attention_ll4mi_QKV_mfma16_kernelI14__hip_bfloat16hLN4vllm18Fp8KVCacheDataTypeE1EhLi16ELi64ELi256ELb0ELi11EEvPKT_PKT0_S8_ifPKiSA_SA_iPKfiiiPfSD_PS3_PT2_iSC_SC_@rel64+4
	s_delay_alu instid0(SALU_CYCLE_1)
	v_dual_mov_b32 v0, 0xbb3 :: v_dual_mov_b32 v1, s2
	v_mov_b32_e32 v2, s3
	s_add_nc_u64 s[8:9], s[0:1], 0x90
	s_get_pc_i64 s[0:1]
	s_add_nc_u64 s[0:1], s[0:1], __assert_fail@rel64+4
	s_mov_b32 s32, 0
	s_swap_pc_i64 s[30:31], s[0:1]
	.section	.rodata,"a",@progbits
	.p2align	6, 0x0
	.amdhsa_kernel _Z39paged_attention_ll4mi_QKV_mfma16_kernelI14__hip_bfloat16hLN4vllm18Fp8KVCacheDataTypeE1EhLi16ELi64ELi256ELb0ELi11EEvPKT_PKT0_S8_ifPKiSA_SA_iPKfiiiPfSD_PS3_PT2_iSC_SC_
		.amdhsa_group_segment_fixed_size 0
		.amdhsa_private_segment_fixed_size 64
		.amdhsa_kernarg_size 400
		.amdhsa_user_sgpr_count 2
		.amdhsa_user_sgpr_dispatch_ptr 0
		.amdhsa_user_sgpr_queue_ptr 0
		.amdhsa_user_sgpr_kernarg_segment_ptr 1
		.amdhsa_user_sgpr_dispatch_id 0
		.amdhsa_user_sgpr_kernarg_preload_length 0
		.amdhsa_user_sgpr_kernarg_preload_offset 0
		.amdhsa_user_sgpr_private_segment_size 0
		.amdhsa_wavefront_size32 1
		.amdhsa_uses_dynamic_stack 0
		.amdhsa_enable_private_segment 1
		.amdhsa_system_sgpr_workgroup_id_x 1
		.amdhsa_system_sgpr_workgroup_id_y 0
		.amdhsa_system_sgpr_workgroup_id_z 0
		.amdhsa_system_sgpr_workgroup_info 0
		.amdhsa_system_vgpr_workitem_id 0
		.amdhsa_next_free_vgpr 51
		.amdhsa_next_free_sgpr 34
		.amdhsa_named_barrier_count 0
		.amdhsa_reserve_vcc 1
		.amdhsa_float_round_mode_32 0
		.amdhsa_float_round_mode_16_64 0
		.amdhsa_float_denorm_mode_32 3
		.amdhsa_float_denorm_mode_16_64 3
		.amdhsa_fp16_overflow 0
		.amdhsa_memory_ordered 1
		.amdhsa_forward_progress 1
		.amdhsa_inst_pref_size 1
		.amdhsa_round_robin_scheduling 0
		.amdhsa_exception_fp_ieee_invalid_op 0
		.amdhsa_exception_fp_denorm_src 0
		.amdhsa_exception_fp_ieee_div_zero 0
		.amdhsa_exception_fp_ieee_overflow 0
		.amdhsa_exception_fp_ieee_underflow 0
		.amdhsa_exception_fp_ieee_inexact 0
		.amdhsa_exception_int_div_zero 0
	.end_amdhsa_kernel
	.section	.text._Z39paged_attention_ll4mi_QKV_mfma16_kernelI14__hip_bfloat16hLN4vllm18Fp8KVCacheDataTypeE1EhLi16ELi64ELi256ELb0ELi11EEvPKT_PKT0_S8_ifPKiSA_SA_iPKfiiiPfSD_PS3_PT2_iSC_SC_,"axG",@progbits,_Z39paged_attention_ll4mi_QKV_mfma16_kernelI14__hip_bfloat16hLN4vllm18Fp8KVCacheDataTypeE1EhLi16ELi64ELi256ELb0ELi11EEvPKT_PKT0_S8_ifPKiSA_SA_iPKfiiiPfSD_PS3_PT2_iSC_SC_,comdat
.Lfunc_end1120:
	.size	_Z39paged_attention_ll4mi_QKV_mfma16_kernelI14__hip_bfloat16hLN4vllm18Fp8KVCacheDataTypeE1EhLi16ELi64ELi256ELb0ELi11EEvPKT_PKT0_S8_ifPKiSA_SA_iPKfiiiPfSD_PS3_PT2_iSC_SC_, .Lfunc_end1120-_Z39paged_attention_ll4mi_QKV_mfma16_kernelI14__hip_bfloat16hLN4vllm18Fp8KVCacheDataTypeE1EhLi16ELi64ELi256ELb0ELi11EEvPKT_PKT0_S8_ifPKiSA_SA_iPKfiiiPfSD_PS3_PT2_iSC_SC_
                                        ; -- End function
	.set _Z39paged_attention_ll4mi_QKV_mfma16_kernelI14__hip_bfloat16hLN4vllm18Fp8KVCacheDataTypeE1EhLi16ELi64ELi256ELb0ELi11EEvPKT_PKT0_S8_ifPKiSA_SA_iPKfiiiPfSD_PS3_PT2_iSC_SC_.num_vgpr, max(3, .L__assert_fail.num_vgpr)
	.set _Z39paged_attention_ll4mi_QKV_mfma16_kernelI14__hip_bfloat16hLN4vllm18Fp8KVCacheDataTypeE1EhLi16ELi64ELi256ELb0ELi11EEvPKT_PKT0_S8_ifPKiSA_SA_iPKfiiiPfSD_PS3_PT2_iSC_SC_.num_agpr, max(0, .L__assert_fail.num_agpr)
	.set _Z39paged_attention_ll4mi_QKV_mfma16_kernelI14__hip_bfloat16hLN4vllm18Fp8KVCacheDataTypeE1EhLi16ELi64ELi256ELb0ELi11EEvPKT_PKT0_S8_ifPKiSA_SA_iPKfiiiPfSD_PS3_PT2_iSC_SC_.numbered_sgpr, max(33, .L__assert_fail.numbered_sgpr)
	.set _Z39paged_attention_ll4mi_QKV_mfma16_kernelI14__hip_bfloat16hLN4vllm18Fp8KVCacheDataTypeE1EhLi16ELi64ELi256ELb0ELi11EEvPKT_PKT0_S8_ifPKiSA_SA_iPKfiiiPfSD_PS3_PT2_iSC_SC_.num_named_barrier, max(0, .L__assert_fail.num_named_barrier)
	.set _Z39paged_attention_ll4mi_QKV_mfma16_kernelI14__hip_bfloat16hLN4vllm18Fp8KVCacheDataTypeE1EhLi16ELi64ELi256ELb0ELi11EEvPKT_PKT0_S8_ifPKiSA_SA_iPKfiiiPfSD_PS3_PT2_iSC_SC_.private_seg_size, 0+max(.L__assert_fail.private_seg_size)
	.set _Z39paged_attention_ll4mi_QKV_mfma16_kernelI14__hip_bfloat16hLN4vllm18Fp8KVCacheDataTypeE1EhLi16ELi64ELi256ELb0ELi11EEvPKT_PKT0_S8_ifPKiSA_SA_iPKfiiiPfSD_PS3_PT2_iSC_SC_.uses_vcc, or(1, .L__assert_fail.uses_vcc)
	.set _Z39paged_attention_ll4mi_QKV_mfma16_kernelI14__hip_bfloat16hLN4vllm18Fp8KVCacheDataTypeE1EhLi16ELi64ELi256ELb0ELi11EEvPKT_PKT0_S8_ifPKiSA_SA_iPKfiiiPfSD_PS3_PT2_iSC_SC_.uses_flat_scratch, or(0, .L__assert_fail.uses_flat_scratch)
	.set _Z39paged_attention_ll4mi_QKV_mfma16_kernelI14__hip_bfloat16hLN4vllm18Fp8KVCacheDataTypeE1EhLi16ELi64ELi256ELb0ELi11EEvPKT_PKT0_S8_ifPKiSA_SA_iPKfiiiPfSD_PS3_PT2_iSC_SC_.has_dyn_sized_stack, or(0, .L__assert_fail.has_dyn_sized_stack)
	.set _Z39paged_attention_ll4mi_QKV_mfma16_kernelI14__hip_bfloat16hLN4vllm18Fp8KVCacheDataTypeE1EhLi16ELi64ELi256ELb0ELi11EEvPKT_PKT0_S8_ifPKiSA_SA_iPKfiiiPfSD_PS3_PT2_iSC_SC_.has_recursion, or(0, .L__assert_fail.has_recursion)
	.set _Z39paged_attention_ll4mi_QKV_mfma16_kernelI14__hip_bfloat16hLN4vllm18Fp8KVCacheDataTypeE1EhLi16ELi64ELi256ELb0ELi11EEvPKT_PKT0_S8_ifPKiSA_SA_iPKfiiiPfSD_PS3_PT2_iSC_SC_.has_indirect_call, or(0, .L__assert_fail.has_indirect_call)
	.section	.AMDGPU.csdata,"",@progbits
; Kernel info:
; codeLenInByte = 68
; TotalNumSgprs: 36
; NumVgprs: 51
; ScratchSize: 64
; MemoryBound: 0
; FloatMode: 240
; IeeeMode: 1
; LDSByteSize: 0 bytes/workgroup (compile time only)
; SGPRBlocks: 0
; VGPRBlocks: 3
; NumSGPRsForWavesPerEU: 36
; NumVGPRsForWavesPerEU: 51
; NamedBarCnt: 0
; Occupancy: 16
; WaveLimiterHint : 1
; COMPUTE_PGM_RSRC2:SCRATCH_EN: 1
; COMPUTE_PGM_RSRC2:USER_SGPR: 2
; COMPUTE_PGM_RSRC2:TRAP_HANDLER: 0
; COMPUTE_PGM_RSRC2:TGID_X_EN: 1
; COMPUTE_PGM_RSRC2:TGID_Y_EN: 0
; COMPUTE_PGM_RSRC2:TGID_Z_EN: 0
; COMPUTE_PGM_RSRC2:TIDIG_COMP_CNT: 0
	.section	.text._Z39paged_attention_ll4mi_QKV_mfma16_kernelI14__hip_bfloat16hLN4vllm18Fp8KVCacheDataTypeE1EhLi16ELi64ELi256ELb0ELi12EEvPKT_PKT0_S8_ifPKiSA_SA_iPKfiiiPfSD_PS3_PT2_iSC_SC_,"axG",@progbits,_Z39paged_attention_ll4mi_QKV_mfma16_kernelI14__hip_bfloat16hLN4vllm18Fp8KVCacheDataTypeE1EhLi16ELi64ELi256ELb0ELi12EEvPKT_PKT0_S8_ifPKiSA_SA_iPKfiiiPfSD_PS3_PT2_iSC_SC_,comdat
	.protected	_Z39paged_attention_ll4mi_QKV_mfma16_kernelI14__hip_bfloat16hLN4vllm18Fp8KVCacheDataTypeE1EhLi16ELi64ELi256ELb0ELi12EEvPKT_PKT0_S8_ifPKiSA_SA_iPKfiiiPfSD_PS3_PT2_iSC_SC_ ; -- Begin function _Z39paged_attention_ll4mi_QKV_mfma16_kernelI14__hip_bfloat16hLN4vllm18Fp8KVCacheDataTypeE1EhLi16ELi64ELi256ELb0ELi12EEvPKT_PKT0_S8_ifPKiSA_SA_iPKfiiiPfSD_PS3_PT2_iSC_SC_
	.globl	_Z39paged_attention_ll4mi_QKV_mfma16_kernelI14__hip_bfloat16hLN4vllm18Fp8KVCacheDataTypeE1EhLi16ELi64ELi256ELb0ELi12EEvPKT_PKT0_S8_ifPKiSA_SA_iPKfiiiPfSD_PS3_PT2_iSC_SC_
	.p2align	8
	.type	_Z39paged_attention_ll4mi_QKV_mfma16_kernelI14__hip_bfloat16hLN4vllm18Fp8KVCacheDataTypeE1EhLi16ELi64ELi256ELb0ELi12EEvPKT_PKT0_S8_ifPKiSA_SA_iPKfiiiPfSD_PS3_PT2_iSC_SC_,@function
_Z39paged_attention_ll4mi_QKV_mfma16_kernelI14__hip_bfloat16hLN4vllm18Fp8KVCacheDataTypeE1EhLi16ELi64ELi256ELb0ELi12EEvPKT_PKT0_S8_ifPKiSA_SA_iPKfiiiPfSD_PS3_PT2_iSC_SC_: ; @_Z39paged_attention_ll4mi_QKV_mfma16_kernelI14__hip_bfloat16hLN4vllm18Fp8KVCacheDataTypeE1EhLi16ELi64ELi256ELb0ELi12EEvPKT_PKT0_S8_ifPKiSA_SA_iPKfiiiPfSD_PS3_PT2_iSC_SC_
; %bb.0:
	s_get_pc_i64 s[2:3]
	s_add_nc_u64 s[2:3], s[2:3], __PRETTY_FUNCTION__._Z39paged_attention_ll4mi_QKV_mfma16_kernelI14__hip_bfloat16hLN4vllm18Fp8KVCacheDataTypeE1EhLi16ELi64ELi256ELb0ELi12EEvPKT_PKT0_S8_ifPKiSA_SA_iPKfiiiPfSD_PS3_PT2_iSC_SC_@rel64+4
	s_delay_alu instid0(SALU_CYCLE_1)
	v_dual_mov_b32 v0, 0xbb3 :: v_dual_mov_b32 v1, s2
	v_mov_b32_e32 v2, s3
	s_add_nc_u64 s[8:9], s[0:1], 0x90
	s_get_pc_i64 s[0:1]
	s_add_nc_u64 s[0:1], s[0:1], __assert_fail@rel64+4
	s_mov_b32 s32, 0
	s_swap_pc_i64 s[30:31], s[0:1]
	.section	.rodata,"a",@progbits
	.p2align	6, 0x0
	.amdhsa_kernel _Z39paged_attention_ll4mi_QKV_mfma16_kernelI14__hip_bfloat16hLN4vllm18Fp8KVCacheDataTypeE1EhLi16ELi64ELi256ELb0ELi12EEvPKT_PKT0_S8_ifPKiSA_SA_iPKfiiiPfSD_PS3_PT2_iSC_SC_
		.amdhsa_group_segment_fixed_size 0
		.amdhsa_private_segment_fixed_size 64
		.amdhsa_kernarg_size 400
		.amdhsa_user_sgpr_count 2
		.amdhsa_user_sgpr_dispatch_ptr 0
		.amdhsa_user_sgpr_queue_ptr 0
		.amdhsa_user_sgpr_kernarg_segment_ptr 1
		.amdhsa_user_sgpr_dispatch_id 0
		.amdhsa_user_sgpr_kernarg_preload_length 0
		.amdhsa_user_sgpr_kernarg_preload_offset 0
		.amdhsa_user_sgpr_private_segment_size 0
		.amdhsa_wavefront_size32 1
		.amdhsa_uses_dynamic_stack 0
		.amdhsa_enable_private_segment 1
		.amdhsa_system_sgpr_workgroup_id_x 1
		.amdhsa_system_sgpr_workgroup_id_y 0
		.amdhsa_system_sgpr_workgroup_id_z 0
		.amdhsa_system_sgpr_workgroup_info 0
		.amdhsa_system_vgpr_workitem_id 0
		.amdhsa_next_free_vgpr 51
		.amdhsa_next_free_sgpr 34
		.amdhsa_named_barrier_count 0
		.amdhsa_reserve_vcc 1
		.amdhsa_float_round_mode_32 0
		.amdhsa_float_round_mode_16_64 0
		.amdhsa_float_denorm_mode_32 3
		.amdhsa_float_denorm_mode_16_64 3
		.amdhsa_fp16_overflow 0
		.amdhsa_memory_ordered 1
		.amdhsa_forward_progress 1
		.amdhsa_inst_pref_size 1
		.amdhsa_round_robin_scheduling 0
		.amdhsa_exception_fp_ieee_invalid_op 0
		.amdhsa_exception_fp_denorm_src 0
		.amdhsa_exception_fp_ieee_div_zero 0
		.amdhsa_exception_fp_ieee_overflow 0
		.amdhsa_exception_fp_ieee_underflow 0
		.amdhsa_exception_fp_ieee_inexact 0
		.amdhsa_exception_int_div_zero 0
	.end_amdhsa_kernel
	.section	.text._Z39paged_attention_ll4mi_QKV_mfma16_kernelI14__hip_bfloat16hLN4vllm18Fp8KVCacheDataTypeE1EhLi16ELi64ELi256ELb0ELi12EEvPKT_PKT0_S8_ifPKiSA_SA_iPKfiiiPfSD_PS3_PT2_iSC_SC_,"axG",@progbits,_Z39paged_attention_ll4mi_QKV_mfma16_kernelI14__hip_bfloat16hLN4vllm18Fp8KVCacheDataTypeE1EhLi16ELi64ELi256ELb0ELi12EEvPKT_PKT0_S8_ifPKiSA_SA_iPKfiiiPfSD_PS3_PT2_iSC_SC_,comdat
.Lfunc_end1121:
	.size	_Z39paged_attention_ll4mi_QKV_mfma16_kernelI14__hip_bfloat16hLN4vllm18Fp8KVCacheDataTypeE1EhLi16ELi64ELi256ELb0ELi12EEvPKT_PKT0_S8_ifPKiSA_SA_iPKfiiiPfSD_PS3_PT2_iSC_SC_, .Lfunc_end1121-_Z39paged_attention_ll4mi_QKV_mfma16_kernelI14__hip_bfloat16hLN4vllm18Fp8KVCacheDataTypeE1EhLi16ELi64ELi256ELb0ELi12EEvPKT_PKT0_S8_ifPKiSA_SA_iPKfiiiPfSD_PS3_PT2_iSC_SC_
                                        ; -- End function
	.set _Z39paged_attention_ll4mi_QKV_mfma16_kernelI14__hip_bfloat16hLN4vllm18Fp8KVCacheDataTypeE1EhLi16ELi64ELi256ELb0ELi12EEvPKT_PKT0_S8_ifPKiSA_SA_iPKfiiiPfSD_PS3_PT2_iSC_SC_.num_vgpr, max(3, .L__assert_fail.num_vgpr)
	.set _Z39paged_attention_ll4mi_QKV_mfma16_kernelI14__hip_bfloat16hLN4vllm18Fp8KVCacheDataTypeE1EhLi16ELi64ELi256ELb0ELi12EEvPKT_PKT0_S8_ifPKiSA_SA_iPKfiiiPfSD_PS3_PT2_iSC_SC_.num_agpr, max(0, .L__assert_fail.num_agpr)
	.set _Z39paged_attention_ll4mi_QKV_mfma16_kernelI14__hip_bfloat16hLN4vllm18Fp8KVCacheDataTypeE1EhLi16ELi64ELi256ELb0ELi12EEvPKT_PKT0_S8_ifPKiSA_SA_iPKfiiiPfSD_PS3_PT2_iSC_SC_.numbered_sgpr, max(33, .L__assert_fail.numbered_sgpr)
	.set _Z39paged_attention_ll4mi_QKV_mfma16_kernelI14__hip_bfloat16hLN4vllm18Fp8KVCacheDataTypeE1EhLi16ELi64ELi256ELb0ELi12EEvPKT_PKT0_S8_ifPKiSA_SA_iPKfiiiPfSD_PS3_PT2_iSC_SC_.num_named_barrier, max(0, .L__assert_fail.num_named_barrier)
	.set _Z39paged_attention_ll4mi_QKV_mfma16_kernelI14__hip_bfloat16hLN4vllm18Fp8KVCacheDataTypeE1EhLi16ELi64ELi256ELb0ELi12EEvPKT_PKT0_S8_ifPKiSA_SA_iPKfiiiPfSD_PS3_PT2_iSC_SC_.private_seg_size, 0+max(.L__assert_fail.private_seg_size)
	.set _Z39paged_attention_ll4mi_QKV_mfma16_kernelI14__hip_bfloat16hLN4vllm18Fp8KVCacheDataTypeE1EhLi16ELi64ELi256ELb0ELi12EEvPKT_PKT0_S8_ifPKiSA_SA_iPKfiiiPfSD_PS3_PT2_iSC_SC_.uses_vcc, or(1, .L__assert_fail.uses_vcc)
	.set _Z39paged_attention_ll4mi_QKV_mfma16_kernelI14__hip_bfloat16hLN4vllm18Fp8KVCacheDataTypeE1EhLi16ELi64ELi256ELb0ELi12EEvPKT_PKT0_S8_ifPKiSA_SA_iPKfiiiPfSD_PS3_PT2_iSC_SC_.uses_flat_scratch, or(0, .L__assert_fail.uses_flat_scratch)
	.set _Z39paged_attention_ll4mi_QKV_mfma16_kernelI14__hip_bfloat16hLN4vllm18Fp8KVCacheDataTypeE1EhLi16ELi64ELi256ELb0ELi12EEvPKT_PKT0_S8_ifPKiSA_SA_iPKfiiiPfSD_PS3_PT2_iSC_SC_.has_dyn_sized_stack, or(0, .L__assert_fail.has_dyn_sized_stack)
	.set _Z39paged_attention_ll4mi_QKV_mfma16_kernelI14__hip_bfloat16hLN4vllm18Fp8KVCacheDataTypeE1EhLi16ELi64ELi256ELb0ELi12EEvPKT_PKT0_S8_ifPKiSA_SA_iPKfiiiPfSD_PS3_PT2_iSC_SC_.has_recursion, or(0, .L__assert_fail.has_recursion)
	.set _Z39paged_attention_ll4mi_QKV_mfma16_kernelI14__hip_bfloat16hLN4vllm18Fp8KVCacheDataTypeE1EhLi16ELi64ELi256ELb0ELi12EEvPKT_PKT0_S8_ifPKiSA_SA_iPKfiiiPfSD_PS3_PT2_iSC_SC_.has_indirect_call, or(0, .L__assert_fail.has_indirect_call)
	.section	.AMDGPU.csdata,"",@progbits
; Kernel info:
; codeLenInByte = 68
; TotalNumSgprs: 36
; NumVgprs: 51
; ScratchSize: 64
; MemoryBound: 0
; FloatMode: 240
; IeeeMode: 1
; LDSByteSize: 0 bytes/workgroup (compile time only)
; SGPRBlocks: 0
; VGPRBlocks: 3
; NumSGPRsForWavesPerEU: 36
; NumVGPRsForWavesPerEU: 51
; NamedBarCnt: 0
; Occupancy: 16
; WaveLimiterHint : 1
; COMPUTE_PGM_RSRC2:SCRATCH_EN: 1
; COMPUTE_PGM_RSRC2:USER_SGPR: 2
; COMPUTE_PGM_RSRC2:TRAP_HANDLER: 0
; COMPUTE_PGM_RSRC2:TGID_X_EN: 1
; COMPUTE_PGM_RSRC2:TGID_Y_EN: 0
; COMPUTE_PGM_RSRC2:TGID_Z_EN: 0
; COMPUTE_PGM_RSRC2:TIDIG_COMP_CNT: 0
	.section	.text._Z39paged_attention_ll4mi_QKV_mfma16_kernelI14__hip_bfloat16hLN4vllm18Fp8KVCacheDataTypeE1EhLi16ELi64ELi256ELb0ELi13EEvPKT_PKT0_S8_ifPKiSA_SA_iPKfiiiPfSD_PS3_PT2_iSC_SC_,"axG",@progbits,_Z39paged_attention_ll4mi_QKV_mfma16_kernelI14__hip_bfloat16hLN4vllm18Fp8KVCacheDataTypeE1EhLi16ELi64ELi256ELb0ELi13EEvPKT_PKT0_S8_ifPKiSA_SA_iPKfiiiPfSD_PS3_PT2_iSC_SC_,comdat
	.protected	_Z39paged_attention_ll4mi_QKV_mfma16_kernelI14__hip_bfloat16hLN4vllm18Fp8KVCacheDataTypeE1EhLi16ELi64ELi256ELb0ELi13EEvPKT_PKT0_S8_ifPKiSA_SA_iPKfiiiPfSD_PS3_PT2_iSC_SC_ ; -- Begin function _Z39paged_attention_ll4mi_QKV_mfma16_kernelI14__hip_bfloat16hLN4vllm18Fp8KVCacheDataTypeE1EhLi16ELi64ELi256ELb0ELi13EEvPKT_PKT0_S8_ifPKiSA_SA_iPKfiiiPfSD_PS3_PT2_iSC_SC_
	.globl	_Z39paged_attention_ll4mi_QKV_mfma16_kernelI14__hip_bfloat16hLN4vllm18Fp8KVCacheDataTypeE1EhLi16ELi64ELi256ELb0ELi13EEvPKT_PKT0_S8_ifPKiSA_SA_iPKfiiiPfSD_PS3_PT2_iSC_SC_
	.p2align	8
	.type	_Z39paged_attention_ll4mi_QKV_mfma16_kernelI14__hip_bfloat16hLN4vllm18Fp8KVCacheDataTypeE1EhLi16ELi64ELi256ELb0ELi13EEvPKT_PKT0_S8_ifPKiSA_SA_iPKfiiiPfSD_PS3_PT2_iSC_SC_,@function
_Z39paged_attention_ll4mi_QKV_mfma16_kernelI14__hip_bfloat16hLN4vllm18Fp8KVCacheDataTypeE1EhLi16ELi64ELi256ELb0ELi13EEvPKT_PKT0_S8_ifPKiSA_SA_iPKfiiiPfSD_PS3_PT2_iSC_SC_: ; @_Z39paged_attention_ll4mi_QKV_mfma16_kernelI14__hip_bfloat16hLN4vllm18Fp8KVCacheDataTypeE1EhLi16ELi64ELi256ELb0ELi13EEvPKT_PKT0_S8_ifPKiSA_SA_iPKfiiiPfSD_PS3_PT2_iSC_SC_
; %bb.0:
	s_get_pc_i64 s[2:3]
	s_add_nc_u64 s[2:3], s[2:3], __PRETTY_FUNCTION__._Z39paged_attention_ll4mi_QKV_mfma16_kernelI14__hip_bfloat16hLN4vllm18Fp8KVCacheDataTypeE1EhLi16ELi64ELi256ELb0ELi13EEvPKT_PKT0_S8_ifPKiSA_SA_iPKfiiiPfSD_PS3_PT2_iSC_SC_@rel64+4
	s_delay_alu instid0(SALU_CYCLE_1)
	v_dual_mov_b32 v0, 0xbb3 :: v_dual_mov_b32 v1, s2
	v_mov_b32_e32 v2, s3
	s_add_nc_u64 s[8:9], s[0:1], 0x90
	s_get_pc_i64 s[0:1]
	s_add_nc_u64 s[0:1], s[0:1], __assert_fail@rel64+4
	s_mov_b32 s32, 0
	s_swap_pc_i64 s[30:31], s[0:1]
	.section	.rodata,"a",@progbits
	.p2align	6, 0x0
	.amdhsa_kernel _Z39paged_attention_ll4mi_QKV_mfma16_kernelI14__hip_bfloat16hLN4vllm18Fp8KVCacheDataTypeE1EhLi16ELi64ELi256ELb0ELi13EEvPKT_PKT0_S8_ifPKiSA_SA_iPKfiiiPfSD_PS3_PT2_iSC_SC_
		.amdhsa_group_segment_fixed_size 0
		.amdhsa_private_segment_fixed_size 64
		.amdhsa_kernarg_size 400
		.amdhsa_user_sgpr_count 2
		.amdhsa_user_sgpr_dispatch_ptr 0
		.amdhsa_user_sgpr_queue_ptr 0
		.amdhsa_user_sgpr_kernarg_segment_ptr 1
		.amdhsa_user_sgpr_dispatch_id 0
		.amdhsa_user_sgpr_kernarg_preload_length 0
		.amdhsa_user_sgpr_kernarg_preload_offset 0
		.amdhsa_user_sgpr_private_segment_size 0
		.amdhsa_wavefront_size32 1
		.amdhsa_uses_dynamic_stack 0
		.amdhsa_enable_private_segment 1
		.amdhsa_system_sgpr_workgroup_id_x 1
		.amdhsa_system_sgpr_workgroup_id_y 0
		.amdhsa_system_sgpr_workgroup_id_z 0
		.amdhsa_system_sgpr_workgroup_info 0
		.amdhsa_system_vgpr_workitem_id 0
		.amdhsa_next_free_vgpr 51
		.amdhsa_next_free_sgpr 34
		.amdhsa_named_barrier_count 0
		.amdhsa_reserve_vcc 1
		.amdhsa_float_round_mode_32 0
		.amdhsa_float_round_mode_16_64 0
		.amdhsa_float_denorm_mode_32 3
		.amdhsa_float_denorm_mode_16_64 3
		.amdhsa_fp16_overflow 0
		.amdhsa_memory_ordered 1
		.amdhsa_forward_progress 1
		.amdhsa_inst_pref_size 1
		.amdhsa_round_robin_scheduling 0
		.amdhsa_exception_fp_ieee_invalid_op 0
		.amdhsa_exception_fp_denorm_src 0
		.amdhsa_exception_fp_ieee_div_zero 0
		.amdhsa_exception_fp_ieee_overflow 0
		.amdhsa_exception_fp_ieee_underflow 0
		.amdhsa_exception_fp_ieee_inexact 0
		.amdhsa_exception_int_div_zero 0
	.end_amdhsa_kernel
	.section	.text._Z39paged_attention_ll4mi_QKV_mfma16_kernelI14__hip_bfloat16hLN4vllm18Fp8KVCacheDataTypeE1EhLi16ELi64ELi256ELb0ELi13EEvPKT_PKT0_S8_ifPKiSA_SA_iPKfiiiPfSD_PS3_PT2_iSC_SC_,"axG",@progbits,_Z39paged_attention_ll4mi_QKV_mfma16_kernelI14__hip_bfloat16hLN4vllm18Fp8KVCacheDataTypeE1EhLi16ELi64ELi256ELb0ELi13EEvPKT_PKT0_S8_ifPKiSA_SA_iPKfiiiPfSD_PS3_PT2_iSC_SC_,comdat
.Lfunc_end1122:
	.size	_Z39paged_attention_ll4mi_QKV_mfma16_kernelI14__hip_bfloat16hLN4vllm18Fp8KVCacheDataTypeE1EhLi16ELi64ELi256ELb0ELi13EEvPKT_PKT0_S8_ifPKiSA_SA_iPKfiiiPfSD_PS3_PT2_iSC_SC_, .Lfunc_end1122-_Z39paged_attention_ll4mi_QKV_mfma16_kernelI14__hip_bfloat16hLN4vllm18Fp8KVCacheDataTypeE1EhLi16ELi64ELi256ELb0ELi13EEvPKT_PKT0_S8_ifPKiSA_SA_iPKfiiiPfSD_PS3_PT2_iSC_SC_
                                        ; -- End function
	.set _Z39paged_attention_ll4mi_QKV_mfma16_kernelI14__hip_bfloat16hLN4vllm18Fp8KVCacheDataTypeE1EhLi16ELi64ELi256ELb0ELi13EEvPKT_PKT0_S8_ifPKiSA_SA_iPKfiiiPfSD_PS3_PT2_iSC_SC_.num_vgpr, max(3, .L__assert_fail.num_vgpr)
	.set _Z39paged_attention_ll4mi_QKV_mfma16_kernelI14__hip_bfloat16hLN4vllm18Fp8KVCacheDataTypeE1EhLi16ELi64ELi256ELb0ELi13EEvPKT_PKT0_S8_ifPKiSA_SA_iPKfiiiPfSD_PS3_PT2_iSC_SC_.num_agpr, max(0, .L__assert_fail.num_agpr)
	.set _Z39paged_attention_ll4mi_QKV_mfma16_kernelI14__hip_bfloat16hLN4vllm18Fp8KVCacheDataTypeE1EhLi16ELi64ELi256ELb0ELi13EEvPKT_PKT0_S8_ifPKiSA_SA_iPKfiiiPfSD_PS3_PT2_iSC_SC_.numbered_sgpr, max(33, .L__assert_fail.numbered_sgpr)
	.set _Z39paged_attention_ll4mi_QKV_mfma16_kernelI14__hip_bfloat16hLN4vllm18Fp8KVCacheDataTypeE1EhLi16ELi64ELi256ELb0ELi13EEvPKT_PKT0_S8_ifPKiSA_SA_iPKfiiiPfSD_PS3_PT2_iSC_SC_.num_named_barrier, max(0, .L__assert_fail.num_named_barrier)
	.set _Z39paged_attention_ll4mi_QKV_mfma16_kernelI14__hip_bfloat16hLN4vllm18Fp8KVCacheDataTypeE1EhLi16ELi64ELi256ELb0ELi13EEvPKT_PKT0_S8_ifPKiSA_SA_iPKfiiiPfSD_PS3_PT2_iSC_SC_.private_seg_size, 0+max(.L__assert_fail.private_seg_size)
	.set _Z39paged_attention_ll4mi_QKV_mfma16_kernelI14__hip_bfloat16hLN4vllm18Fp8KVCacheDataTypeE1EhLi16ELi64ELi256ELb0ELi13EEvPKT_PKT0_S8_ifPKiSA_SA_iPKfiiiPfSD_PS3_PT2_iSC_SC_.uses_vcc, or(1, .L__assert_fail.uses_vcc)
	.set _Z39paged_attention_ll4mi_QKV_mfma16_kernelI14__hip_bfloat16hLN4vllm18Fp8KVCacheDataTypeE1EhLi16ELi64ELi256ELb0ELi13EEvPKT_PKT0_S8_ifPKiSA_SA_iPKfiiiPfSD_PS3_PT2_iSC_SC_.uses_flat_scratch, or(0, .L__assert_fail.uses_flat_scratch)
	.set _Z39paged_attention_ll4mi_QKV_mfma16_kernelI14__hip_bfloat16hLN4vllm18Fp8KVCacheDataTypeE1EhLi16ELi64ELi256ELb0ELi13EEvPKT_PKT0_S8_ifPKiSA_SA_iPKfiiiPfSD_PS3_PT2_iSC_SC_.has_dyn_sized_stack, or(0, .L__assert_fail.has_dyn_sized_stack)
	.set _Z39paged_attention_ll4mi_QKV_mfma16_kernelI14__hip_bfloat16hLN4vllm18Fp8KVCacheDataTypeE1EhLi16ELi64ELi256ELb0ELi13EEvPKT_PKT0_S8_ifPKiSA_SA_iPKfiiiPfSD_PS3_PT2_iSC_SC_.has_recursion, or(0, .L__assert_fail.has_recursion)
	.set _Z39paged_attention_ll4mi_QKV_mfma16_kernelI14__hip_bfloat16hLN4vllm18Fp8KVCacheDataTypeE1EhLi16ELi64ELi256ELb0ELi13EEvPKT_PKT0_S8_ifPKiSA_SA_iPKfiiiPfSD_PS3_PT2_iSC_SC_.has_indirect_call, or(0, .L__assert_fail.has_indirect_call)
	.section	.AMDGPU.csdata,"",@progbits
; Kernel info:
; codeLenInByte = 68
; TotalNumSgprs: 36
; NumVgprs: 51
; ScratchSize: 64
; MemoryBound: 0
; FloatMode: 240
; IeeeMode: 1
; LDSByteSize: 0 bytes/workgroup (compile time only)
; SGPRBlocks: 0
; VGPRBlocks: 3
; NumSGPRsForWavesPerEU: 36
; NumVGPRsForWavesPerEU: 51
; NamedBarCnt: 0
; Occupancy: 16
; WaveLimiterHint : 1
; COMPUTE_PGM_RSRC2:SCRATCH_EN: 1
; COMPUTE_PGM_RSRC2:USER_SGPR: 2
; COMPUTE_PGM_RSRC2:TRAP_HANDLER: 0
; COMPUTE_PGM_RSRC2:TGID_X_EN: 1
; COMPUTE_PGM_RSRC2:TGID_Y_EN: 0
; COMPUTE_PGM_RSRC2:TGID_Z_EN: 0
; COMPUTE_PGM_RSRC2:TIDIG_COMP_CNT: 0
	.section	.text._Z39paged_attention_ll4mi_QKV_mfma16_kernelI14__hip_bfloat16hLN4vllm18Fp8KVCacheDataTypeE1EhLi16ELi64ELi256ELb0ELi14EEvPKT_PKT0_S8_ifPKiSA_SA_iPKfiiiPfSD_PS3_PT2_iSC_SC_,"axG",@progbits,_Z39paged_attention_ll4mi_QKV_mfma16_kernelI14__hip_bfloat16hLN4vllm18Fp8KVCacheDataTypeE1EhLi16ELi64ELi256ELb0ELi14EEvPKT_PKT0_S8_ifPKiSA_SA_iPKfiiiPfSD_PS3_PT2_iSC_SC_,comdat
	.protected	_Z39paged_attention_ll4mi_QKV_mfma16_kernelI14__hip_bfloat16hLN4vllm18Fp8KVCacheDataTypeE1EhLi16ELi64ELi256ELb0ELi14EEvPKT_PKT0_S8_ifPKiSA_SA_iPKfiiiPfSD_PS3_PT2_iSC_SC_ ; -- Begin function _Z39paged_attention_ll4mi_QKV_mfma16_kernelI14__hip_bfloat16hLN4vllm18Fp8KVCacheDataTypeE1EhLi16ELi64ELi256ELb0ELi14EEvPKT_PKT0_S8_ifPKiSA_SA_iPKfiiiPfSD_PS3_PT2_iSC_SC_
	.globl	_Z39paged_attention_ll4mi_QKV_mfma16_kernelI14__hip_bfloat16hLN4vllm18Fp8KVCacheDataTypeE1EhLi16ELi64ELi256ELb0ELi14EEvPKT_PKT0_S8_ifPKiSA_SA_iPKfiiiPfSD_PS3_PT2_iSC_SC_
	.p2align	8
	.type	_Z39paged_attention_ll4mi_QKV_mfma16_kernelI14__hip_bfloat16hLN4vllm18Fp8KVCacheDataTypeE1EhLi16ELi64ELi256ELb0ELi14EEvPKT_PKT0_S8_ifPKiSA_SA_iPKfiiiPfSD_PS3_PT2_iSC_SC_,@function
_Z39paged_attention_ll4mi_QKV_mfma16_kernelI14__hip_bfloat16hLN4vllm18Fp8KVCacheDataTypeE1EhLi16ELi64ELi256ELb0ELi14EEvPKT_PKT0_S8_ifPKiSA_SA_iPKfiiiPfSD_PS3_PT2_iSC_SC_: ; @_Z39paged_attention_ll4mi_QKV_mfma16_kernelI14__hip_bfloat16hLN4vllm18Fp8KVCacheDataTypeE1EhLi16ELi64ELi256ELb0ELi14EEvPKT_PKT0_S8_ifPKiSA_SA_iPKfiiiPfSD_PS3_PT2_iSC_SC_
; %bb.0:
	s_get_pc_i64 s[2:3]
	s_add_nc_u64 s[2:3], s[2:3], __PRETTY_FUNCTION__._Z39paged_attention_ll4mi_QKV_mfma16_kernelI14__hip_bfloat16hLN4vllm18Fp8KVCacheDataTypeE1EhLi16ELi64ELi256ELb0ELi14EEvPKT_PKT0_S8_ifPKiSA_SA_iPKfiiiPfSD_PS3_PT2_iSC_SC_@rel64+4
	s_delay_alu instid0(SALU_CYCLE_1)
	v_dual_mov_b32 v0, 0xbb3 :: v_dual_mov_b32 v1, s2
	v_mov_b32_e32 v2, s3
	s_add_nc_u64 s[8:9], s[0:1], 0x90
	s_get_pc_i64 s[0:1]
	s_add_nc_u64 s[0:1], s[0:1], __assert_fail@rel64+4
	s_mov_b32 s32, 0
	s_swap_pc_i64 s[30:31], s[0:1]
	.section	.rodata,"a",@progbits
	.p2align	6, 0x0
	.amdhsa_kernel _Z39paged_attention_ll4mi_QKV_mfma16_kernelI14__hip_bfloat16hLN4vllm18Fp8KVCacheDataTypeE1EhLi16ELi64ELi256ELb0ELi14EEvPKT_PKT0_S8_ifPKiSA_SA_iPKfiiiPfSD_PS3_PT2_iSC_SC_
		.amdhsa_group_segment_fixed_size 0
		.amdhsa_private_segment_fixed_size 64
		.amdhsa_kernarg_size 400
		.amdhsa_user_sgpr_count 2
		.amdhsa_user_sgpr_dispatch_ptr 0
		.amdhsa_user_sgpr_queue_ptr 0
		.amdhsa_user_sgpr_kernarg_segment_ptr 1
		.amdhsa_user_sgpr_dispatch_id 0
		.amdhsa_user_sgpr_kernarg_preload_length 0
		.amdhsa_user_sgpr_kernarg_preload_offset 0
		.amdhsa_user_sgpr_private_segment_size 0
		.amdhsa_wavefront_size32 1
		.amdhsa_uses_dynamic_stack 0
		.amdhsa_enable_private_segment 1
		.amdhsa_system_sgpr_workgroup_id_x 1
		.amdhsa_system_sgpr_workgroup_id_y 0
		.amdhsa_system_sgpr_workgroup_id_z 0
		.amdhsa_system_sgpr_workgroup_info 0
		.amdhsa_system_vgpr_workitem_id 0
		.amdhsa_next_free_vgpr 51
		.amdhsa_next_free_sgpr 34
		.amdhsa_named_barrier_count 0
		.amdhsa_reserve_vcc 1
		.amdhsa_float_round_mode_32 0
		.amdhsa_float_round_mode_16_64 0
		.amdhsa_float_denorm_mode_32 3
		.amdhsa_float_denorm_mode_16_64 3
		.amdhsa_fp16_overflow 0
		.amdhsa_memory_ordered 1
		.amdhsa_forward_progress 1
		.amdhsa_inst_pref_size 1
		.amdhsa_round_robin_scheduling 0
		.amdhsa_exception_fp_ieee_invalid_op 0
		.amdhsa_exception_fp_denorm_src 0
		.amdhsa_exception_fp_ieee_div_zero 0
		.amdhsa_exception_fp_ieee_overflow 0
		.amdhsa_exception_fp_ieee_underflow 0
		.amdhsa_exception_fp_ieee_inexact 0
		.amdhsa_exception_int_div_zero 0
	.end_amdhsa_kernel
	.section	.text._Z39paged_attention_ll4mi_QKV_mfma16_kernelI14__hip_bfloat16hLN4vllm18Fp8KVCacheDataTypeE1EhLi16ELi64ELi256ELb0ELi14EEvPKT_PKT0_S8_ifPKiSA_SA_iPKfiiiPfSD_PS3_PT2_iSC_SC_,"axG",@progbits,_Z39paged_attention_ll4mi_QKV_mfma16_kernelI14__hip_bfloat16hLN4vllm18Fp8KVCacheDataTypeE1EhLi16ELi64ELi256ELb0ELi14EEvPKT_PKT0_S8_ifPKiSA_SA_iPKfiiiPfSD_PS3_PT2_iSC_SC_,comdat
.Lfunc_end1123:
	.size	_Z39paged_attention_ll4mi_QKV_mfma16_kernelI14__hip_bfloat16hLN4vllm18Fp8KVCacheDataTypeE1EhLi16ELi64ELi256ELb0ELi14EEvPKT_PKT0_S8_ifPKiSA_SA_iPKfiiiPfSD_PS3_PT2_iSC_SC_, .Lfunc_end1123-_Z39paged_attention_ll4mi_QKV_mfma16_kernelI14__hip_bfloat16hLN4vllm18Fp8KVCacheDataTypeE1EhLi16ELi64ELi256ELb0ELi14EEvPKT_PKT0_S8_ifPKiSA_SA_iPKfiiiPfSD_PS3_PT2_iSC_SC_
                                        ; -- End function
	.set _Z39paged_attention_ll4mi_QKV_mfma16_kernelI14__hip_bfloat16hLN4vllm18Fp8KVCacheDataTypeE1EhLi16ELi64ELi256ELb0ELi14EEvPKT_PKT0_S8_ifPKiSA_SA_iPKfiiiPfSD_PS3_PT2_iSC_SC_.num_vgpr, max(3, .L__assert_fail.num_vgpr)
	.set _Z39paged_attention_ll4mi_QKV_mfma16_kernelI14__hip_bfloat16hLN4vllm18Fp8KVCacheDataTypeE1EhLi16ELi64ELi256ELb0ELi14EEvPKT_PKT0_S8_ifPKiSA_SA_iPKfiiiPfSD_PS3_PT2_iSC_SC_.num_agpr, max(0, .L__assert_fail.num_agpr)
	.set _Z39paged_attention_ll4mi_QKV_mfma16_kernelI14__hip_bfloat16hLN4vllm18Fp8KVCacheDataTypeE1EhLi16ELi64ELi256ELb0ELi14EEvPKT_PKT0_S8_ifPKiSA_SA_iPKfiiiPfSD_PS3_PT2_iSC_SC_.numbered_sgpr, max(33, .L__assert_fail.numbered_sgpr)
	.set _Z39paged_attention_ll4mi_QKV_mfma16_kernelI14__hip_bfloat16hLN4vllm18Fp8KVCacheDataTypeE1EhLi16ELi64ELi256ELb0ELi14EEvPKT_PKT0_S8_ifPKiSA_SA_iPKfiiiPfSD_PS3_PT2_iSC_SC_.num_named_barrier, max(0, .L__assert_fail.num_named_barrier)
	.set _Z39paged_attention_ll4mi_QKV_mfma16_kernelI14__hip_bfloat16hLN4vllm18Fp8KVCacheDataTypeE1EhLi16ELi64ELi256ELb0ELi14EEvPKT_PKT0_S8_ifPKiSA_SA_iPKfiiiPfSD_PS3_PT2_iSC_SC_.private_seg_size, 0+max(.L__assert_fail.private_seg_size)
	.set _Z39paged_attention_ll4mi_QKV_mfma16_kernelI14__hip_bfloat16hLN4vllm18Fp8KVCacheDataTypeE1EhLi16ELi64ELi256ELb0ELi14EEvPKT_PKT0_S8_ifPKiSA_SA_iPKfiiiPfSD_PS3_PT2_iSC_SC_.uses_vcc, or(1, .L__assert_fail.uses_vcc)
	.set _Z39paged_attention_ll4mi_QKV_mfma16_kernelI14__hip_bfloat16hLN4vllm18Fp8KVCacheDataTypeE1EhLi16ELi64ELi256ELb0ELi14EEvPKT_PKT0_S8_ifPKiSA_SA_iPKfiiiPfSD_PS3_PT2_iSC_SC_.uses_flat_scratch, or(0, .L__assert_fail.uses_flat_scratch)
	.set _Z39paged_attention_ll4mi_QKV_mfma16_kernelI14__hip_bfloat16hLN4vllm18Fp8KVCacheDataTypeE1EhLi16ELi64ELi256ELb0ELi14EEvPKT_PKT0_S8_ifPKiSA_SA_iPKfiiiPfSD_PS3_PT2_iSC_SC_.has_dyn_sized_stack, or(0, .L__assert_fail.has_dyn_sized_stack)
	.set _Z39paged_attention_ll4mi_QKV_mfma16_kernelI14__hip_bfloat16hLN4vllm18Fp8KVCacheDataTypeE1EhLi16ELi64ELi256ELb0ELi14EEvPKT_PKT0_S8_ifPKiSA_SA_iPKfiiiPfSD_PS3_PT2_iSC_SC_.has_recursion, or(0, .L__assert_fail.has_recursion)
	.set _Z39paged_attention_ll4mi_QKV_mfma16_kernelI14__hip_bfloat16hLN4vllm18Fp8KVCacheDataTypeE1EhLi16ELi64ELi256ELb0ELi14EEvPKT_PKT0_S8_ifPKiSA_SA_iPKfiiiPfSD_PS3_PT2_iSC_SC_.has_indirect_call, or(0, .L__assert_fail.has_indirect_call)
	.section	.AMDGPU.csdata,"",@progbits
; Kernel info:
; codeLenInByte = 68
; TotalNumSgprs: 36
; NumVgprs: 51
; ScratchSize: 64
; MemoryBound: 0
; FloatMode: 240
; IeeeMode: 1
; LDSByteSize: 0 bytes/workgroup (compile time only)
; SGPRBlocks: 0
; VGPRBlocks: 3
; NumSGPRsForWavesPerEU: 36
; NumVGPRsForWavesPerEU: 51
; NamedBarCnt: 0
; Occupancy: 16
; WaveLimiterHint : 1
; COMPUTE_PGM_RSRC2:SCRATCH_EN: 1
; COMPUTE_PGM_RSRC2:USER_SGPR: 2
; COMPUTE_PGM_RSRC2:TRAP_HANDLER: 0
; COMPUTE_PGM_RSRC2:TGID_X_EN: 1
; COMPUTE_PGM_RSRC2:TGID_Y_EN: 0
; COMPUTE_PGM_RSRC2:TGID_Z_EN: 0
; COMPUTE_PGM_RSRC2:TIDIG_COMP_CNT: 0
	.section	.text._Z39paged_attention_ll4mi_QKV_mfma16_kernelI14__hip_bfloat16hLN4vllm18Fp8KVCacheDataTypeE1EhLi16ELi64ELi256ELb0ELi15EEvPKT_PKT0_S8_ifPKiSA_SA_iPKfiiiPfSD_PS3_PT2_iSC_SC_,"axG",@progbits,_Z39paged_attention_ll4mi_QKV_mfma16_kernelI14__hip_bfloat16hLN4vllm18Fp8KVCacheDataTypeE1EhLi16ELi64ELi256ELb0ELi15EEvPKT_PKT0_S8_ifPKiSA_SA_iPKfiiiPfSD_PS3_PT2_iSC_SC_,comdat
	.protected	_Z39paged_attention_ll4mi_QKV_mfma16_kernelI14__hip_bfloat16hLN4vllm18Fp8KVCacheDataTypeE1EhLi16ELi64ELi256ELb0ELi15EEvPKT_PKT0_S8_ifPKiSA_SA_iPKfiiiPfSD_PS3_PT2_iSC_SC_ ; -- Begin function _Z39paged_attention_ll4mi_QKV_mfma16_kernelI14__hip_bfloat16hLN4vllm18Fp8KVCacheDataTypeE1EhLi16ELi64ELi256ELb0ELi15EEvPKT_PKT0_S8_ifPKiSA_SA_iPKfiiiPfSD_PS3_PT2_iSC_SC_
	.globl	_Z39paged_attention_ll4mi_QKV_mfma16_kernelI14__hip_bfloat16hLN4vllm18Fp8KVCacheDataTypeE1EhLi16ELi64ELi256ELb0ELi15EEvPKT_PKT0_S8_ifPKiSA_SA_iPKfiiiPfSD_PS3_PT2_iSC_SC_
	.p2align	8
	.type	_Z39paged_attention_ll4mi_QKV_mfma16_kernelI14__hip_bfloat16hLN4vllm18Fp8KVCacheDataTypeE1EhLi16ELi64ELi256ELb0ELi15EEvPKT_PKT0_S8_ifPKiSA_SA_iPKfiiiPfSD_PS3_PT2_iSC_SC_,@function
_Z39paged_attention_ll4mi_QKV_mfma16_kernelI14__hip_bfloat16hLN4vllm18Fp8KVCacheDataTypeE1EhLi16ELi64ELi256ELb0ELi15EEvPKT_PKT0_S8_ifPKiSA_SA_iPKfiiiPfSD_PS3_PT2_iSC_SC_: ; @_Z39paged_attention_ll4mi_QKV_mfma16_kernelI14__hip_bfloat16hLN4vllm18Fp8KVCacheDataTypeE1EhLi16ELi64ELi256ELb0ELi15EEvPKT_PKT0_S8_ifPKiSA_SA_iPKfiiiPfSD_PS3_PT2_iSC_SC_
; %bb.0:
	s_get_pc_i64 s[2:3]
	s_add_nc_u64 s[2:3], s[2:3], __PRETTY_FUNCTION__._Z39paged_attention_ll4mi_QKV_mfma16_kernelI14__hip_bfloat16hLN4vllm18Fp8KVCacheDataTypeE1EhLi16ELi64ELi256ELb0ELi15EEvPKT_PKT0_S8_ifPKiSA_SA_iPKfiiiPfSD_PS3_PT2_iSC_SC_@rel64+4
	s_delay_alu instid0(SALU_CYCLE_1)
	v_dual_mov_b32 v0, 0xbb3 :: v_dual_mov_b32 v1, s2
	v_mov_b32_e32 v2, s3
	s_add_nc_u64 s[8:9], s[0:1], 0x90
	s_get_pc_i64 s[0:1]
	s_add_nc_u64 s[0:1], s[0:1], __assert_fail@rel64+4
	s_mov_b32 s32, 0
	s_swap_pc_i64 s[30:31], s[0:1]
	.section	.rodata,"a",@progbits
	.p2align	6, 0x0
	.amdhsa_kernel _Z39paged_attention_ll4mi_QKV_mfma16_kernelI14__hip_bfloat16hLN4vllm18Fp8KVCacheDataTypeE1EhLi16ELi64ELi256ELb0ELi15EEvPKT_PKT0_S8_ifPKiSA_SA_iPKfiiiPfSD_PS3_PT2_iSC_SC_
		.amdhsa_group_segment_fixed_size 0
		.amdhsa_private_segment_fixed_size 64
		.amdhsa_kernarg_size 400
		.amdhsa_user_sgpr_count 2
		.amdhsa_user_sgpr_dispatch_ptr 0
		.amdhsa_user_sgpr_queue_ptr 0
		.amdhsa_user_sgpr_kernarg_segment_ptr 1
		.amdhsa_user_sgpr_dispatch_id 0
		.amdhsa_user_sgpr_kernarg_preload_length 0
		.amdhsa_user_sgpr_kernarg_preload_offset 0
		.amdhsa_user_sgpr_private_segment_size 0
		.amdhsa_wavefront_size32 1
		.amdhsa_uses_dynamic_stack 0
		.amdhsa_enable_private_segment 1
		.amdhsa_system_sgpr_workgroup_id_x 1
		.amdhsa_system_sgpr_workgroup_id_y 0
		.amdhsa_system_sgpr_workgroup_id_z 0
		.amdhsa_system_sgpr_workgroup_info 0
		.amdhsa_system_vgpr_workitem_id 0
		.amdhsa_next_free_vgpr 51
		.amdhsa_next_free_sgpr 34
		.amdhsa_named_barrier_count 0
		.amdhsa_reserve_vcc 1
		.amdhsa_float_round_mode_32 0
		.amdhsa_float_round_mode_16_64 0
		.amdhsa_float_denorm_mode_32 3
		.amdhsa_float_denorm_mode_16_64 3
		.amdhsa_fp16_overflow 0
		.amdhsa_memory_ordered 1
		.amdhsa_forward_progress 1
		.amdhsa_inst_pref_size 1
		.amdhsa_round_robin_scheduling 0
		.amdhsa_exception_fp_ieee_invalid_op 0
		.amdhsa_exception_fp_denorm_src 0
		.amdhsa_exception_fp_ieee_div_zero 0
		.amdhsa_exception_fp_ieee_overflow 0
		.amdhsa_exception_fp_ieee_underflow 0
		.amdhsa_exception_fp_ieee_inexact 0
		.amdhsa_exception_int_div_zero 0
	.end_amdhsa_kernel
	.section	.text._Z39paged_attention_ll4mi_QKV_mfma16_kernelI14__hip_bfloat16hLN4vllm18Fp8KVCacheDataTypeE1EhLi16ELi64ELi256ELb0ELi15EEvPKT_PKT0_S8_ifPKiSA_SA_iPKfiiiPfSD_PS3_PT2_iSC_SC_,"axG",@progbits,_Z39paged_attention_ll4mi_QKV_mfma16_kernelI14__hip_bfloat16hLN4vllm18Fp8KVCacheDataTypeE1EhLi16ELi64ELi256ELb0ELi15EEvPKT_PKT0_S8_ifPKiSA_SA_iPKfiiiPfSD_PS3_PT2_iSC_SC_,comdat
.Lfunc_end1124:
	.size	_Z39paged_attention_ll4mi_QKV_mfma16_kernelI14__hip_bfloat16hLN4vllm18Fp8KVCacheDataTypeE1EhLi16ELi64ELi256ELb0ELi15EEvPKT_PKT0_S8_ifPKiSA_SA_iPKfiiiPfSD_PS3_PT2_iSC_SC_, .Lfunc_end1124-_Z39paged_attention_ll4mi_QKV_mfma16_kernelI14__hip_bfloat16hLN4vllm18Fp8KVCacheDataTypeE1EhLi16ELi64ELi256ELb0ELi15EEvPKT_PKT0_S8_ifPKiSA_SA_iPKfiiiPfSD_PS3_PT2_iSC_SC_
                                        ; -- End function
	.set _Z39paged_attention_ll4mi_QKV_mfma16_kernelI14__hip_bfloat16hLN4vllm18Fp8KVCacheDataTypeE1EhLi16ELi64ELi256ELb0ELi15EEvPKT_PKT0_S8_ifPKiSA_SA_iPKfiiiPfSD_PS3_PT2_iSC_SC_.num_vgpr, max(3, .L__assert_fail.num_vgpr)
	.set _Z39paged_attention_ll4mi_QKV_mfma16_kernelI14__hip_bfloat16hLN4vllm18Fp8KVCacheDataTypeE1EhLi16ELi64ELi256ELb0ELi15EEvPKT_PKT0_S8_ifPKiSA_SA_iPKfiiiPfSD_PS3_PT2_iSC_SC_.num_agpr, max(0, .L__assert_fail.num_agpr)
	.set _Z39paged_attention_ll4mi_QKV_mfma16_kernelI14__hip_bfloat16hLN4vllm18Fp8KVCacheDataTypeE1EhLi16ELi64ELi256ELb0ELi15EEvPKT_PKT0_S8_ifPKiSA_SA_iPKfiiiPfSD_PS3_PT2_iSC_SC_.numbered_sgpr, max(33, .L__assert_fail.numbered_sgpr)
	.set _Z39paged_attention_ll4mi_QKV_mfma16_kernelI14__hip_bfloat16hLN4vllm18Fp8KVCacheDataTypeE1EhLi16ELi64ELi256ELb0ELi15EEvPKT_PKT0_S8_ifPKiSA_SA_iPKfiiiPfSD_PS3_PT2_iSC_SC_.num_named_barrier, max(0, .L__assert_fail.num_named_barrier)
	.set _Z39paged_attention_ll4mi_QKV_mfma16_kernelI14__hip_bfloat16hLN4vllm18Fp8KVCacheDataTypeE1EhLi16ELi64ELi256ELb0ELi15EEvPKT_PKT0_S8_ifPKiSA_SA_iPKfiiiPfSD_PS3_PT2_iSC_SC_.private_seg_size, 0+max(.L__assert_fail.private_seg_size)
	.set _Z39paged_attention_ll4mi_QKV_mfma16_kernelI14__hip_bfloat16hLN4vllm18Fp8KVCacheDataTypeE1EhLi16ELi64ELi256ELb0ELi15EEvPKT_PKT0_S8_ifPKiSA_SA_iPKfiiiPfSD_PS3_PT2_iSC_SC_.uses_vcc, or(1, .L__assert_fail.uses_vcc)
	.set _Z39paged_attention_ll4mi_QKV_mfma16_kernelI14__hip_bfloat16hLN4vllm18Fp8KVCacheDataTypeE1EhLi16ELi64ELi256ELb0ELi15EEvPKT_PKT0_S8_ifPKiSA_SA_iPKfiiiPfSD_PS3_PT2_iSC_SC_.uses_flat_scratch, or(0, .L__assert_fail.uses_flat_scratch)
	.set _Z39paged_attention_ll4mi_QKV_mfma16_kernelI14__hip_bfloat16hLN4vllm18Fp8KVCacheDataTypeE1EhLi16ELi64ELi256ELb0ELi15EEvPKT_PKT0_S8_ifPKiSA_SA_iPKfiiiPfSD_PS3_PT2_iSC_SC_.has_dyn_sized_stack, or(0, .L__assert_fail.has_dyn_sized_stack)
	.set _Z39paged_attention_ll4mi_QKV_mfma16_kernelI14__hip_bfloat16hLN4vllm18Fp8KVCacheDataTypeE1EhLi16ELi64ELi256ELb0ELi15EEvPKT_PKT0_S8_ifPKiSA_SA_iPKfiiiPfSD_PS3_PT2_iSC_SC_.has_recursion, or(0, .L__assert_fail.has_recursion)
	.set _Z39paged_attention_ll4mi_QKV_mfma16_kernelI14__hip_bfloat16hLN4vllm18Fp8KVCacheDataTypeE1EhLi16ELi64ELi256ELb0ELi15EEvPKT_PKT0_S8_ifPKiSA_SA_iPKfiiiPfSD_PS3_PT2_iSC_SC_.has_indirect_call, or(0, .L__assert_fail.has_indirect_call)
	.section	.AMDGPU.csdata,"",@progbits
; Kernel info:
; codeLenInByte = 68
; TotalNumSgprs: 36
; NumVgprs: 51
; ScratchSize: 64
; MemoryBound: 0
; FloatMode: 240
; IeeeMode: 1
; LDSByteSize: 0 bytes/workgroup (compile time only)
; SGPRBlocks: 0
; VGPRBlocks: 3
; NumSGPRsForWavesPerEU: 36
; NumVGPRsForWavesPerEU: 51
; NamedBarCnt: 0
; Occupancy: 16
; WaveLimiterHint : 1
; COMPUTE_PGM_RSRC2:SCRATCH_EN: 1
; COMPUTE_PGM_RSRC2:USER_SGPR: 2
; COMPUTE_PGM_RSRC2:TRAP_HANDLER: 0
; COMPUTE_PGM_RSRC2:TGID_X_EN: 1
; COMPUTE_PGM_RSRC2:TGID_Y_EN: 0
; COMPUTE_PGM_RSRC2:TGID_Z_EN: 0
; COMPUTE_PGM_RSRC2:TIDIG_COMP_CNT: 0
	.section	.text._Z39paged_attention_ll4mi_QKV_mfma16_kernelI14__hip_bfloat16hLN4vllm18Fp8KVCacheDataTypeE1EhLi16ELi64ELi256ELb0ELi16EEvPKT_PKT0_S8_ifPKiSA_SA_iPKfiiiPfSD_PS3_PT2_iSC_SC_,"axG",@progbits,_Z39paged_attention_ll4mi_QKV_mfma16_kernelI14__hip_bfloat16hLN4vllm18Fp8KVCacheDataTypeE1EhLi16ELi64ELi256ELb0ELi16EEvPKT_PKT0_S8_ifPKiSA_SA_iPKfiiiPfSD_PS3_PT2_iSC_SC_,comdat
	.protected	_Z39paged_attention_ll4mi_QKV_mfma16_kernelI14__hip_bfloat16hLN4vllm18Fp8KVCacheDataTypeE1EhLi16ELi64ELi256ELb0ELi16EEvPKT_PKT0_S8_ifPKiSA_SA_iPKfiiiPfSD_PS3_PT2_iSC_SC_ ; -- Begin function _Z39paged_attention_ll4mi_QKV_mfma16_kernelI14__hip_bfloat16hLN4vllm18Fp8KVCacheDataTypeE1EhLi16ELi64ELi256ELb0ELi16EEvPKT_PKT0_S8_ifPKiSA_SA_iPKfiiiPfSD_PS3_PT2_iSC_SC_
	.globl	_Z39paged_attention_ll4mi_QKV_mfma16_kernelI14__hip_bfloat16hLN4vllm18Fp8KVCacheDataTypeE1EhLi16ELi64ELi256ELb0ELi16EEvPKT_PKT0_S8_ifPKiSA_SA_iPKfiiiPfSD_PS3_PT2_iSC_SC_
	.p2align	8
	.type	_Z39paged_attention_ll4mi_QKV_mfma16_kernelI14__hip_bfloat16hLN4vllm18Fp8KVCacheDataTypeE1EhLi16ELi64ELi256ELb0ELi16EEvPKT_PKT0_S8_ifPKiSA_SA_iPKfiiiPfSD_PS3_PT2_iSC_SC_,@function
_Z39paged_attention_ll4mi_QKV_mfma16_kernelI14__hip_bfloat16hLN4vllm18Fp8KVCacheDataTypeE1EhLi16ELi64ELi256ELb0ELi16EEvPKT_PKT0_S8_ifPKiSA_SA_iPKfiiiPfSD_PS3_PT2_iSC_SC_: ; @_Z39paged_attention_ll4mi_QKV_mfma16_kernelI14__hip_bfloat16hLN4vllm18Fp8KVCacheDataTypeE1EhLi16ELi64ELi256ELb0ELi16EEvPKT_PKT0_S8_ifPKiSA_SA_iPKfiiiPfSD_PS3_PT2_iSC_SC_
; %bb.0:
	s_get_pc_i64 s[2:3]
	s_add_nc_u64 s[2:3], s[2:3], __PRETTY_FUNCTION__._Z39paged_attention_ll4mi_QKV_mfma16_kernelI14__hip_bfloat16hLN4vllm18Fp8KVCacheDataTypeE1EhLi16ELi64ELi256ELb0ELi16EEvPKT_PKT0_S8_ifPKiSA_SA_iPKfiiiPfSD_PS3_PT2_iSC_SC_@rel64+4
	s_delay_alu instid0(SALU_CYCLE_1)
	v_dual_mov_b32 v0, 0xbb3 :: v_dual_mov_b32 v1, s2
	v_mov_b32_e32 v2, s3
	s_add_nc_u64 s[8:9], s[0:1], 0x90
	s_get_pc_i64 s[0:1]
	s_add_nc_u64 s[0:1], s[0:1], __assert_fail@rel64+4
	s_mov_b32 s32, 0
	s_swap_pc_i64 s[30:31], s[0:1]
	.section	.rodata,"a",@progbits
	.p2align	6, 0x0
	.amdhsa_kernel _Z39paged_attention_ll4mi_QKV_mfma16_kernelI14__hip_bfloat16hLN4vllm18Fp8KVCacheDataTypeE1EhLi16ELi64ELi256ELb0ELi16EEvPKT_PKT0_S8_ifPKiSA_SA_iPKfiiiPfSD_PS3_PT2_iSC_SC_
		.amdhsa_group_segment_fixed_size 0
		.amdhsa_private_segment_fixed_size 64
		.amdhsa_kernarg_size 400
		.amdhsa_user_sgpr_count 2
		.amdhsa_user_sgpr_dispatch_ptr 0
		.amdhsa_user_sgpr_queue_ptr 0
		.amdhsa_user_sgpr_kernarg_segment_ptr 1
		.amdhsa_user_sgpr_dispatch_id 0
		.amdhsa_user_sgpr_kernarg_preload_length 0
		.amdhsa_user_sgpr_kernarg_preload_offset 0
		.amdhsa_user_sgpr_private_segment_size 0
		.amdhsa_wavefront_size32 1
		.amdhsa_uses_dynamic_stack 0
		.amdhsa_enable_private_segment 1
		.amdhsa_system_sgpr_workgroup_id_x 1
		.amdhsa_system_sgpr_workgroup_id_y 0
		.amdhsa_system_sgpr_workgroup_id_z 0
		.amdhsa_system_sgpr_workgroup_info 0
		.amdhsa_system_vgpr_workitem_id 0
		.amdhsa_next_free_vgpr 51
		.amdhsa_next_free_sgpr 34
		.amdhsa_named_barrier_count 0
		.amdhsa_reserve_vcc 1
		.amdhsa_float_round_mode_32 0
		.amdhsa_float_round_mode_16_64 0
		.amdhsa_float_denorm_mode_32 3
		.amdhsa_float_denorm_mode_16_64 3
		.amdhsa_fp16_overflow 0
		.amdhsa_memory_ordered 1
		.amdhsa_forward_progress 1
		.amdhsa_inst_pref_size 1
		.amdhsa_round_robin_scheduling 0
		.amdhsa_exception_fp_ieee_invalid_op 0
		.amdhsa_exception_fp_denorm_src 0
		.amdhsa_exception_fp_ieee_div_zero 0
		.amdhsa_exception_fp_ieee_overflow 0
		.amdhsa_exception_fp_ieee_underflow 0
		.amdhsa_exception_fp_ieee_inexact 0
		.amdhsa_exception_int_div_zero 0
	.end_amdhsa_kernel
	.section	.text._Z39paged_attention_ll4mi_QKV_mfma16_kernelI14__hip_bfloat16hLN4vllm18Fp8KVCacheDataTypeE1EhLi16ELi64ELi256ELb0ELi16EEvPKT_PKT0_S8_ifPKiSA_SA_iPKfiiiPfSD_PS3_PT2_iSC_SC_,"axG",@progbits,_Z39paged_attention_ll4mi_QKV_mfma16_kernelI14__hip_bfloat16hLN4vllm18Fp8KVCacheDataTypeE1EhLi16ELi64ELi256ELb0ELi16EEvPKT_PKT0_S8_ifPKiSA_SA_iPKfiiiPfSD_PS3_PT2_iSC_SC_,comdat
.Lfunc_end1125:
	.size	_Z39paged_attention_ll4mi_QKV_mfma16_kernelI14__hip_bfloat16hLN4vllm18Fp8KVCacheDataTypeE1EhLi16ELi64ELi256ELb0ELi16EEvPKT_PKT0_S8_ifPKiSA_SA_iPKfiiiPfSD_PS3_PT2_iSC_SC_, .Lfunc_end1125-_Z39paged_attention_ll4mi_QKV_mfma16_kernelI14__hip_bfloat16hLN4vllm18Fp8KVCacheDataTypeE1EhLi16ELi64ELi256ELb0ELi16EEvPKT_PKT0_S8_ifPKiSA_SA_iPKfiiiPfSD_PS3_PT2_iSC_SC_
                                        ; -- End function
	.set _Z39paged_attention_ll4mi_QKV_mfma16_kernelI14__hip_bfloat16hLN4vllm18Fp8KVCacheDataTypeE1EhLi16ELi64ELi256ELb0ELi16EEvPKT_PKT0_S8_ifPKiSA_SA_iPKfiiiPfSD_PS3_PT2_iSC_SC_.num_vgpr, max(3, .L__assert_fail.num_vgpr)
	.set _Z39paged_attention_ll4mi_QKV_mfma16_kernelI14__hip_bfloat16hLN4vllm18Fp8KVCacheDataTypeE1EhLi16ELi64ELi256ELb0ELi16EEvPKT_PKT0_S8_ifPKiSA_SA_iPKfiiiPfSD_PS3_PT2_iSC_SC_.num_agpr, max(0, .L__assert_fail.num_agpr)
	.set _Z39paged_attention_ll4mi_QKV_mfma16_kernelI14__hip_bfloat16hLN4vllm18Fp8KVCacheDataTypeE1EhLi16ELi64ELi256ELb0ELi16EEvPKT_PKT0_S8_ifPKiSA_SA_iPKfiiiPfSD_PS3_PT2_iSC_SC_.numbered_sgpr, max(33, .L__assert_fail.numbered_sgpr)
	.set _Z39paged_attention_ll4mi_QKV_mfma16_kernelI14__hip_bfloat16hLN4vllm18Fp8KVCacheDataTypeE1EhLi16ELi64ELi256ELb0ELi16EEvPKT_PKT0_S8_ifPKiSA_SA_iPKfiiiPfSD_PS3_PT2_iSC_SC_.num_named_barrier, max(0, .L__assert_fail.num_named_barrier)
	.set _Z39paged_attention_ll4mi_QKV_mfma16_kernelI14__hip_bfloat16hLN4vllm18Fp8KVCacheDataTypeE1EhLi16ELi64ELi256ELb0ELi16EEvPKT_PKT0_S8_ifPKiSA_SA_iPKfiiiPfSD_PS3_PT2_iSC_SC_.private_seg_size, 0+max(.L__assert_fail.private_seg_size)
	.set _Z39paged_attention_ll4mi_QKV_mfma16_kernelI14__hip_bfloat16hLN4vllm18Fp8KVCacheDataTypeE1EhLi16ELi64ELi256ELb0ELi16EEvPKT_PKT0_S8_ifPKiSA_SA_iPKfiiiPfSD_PS3_PT2_iSC_SC_.uses_vcc, or(1, .L__assert_fail.uses_vcc)
	.set _Z39paged_attention_ll4mi_QKV_mfma16_kernelI14__hip_bfloat16hLN4vllm18Fp8KVCacheDataTypeE1EhLi16ELi64ELi256ELb0ELi16EEvPKT_PKT0_S8_ifPKiSA_SA_iPKfiiiPfSD_PS3_PT2_iSC_SC_.uses_flat_scratch, or(0, .L__assert_fail.uses_flat_scratch)
	.set _Z39paged_attention_ll4mi_QKV_mfma16_kernelI14__hip_bfloat16hLN4vllm18Fp8KVCacheDataTypeE1EhLi16ELi64ELi256ELb0ELi16EEvPKT_PKT0_S8_ifPKiSA_SA_iPKfiiiPfSD_PS3_PT2_iSC_SC_.has_dyn_sized_stack, or(0, .L__assert_fail.has_dyn_sized_stack)
	.set _Z39paged_attention_ll4mi_QKV_mfma16_kernelI14__hip_bfloat16hLN4vllm18Fp8KVCacheDataTypeE1EhLi16ELi64ELi256ELb0ELi16EEvPKT_PKT0_S8_ifPKiSA_SA_iPKfiiiPfSD_PS3_PT2_iSC_SC_.has_recursion, or(0, .L__assert_fail.has_recursion)
	.set _Z39paged_attention_ll4mi_QKV_mfma16_kernelI14__hip_bfloat16hLN4vllm18Fp8KVCacheDataTypeE1EhLi16ELi64ELi256ELb0ELi16EEvPKT_PKT0_S8_ifPKiSA_SA_iPKfiiiPfSD_PS3_PT2_iSC_SC_.has_indirect_call, or(0, .L__assert_fail.has_indirect_call)
	.section	.AMDGPU.csdata,"",@progbits
; Kernel info:
; codeLenInByte = 68
; TotalNumSgprs: 36
; NumVgprs: 51
; ScratchSize: 64
; MemoryBound: 0
; FloatMode: 240
; IeeeMode: 1
; LDSByteSize: 0 bytes/workgroup (compile time only)
; SGPRBlocks: 0
; VGPRBlocks: 3
; NumSGPRsForWavesPerEU: 36
; NumVGPRsForWavesPerEU: 51
; NamedBarCnt: 0
; Occupancy: 16
; WaveLimiterHint : 1
; COMPUTE_PGM_RSRC2:SCRATCH_EN: 1
; COMPUTE_PGM_RSRC2:USER_SGPR: 2
; COMPUTE_PGM_RSRC2:TRAP_HANDLER: 0
; COMPUTE_PGM_RSRC2:TGID_X_EN: 1
; COMPUTE_PGM_RSRC2:TGID_Y_EN: 0
; COMPUTE_PGM_RSRC2:TGID_Z_EN: 0
; COMPUTE_PGM_RSRC2:TIDIG_COMP_CNT: 0
	.section	.text._Z39paged_attention_ll4mi_QKV_mfma16_kernelI14__hip_bfloat16hLN4vllm18Fp8KVCacheDataTypeE1EhLi16ELi64ELi256ELb0ELi1EEvPKT_PKT0_S8_ifPKiSA_SA_iPKfiiiPfSD_PS3_PT2_iSC_SC_,"axG",@progbits,_Z39paged_attention_ll4mi_QKV_mfma16_kernelI14__hip_bfloat16hLN4vllm18Fp8KVCacheDataTypeE1EhLi16ELi64ELi256ELb0ELi1EEvPKT_PKT0_S8_ifPKiSA_SA_iPKfiiiPfSD_PS3_PT2_iSC_SC_,comdat
	.protected	_Z39paged_attention_ll4mi_QKV_mfma16_kernelI14__hip_bfloat16hLN4vllm18Fp8KVCacheDataTypeE1EhLi16ELi64ELi256ELb0ELi1EEvPKT_PKT0_S8_ifPKiSA_SA_iPKfiiiPfSD_PS3_PT2_iSC_SC_ ; -- Begin function _Z39paged_attention_ll4mi_QKV_mfma16_kernelI14__hip_bfloat16hLN4vllm18Fp8KVCacheDataTypeE1EhLi16ELi64ELi256ELb0ELi1EEvPKT_PKT0_S8_ifPKiSA_SA_iPKfiiiPfSD_PS3_PT2_iSC_SC_
	.globl	_Z39paged_attention_ll4mi_QKV_mfma16_kernelI14__hip_bfloat16hLN4vllm18Fp8KVCacheDataTypeE1EhLi16ELi64ELi256ELb0ELi1EEvPKT_PKT0_S8_ifPKiSA_SA_iPKfiiiPfSD_PS3_PT2_iSC_SC_
	.p2align	8
	.type	_Z39paged_attention_ll4mi_QKV_mfma16_kernelI14__hip_bfloat16hLN4vllm18Fp8KVCacheDataTypeE1EhLi16ELi64ELi256ELb0ELi1EEvPKT_PKT0_S8_ifPKiSA_SA_iPKfiiiPfSD_PS3_PT2_iSC_SC_,@function
_Z39paged_attention_ll4mi_QKV_mfma16_kernelI14__hip_bfloat16hLN4vllm18Fp8KVCacheDataTypeE1EhLi16ELi64ELi256ELb0ELi1EEvPKT_PKT0_S8_ifPKiSA_SA_iPKfiiiPfSD_PS3_PT2_iSC_SC_: ; @_Z39paged_attention_ll4mi_QKV_mfma16_kernelI14__hip_bfloat16hLN4vllm18Fp8KVCacheDataTypeE1EhLi16ELi64ELi256ELb0ELi1EEvPKT_PKT0_S8_ifPKiSA_SA_iPKfiiiPfSD_PS3_PT2_iSC_SC_
; %bb.0:
	s_get_pc_i64 s[2:3]
	s_add_nc_u64 s[2:3], s[2:3], __PRETTY_FUNCTION__._Z39paged_attention_ll4mi_QKV_mfma16_kernelI14__hip_bfloat16hLN4vllm18Fp8KVCacheDataTypeE1EhLi16ELi64ELi256ELb0ELi1EEvPKT_PKT0_S8_ifPKiSA_SA_iPKfiiiPfSD_PS3_PT2_iSC_SC_@rel64+4
	s_delay_alu instid0(SALU_CYCLE_1)
	v_dual_mov_b32 v0, 0xbb3 :: v_dual_mov_b32 v1, s2
	v_mov_b32_e32 v2, s3
	s_add_nc_u64 s[8:9], s[0:1], 0x90
	s_get_pc_i64 s[0:1]
	s_add_nc_u64 s[0:1], s[0:1], __assert_fail@rel64+4
	s_mov_b32 s32, 0
	s_swap_pc_i64 s[30:31], s[0:1]
	.section	.rodata,"a",@progbits
	.p2align	6, 0x0
	.amdhsa_kernel _Z39paged_attention_ll4mi_QKV_mfma16_kernelI14__hip_bfloat16hLN4vllm18Fp8KVCacheDataTypeE1EhLi16ELi64ELi256ELb0ELi1EEvPKT_PKT0_S8_ifPKiSA_SA_iPKfiiiPfSD_PS3_PT2_iSC_SC_
		.amdhsa_group_segment_fixed_size 0
		.amdhsa_private_segment_fixed_size 64
		.amdhsa_kernarg_size 400
		.amdhsa_user_sgpr_count 2
		.amdhsa_user_sgpr_dispatch_ptr 0
		.amdhsa_user_sgpr_queue_ptr 0
		.amdhsa_user_sgpr_kernarg_segment_ptr 1
		.amdhsa_user_sgpr_dispatch_id 0
		.amdhsa_user_sgpr_kernarg_preload_length 0
		.amdhsa_user_sgpr_kernarg_preload_offset 0
		.amdhsa_user_sgpr_private_segment_size 0
		.amdhsa_wavefront_size32 1
		.amdhsa_uses_dynamic_stack 0
		.amdhsa_enable_private_segment 1
		.amdhsa_system_sgpr_workgroup_id_x 1
		.amdhsa_system_sgpr_workgroup_id_y 0
		.amdhsa_system_sgpr_workgroup_id_z 0
		.amdhsa_system_sgpr_workgroup_info 0
		.amdhsa_system_vgpr_workitem_id 0
		.amdhsa_next_free_vgpr 51
		.amdhsa_next_free_sgpr 34
		.amdhsa_named_barrier_count 0
		.amdhsa_reserve_vcc 1
		.amdhsa_float_round_mode_32 0
		.amdhsa_float_round_mode_16_64 0
		.amdhsa_float_denorm_mode_32 3
		.amdhsa_float_denorm_mode_16_64 3
		.amdhsa_fp16_overflow 0
		.amdhsa_memory_ordered 1
		.amdhsa_forward_progress 1
		.amdhsa_inst_pref_size 1
		.amdhsa_round_robin_scheduling 0
		.amdhsa_exception_fp_ieee_invalid_op 0
		.amdhsa_exception_fp_denorm_src 0
		.amdhsa_exception_fp_ieee_div_zero 0
		.amdhsa_exception_fp_ieee_overflow 0
		.amdhsa_exception_fp_ieee_underflow 0
		.amdhsa_exception_fp_ieee_inexact 0
		.amdhsa_exception_int_div_zero 0
	.end_amdhsa_kernel
	.section	.text._Z39paged_attention_ll4mi_QKV_mfma16_kernelI14__hip_bfloat16hLN4vllm18Fp8KVCacheDataTypeE1EhLi16ELi64ELi256ELb0ELi1EEvPKT_PKT0_S8_ifPKiSA_SA_iPKfiiiPfSD_PS3_PT2_iSC_SC_,"axG",@progbits,_Z39paged_attention_ll4mi_QKV_mfma16_kernelI14__hip_bfloat16hLN4vllm18Fp8KVCacheDataTypeE1EhLi16ELi64ELi256ELb0ELi1EEvPKT_PKT0_S8_ifPKiSA_SA_iPKfiiiPfSD_PS3_PT2_iSC_SC_,comdat
.Lfunc_end1126:
	.size	_Z39paged_attention_ll4mi_QKV_mfma16_kernelI14__hip_bfloat16hLN4vllm18Fp8KVCacheDataTypeE1EhLi16ELi64ELi256ELb0ELi1EEvPKT_PKT0_S8_ifPKiSA_SA_iPKfiiiPfSD_PS3_PT2_iSC_SC_, .Lfunc_end1126-_Z39paged_attention_ll4mi_QKV_mfma16_kernelI14__hip_bfloat16hLN4vllm18Fp8KVCacheDataTypeE1EhLi16ELi64ELi256ELb0ELi1EEvPKT_PKT0_S8_ifPKiSA_SA_iPKfiiiPfSD_PS3_PT2_iSC_SC_
                                        ; -- End function
	.set _Z39paged_attention_ll4mi_QKV_mfma16_kernelI14__hip_bfloat16hLN4vllm18Fp8KVCacheDataTypeE1EhLi16ELi64ELi256ELb0ELi1EEvPKT_PKT0_S8_ifPKiSA_SA_iPKfiiiPfSD_PS3_PT2_iSC_SC_.num_vgpr, max(3, .L__assert_fail.num_vgpr)
	.set _Z39paged_attention_ll4mi_QKV_mfma16_kernelI14__hip_bfloat16hLN4vllm18Fp8KVCacheDataTypeE1EhLi16ELi64ELi256ELb0ELi1EEvPKT_PKT0_S8_ifPKiSA_SA_iPKfiiiPfSD_PS3_PT2_iSC_SC_.num_agpr, max(0, .L__assert_fail.num_agpr)
	.set _Z39paged_attention_ll4mi_QKV_mfma16_kernelI14__hip_bfloat16hLN4vllm18Fp8KVCacheDataTypeE1EhLi16ELi64ELi256ELb0ELi1EEvPKT_PKT0_S8_ifPKiSA_SA_iPKfiiiPfSD_PS3_PT2_iSC_SC_.numbered_sgpr, max(33, .L__assert_fail.numbered_sgpr)
	.set _Z39paged_attention_ll4mi_QKV_mfma16_kernelI14__hip_bfloat16hLN4vllm18Fp8KVCacheDataTypeE1EhLi16ELi64ELi256ELb0ELi1EEvPKT_PKT0_S8_ifPKiSA_SA_iPKfiiiPfSD_PS3_PT2_iSC_SC_.num_named_barrier, max(0, .L__assert_fail.num_named_barrier)
	.set _Z39paged_attention_ll4mi_QKV_mfma16_kernelI14__hip_bfloat16hLN4vllm18Fp8KVCacheDataTypeE1EhLi16ELi64ELi256ELb0ELi1EEvPKT_PKT0_S8_ifPKiSA_SA_iPKfiiiPfSD_PS3_PT2_iSC_SC_.private_seg_size, 0+max(.L__assert_fail.private_seg_size)
	.set _Z39paged_attention_ll4mi_QKV_mfma16_kernelI14__hip_bfloat16hLN4vllm18Fp8KVCacheDataTypeE1EhLi16ELi64ELi256ELb0ELi1EEvPKT_PKT0_S8_ifPKiSA_SA_iPKfiiiPfSD_PS3_PT2_iSC_SC_.uses_vcc, or(1, .L__assert_fail.uses_vcc)
	.set _Z39paged_attention_ll4mi_QKV_mfma16_kernelI14__hip_bfloat16hLN4vllm18Fp8KVCacheDataTypeE1EhLi16ELi64ELi256ELb0ELi1EEvPKT_PKT0_S8_ifPKiSA_SA_iPKfiiiPfSD_PS3_PT2_iSC_SC_.uses_flat_scratch, or(0, .L__assert_fail.uses_flat_scratch)
	.set _Z39paged_attention_ll4mi_QKV_mfma16_kernelI14__hip_bfloat16hLN4vllm18Fp8KVCacheDataTypeE1EhLi16ELi64ELi256ELb0ELi1EEvPKT_PKT0_S8_ifPKiSA_SA_iPKfiiiPfSD_PS3_PT2_iSC_SC_.has_dyn_sized_stack, or(0, .L__assert_fail.has_dyn_sized_stack)
	.set _Z39paged_attention_ll4mi_QKV_mfma16_kernelI14__hip_bfloat16hLN4vllm18Fp8KVCacheDataTypeE1EhLi16ELi64ELi256ELb0ELi1EEvPKT_PKT0_S8_ifPKiSA_SA_iPKfiiiPfSD_PS3_PT2_iSC_SC_.has_recursion, or(0, .L__assert_fail.has_recursion)
	.set _Z39paged_attention_ll4mi_QKV_mfma16_kernelI14__hip_bfloat16hLN4vllm18Fp8KVCacheDataTypeE1EhLi16ELi64ELi256ELb0ELi1EEvPKT_PKT0_S8_ifPKiSA_SA_iPKfiiiPfSD_PS3_PT2_iSC_SC_.has_indirect_call, or(0, .L__assert_fail.has_indirect_call)
	.section	.AMDGPU.csdata,"",@progbits
; Kernel info:
; codeLenInByte = 68
; TotalNumSgprs: 36
; NumVgprs: 51
; ScratchSize: 64
; MemoryBound: 0
; FloatMode: 240
; IeeeMode: 1
; LDSByteSize: 0 bytes/workgroup (compile time only)
; SGPRBlocks: 0
; VGPRBlocks: 3
; NumSGPRsForWavesPerEU: 36
; NumVGPRsForWavesPerEU: 51
; NamedBarCnt: 0
; Occupancy: 16
; WaveLimiterHint : 1
; COMPUTE_PGM_RSRC2:SCRATCH_EN: 1
; COMPUTE_PGM_RSRC2:USER_SGPR: 2
; COMPUTE_PGM_RSRC2:TRAP_HANDLER: 0
; COMPUTE_PGM_RSRC2:TGID_X_EN: 1
; COMPUTE_PGM_RSRC2:TGID_Y_EN: 0
; COMPUTE_PGM_RSRC2:TGID_Z_EN: 0
; COMPUTE_PGM_RSRC2:TIDIG_COMP_CNT: 0
	.section	.text._Z39paged_attention_ll4mi_QKV_mfma16_kernelI14__hip_bfloat16hLN4vllm18Fp8KVCacheDataTypeE1EhLi16ELi64ELi256ELb0ELi2EEvPKT_PKT0_S8_ifPKiSA_SA_iPKfiiiPfSD_PS3_PT2_iSC_SC_,"axG",@progbits,_Z39paged_attention_ll4mi_QKV_mfma16_kernelI14__hip_bfloat16hLN4vllm18Fp8KVCacheDataTypeE1EhLi16ELi64ELi256ELb0ELi2EEvPKT_PKT0_S8_ifPKiSA_SA_iPKfiiiPfSD_PS3_PT2_iSC_SC_,comdat
	.protected	_Z39paged_attention_ll4mi_QKV_mfma16_kernelI14__hip_bfloat16hLN4vllm18Fp8KVCacheDataTypeE1EhLi16ELi64ELi256ELb0ELi2EEvPKT_PKT0_S8_ifPKiSA_SA_iPKfiiiPfSD_PS3_PT2_iSC_SC_ ; -- Begin function _Z39paged_attention_ll4mi_QKV_mfma16_kernelI14__hip_bfloat16hLN4vllm18Fp8KVCacheDataTypeE1EhLi16ELi64ELi256ELb0ELi2EEvPKT_PKT0_S8_ifPKiSA_SA_iPKfiiiPfSD_PS3_PT2_iSC_SC_
	.globl	_Z39paged_attention_ll4mi_QKV_mfma16_kernelI14__hip_bfloat16hLN4vllm18Fp8KVCacheDataTypeE1EhLi16ELi64ELi256ELb0ELi2EEvPKT_PKT0_S8_ifPKiSA_SA_iPKfiiiPfSD_PS3_PT2_iSC_SC_
	.p2align	8
	.type	_Z39paged_attention_ll4mi_QKV_mfma16_kernelI14__hip_bfloat16hLN4vllm18Fp8KVCacheDataTypeE1EhLi16ELi64ELi256ELb0ELi2EEvPKT_PKT0_S8_ifPKiSA_SA_iPKfiiiPfSD_PS3_PT2_iSC_SC_,@function
_Z39paged_attention_ll4mi_QKV_mfma16_kernelI14__hip_bfloat16hLN4vllm18Fp8KVCacheDataTypeE1EhLi16ELi64ELi256ELb0ELi2EEvPKT_PKT0_S8_ifPKiSA_SA_iPKfiiiPfSD_PS3_PT2_iSC_SC_: ; @_Z39paged_attention_ll4mi_QKV_mfma16_kernelI14__hip_bfloat16hLN4vllm18Fp8KVCacheDataTypeE1EhLi16ELi64ELi256ELb0ELi2EEvPKT_PKT0_S8_ifPKiSA_SA_iPKfiiiPfSD_PS3_PT2_iSC_SC_
; %bb.0:
	s_get_pc_i64 s[2:3]
	s_add_nc_u64 s[2:3], s[2:3], __PRETTY_FUNCTION__._Z39paged_attention_ll4mi_QKV_mfma16_kernelI14__hip_bfloat16hLN4vllm18Fp8KVCacheDataTypeE1EhLi16ELi64ELi256ELb0ELi2EEvPKT_PKT0_S8_ifPKiSA_SA_iPKfiiiPfSD_PS3_PT2_iSC_SC_@rel64+4
	s_delay_alu instid0(SALU_CYCLE_1)
	v_dual_mov_b32 v0, 0xbb3 :: v_dual_mov_b32 v1, s2
	v_mov_b32_e32 v2, s3
	s_add_nc_u64 s[8:9], s[0:1], 0x90
	s_get_pc_i64 s[0:1]
	s_add_nc_u64 s[0:1], s[0:1], __assert_fail@rel64+4
	s_mov_b32 s32, 0
	s_swap_pc_i64 s[30:31], s[0:1]
	.section	.rodata,"a",@progbits
	.p2align	6, 0x0
	.amdhsa_kernel _Z39paged_attention_ll4mi_QKV_mfma16_kernelI14__hip_bfloat16hLN4vllm18Fp8KVCacheDataTypeE1EhLi16ELi64ELi256ELb0ELi2EEvPKT_PKT0_S8_ifPKiSA_SA_iPKfiiiPfSD_PS3_PT2_iSC_SC_
		.amdhsa_group_segment_fixed_size 0
		.amdhsa_private_segment_fixed_size 64
		.amdhsa_kernarg_size 400
		.amdhsa_user_sgpr_count 2
		.amdhsa_user_sgpr_dispatch_ptr 0
		.amdhsa_user_sgpr_queue_ptr 0
		.amdhsa_user_sgpr_kernarg_segment_ptr 1
		.amdhsa_user_sgpr_dispatch_id 0
		.amdhsa_user_sgpr_kernarg_preload_length 0
		.amdhsa_user_sgpr_kernarg_preload_offset 0
		.amdhsa_user_sgpr_private_segment_size 0
		.amdhsa_wavefront_size32 1
		.amdhsa_uses_dynamic_stack 0
		.amdhsa_enable_private_segment 1
		.amdhsa_system_sgpr_workgroup_id_x 1
		.amdhsa_system_sgpr_workgroup_id_y 0
		.amdhsa_system_sgpr_workgroup_id_z 0
		.amdhsa_system_sgpr_workgroup_info 0
		.amdhsa_system_vgpr_workitem_id 0
		.amdhsa_next_free_vgpr 51
		.amdhsa_next_free_sgpr 34
		.amdhsa_named_barrier_count 0
		.amdhsa_reserve_vcc 1
		.amdhsa_float_round_mode_32 0
		.amdhsa_float_round_mode_16_64 0
		.amdhsa_float_denorm_mode_32 3
		.amdhsa_float_denorm_mode_16_64 3
		.amdhsa_fp16_overflow 0
		.amdhsa_memory_ordered 1
		.amdhsa_forward_progress 1
		.amdhsa_inst_pref_size 1
		.amdhsa_round_robin_scheduling 0
		.amdhsa_exception_fp_ieee_invalid_op 0
		.amdhsa_exception_fp_denorm_src 0
		.amdhsa_exception_fp_ieee_div_zero 0
		.amdhsa_exception_fp_ieee_overflow 0
		.amdhsa_exception_fp_ieee_underflow 0
		.amdhsa_exception_fp_ieee_inexact 0
		.amdhsa_exception_int_div_zero 0
	.end_amdhsa_kernel
	.section	.text._Z39paged_attention_ll4mi_QKV_mfma16_kernelI14__hip_bfloat16hLN4vllm18Fp8KVCacheDataTypeE1EhLi16ELi64ELi256ELb0ELi2EEvPKT_PKT0_S8_ifPKiSA_SA_iPKfiiiPfSD_PS3_PT2_iSC_SC_,"axG",@progbits,_Z39paged_attention_ll4mi_QKV_mfma16_kernelI14__hip_bfloat16hLN4vllm18Fp8KVCacheDataTypeE1EhLi16ELi64ELi256ELb0ELi2EEvPKT_PKT0_S8_ifPKiSA_SA_iPKfiiiPfSD_PS3_PT2_iSC_SC_,comdat
.Lfunc_end1127:
	.size	_Z39paged_attention_ll4mi_QKV_mfma16_kernelI14__hip_bfloat16hLN4vllm18Fp8KVCacheDataTypeE1EhLi16ELi64ELi256ELb0ELi2EEvPKT_PKT0_S8_ifPKiSA_SA_iPKfiiiPfSD_PS3_PT2_iSC_SC_, .Lfunc_end1127-_Z39paged_attention_ll4mi_QKV_mfma16_kernelI14__hip_bfloat16hLN4vllm18Fp8KVCacheDataTypeE1EhLi16ELi64ELi256ELb0ELi2EEvPKT_PKT0_S8_ifPKiSA_SA_iPKfiiiPfSD_PS3_PT2_iSC_SC_
                                        ; -- End function
	.set _Z39paged_attention_ll4mi_QKV_mfma16_kernelI14__hip_bfloat16hLN4vllm18Fp8KVCacheDataTypeE1EhLi16ELi64ELi256ELb0ELi2EEvPKT_PKT0_S8_ifPKiSA_SA_iPKfiiiPfSD_PS3_PT2_iSC_SC_.num_vgpr, max(3, .L__assert_fail.num_vgpr)
	.set _Z39paged_attention_ll4mi_QKV_mfma16_kernelI14__hip_bfloat16hLN4vllm18Fp8KVCacheDataTypeE1EhLi16ELi64ELi256ELb0ELi2EEvPKT_PKT0_S8_ifPKiSA_SA_iPKfiiiPfSD_PS3_PT2_iSC_SC_.num_agpr, max(0, .L__assert_fail.num_agpr)
	.set _Z39paged_attention_ll4mi_QKV_mfma16_kernelI14__hip_bfloat16hLN4vllm18Fp8KVCacheDataTypeE1EhLi16ELi64ELi256ELb0ELi2EEvPKT_PKT0_S8_ifPKiSA_SA_iPKfiiiPfSD_PS3_PT2_iSC_SC_.numbered_sgpr, max(33, .L__assert_fail.numbered_sgpr)
	.set _Z39paged_attention_ll4mi_QKV_mfma16_kernelI14__hip_bfloat16hLN4vllm18Fp8KVCacheDataTypeE1EhLi16ELi64ELi256ELb0ELi2EEvPKT_PKT0_S8_ifPKiSA_SA_iPKfiiiPfSD_PS3_PT2_iSC_SC_.num_named_barrier, max(0, .L__assert_fail.num_named_barrier)
	.set _Z39paged_attention_ll4mi_QKV_mfma16_kernelI14__hip_bfloat16hLN4vllm18Fp8KVCacheDataTypeE1EhLi16ELi64ELi256ELb0ELi2EEvPKT_PKT0_S8_ifPKiSA_SA_iPKfiiiPfSD_PS3_PT2_iSC_SC_.private_seg_size, 0+max(.L__assert_fail.private_seg_size)
	.set _Z39paged_attention_ll4mi_QKV_mfma16_kernelI14__hip_bfloat16hLN4vllm18Fp8KVCacheDataTypeE1EhLi16ELi64ELi256ELb0ELi2EEvPKT_PKT0_S8_ifPKiSA_SA_iPKfiiiPfSD_PS3_PT2_iSC_SC_.uses_vcc, or(1, .L__assert_fail.uses_vcc)
	.set _Z39paged_attention_ll4mi_QKV_mfma16_kernelI14__hip_bfloat16hLN4vllm18Fp8KVCacheDataTypeE1EhLi16ELi64ELi256ELb0ELi2EEvPKT_PKT0_S8_ifPKiSA_SA_iPKfiiiPfSD_PS3_PT2_iSC_SC_.uses_flat_scratch, or(0, .L__assert_fail.uses_flat_scratch)
	.set _Z39paged_attention_ll4mi_QKV_mfma16_kernelI14__hip_bfloat16hLN4vllm18Fp8KVCacheDataTypeE1EhLi16ELi64ELi256ELb0ELi2EEvPKT_PKT0_S8_ifPKiSA_SA_iPKfiiiPfSD_PS3_PT2_iSC_SC_.has_dyn_sized_stack, or(0, .L__assert_fail.has_dyn_sized_stack)
	.set _Z39paged_attention_ll4mi_QKV_mfma16_kernelI14__hip_bfloat16hLN4vllm18Fp8KVCacheDataTypeE1EhLi16ELi64ELi256ELb0ELi2EEvPKT_PKT0_S8_ifPKiSA_SA_iPKfiiiPfSD_PS3_PT2_iSC_SC_.has_recursion, or(0, .L__assert_fail.has_recursion)
	.set _Z39paged_attention_ll4mi_QKV_mfma16_kernelI14__hip_bfloat16hLN4vllm18Fp8KVCacheDataTypeE1EhLi16ELi64ELi256ELb0ELi2EEvPKT_PKT0_S8_ifPKiSA_SA_iPKfiiiPfSD_PS3_PT2_iSC_SC_.has_indirect_call, or(0, .L__assert_fail.has_indirect_call)
	.section	.AMDGPU.csdata,"",@progbits
; Kernel info:
; codeLenInByte = 68
; TotalNumSgprs: 36
; NumVgprs: 51
; ScratchSize: 64
; MemoryBound: 0
; FloatMode: 240
; IeeeMode: 1
; LDSByteSize: 0 bytes/workgroup (compile time only)
; SGPRBlocks: 0
; VGPRBlocks: 3
; NumSGPRsForWavesPerEU: 36
; NumVGPRsForWavesPerEU: 51
; NamedBarCnt: 0
; Occupancy: 16
; WaveLimiterHint : 1
; COMPUTE_PGM_RSRC2:SCRATCH_EN: 1
; COMPUTE_PGM_RSRC2:USER_SGPR: 2
; COMPUTE_PGM_RSRC2:TRAP_HANDLER: 0
; COMPUTE_PGM_RSRC2:TGID_X_EN: 1
; COMPUTE_PGM_RSRC2:TGID_Y_EN: 0
; COMPUTE_PGM_RSRC2:TGID_Z_EN: 0
; COMPUTE_PGM_RSRC2:TIDIG_COMP_CNT: 0
	.section	.text._Z39paged_attention_ll4mi_QKV_mfma16_kernelI14__hip_bfloat16hLN4vllm18Fp8KVCacheDataTypeE1EhLi16ELi64ELi256ELb0ELi3EEvPKT_PKT0_S8_ifPKiSA_SA_iPKfiiiPfSD_PS3_PT2_iSC_SC_,"axG",@progbits,_Z39paged_attention_ll4mi_QKV_mfma16_kernelI14__hip_bfloat16hLN4vllm18Fp8KVCacheDataTypeE1EhLi16ELi64ELi256ELb0ELi3EEvPKT_PKT0_S8_ifPKiSA_SA_iPKfiiiPfSD_PS3_PT2_iSC_SC_,comdat
	.protected	_Z39paged_attention_ll4mi_QKV_mfma16_kernelI14__hip_bfloat16hLN4vllm18Fp8KVCacheDataTypeE1EhLi16ELi64ELi256ELb0ELi3EEvPKT_PKT0_S8_ifPKiSA_SA_iPKfiiiPfSD_PS3_PT2_iSC_SC_ ; -- Begin function _Z39paged_attention_ll4mi_QKV_mfma16_kernelI14__hip_bfloat16hLN4vllm18Fp8KVCacheDataTypeE1EhLi16ELi64ELi256ELb0ELi3EEvPKT_PKT0_S8_ifPKiSA_SA_iPKfiiiPfSD_PS3_PT2_iSC_SC_
	.globl	_Z39paged_attention_ll4mi_QKV_mfma16_kernelI14__hip_bfloat16hLN4vllm18Fp8KVCacheDataTypeE1EhLi16ELi64ELi256ELb0ELi3EEvPKT_PKT0_S8_ifPKiSA_SA_iPKfiiiPfSD_PS3_PT2_iSC_SC_
	.p2align	8
	.type	_Z39paged_attention_ll4mi_QKV_mfma16_kernelI14__hip_bfloat16hLN4vllm18Fp8KVCacheDataTypeE1EhLi16ELi64ELi256ELb0ELi3EEvPKT_PKT0_S8_ifPKiSA_SA_iPKfiiiPfSD_PS3_PT2_iSC_SC_,@function
_Z39paged_attention_ll4mi_QKV_mfma16_kernelI14__hip_bfloat16hLN4vllm18Fp8KVCacheDataTypeE1EhLi16ELi64ELi256ELb0ELi3EEvPKT_PKT0_S8_ifPKiSA_SA_iPKfiiiPfSD_PS3_PT2_iSC_SC_: ; @_Z39paged_attention_ll4mi_QKV_mfma16_kernelI14__hip_bfloat16hLN4vllm18Fp8KVCacheDataTypeE1EhLi16ELi64ELi256ELb0ELi3EEvPKT_PKT0_S8_ifPKiSA_SA_iPKfiiiPfSD_PS3_PT2_iSC_SC_
; %bb.0:
	s_get_pc_i64 s[2:3]
	s_add_nc_u64 s[2:3], s[2:3], __PRETTY_FUNCTION__._Z39paged_attention_ll4mi_QKV_mfma16_kernelI14__hip_bfloat16hLN4vllm18Fp8KVCacheDataTypeE1EhLi16ELi64ELi256ELb0ELi3EEvPKT_PKT0_S8_ifPKiSA_SA_iPKfiiiPfSD_PS3_PT2_iSC_SC_@rel64+4
	s_delay_alu instid0(SALU_CYCLE_1)
	v_dual_mov_b32 v0, 0xbb3 :: v_dual_mov_b32 v1, s2
	v_mov_b32_e32 v2, s3
	s_add_nc_u64 s[8:9], s[0:1], 0x90
	s_get_pc_i64 s[0:1]
	s_add_nc_u64 s[0:1], s[0:1], __assert_fail@rel64+4
	s_mov_b32 s32, 0
	s_swap_pc_i64 s[30:31], s[0:1]
	.section	.rodata,"a",@progbits
	.p2align	6, 0x0
	.amdhsa_kernel _Z39paged_attention_ll4mi_QKV_mfma16_kernelI14__hip_bfloat16hLN4vllm18Fp8KVCacheDataTypeE1EhLi16ELi64ELi256ELb0ELi3EEvPKT_PKT0_S8_ifPKiSA_SA_iPKfiiiPfSD_PS3_PT2_iSC_SC_
		.amdhsa_group_segment_fixed_size 0
		.amdhsa_private_segment_fixed_size 64
		.amdhsa_kernarg_size 400
		.amdhsa_user_sgpr_count 2
		.amdhsa_user_sgpr_dispatch_ptr 0
		.amdhsa_user_sgpr_queue_ptr 0
		.amdhsa_user_sgpr_kernarg_segment_ptr 1
		.amdhsa_user_sgpr_dispatch_id 0
		.amdhsa_user_sgpr_kernarg_preload_length 0
		.amdhsa_user_sgpr_kernarg_preload_offset 0
		.amdhsa_user_sgpr_private_segment_size 0
		.amdhsa_wavefront_size32 1
		.amdhsa_uses_dynamic_stack 0
		.amdhsa_enable_private_segment 1
		.amdhsa_system_sgpr_workgroup_id_x 1
		.amdhsa_system_sgpr_workgroup_id_y 0
		.amdhsa_system_sgpr_workgroup_id_z 0
		.amdhsa_system_sgpr_workgroup_info 0
		.amdhsa_system_vgpr_workitem_id 0
		.amdhsa_next_free_vgpr 51
		.amdhsa_next_free_sgpr 34
		.amdhsa_named_barrier_count 0
		.amdhsa_reserve_vcc 1
		.amdhsa_float_round_mode_32 0
		.amdhsa_float_round_mode_16_64 0
		.amdhsa_float_denorm_mode_32 3
		.amdhsa_float_denorm_mode_16_64 3
		.amdhsa_fp16_overflow 0
		.amdhsa_memory_ordered 1
		.amdhsa_forward_progress 1
		.amdhsa_inst_pref_size 1
		.amdhsa_round_robin_scheduling 0
		.amdhsa_exception_fp_ieee_invalid_op 0
		.amdhsa_exception_fp_denorm_src 0
		.amdhsa_exception_fp_ieee_div_zero 0
		.amdhsa_exception_fp_ieee_overflow 0
		.amdhsa_exception_fp_ieee_underflow 0
		.amdhsa_exception_fp_ieee_inexact 0
		.amdhsa_exception_int_div_zero 0
	.end_amdhsa_kernel
	.section	.text._Z39paged_attention_ll4mi_QKV_mfma16_kernelI14__hip_bfloat16hLN4vllm18Fp8KVCacheDataTypeE1EhLi16ELi64ELi256ELb0ELi3EEvPKT_PKT0_S8_ifPKiSA_SA_iPKfiiiPfSD_PS3_PT2_iSC_SC_,"axG",@progbits,_Z39paged_attention_ll4mi_QKV_mfma16_kernelI14__hip_bfloat16hLN4vllm18Fp8KVCacheDataTypeE1EhLi16ELi64ELi256ELb0ELi3EEvPKT_PKT0_S8_ifPKiSA_SA_iPKfiiiPfSD_PS3_PT2_iSC_SC_,comdat
.Lfunc_end1128:
	.size	_Z39paged_attention_ll4mi_QKV_mfma16_kernelI14__hip_bfloat16hLN4vllm18Fp8KVCacheDataTypeE1EhLi16ELi64ELi256ELb0ELi3EEvPKT_PKT0_S8_ifPKiSA_SA_iPKfiiiPfSD_PS3_PT2_iSC_SC_, .Lfunc_end1128-_Z39paged_attention_ll4mi_QKV_mfma16_kernelI14__hip_bfloat16hLN4vllm18Fp8KVCacheDataTypeE1EhLi16ELi64ELi256ELb0ELi3EEvPKT_PKT0_S8_ifPKiSA_SA_iPKfiiiPfSD_PS3_PT2_iSC_SC_
                                        ; -- End function
	.set _Z39paged_attention_ll4mi_QKV_mfma16_kernelI14__hip_bfloat16hLN4vllm18Fp8KVCacheDataTypeE1EhLi16ELi64ELi256ELb0ELi3EEvPKT_PKT0_S8_ifPKiSA_SA_iPKfiiiPfSD_PS3_PT2_iSC_SC_.num_vgpr, max(3, .L__assert_fail.num_vgpr)
	.set _Z39paged_attention_ll4mi_QKV_mfma16_kernelI14__hip_bfloat16hLN4vllm18Fp8KVCacheDataTypeE1EhLi16ELi64ELi256ELb0ELi3EEvPKT_PKT0_S8_ifPKiSA_SA_iPKfiiiPfSD_PS3_PT2_iSC_SC_.num_agpr, max(0, .L__assert_fail.num_agpr)
	.set _Z39paged_attention_ll4mi_QKV_mfma16_kernelI14__hip_bfloat16hLN4vllm18Fp8KVCacheDataTypeE1EhLi16ELi64ELi256ELb0ELi3EEvPKT_PKT0_S8_ifPKiSA_SA_iPKfiiiPfSD_PS3_PT2_iSC_SC_.numbered_sgpr, max(33, .L__assert_fail.numbered_sgpr)
	.set _Z39paged_attention_ll4mi_QKV_mfma16_kernelI14__hip_bfloat16hLN4vllm18Fp8KVCacheDataTypeE1EhLi16ELi64ELi256ELb0ELi3EEvPKT_PKT0_S8_ifPKiSA_SA_iPKfiiiPfSD_PS3_PT2_iSC_SC_.num_named_barrier, max(0, .L__assert_fail.num_named_barrier)
	.set _Z39paged_attention_ll4mi_QKV_mfma16_kernelI14__hip_bfloat16hLN4vllm18Fp8KVCacheDataTypeE1EhLi16ELi64ELi256ELb0ELi3EEvPKT_PKT0_S8_ifPKiSA_SA_iPKfiiiPfSD_PS3_PT2_iSC_SC_.private_seg_size, 0+max(.L__assert_fail.private_seg_size)
	.set _Z39paged_attention_ll4mi_QKV_mfma16_kernelI14__hip_bfloat16hLN4vllm18Fp8KVCacheDataTypeE1EhLi16ELi64ELi256ELb0ELi3EEvPKT_PKT0_S8_ifPKiSA_SA_iPKfiiiPfSD_PS3_PT2_iSC_SC_.uses_vcc, or(1, .L__assert_fail.uses_vcc)
	.set _Z39paged_attention_ll4mi_QKV_mfma16_kernelI14__hip_bfloat16hLN4vllm18Fp8KVCacheDataTypeE1EhLi16ELi64ELi256ELb0ELi3EEvPKT_PKT0_S8_ifPKiSA_SA_iPKfiiiPfSD_PS3_PT2_iSC_SC_.uses_flat_scratch, or(0, .L__assert_fail.uses_flat_scratch)
	.set _Z39paged_attention_ll4mi_QKV_mfma16_kernelI14__hip_bfloat16hLN4vllm18Fp8KVCacheDataTypeE1EhLi16ELi64ELi256ELb0ELi3EEvPKT_PKT0_S8_ifPKiSA_SA_iPKfiiiPfSD_PS3_PT2_iSC_SC_.has_dyn_sized_stack, or(0, .L__assert_fail.has_dyn_sized_stack)
	.set _Z39paged_attention_ll4mi_QKV_mfma16_kernelI14__hip_bfloat16hLN4vllm18Fp8KVCacheDataTypeE1EhLi16ELi64ELi256ELb0ELi3EEvPKT_PKT0_S8_ifPKiSA_SA_iPKfiiiPfSD_PS3_PT2_iSC_SC_.has_recursion, or(0, .L__assert_fail.has_recursion)
	.set _Z39paged_attention_ll4mi_QKV_mfma16_kernelI14__hip_bfloat16hLN4vllm18Fp8KVCacheDataTypeE1EhLi16ELi64ELi256ELb0ELi3EEvPKT_PKT0_S8_ifPKiSA_SA_iPKfiiiPfSD_PS3_PT2_iSC_SC_.has_indirect_call, or(0, .L__assert_fail.has_indirect_call)
	.section	.AMDGPU.csdata,"",@progbits
; Kernel info:
; codeLenInByte = 68
; TotalNumSgprs: 36
; NumVgprs: 51
; ScratchSize: 64
; MemoryBound: 0
; FloatMode: 240
; IeeeMode: 1
; LDSByteSize: 0 bytes/workgroup (compile time only)
; SGPRBlocks: 0
; VGPRBlocks: 3
; NumSGPRsForWavesPerEU: 36
; NumVGPRsForWavesPerEU: 51
; NamedBarCnt: 0
; Occupancy: 16
; WaveLimiterHint : 1
; COMPUTE_PGM_RSRC2:SCRATCH_EN: 1
; COMPUTE_PGM_RSRC2:USER_SGPR: 2
; COMPUTE_PGM_RSRC2:TRAP_HANDLER: 0
; COMPUTE_PGM_RSRC2:TGID_X_EN: 1
; COMPUTE_PGM_RSRC2:TGID_Y_EN: 0
; COMPUTE_PGM_RSRC2:TGID_Z_EN: 0
; COMPUTE_PGM_RSRC2:TIDIG_COMP_CNT: 0
	.section	.text._Z39paged_attention_ll4mi_QKV_mfma16_kernelI14__hip_bfloat16hLN4vllm18Fp8KVCacheDataTypeE1EhLi16ELi64ELi256ELb0ELi4EEvPKT_PKT0_S8_ifPKiSA_SA_iPKfiiiPfSD_PS3_PT2_iSC_SC_,"axG",@progbits,_Z39paged_attention_ll4mi_QKV_mfma16_kernelI14__hip_bfloat16hLN4vllm18Fp8KVCacheDataTypeE1EhLi16ELi64ELi256ELb0ELi4EEvPKT_PKT0_S8_ifPKiSA_SA_iPKfiiiPfSD_PS3_PT2_iSC_SC_,comdat
	.protected	_Z39paged_attention_ll4mi_QKV_mfma16_kernelI14__hip_bfloat16hLN4vllm18Fp8KVCacheDataTypeE1EhLi16ELi64ELi256ELb0ELi4EEvPKT_PKT0_S8_ifPKiSA_SA_iPKfiiiPfSD_PS3_PT2_iSC_SC_ ; -- Begin function _Z39paged_attention_ll4mi_QKV_mfma16_kernelI14__hip_bfloat16hLN4vllm18Fp8KVCacheDataTypeE1EhLi16ELi64ELi256ELb0ELi4EEvPKT_PKT0_S8_ifPKiSA_SA_iPKfiiiPfSD_PS3_PT2_iSC_SC_
	.globl	_Z39paged_attention_ll4mi_QKV_mfma16_kernelI14__hip_bfloat16hLN4vllm18Fp8KVCacheDataTypeE1EhLi16ELi64ELi256ELb0ELi4EEvPKT_PKT0_S8_ifPKiSA_SA_iPKfiiiPfSD_PS3_PT2_iSC_SC_
	.p2align	8
	.type	_Z39paged_attention_ll4mi_QKV_mfma16_kernelI14__hip_bfloat16hLN4vllm18Fp8KVCacheDataTypeE1EhLi16ELi64ELi256ELb0ELi4EEvPKT_PKT0_S8_ifPKiSA_SA_iPKfiiiPfSD_PS3_PT2_iSC_SC_,@function
_Z39paged_attention_ll4mi_QKV_mfma16_kernelI14__hip_bfloat16hLN4vllm18Fp8KVCacheDataTypeE1EhLi16ELi64ELi256ELb0ELi4EEvPKT_PKT0_S8_ifPKiSA_SA_iPKfiiiPfSD_PS3_PT2_iSC_SC_: ; @_Z39paged_attention_ll4mi_QKV_mfma16_kernelI14__hip_bfloat16hLN4vllm18Fp8KVCacheDataTypeE1EhLi16ELi64ELi256ELb0ELi4EEvPKT_PKT0_S8_ifPKiSA_SA_iPKfiiiPfSD_PS3_PT2_iSC_SC_
; %bb.0:
	s_get_pc_i64 s[2:3]
	s_add_nc_u64 s[2:3], s[2:3], __PRETTY_FUNCTION__._Z39paged_attention_ll4mi_QKV_mfma16_kernelI14__hip_bfloat16hLN4vllm18Fp8KVCacheDataTypeE1EhLi16ELi64ELi256ELb0ELi4EEvPKT_PKT0_S8_ifPKiSA_SA_iPKfiiiPfSD_PS3_PT2_iSC_SC_@rel64+4
	s_delay_alu instid0(SALU_CYCLE_1)
	v_dual_mov_b32 v0, 0xbb3 :: v_dual_mov_b32 v1, s2
	v_mov_b32_e32 v2, s3
	s_add_nc_u64 s[8:9], s[0:1], 0x90
	s_get_pc_i64 s[0:1]
	s_add_nc_u64 s[0:1], s[0:1], __assert_fail@rel64+4
	s_mov_b32 s32, 0
	s_swap_pc_i64 s[30:31], s[0:1]
	.section	.rodata,"a",@progbits
	.p2align	6, 0x0
	.amdhsa_kernel _Z39paged_attention_ll4mi_QKV_mfma16_kernelI14__hip_bfloat16hLN4vllm18Fp8KVCacheDataTypeE1EhLi16ELi64ELi256ELb0ELi4EEvPKT_PKT0_S8_ifPKiSA_SA_iPKfiiiPfSD_PS3_PT2_iSC_SC_
		.amdhsa_group_segment_fixed_size 0
		.amdhsa_private_segment_fixed_size 64
		.amdhsa_kernarg_size 400
		.amdhsa_user_sgpr_count 2
		.amdhsa_user_sgpr_dispatch_ptr 0
		.amdhsa_user_sgpr_queue_ptr 0
		.amdhsa_user_sgpr_kernarg_segment_ptr 1
		.amdhsa_user_sgpr_dispatch_id 0
		.amdhsa_user_sgpr_kernarg_preload_length 0
		.amdhsa_user_sgpr_kernarg_preload_offset 0
		.amdhsa_user_sgpr_private_segment_size 0
		.amdhsa_wavefront_size32 1
		.amdhsa_uses_dynamic_stack 0
		.amdhsa_enable_private_segment 1
		.amdhsa_system_sgpr_workgroup_id_x 1
		.amdhsa_system_sgpr_workgroup_id_y 0
		.amdhsa_system_sgpr_workgroup_id_z 0
		.amdhsa_system_sgpr_workgroup_info 0
		.amdhsa_system_vgpr_workitem_id 0
		.amdhsa_next_free_vgpr 51
		.amdhsa_next_free_sgpr 34
		.amdhsa_named_barrier_count 0
		.amdhsa_reserve_vcc 1
		.amdhsa_float_round_mode_32 0
		.amdhsa_float_round_mode_16_64 0
		.amdhsa_float_denorm_mode_32 3
		.amdhsa_float_denorm_mode_16_64 3
		.amdhsa_fp16_overflow 0
		.amdhsa_memory_ordered 1
		.amdhsa_forward_progress 1
		.amdhsa_inst_pref_size 1
		.amdhsa_round_robin_scheduling 0
		.amdhsa_exception_fp_ieee_invalid_op 0
		.amdhsa_exception_fp_denorm_src 0
		.amdhsa_exception_fp_ieee_div_zero 0
		.amdhsa_exception_fp_ieee_overflow 0
		.amdhsa_exception_fp_ieee_underflow 0
		.amdhsa_exception_fp_ieee_inexact 0
		.amdhsa_exception_int_div_zero 0
	.end_amdhsa_kernel
	.section	.text._Z39paged_attention_ll4mi_QKV_mfma16_kernelI14__hip_bfloat16hLN4vllm18Fp8KVCacheDataTypeE1EhLi16ELi64ELi256ELb0ELi4EEvPKT_PKT0_S8_ifPKiSA_SA_iPKfiiiPfSD_PS3_PT2_iSC_SC_,"axG",@progbits,_Z39paged_attention_ll4mi_QKV_mfma16_kernelI14__hip_bfloat16hLN4vllm18Fp8KVCacheDataTypeE1EhLi16ELi64ELi256ELb0ELi4EEvPKT_PKT0_S8_ifPKiSA_SA_iPKfiiiPfSD_PS3_PT2_iSC_SC_,comdat
.Lfunc_end1129:
	.size	_Z39paged_attention_ll4mi_QKV_mfma16_kernelI14__hip_bfloat16hLN4vllm18Fp8KVCacheDataTypeE1EhLi16ELi64ELi256ELb0ELi4EEvPKT_PKT0_S8_ifPKiSA_SA_iPKfiiiPfSD_PS3_PT2_iSC_SC_, .Lfunc_end1129-_Z39paged_attention_ll4mi_QKV_mfma16_kernelI14__hip_bfloat16hLN4vllm18Fp8KVCacheDataTypeE1EhLi16ELi64ELi256ELb0ELi4EEvPKT_PKT0_S8_ifPKiSA_SA_iPKfiiiPfSD_PS3_PT2_iSC_SC_
                                        ; -- End function
	.set _Z39paged_attention_ll4mi_QKV_mfma16_kernelI14__hip_bfloat16hLN4vllm18Fp8KVCacheDataTypeE1EhLi16ELi64ELi256ELb0ELi4EEvPKT_PKT0_S8_ifPKiSA_SA_iPKfiiiPfSD_PS3_PT2_iSC_SC_.num_vgpr, max(3, .L__assert_fail.num_vgpr)
	.set _Z39paged_attention_ll4mi_QKV_mfma16_kernelI14__hip_bfloat16hLN4vllm18Fp8KVCacheDataTypeE1EhLi16ELi64ELi256ELb0ELi4EEvPKT_PKT0_S8_ifPKiSA_SA_iPKfiiiPfSD_PS3_PT2_iSC_SC_.num_agpr, max(0, .L__assert_fail.num_agpr)
	.set _Z39paged_attention_ll4mi_QKV_mfma16_kernelI14__hip_bfloat16hLN4vllm18Fp8KVCacheDataTypeE1EhLi16ELi64ELi256ELb0ELi4EEvPKT_PKT0_S8_ifPKiSA_SA_iPKfiiiPfSD_PS3_PT2_iSC_SC_.numbered_sgpr, max(33, .L__assert_fail.numbered_sgpr)
	.set _Z39paged_attention_ll4mi_QKV_mfma16_kernelI14__hip_bfloat16hLN4vllm18Fp8KVCacheDataTypeE1EhLi16ELi64ELi256ELb0ELi4EEvPKT_PKT0_S8_ifPKiSA_SA_iPKfiiiPfSD_PS3_PT2_iSC_SC_.num_named_barrier, max(0, .L__assert_fail.num_named_barrier)
	.set _Z39paged_attention_ll4mi_QKV_mfma16_kernelI14__hip_bfloat16hLN4vllm18Fp8KVCacheDataTypeE1EhLi16ELi64ELi256ELb0ELi4EEvPKT_PKT0_S8_ifPKiSA_SA_iPKfiiiPfSD_PS3_PT2_iSC_SC_.private_seg_size, 0+max(.L__assert_fail.private_seg_size)
	.set _Z39paged_attention_ll4mi_QKV_mfma16_kernelI14__hip_bfloat16hLN4vllm18Fp8KVCacheDataTypeE1EhLi16ELi64ELi256ELb0ELi4EEvPKT_PKT0_S8_ifPKiSA_SA_iPKfiiiPfSD_PS3_PT2_iSC_SC_.uses_vcc, or(1, .L__assert_fail.uses_vcc)
	.set _Z39paged_attention_ll4mi_QKV_mfma16_kernelI14__hip_bfloat16hLN4vllm18Fp8KVCacheDataTypeE1EhLi16ELi64ELi256ELb0ELi4EEvPKT_PKT0_S8_ifPKiSA_SA_iPKfiiiPfSD_PS3_PT2_iSC_SC_.uses_flat_scratch, or(0, .L__assert_fail.uses_flat_scratch)
	.set _Z39paged_attention_ll4mi_QKV_mfma16_kernelI14__hip_bfloat16hLN4vllm18Fp8KVCacheDataTypeE1EhLi16ELi64ELi256ELb0ELi4EEvPKT_PKT0_S8_ifPKiSA_SA_iPKfiiiPfSD_PS3_PT2_iSC_SC_.has_dyn_sized_stack, or(0, .L__assert_fail.has_dyn_sized_stack)
	.set _Z39paged_attention_ll4mi_QKV_mfma16_kernelI14__hip_bfloat16hLN4vllm18Fp8KVCacheDataTypeE1EhLi16ELi64ELi256ELb0ELi4EEvPKT_PKT0_S8_ifPKiSA_SA_iPKfiiiPfSD_PS3_PT2_iSC_SC_.has_recursion, or(0, .L__assert_fail.has_recursion)
	.set _Z39paged_attention_ll4mi_QKV_mfma16_kernelI14__hip_bfloat16hLN4vllm18Fp8KVCacheDataTypeE1EhLi16ELi64ELi256ELb0ELi4EEvPKT_PKT0_S8_ifPKiSA_SA_iPKfiiiPfSD_PS3_PT2_iSC_SC_.has_indirect_call, or(0, .L__assert_fail.has_indirect_call)
	.section	.AMDGPU.csdata,"",@progbits
; Kernel info:
; codeLenInByte = 68
; TotalNumSgprs: 36
; NumVgprs: 51
; ScratchSize: 64
; MemoryBound: 0
; FloatMode: 240
; IeeeMode: 1
; LDSByteSize: 0 bytes/workgroup (compile time only)
; SGPRBlocks: 0
; VGPRBlocks: 3
; NumSGPRsForWavesPerEU: 36
; NumVGPRsForWavesPerEU: 51
; NamedBarCnt: 0
; Occupancy: 16
; WaveLimiterHint : 1
; COMPUTE_PGM_RSRC2:SCRATCH_EN: 1
; COMPUTE_PGM_RSRC2:USER_SGPR: 2
; COMPUTE_PGM_RSRC2:TRAP_HANDLER: 0
; COMPUTE_PGM_RSRC2:TGID_X_EN: 1
; COMPUTE_PGM_RSRC2:TGID_Y_EN: 0
; COMPUTE_PGM_RSRC2:TGID_Z_EN: 0
; COMPUTE_PGM_RSRC2:TIDIG_COMP_CNT: 0
	.section	.text._Z38paged_attention_ll4mi_QKV_mfma4_kernelI14__hip_bfloat16hLN4vllm18Fp8KVCacheDataTypeE1ES0_Li16ELi64ELi256ELb1ELi1EEvPKT_PKT0_S8_ifPKiSA_SA_iPKfiiiPfSD_PS3_PT2_iSC_SC_,"axG",@progbits,_Z38paged_attention_ll4mi_QKV_mfma4_kernelI14__hip_bfloat16hLN4vllm18Fp8KVCacheDataTypeE1ES0_Li16ELi64ELi256ELb1ELi1EEvPKT_PKT0_S8_ifPKiSA_SA_iPKfiiiPfSD_PS3_PT2_iSC_SC_,comdat
	.protected	_Z38paged_attention_ll4mi_QKV_mfma4_kernelI14__hip_bfloat16hLN4vllm18Fp8KVCacheDataTypeE1ES0_Li16ELi64ELi256ELb1ELi1EEvPKT_PKT0_S8_ifPKiSA_SA_iPKfiiiPfSD_PS3_PT2_iSC_SC_ ; -- Begin function _Z38paged_attention_ll4mi_QKV_mfma4_kernelI14__hip_bfloat16hLN4vllm18Fp8KVCacheDataTypeE1ES0_Li16ELi64ELi256ELb1ELi1EEvPKT_PKT0_S8_ifPKiSA_SA_iPKfiiiPfSD_PS3_PT2_iSC_SC_
	.globl	_Z38paged_attention_ll4mi_QKV_mfma4_kernelI14__hip_bfloat16hLN4vllm18Fp8KVCacheDataTypeE1ES0_Li16ELi64ELi256ELb1ELi1EEvPKT_PKT0_S8_ifPKiSA_SA_iPKfiiiPfSD_PS3_PT2_iSC_SC_
	.p2align	8
	.type	_Z38paged_attention_ll4mi_QKV_mfma4_kernelI14__hip_bfloat16hLN4vllm18Fp8KVCacheDataTypeE1ES0_Li16ELi64ELi256ELb1ELi1EEvPKT_PKT0_S8_ifPKiSA_SA_iPKfiiiPfSD_PS3_PT2_iSC_SC_,@function
_Z38paged_attention_ll4mi_QKV_mfma4_kernelI14__hip_bfloat16hLN4vllm18Fp8KVCacheDataTypeE1ES0_Li16ELi64ELi256ELb1ELi1EEvPKT_PKT0_S8_ifPKiSA_SA_iPKfiiiPfSD_PS3_PT2_iSC_SC_: ; @_Z38paged_attention_ll4mi_QKV_mfma4_kernelI14__hip_bfloat16hLN4vllm18Fp8KVCacheDataTypeE1ES0_Li16ELi64ELi256ELb1ELi1EEvPKT_PKT0_S8_ifPKiSA_SA_iPKfiiiPfSD_PS3_PT2_iSC_SC_
; %bb.0:
	s_get_pc_i64 s[2:3]
	s_add_nc_u64 s[2:3], s[2:3], __PRETTY_FUNCTION__._Z38paged_attention_ll4mi_QKV_mfma4_kernelI14__hip_bfloat16hLN4vllm18Fp8KVCacheDataTypeE1ES0_Li16ELi64ELi256ELb1ELi1EEvPKT_PKT0_S8_ifPKiSA_SA_iPKfiiiPfSD_PS3_PT2_iSC_SC_@rel64+4
	s_delay_alu instid0(SALU_CYCLE_1)
	v_dual_mov_b32 v0, 0xbce :: v_dual_mov_b32 v1, s2
	v_mov_b32_e32 v2, s3
	s_add_nc_u64 s[8:9], s[0:1], 0x90
	s_get_pc_i64 s[0:1]
	s_add_nc_u64 s[0:1], s[0:1], __assert_fail@rel64+4
	s_mov_b32 s32, 0
	s_swap_pc_i64 s[30:31], s[0:1]
	.section	.rodata,"a",@progbits
	.p2align	6, 0x0
	.amdhsa_kernel _Z38paged_attention_ll4mi_QKV_mfma4_kernelI14__hip_bfloat16hLN4vllm18Fp8KVCacheDataTypeE1ES0_Li16ELi64ELi256ELb1ELi1EEvPKT_PKT0_S8_ifPKiSA_SA_iPKfiiiPfSD_PS3_PT2_iSC_SC_
		.amdhsa_group_segment_fixed_size 0
		.amdhsa_private_segment_fixed_size 64
		.amdhsa_kernarg_size 400
		.amdhsa_user_sgpr_count 2
		.amdhsa_user_sgpr_dispatch_ptr 0
		.amdhsa_user_sgpr_queue_ptr 0
		.amdhsa_user_sgpr_kernarg_segment_ptr 1
		.amdhsa_user_sgpr_dispatch_id 0
		.amdhsa_user_sgpr_kernarg_preload_length 0
		.amdhsa_user_sgpr_kernarg_preload_offset 0
		.amdhsa_user_sgpr_private_segment_size 0
		.amdhsa_wavefront_size32 1
		.amdhsa_uses_dynamic_stack 0
		.amdhsa_enable_private_segment 1
		.amdhsa_system_sgpr_workgroup_id_x 1
		.amdhsa_system_sgpr_workgroup_id_y 0
		.amdhsa_system_sgpr_workgroup_id_z 0
		.amdhsa_system_sgpr_workgroup_info 0
		.amdhsa_system_vgpr_workitem_id 0
		.amdhsa_next_free_vgpr 51
		.amdhsa_next_free_sgpr 34
		.amdhsa_named_barrier_count 0
		.amdhsa_reserve_vcc 1
		.amdhsa_float_round_mode_32 0
		.amdhsa_float_round_mode_16_64 0
		.amdhsa_float_denorm_mode_32 3
		.amdhsa_float_denorm_mode_16_64 3
		.amdhsa_fp16_overflow 0
		.amdhsa_memory_ordered 1
		.amdhsa_forward_progress 1
		.amdhsa_inst_pref_size 1
		.amdhsa_round_robin_scheduling 0
		.amdhsa_exception_fp_ieee_invalid_op 0
		.amdhsa_exception_fp_denorm_src 0
		.amdhsa_exception_fp_ieee_div_zero 0
		.amdhsa_exception_fp_ieee_overflow 0
		.amdhsa_exception_fp_ieee_underflow 0
		.amdhsa_exception_fp_ieee_inexact 0
		.amdhsa_exception_int_div_zero 0
	.end_amdhsa_kernel
	.section	.text._Z38paged_attention_ll4mi_QKV_mfma4_kernelI14__hip_bfloat16hLN4vllm18Fp8KVCacheDataTypeE1ES0_Li16ELi64ELi256ELb1ELi1EEvPKT_PKT0_S8_ifPKiSA_SA_iPKfiiiPfSD_PS3_PT2_iSC_SC_,"axG",@progbits,_Z38paged_attention_ll4mi_QKV_mfma4_kernelI14__hip_bfloat16hLN4vllm18Fp8KVCacheDataTypeE1ES0_Li16ELi64ELi256ELb1ELi1EEvPKT_PKT0_S8_ifPKiSA_SA_iPKfiiiPfSD_PS3_PT2_iSC_SC_,comdat
.Lfunc_end1130:
	.size	_Z38paged_attention_ll4mi_QKV_mfma4_kernelI14__hip_bfloat16hLN4vllm18Fp8KVCacheDataTypeE1ES0_Li16ELi64ELi256ELb1ELi1EEvPKT_PKT0_S8_ifPKiSA_SA_iPKfiiiPfSD_PS3_PT2_iSC_SC_, .Lfunc_end1130-_Z38paged_attention_ll4mi_QKV_mfma4_kernelI14__hip_bfloat16hLN4vllm18Fp8KVCacheDataTypeE1ES0_Li16ELi64ELi256ELb1ELi1EEvPKT_PKT0_S8_ifPKiSA_SA_iPKfiiiPfSD_PS3_PT2_iSC_SC_
                                        ; -- End function
	.set _Z38paged_attention_ll4mi_QKV_mfma4_kernelI14__hip_bfloat16hLN4vllm18Fp8KVCacheDataTypeE1ES0_Li16ELi64ELi256ELb1ELi1EEvPKT_PKT0_S8_ifPKiSA_SA_iPKfiiiPfSD_PS3_PT2_iSC_SC_.num_vgpr, max(3, .L__assert_fail.num_vgpr)
	.set _Z38paged_attention_ll4mi_QKV_mfma4_kernelI14__hip_bfloat16hLN4vllm18Fp8KVCacheDataTypeE1ES0_Li16ELi64ELi256ELb1ELi1EEvPKT_PKT0_S8_ifPKiSA_SA_iPKfiiiPfSD_PS3_PT2_iSC_SC_.num_agpr, max(0, .L__assert_fail.num_agpr)
	.set _Z38paged_attention_ll4mi_QKV_mfma4_kernelI14__hip_bfloat16hLN4vllm18Fp8KVCacheDataTypeE1ES0_Li16ELi64ELi256ELb1ELi1EEvPKT_PKT0_S8_ifPKiSA_SA_iPKfiiiPfSD_PS3_PT2_iSC_SC_.numbered_sgpr, max(33, .L__assert_fail.numbered_sgpr)
	.set _Z38paged_attention_ll4mi_QKV_mfma4_kernelI14__hip_bfloat16hLN4vllm18Fp8KVCacheDataTypeE1ES0_Li16ELi64ELi256ELb1ELi1EEvPKT_PKT0_S8_ifPKiSA_SA_iPKfiiiPfSD_PS3_PT2_iSC_SC_.num_named_barrier, max(0, .L__assert_fail.num_named_barrier)
	.set _Z38paged_attention_ll4mi_QKV_mfma4_kernelI14__hip_bfloat16hLN4vllm18Fp8KVCacheDataTypeE1ES0_Li16ELi64ELi256ELb1ELi1EEvPKT_PKT0_S8_ifPKiSA_SA_iPKfiiiPfSD_PS3_PT2_iSC_SC_.private_seg_size, 0+max(.L__assert_fail.private_seg_size)
	.set _Z38paged_attention_ll4mi_QKV_mfma4_kernelI14__hip_bfloat16hLN4vllm18Fp8KVCacheDataTypeE1ES0_Li16ELi64ELi256ELb1ELi1EEvPKT_PKT0_S8_ifPKiSA_SA_iPKfiiiPfSD_PS3_PT2_iSC_SC_.uses_vcc, or(1, .L__assert_fail.uses_vcc)
	.set _Z38paged_attention_ll4mi_QKV_mfma4_kernelI14__hip_bfloat16hLN4vllm18Fp8KVCacheDataTypeE1ES0_Li16ELi64ELi256ELb1ELi1EEvPKT_PKT0_S8_ifPKiSA_SA_iPKfiiiPfSD_PS3_PT2_iSC_SC_.uses_flat_scratch, or(0, .L__assert_fail.uses_flat_scratch)
	.set _Z38paged_attention_ll4mi_QKV_mfma4_kernelI14__hip_bfloat16hLN4vllm18Fp8KVCacheDataTypeE1ES0_Li16ELi64ELi256ELb1ELi1EEvPKT_PKT0_S8_ifPKiSA_SA_iPKfiiiPfSD_PS3_PT2_iSC_SC_.has_dyn_sized_stack, or(0, .L__assert_fail.has_dyn_sized_stack)
	.set _Z38paged_attention_ll4mi_QKV_mfma4_kernelI14__hip_bfloat16hLN4vllm18Fp8KVCacheDataTypeE1ES0_Li16ELi64ELi256ELb1ELi1EEvPKT_PKT0_S8_ifPKiSA_SA_iPKfiiiPfSD_PS3_PT2_iSC_SC_.has_recursion, or(0, .L__assert_fail.has_recursion)
	.set _Z38paged_attention_ll4mi_QKV_mfma4_kernelI14__hip_bfloat16hLN4vllm18Fp8KVCacheDataTypeE1ES0_Li16ELi64ELi256ELb1ELi1EEvPKT_PKT0_S8_ifPKiSA_SA_iPKfiiiPfSD_PS3_PT2_iSC_SC_.has_indirect_call, or(0, .L__assert_fail.has_indirect_call)
	.section	.AMDGPU.csdata,"",@progbits
; Kernel info:
; codeLenInByte = 68
; TotalNumSgprs: 36
; NumVgprs: 51
; ScratchSize: 64
; MemoryBound: 0
; FloatMode: 240
; IeeeMode: 1
; LDSByteSize: 0 bytes/workgroup (compile time only)
; SGPRBlocks: 0
; VGPRBlocks: 3
; NumSGPRsForWavesPerEU: 36
; NumVGPRsForWavesPerEU: 51
; NamedBarCnt: 0
; Occupancy: 16
; WaveLimiterHint : 1
; COMPUTE_PGM_RSRC2:SCRATCH_EN: 1
; COMPUTE_PGM_RSRC2:USER_SGPR: 2
; COMPUTE_PGM_RSRC2:TRAP_HANDLER: 0
; COMPUTE_PGM_RSRC2:TGID_X_EN: 1
; COMPUTE_PGM_RSRC2:TGID_Y_EN: 0
; COMPUTE_PGM_RSRC2:TGID_Z_EN: 0
; COMPUTE_PGM_RSRC2:TIDIG_COMP_CNT: 0
	.section	.text._Z38paged_attention_ll4mi_QKV_mfma4_kernelI14__hip_bfloat16hLN4vllm18Fp8KVCacheDataTypeE1ES0_Li16ELi64ELi256ELb1ELi2EEvPKT_PKT0_S8_ifPKiSA_SA_iPKfiiiPfSD_PS3_PT2_iSC_SC_,"axG",@progbits,_Z38paged_attention_ll4mi_QKV_mfma4_kernelI14__hip_bfloat16hLN4vllm18Fp8KVCacheDataTypeE1ES0_Li16ELi64ELi256ELb1ELi2EEvPKT_PKT0_S8_ifPKiSA_SA_iPKfiiiPfSD_PS3_PT2_iSC_SC_,comdat
	.protected	_Z38paged_attention_ll4mi_QKV_mfma4_kernelI14__hip_bfloat16hLN4vllm18Fp8KVCacheDataTypeE1ES0_Li16ELi64ELi256ELb1ELi2EEvPKT_PKT0_S8_ifPKiSA_SA_iPKfiiiPfSD_PS3_PT2_iSC_SC_ ; -- Begin function _Z38paged_attention_ll4mi_QKV_mfma4_kernelI14__hip_bfloat16hLN4vllm18Fp8KVCacheDataTypeE1ES0_Li16ELi64ELi256ELb1ELi2EEvPKT_PKT0_S8_ifPKiSA_SA_iPKfiiiPfSD_PS3_PT2_iSC_SC_
	.globl	_Z38paged_attention_ll4mi_QKV_mfma4_kernelI14__hip_bfloat16hLN4vllm18Fp8KVCacheDataTypeE1ES0_Li16ELi64ELi256ELb1ELi2EEvPKT_PKT0_S8_ifPKiSA_SA_iPKfiiiPfSD_PS3_PT2_iSC_SC_
	.p2align	8
	.type	_Z38paged_attention_ll4mi_QKV_mfma4_kernelI14__hip_bfloat16hLN4vllm18Fp8KVCacheDataTypeE1ES0_Li16ELi64ELi256ELb1ELi2EEvPKT_PKT0_S8_ifPKiSA_SA_iPKfiiiPfSD_PS3_PT2_iSC_SC_,@function
_Z38paged_attention_ll4mi_QKV_mfma4_kernelI14__hip_bfloat16hLN4vllm18Fp8KVCacheDataTypeE1ES0_Li16ELi64ELi256ELb1ELi2EEvPKT_PKT0_S8_ifPKiSA_SA_iPKfiiiPfSD_PS3_PT2_iSC_SC_: ; @_Z38paged_attention_ll4mi_QKV_mfma4_kernelI14__hip_bfloat16hLN4vllm18Fp8KVCacheDataTypeE1ES0_Li16ELi64ELi256ELb1ELi2EEvPKT_PKT0_S8_ifPKiSA_SA_iPKfiiiPfSD_PS3_PT2_iSC_SC_
; %bb.0:
	s_get_pc_i64 s[2:3]
	s_add_nc_u64 s[2:3], s[2:3], __PRETTY_FUNCTION__._Z38paged_attention_ll4mi_QKV_mfma4_kernelI14__hip_bfloat16hLN4vllm18Fp8KVCacheDataTypeE1ES0_Li16ELi64ELi256ELb1ELi2EEvPKT_PKT0_S8_ifPKiSA_SA_iPKfiiiPfSD_PS3_PT2_iSC_SC_@rel64+4
	s_delay_alu instid0(SALU_CYCLE_1)
	v_dual_mov_b32 v0, 0xbce :: v_dual_mov_b32 v1, s2
	v_mov_b32_e32 v2, s3
	s_add_nc_u64 s[8:9], s[0:1], 0x90
	s_get_pc_i64 s[0:1]
	s_add_nc_u64 s[0:1], s[0:1], __assert_fail@rel64+4
	s_mov_b32 s32, 0
	s_swap_pc_i64 s[30:31], s[0:1]
	.section	.rodata,"a",@progbits
	.p2align	6, 0x0
	.amdhsa_kernel _Z38paged_attention_ll4mi_QKV_mfma4_kernelI14__hip_bfloat16hLN4vllm18Fp8KVCacheDataTypeE1ES0_Li16ELi64ELi256ELb1ELi2EEvPKT_PKT0_S8_ifPKiSA_SA_iPKfiiiPfSD_PS3_PT2_iSC_SC_
		.amdhsa_group_segment_fixed_size 0
		.amdhsa_private_segment_fixed_size 64
		.amdhsa_kernarg_size 400
		.amdhsa_user_sgpr_count 2
		.amdhsa_user_sgpr_dispatch_ptr 0
		.amdhsa_user_sgpr_queue_ptr 0
		.amdhsa_user_sgpr_kernarg_segment_ptr 1
		.amdhsa_user_sgpr_dispatch_id 0
		.amdhsa_user_sgpr_kernarg_preload_length 0
		.amdhsa_user_sgpr_kernarg_preload_offset 0
		.amdhsa_user_sgpr_private_segment_size 0
		.amdhsa_wavefront_size32 1
		.amdhsa_uses_dynamic_stack 0
		.amdhsa_enable_private_segment 1
		.amdhsa_system_sgpr_workgroup_id_x 1
		.amdhsa_system_sgpr_workgroup_id_y 0
		.amdhsa_system_sgpr_workgroup_id_z 0
		.amdhsa_system_sgpr_workgroup_info 0
		.amdhsa_system_vgpr_workitem_id 0
		.amdhsa_next_free_vgpr 51
		.amdhsa_next_free_sgpr 34
		.amdhsa_named_barrier_count 0
		.amdhsa_reserve_vcc 1
		.amdhsa_float_round_mode_32 0
		.amdhsa_float_round_mode_16_64 0
		.amdhsa_float_denorm_mode_32 3
		.amdhsa_float_denorm_mode_16_64 3
		.amdhsa_fp16_overflow 0
		.amdhsa_memory_ordered 1
		.amdhsa_forward_progress 1
		.amdhsa_inst_pref_size 1
		.amdhsa_round_robin_scheduling 0
		.amdhsa_exception_fp_ieee_invalid_op 0
		.amdhsa_exception_fp_denorm_src 0
		.amdhsa_exception_fp_ieee_div_zero 0
		.amdhsa_exception_fp_ieee_overflow 0
		.amdhsa_exception_fp_ieee_underflow 0
		.amdhsa_exception_fp_ieee_inexact 0
		.amdhsa_exception_int_div_zero 0
	.end_amdhsa_kernel
	.section	.text._Z38paged_attention_ll4mi_QKV_mfma4_kernelI14__hip_bfloat16hLN4vllm18Fp8KVCacheDataTypeE1ES0_Li16ELi64ELi256ELb1ELi2EEvPKT_PKT0_S8_ifPKiSA_SA_iPKfiiiPfSD_PS3_PT2_iSC_SC_,"axG",@progbits,_Z38paged_attention_ll4mi_QKV_mfma4_kernelI14__hip_bfloat16hLN4vllm18Fp8KVCacheDataTypeE1ES0_Li16ELi64ELi256ELb1ELi2EEvPKT_PKT0_S8_ifPKiSA_SA_iPKfiiiPfSD_PS3_PT2_iSC_SC_,comdat
.Lfunc_end1131:
	.size	_Z38paged_attention_ll4mi_QKV_mfma4_kernelI14__hip_bfloat16hLN4vllm18Fp8KVCacheDataTypeE1ES0_Li16ELi64ELi256ELb1ELi2EEvPKT_PKT0_S8_ifPKiSA_SA_iPKfiiiPfSD_PS3_PT2_iSC_SC_, .Lfunc_end1131-_Z38paged_attention_ll4mi_QKV_mfma4_kernelI14__hip_bfloat16hLN4vllm18Fp8KVCacheDataTypeE1ES0_Li16ELi64ELi256ELb1ELi2EEvPKT_PKT0_S8_ifPKiSA_SA_iPKfiiiPfSD_PS3_PT2_iSC_SC_
                                        ; -- End function
	.set _Z38paged_attention_ll4mi_QKV_mfma4_kernelI14__hip_bfloat16hLN4vllm18Fp8KVCacheDataTypeE1ES0_Li16ELi64ELi256ELb1ELi2EEvPKT_PKT0_S8_ifPKiSA_SA_iPKfiiiPfSD_PS3_PT2_iSC_SC_.num_vgpr, max(3, .L__assert_fail.num_vgpr)
	.set _Z38paged_attention_ll4mi_QKV_mfma4_kernelI14__hip_bfloat16hLN4vllm18Fp8KVCacheDataTypeE1ES0_Li16ELi64ELi256ELb1ELi2EEvPKT_PKT0_S8_ifPKiSA_SA_iPKfiiiPfSD_PS3_PT2_iSC_SC_.num_agpr, max(0, .L__assert_fail.num_agpr)
	.set _Z38paged_attention_ll4mi_QKV_mfma4_kernelI14__hip_bfloat16hLN4vllm18Fp8KVCacheDataTypeE1ES0_Li16ELi64ELi256ELb1ELi2EEvPKT_PKT0_S8_ifPKiSA_SA_iPKfiiiPfSD_PS3_PT2_iSC_SC_.numbered_sgpr, max(33, .L__assert_fail.numbered_sgpr)
	.set _Z38paged_attention_ll4mi_QKV_mfma4_kernelI14__hip_bfloat16hLN4vllm18Fp8KVCacheDataTypeE1ES0_Li16ELi64ELi256ELb1ELi2EEvPKT_PKT0_S8_ifPKiSA_SA_iPKfiiiPfSD_PS3_PT2_iSC_SC_.num_named_barrier, max(0, .L__assert_fail.num_named_barrier)
	.set _Z38paged_attention_ll4mi_QKV_mfma4_kernelI14__hip_bfloat16hLN4vllm18Fp8KVCacheDataTypeE1ES0_Li16ELi64ELi256ELb1ELi2EEvPKT_PKT0_S8_ifPKiSA_SA_iPKfiiiPfSD_PS3_PT2_iSC_SC_.private_seg_size, 0+max(.L__assert_fail.private_seg_size)
	.set _Z38paged_attention_ll4mi_QKV_mfma4_kernelI14__hip_bfloat16hLN4vllm18Fp8KVCacheDataTypeE1ES0_Li16ELi64ELi256ELb1ELi2EEvPKT_PKT0_S8_ifPKiSA_SA_iPKfiiiPfSD_PS3_PT2_iSC_SC_.uses_vcc, or(1, .L__assert_fail.uses_vcc)
	.set _Z38paged_attention_ll4mi_QKV_mfma4_kernelI14__hip_bfloat16hLN4vllm18Fp8KVCacheDataTypeE1ES0_Li16ELi64ELi256ELb1ELi2EEvPKT_PKT0_S8_ifPKiSA_SA_iPKfiiiPfSD_PS3_PT2_iSC_SC_.uses_flat_scratch, or(0, .L__assert_fail.uses_flat_scratch)
	.set _Z38paged_attention_ll4mi_QKV_mfma4_kernelI14__hip_bfloat16hLN4vllm18Fp8KVCacheDataTypeE1ES0_Li16ELi64ELi256ELb1ELi2EEvPKT_PKT0_S8_ifPKiSA_SA_iPKfiiiPfSD_PS3_PT2_iSC_SC_.has_dyn_sized_stack, or(0, .L__assert_fail.has_dyn_sized_stack)
	.set _Z38paged_attention_ll4mi_QKV_mfma4_kernelI14__hip_bfloat16hLN4vllm18Fp8KVCacheDataTypeE1ES0_Li16ELi64ELi256ELb1ELi2EEvPKT_PKT0_S8_ifPKiSA_SA_iPKfiiiPfSD_PS3_PT2_iSC_SC_.has_recursion, or(0, .L__assert_fail.has_recursion)
	.set _Z38paged_attention_ll4mi_QKV_mfma4_kernelI14__hip_bfloat16hLN4vllm18Fp8KVCacheDataTypeE1ES0_Li16ELi64ELi256ELb1ELi2EEvPKT_PKT0_S8_ifPKiSA_SA_iPKfiiiPfSD_PS3_PT2_iSC_SC_.has_indirect_call, or(0, .L__assert_fail.has_indirect_call)
	.section	.AMDGPU.csdata,"",@progbits
; Kernel info:
; codeLenInByte = 68
; TotalNumSgprs: 36
; NumVgprs: 51
; ScratchSize: 64
; MemoryBound: 0
; FloatMode: 240
; IeeeMode: 1
; LDSByteSize: 0 bytes/workgroup (compile time only)
; SGPRBlocks: 0
; VGPRBlocks: 3
; NumSGPRsForWavesPerEU: 36
; NumVGPRsForWavesPerEU: 51
; NamedBarCnt: 0
; Occupancy: 16
; WaveLimiterHint : 1
; COMPUTE_PGM_RSRC2:SCRATCH_EN: 1
; COMPUTE_PGM_RSRC2:USER_SGPR: 2
; COMPUTE_PGM_RSRC2:TRAP_HANDLER: 0
; COMPUTE_PGM_RSRC2:TGID_X_EN: 1
; COMPUTE_PGM_RSRC2:TGID_Y_EN: 0
; COMPUTE_PGM_RSRC2:TGID_Z_EN: 0
; COMPUTE_PGM_RSRC2:TIDIG_COMP_CNT: 0
	.section	.text._Z38paged_attention_ll4mi_QKV_mfma4_kernelI14__hip_bfloat16hLN4vllm18Fp8KVCacheDataTypeE1ES0_Li16ELi64ELi256ELb1ELi3EEvPKT_PKT0_S8_ifPKiSA_SA_iPKfiiiPfSD_PS3_PT2_iSC_SC_,"axG",@progbits,_Z38paged_attention_ll4mi_QKV_mfma4_kernelI14__hip_bfloat16hLN4vllm18Fp8KVCacheDataTypeE1ES0_Li16ELi64ELi256ELb1ELi3EEvPKT_PKT0_S8_ifPKiSA_SA_iPKfiiiPfSD_PS3_PT2_iSC_SC_,comdat
	.protected	_Z38paged_attention_ll4mi_QKV_mfma4_kernelI14__hip_bfloat16hLN4vllm18Fp8KVCacheDataTypeE1ES0_Li16ELi64ELi256ELb1ELi3EEvPKT_PKT0_S8_ifPKiSA_SA_iPKfiiiPfSD_PS3_PT2_iSC_SC_ ; -- Begin function _Z38paged_attention_ll4mi_QKV_mfma4_kernelI14__hip_bfloat16hLN4vllm18Fp8KVCacheDataTypeE1ES0_Li16ELi64ELi256ELb1ELi3EEvPKT_PKT0_S8_ifPKiSA_SA_iPKfiiiPfSD_PS3_PT2_iSC_SC_
	.globl	_Z38paged_attention_ll4mi_QKV_mfma4_kernelI14__hip_bfloat16hLN4vllm18Fp8KVCacheDataTypeE1ES0_Li16ELi64ELi256ELb1ELi3EEvPKT_PKT0_S8_ifPKiSA_SA_iPKfiiiPfSD_PS3_PT2_iSC_SC_
	.p2align	8
	.type	_Z38paged_attention_ll4mi_QKV_mfma4_kernelI14__hip_bfloat16hLN4vllm18Fp8KVCacheDataTypeE1ES0_Li16ELi64ELi256ELb1ELi3EEvPKT_PKT0_S8_ifPKiSA_SA_iPKfiiiPfSD_PS3_PT2_iSC_SC_,@function
_Z38paged_attention_ll4mi_QKV_mfma4_kernelI14__hip_bfloat16hLN4vllm18Fp8KVCacheDataTypeE1ES0_Li16ELi64ELi256ELb1ELi3EEvPKT_PKT0_S8_ifPKiSA_SA_iPKfiiiPfSD_PS3_PT2_iSC_SC_: ; @_Z38paged_attention_ll4mi_QKV_mfma4_kernelI14__hip_bfloat16hLN4vllm18Fp8KVCacheDataTypeE1ES0_Li16ELi64ELi256ELb1ELi3EEvPKT_PKT0_S8_ifPKiSA_SA_iPKfiiiPfSD_PS3_PT2_iSC_SC_
; %bb.0:
	s_get_pc_i64 s[2:3]
	s_add_nc_u64 s[2:3], s[2:3], __PRETTY_FUNCTION__._Z38paged_attention_ll4mi_QKV_mfma4_kernelI14__hip_bfloat16hLN4vllm18Fp8KVCacheDataTypeE1ES0_Li16ELi64ELi256ELb1ELi3EEvPKT_PKT0_S8_ifPKiSA_SA_iPKfiiiPfSD_PS3_PT2_iSC_SC_@rel64+4
	s_delay_alu instid0(SALU_CYCLE_1)
	v_dual_mov_b32 v0, 0xbce :: v_dual_mov_b32 v1, s2
	v_mov_b32_e32 v2, s3
	s_add_nc_u64 s[8:9], s[0:1], 0x90
	s_get_pc_i64 s[0:1]
	s_add_nc_u64 s[0:1], s[0:1], __assert_fail@rel64+4
	s_mov_b32 s32, 0
	s_swap_pc_i64 s[30:31], s[0:1]
	.section	.rodata,"a",@progbits
	.p2align	6, 0x0
	.amdhsa_kernel _Z38paged_attention_ll4mi_QKV_mfma4_kernelI14__hip_bfloat16hLN4vllm18Fp8KVCacheDataTypeE1ES0_Li16ELi64ELi256ELb1ELi3EEvPKT_PKT0_S8_ifPKiSA_SA_iPKfiiiPfSD_PS3_PT2_iSC_SC_
		.amdhsa_group_segment_fixed_size 0
		.amdhsa_private_segment_fixed_size 64
		.amdhsa_kernarg_size 400
		.amdhsa_user_sgpr_count 2
		.amdhsa_user_sgpr_dispatch_ptr 0
		.amdhsa_user_sgpr_queue_ptr 0
		.amdhsa_user_sgpr_kernarg_segment_ptr 1
		.amdhsa_user_sgpr_dispatch_id 0
		.amdhsa_user_sgpr_kernarg_preload_length 0
		.amdhsa_user_sgpr_kernarg_preload_offset 0
		.amdhsa_user_sgpr_private_segment_size 0
		.amdhsa_wavefront_size32 1
		.amdhsa_uses_dynamic_stack 0
		.amdhsa_enable_private_segment 1
		.amdhsa_system_sgpr_workgroup_id_x 1
		.amdhsa_system_sgpr_workgroup_id_y 0
		.amdhsa_system_sgpr_workgroup_id_z 0
		.amdhsa_system_sgpr_workgroup_info 0
		.amdhsa_system_vgpr_workitem_id 0
		.amdhsa_next_free_vgpr 51
		.amdhsa_next_free_sgpr 34
		.amdhsa_named_barrier_count 0
		.amdhsa_reserve_vcc 1
		.amdhsa_float_round_mode_32 0
		.amdhsa_float_round_mode_16_64 0
		.amdhsa_float_denorm_mode_32 3
		.amdhsa_float_denorm_mode_16_64 3
		.amdhsa_fp16_overflow 0
		.amdhsa_memory_ordered 1
		.amdhsa_forward_progress 1
		.amdhsa_inst_pref_size 1
		.amdhsa_round_robin_scheduling 0
		.amdhsa_exception_fp_ieee_invalid_op 0
		.amdhsa_exception_fp_denorm_src 0
		.amdhsa_exception_fp_ieee_div_zero 0
		.amdhsa_exception_fp_ieee_overflow 0
		.amdhsa_exception_fp_ieee_underflow 0
		.amdhsa_exception_fp_ieee_inexact 0
		.amdhsa_exception_int_div_zero 0
	.end_amdhsa_kernel
	.section	.text._Z38paged_attention_ll4mi_QKV_mfma4_kernelI14__hip_bfloat16hLN4vllm18Fp8KVCacheDataTypeE1ES0_Li16ELi64ELi256ELb1ELi3EEvPKT_PKT0_S8_ifPKiSA_SA_iPKfiiiPfSD_PS3_PT2_iSC_SC_,"axG",@progbits,_Z38paged_attention_ll4mi_QKV_mfma4_kernelI14__hip_bfloat16hLN4vllm18Fp8KVCacheDataTypeE1ES0_Li16ELi64ELi256ELb1ELi3EEvPKT_PKT0_S8_ifPKiSA_SA_iPKfiiiPfSD_PS3_PT2_iSC_SC_,comdat
.Lfunc_end1132:
	.size	_Z38paged_attention_ll4mi_QKV_mfma4_kernelI14__hip_bfloat16hLN4vllm18Fp8KVCacheDataTypeE1ES0_Li16ELi64ELi256ELb1ELi3EEvPKT_PKT0_S8_ifPKiSA_SA_iPKfiiiPfSD_PS3_PT2_iSC_SC_, .Lfunc_end1132-_Z38paged_attention_ll4mi_QKV_mfma4_kernelI14__hip_bfloat16hLN4vllm18Fp8KVCacheDataTypeE1ES0_Li16ELi64ELi256ELb1ELi3EEvPKT_PKT0_S8_ifPKiSA_SA_iPKfiiiPfSD_PS3_PT2_iSC_SC_
                                        ; -- End function
	.set _Z38paged_attention_ll4mi_QKV_mfma4_kernelI14__hip_bfloat16hLN4vllm18Fp8KVCacheDataTypeE1ES0_Li16ELi64ELi256ELb1ELi3EEvPKT_PKT0_S8_ifPKiSA_SA_iPKfiiiPfSD_PS3_PT2_iSC_SC_.num_vgpr, max(3, .L__assert_fail.num_vgpr)
	.set _Z38paged_attention_ll4mi_QKV_mfma4_kernelI14__hip_bfloat16hLN4vllm18Fp8KVCacheDataTypeE1ES0_Li16ELi64ELi256ELb1ELi3EEvPKT_PKT0_S8_ifPKiSA_SA_iPKfiiiPfSD_PS3_PT2_iSC_SC_.num_agpr, max(0, .L__assert_fail.num_agpr)
	.set _Z38paged_attention_ll4mi_QKV_mfma4_kernelI14__hip_bfloat16hLN4vllm18Fp8KVCacheDataTypeE1ES0_Li16ELi64ELi256ELb1ELi3EEvPKT_PKT0_S8_ifPKiSA_SA_iPKfiiiPfSD_PS3_PT2_iSC_SC_.numbered_sgpr, max(33, .L__assert_fail.numbered_sgpr)
	.set _Z38paged_attention_ll4mi_QKV_mfma4_kernelI14__hip_bfloat16hLN4vllm18Fp8KVCacheDataTypeE1ES0_Li16ELi64ELi256ELb1ELi3EEvPKT_PKT0_S8_ifPKiSA_SA_iPKfiiiPfSD_PS3_PT2_iSC_SC_.num_named_barrier, max(0, .L__assert_fail.num_named_barrier)
	.set _Z38paged_attention_ll4mi_QKV_mfma4_kernelI14__hip_bfloat16hLN4vllm18Fp8KVCacheDataTypeE1ES0_Li16ELi64ELi256ELb1ELi3EEvPKT_PKT0_S8_ifPKiSA_SA_iPKfiiiPfSD_PS3_PT2_iSC_SC_.private_seg_size, 0+max(.L__assert_fail.private_seg_size)
	.set _Z38paged_attention_ll4mi_QKV_mfma4_kernelI14__hip_bfloat16hLN4vllm18Fp8KVCacheDataTypeE1ES0_Li16ELi64ELi256ELb1ELi3EEvPKT_PKT0_S8_ifPKiSA_SA_iPKfiiiPfSD_PS3_PT2_iSC_SC_.uses_vcc, or(1, .L__assert_fail.uses_vcc)
	.set _Z38paged_attention_ll4mi_QKV_mfma4_kernelI14__hip_bfloat16hLN4vllm18Fp8KVCacheDataTypeE1ES0_Li16ELi64ELi256ELb1ELi3EEvPKT_PKT0_S8_ifPKiSA_SA_iPKfiiiPfSD_PS3_PT2_iSC_SC_.uses_flat_scratch, or(0, .L__assert_fail.uses_flat_scratch)
	.set _Z38paged_attention_ll4mi_QKV_mfma4_kernelI14__hip_bfloat16hLN4vllm18Fp8KVCacheDataTypeE1ES0_Li16ELi64ELi256ELb1ELi3EEvPKT_PKT0_S8_ifPKiSA_SA_iPKfiiiPfSD_PS3_PT2_iSC_SC_.has_dyn_sized_stack, or(0, .L__assert_fail.has_dyn_sized_stack)
	.set _Z38paged_attention_ll4mi_QKV_mfma4_kernelI14__hip_bfloat16hLN4vllm18Fp8KVCacheDataTypeE1ES0_Li16ELi64ELi256ELb1ELi3EEvPKT_PKT0_S8_ifPKiSA_SA_iPKfiiiPfSD_PS3_PT2_iSC_SC_.has_recursion, or(0, .L__assert_fail.has_recursion)
	.set _Z38paged_attention_ll4mi_QKV_mfma4_kernelI14__hip_bfloat16hLN4vllm18Fp8KVCacheDataTypeE1ES0_Li16ELi64ELi256ELb1ELi3EEvPKT_PKT0_S8_ifPKiSA_SA_iPKfiiiPfSD_PS3_PT2_iSC_SC_.has_indirect_call, or(0, .L__assert_fail.has_indirect_call)
	.section	.AMDGPU.csdata,"",@progbits
; Kernel info:
; codeLenInByte = 68
; TotalNumSgprs: 36
; NumVgprs: 51
; ScratchSize: 64
; MemoryBound: 0
; FloatMode: 240
; IeeeMode: 1
; LDSByteSize: 0 bytes/workgroup (compile time only)
; SGPRBlocks: 0
; VGPRBlocks: 3
; NumSGPRsForWavesPerEU: 36
; NumVGPRsForWavesPerEU: 51
; NamedBarCnt: 0
; Occupancy: 16
; WaveLimiterHint : 1
; COMPUTE_PGM_RSRC2:SCRATCH_EN: 1
; COMPUTE_PGM_RSRC2:USER_SGPR: 2
; COMPUTE_PGM_RSRC2:TRAP_HANDLER: 0
; COMPUTE_PGM_RSRC2:TGID_X_EN: 1
; COMPUTE_PGM_RSRC2:TGID_Y_EN: 0
; COMPUTE_PGM_RSRC2:TGID_Z_EN: 0
; COMPUTE_PGM_RSRC2:TIDIG_COMP_CNT: 0
	.section	.text._Z38paged_attention_ll4mi_QKV_mfma4_kernelI14__hip_bfloat16hLN4vllm18Fp8KVCacheDataTypeE1ES0_Li16ELi64ELi256ELb1ELi4EEvPKT_PKT0_S8_ifPKiSA_SA_iPKfiiiPfSD_PS3_PT2_iSC_SC_,"axG",@progbits,_Z38paged_attention_ll4mi_QKV_mfma4_kernelI14__hip_bfloat16hLN4vllm18Fp8KVCacheDataTypeE1ES0_Li16ELi64ELi256ELb1ELi4EEvPKT_PKT0_S8_ifPKiSA_SA_iPKfiiiPfSD_PS3_PT2_iSC_SC_,comdat
	.protected	_Z38paged_attention_ll4mi_QKV_mfma4_kernelI14__hip_bfloat16hLN4vllm18Fp8KVCacheDataTypeE1ES0_Li16ELi64ELi256ELb1ELi4EEvPKT_PKT0_S8_ifPKiSA_SA_iPKfiiiPfSD_PS3_PT2_iSC_SC_ ; -- Begin function _Z38paged_attention_ll4mi_QKV_mfma4_kernelI14__hip_bfloat16hLN4vllm18Fp8KVCacheDataTypeE1ES0_Li16ELi64ELi256ELb1ELi4EEvPKT_PKT0_S8_ifPKiSA_SA_iPKfiiiPfSD_PS3_PT2_iSC_SC_
	.globl	_Z38paged_attention_ll4mi_QKV_mfma4_kernelI14__hip_bfloat16hLN4vllm18Fp8KVCacheDataTypeE1ES0_Li16ELi64ELi256ELb1ELi4EEvPKT_PKT0_S8_ifPKiSA_SA_iPKfiiiPfSD_PS3_PT2_iSC_SC_
	.p2align	8
	.type	_Z38paged_attention_ll4mi_QKV_mfma4_kernelI14__hip_bfloat16hLN4vllm18Fp8KVCacheDataTypeE1ES0_Li16ELi64ELi256ELb1ELi4EEvPKT_PKT0_S8_ifPKiSA_SA_iPKfiiiPfSD_PS3_PT2_iSC_SC_,@function
_Z38paged_attention_ll4mi_QKV_mfma4_kernelI14__hip_bfloat16hLN4vllm18Fp8KVCacheDataTypeE1ES0_Li16ELi64ELi256ELb1ELi4EEvPKT_PKT0_S8_ifPKiSA_SA_iPKfiiiPfSD_PS3_PT2_iSC_SC_: ; @_Z38paged_attention_ll4mi_QKV_mfma4_kernelI14__hip_bfloat16hLN4vllm18Fp8KVCacheDataTypeE1ES0_Li16ELi64ELi256ELb1ELi4EEvPKT_PKT0_S8_ifPKiSA_SA_iPKfiiiPfSD_PS3_PT2_iSC_SC_
; %bb.0:
	s_get_pc_i64 s[2:3]
	s_add_nc_u64 s[2:3], s[2:3], __PRETTY_FUNCTION__._Z38paged_attention_ll4mi_QKV_mfma4_kernelI14__hip_bfloat16hLN4vllm18Fp8KVCacheDataTypeE1ES0_Li16ELi64ELi256ELb1ELi4EEvPKT_PKT0_S8_ifPKiSA_SA_iPKfiiiPfSD_PS3_PT2_iSC_SC_@rel64+4
	s_delay_alu instid0(SALU_CYCLE_1)
	v_dual_mov_b32 v0, 0xbce :: v_dual_mov_b32 v1, s2
	v_mov_b32_e32 v2, s3
	s_add_nc_u64 s[8:9], s[0:1], 0x90
	s_get_pc_i64 s[0:1]
	s_add_nc_u64 s[0:1], s[0:1], __assert_fail@rel64+4
	s_mov_b32 s32, 0
	s_swap_pc_i64 s[30:31], s[0:1]
	.section	.rodata,"a",@progbits
	.p2align	6, 0x0
	.amdhsa_kernel _Z38paged_attention_ll4mi_QKV_mfma4_kernelI14__hip_bfloat16hLN4vllm18Fp8KVCacheDataTypeE1ES0_Li16ELi64ELi256ELb1ELi4EEvPKT_PKT0_S8_ifPKiSA_SA_iPKfiiiPfSD_PS3_PT2_iSC_SC_
		.amdhsa_group_segment_fixed_size 0
		.amdhsa_private_segment_fixed_size 64
		.amdhsa_kernarg_size 400
		.amdhsa_user_sgpr_count 2
		.amdhsa_user_sgpr_dispatch_ptr 0
		.amdhsa_user_sgpr_queue_ptr 0
		.amdhsa_user_sgpr_kernarg_segment_ptr 1
		.amdhsa_user_sgpr_dispatch_id 0
		.amdhsa_user_sgpr_kernarg_preload_length 0
		.amdhsa_user_sgpr_kernarg_preload_offset 0
		.amdhsa_user_sgpr_private_segment_size 0
		.amdhsa_wavefront_size32 1
		.amdhsa_uses_dynamic_stack 0
		.amdhsa_enable_private_segment 1
		.amdhsa_system_sgpr_workgroup_id_x 1
		.amdhsa_system_sgpr_workgroup_id_y 0
		.amdhsa_system_sgpr_workgroup_id_z 0
		.amdhsa_system_sgpr_workgroup_info 0
		.amdhsa_system_vgpr_workitem_id 0
		.amdhsa_next_free_vgpr 51
		.amdhsa_next_free_sgpr 34
		.amdhsa_named_barrier_count 0
		.amdhsa_reserve_vcc 1
		.amdhsa_float_round_mode_32 0
		.amdhsa_float_round_mode_16_64 0
		.amdhsa_float_denorm_mode_32 3
		.amdhsa_float_denorm_mode_16_64 3
		.amdhsa_fp16_overflow 0
		.amdhsa_memory_ordered 1
		.amdhsa_forward_progress 1
		.amdhsa_inst_pref_size 1
		.amdhsa_round_robin_scheduling 0
		.amdhsa_exception_fp_ieee_invalid_op 0
		.amdhsa_exception_fp_denorm_src 0
		.amdhsa_exception_fp_ieee_div_zero 0
		.amdhsa_exception_fp_ieee_overflow 0
		.amdhsa_exception_fp_ieee_underflow 0
		.amdhsa_exception_fp_ieee_inexact 0
		.amdhsa_exception_int_div_zero 0
	.end_amdhsa_kernel
	.section	.text._Z38paged_attention_ll4mi_QKV_mfma4_kernelI14__hip_bfloat16hLN4vllm18Fp8KVCacheDataTypeE1ES0_Li16ELi64ELi256ELb1ELi4EEvPKT_PKT0_S8_ifPKiSA_SA_iPKfiiiPfSD_PS3_PT2_iSC_SC_,"axG",@progbits,_Z38paged_attention_ll4mi_QKV_mfma4_kernelI14__hip_bfloat16hLN4vllm18Fp8KVCacheDataTypeE1ES0_Li16ELi64ELi256ELb1ELi4EEvPKT_PKT0_S8_ifPKiSA_SA_iPKfiiiPfSD_PS3_PT2_iSC_SC_,comdat
.Lfunc_end1133:
	.size	_Z38paged_attention_ll4mi_QKV_mfma4_kernelI14__hip_bfloat16hLN4vllm18Fp8KVCacheDataTypeE1ES0_Li16ELi64ELi256ELb1ELi4EEvPKT_PKT0_S8_ifPKiSA_SA_iPKfiiiPfSD_PS3_PT2_iSC_SC_, .Lfunc_end1133-_Z38paged_attention_ll4mi_QKV_mfma4_kernelI14__hip_bfloat16hLN4vllm18Fp8KVCacheDataTypeE1ES0_Li16ELi64ELi256ELb1ELi4EEvPKT_PKT0_S8_ifPKiSA_SA_iPKfiiiPfSD_PS3_PT2_iSC_SC_
                                        ; -- End function
	.set _Z38paged_attention_ll4mi_QKV_mfma4_kernelI14__hip_bfloat16hLN4vllm18Fp8KVCacheDataTypeE1ES0_Li16ELi64ELi256ELb1ELi4EEvPKT_PKT0_S8_ifPKiSA_SA_iPKfiiiPfSD_PS3_PT2_iSC_SC_.num_vgpr, max(3, .L__assert_fail.num_vgpr)
	.set _Z38paged_attention_ll4mi_QKV_mfma4_kernelI14__hip_bfloat16hLN4vllm18Fp8KVCacheDataTypeE1ES0_Li16ELi64ELi256ELb1ELi4EEvPKT_PKT0_S8_ifPKiSA_SA_iPKfiiiPfSD_PS3_PT2_iSC_SC_.num_agpr, max(0, .L__assert_fail.num_agpr)
	.set _Z38paged_attention_ll4mi_QKV_mfma4_kernelI14__hip_bfloat16hLN4vllm18Fp8KVCacheDataTypeE1ES0_Li16ELi64ELi256ELb1ELi4EEvPKT_PKT0_S8_ifPKiSA_SA_iPKfiiiPfSD_PS3_PT2_iSC_SC_.numbered_sgpr, max(33, .L__assert_fail.numbered_sgpr)
	.set _Z38paged_attention_ll4mi_QKV_mfma4_kernelI14__hip_bfloat16hLN4vllm18Fp8KVCacheDataTypeE1ES0_Li16ELi64ELi256ELb1ELi4EEvPKT_PKT0_S8_ifPKiSA_SA_iPKfiiiPfSD_PS3_PT2_iSC_SC_.num_named_barrier, max(0, .L__assert_fail.num_named_barrier)
	.set _Z38paged_attention_ll4mi_QKV_mfma4_kernelI14__hip_bfloat16hLN4vllm18Fp8KVCacheDataTypeE1ES0_Li16ELi64ELi256ELb1ELi4EEvPKT_PKT0_S8_ifPKiSA_SA_iPKfiiiPfSD_PS3_PT2_iSC_SC_.private_seg_size, 0+max(.L__assert_fail.private_seg_size)
	.set _Z38paged_attention_ll4mi_QKV_mfma4_kernelI14__hip_bfloat16hLN4vllm18Fp8KVCacheDataTypeE1ES0_Li16ELi64ELi256ELb1ELi4EEvPKT_PKT0_S8_ifPKiSA_SA_iPKfiiiPfSD_PS3_PT2_iSC_SC_.uses_vcc, or(1, .L__assert_fail.uses_vcc)
	.set _Z38paged_attention_ll4mi_QKV_mfma4_kernelI14__hip_bfloat16hLN4vllm18Fp8KVCacheDataTypeE1ES0_Li16ELi64ELi256ELb1ELi4EEvPKT_PKT0_S8_ifPKiSA_SA_iPKfiiiPfSD_PS3_PT2_iSC_SC_.uses_flat_scratch, or(0, .L__assert_fail.uses_flat_scratch)
	.set _Z38paged_attention_ll4mi_QKV_mfma4_kernelI14__hip_bfloat16hLN4vllm18Fp8KVCacheDataTypeE1ES0_Li16ELi64ELi256ELb1ELi4EEvPKT_PKT0_S8_ifPKiSA_SA_iPKfiiiPfSD_PS3_PT2_iSC_SC_.has_dyn_sized_stack, or(0, .L__assert_fail.has_dyn_sized_stack)
	.set _Z38paged_attention_ll4mi_QKV_mfma4_kernelI14__hip_bfloat16hLN4vllm18Fp8KVCacheDataTypeE1ES0_Li16ELi64ELi256ELb1ELi4EEvPKT_PKT0_S8_ifPKiSA_SA_iPKfiiiPfSD_PS3_PT2_iSC_SC_.has_recursion, or(0, .L__assert_fail.has_recursion)
	.set _Z38paged_attention_ll4mi_QKV_mfma4_kernelI14__hip_bfloat16hLN4vllm18Fp8KVCacheDataTypeE1ES0_Li16ELi64ELi256ELb1ELi4EEvPKT_PKT0_S8_ifPKiSA_SA_iPKfiiiPfSD_PS3_PT2_iSC_SC_.has_indirect_call, or(0, .L__assert_fail.has_indirect_call)
	.section	.AMDGPU.csdata,"",@progbits
; Kernel info:
; codeLenInByte = 68
; TotalNumSgprs: 36
; NumVgprs: 51
; ScratchSize: 64
; MemoryBound: 0
; FloatMode: 240
; IeeeMode: 1
; LDSByteSize: 0 bytes/workgroup (compile time only)
; SGPRBlocks: 0
; VGPRBlocks: 3
; NumSGPRsForWavesPerEU: 36
; NumVGPRsForWavesPerEU: 51
; NamedBarCnt: 0
; Occupancy: 16
; WaveLimiterHint : 1
; COMPUTE_PGM_RSRC2:SCRATCH_EN: 1
; COMPUTE_PGM_RSRC2:USER_SGPR: 2
; COMPUTE_PGM_RSRC2:TRAP_HANDLER: 0
; COMPUTE_PGM_RSRC2:TGID_X_EN: 1
; COMPUTE_PGM_RSRC2:TGID_Y_EN: 0
; COMPUTE_PGM_RSRC2:TGID_Z_EN: 0
; COMPUTE_PGM_RSRC2:TIDIG_COMP_CNT: 0
	.section	.text._Z39paged_attention_ll4mi_QKV_mfma16_kernelI14__hip_bfloat16hLN4vllm18Fp8KVCacheDataTypeE1ES0_Li16ELi64ELi256ELb1ELi5EEvPKT_PKT0_S8_ifPKiSA_SA_iPKfiiiPfSD_PS3_PT2_iSC_SC_,"axG",@progbits,_Z39paged_attention_ll4mi_QKV_mfma16_kernelI14__hip_bfloat16hLN4vllm18Fp8KVCacheDataTypeE1ES0_Li16ELi64ELi256ELb1ELi5EEvPKT_PKT0_S8_ifPKiSA_SA_iPKfiiiPfSD_PS3_PT2_iSC_SC_,comdat
	.protected	_Z39paged_attention_ll4mi_QKV_mfma16_kernelI14__hip_bfloat16hLN4vllm18Fp8KVCacheDataTypeE1ES0_Li16ELi64ELi256ELb1ELi5EEvPKT_PKT0_S8_ifPKiSA_SA_iPKfiiiPfSD_PS3_PT2_iSC_SC_ ; -- Begin function _Z39paged_attention_ll4mi_QKV_mfma16_kernelI14__hip_bfloat16hLN4vllm18Fp8KVCacheDataTypeE1ES0_Li16ELi64ELi256ELb1ELi5EEvPKT_PKT0_S8_ifPKiSA_SA_iPKfiiiPfSD_PS3_PT2_iSC_SC_
	.globl	_Z39paged_attention_ll4mi_QKV_mfma16_kernelI14__hip_bfloat16hLN4vllm18Fp8KVCacheDataTypeE1ES0_Li16ELi64ELi256ELb1ELi5EEvPKT_PKT0_S8_ifPKiSA_SA_iPKfiiiPfSD_PS3_PT2_iSC_SC_
	.p2align	8
	.type	_Z39paged_attention_ll4mi_QKV_mfma16_kernelI14__hip_bfloat16hLN4vllm18Fp8KVCacheDataTypeE1ES0_Li16ELi64ELi256ELb1ELi5EEvPKT_PKT0_S8_ifPKiSA_SA_iPKfiiiPfSD_PS3_PT2_iSC_SC_,@function
_Z39paged_attention_ll4mi_QKV_mfma16_kernelI14__hip_bfloat16hLN4vllm18Fp8KVCacheDataTypeE1ES0_Li16ELi64ELi256ELb1ELi5EEvPKT_PKT0_S8_ifPKiSA_SA_iPKfiiiPfSD_PS3_PT2_iSC_SC_: ; @_Z39paged_attention_ll4mi_QKV_mfma16_kernelI14__hip_bfloat16hLN4vllm18Fp8KVCacheDataTypeE1ES0_Li16ELi64ELi256ELb1ELi5EEvPKT_PKT0_S8_ifPKiSA_SA_iPKfiiiPfSD_PS3_PT2_iSC_SC_
; %bb.0:
	s_get_pc_i64 s[2:3]
	s_add_nc_u64 s[2:3], s[2:3], __PRETTY_FUNCTION__._Z39paged_attention_ll4mi_QKV_mfma16_kernelI14__hip_bfloat16hLN4vllm18Fp8KVCacheDataTypeE1ES0_Li16ELi64ELi256ELb1ELi5EEvPKT_PKT0_S8_ifPKiSA_SA_iPKfiiiPfSD_PS3_PT2_iSC_SC_@rel64+4
	s_delay_alu instid0(SALU_CYCLE_1)
	v_dual_mov_b32 v0, 0xbb3 :: v_dual_mov_b32 v1, s2
	v_mov_b32_e32 v2, s3
	s_add_nc_u64 s[8:9], s[0:1], 0x90
	s_get_pc_i64 s[0:1]
	s_add_nc_u64 s[0:1], s[0:1], __assert_fail@rel64+4
	s_mov_b32 s32, 0
	s_swap_pc_i64 s[30:31], s[0:1]
	.section	.rodata,"a",@progbits
	.p2align	6, 0x0
	.amdhsa_kernel _Z39paged_attention_ll4mi_QKV_mfma16_kernelI14__hip_bfloat16hLN4vllm18Fp8KVCacheDataTypeE1ES0_Li16ELi64ELi256ELb1ELi5EEvPKT_PKT0_S8_ifPKiSA_SA_iPKfiiiPfSD_PS3_PT2_iSC_SC_
		.amdhsa_group_segment_fixed_size 0
		.amdhsa_private_segment_fixed_size 64
		.amdhsa_kernarg_size 400
		.amdhsa_user_sgpr_count 2
		.amdhsa_user_sgpr_dispatch_ptr 0
		.amdhsa_user_sgpr_queue_ptr 0
		.amdhsa_user_sgpr_kernarg_segment_ptr 1
		.amdhsa_user_sgpr_dispatch_id 0
		.amdhsa_user_sgpr_kernarg_preload_length 0
		.amdhsa_user_sgpr_kernarg_preload_offset 0
		.amdhsa_user_sgpr_private_segment_size 0
		.amdhsa_wavefront_size32 1
		.amdhsa_uses_dynamic_stack 0
		.amdhsa_enable_private_segment 1
		.amdhsa_system_sgpr_workgroup_id_x 1
		.amdhsa_system_sgpr_workgroup_id_y 0
		.amdhsa_system_sgpr_workgroup_id_z 0
		.amdhsa_system_sgpr_workgroup_info 0
		.amdhsa_system_vgpr_workitem_id 0
		.amdhsa_next_free_vgpr 51
		.amdhsa_next_free_sgpr 34
		.amdhsa_named_barrier_count 0
		.amdhsa_reserve_vcc 1
		.amdhsa_float_round_mode_32 0
		.amdhsa_float_round_mode_16_64 0
		.amdhsa_float_denorm_mode_32 3
		.amdhsa_float_denorm_mode_16_64 3
		.amdhsa_fp16_overflow 0
		.amdhsa_memory_ordered 1
		.amdhsa_forward_progress 1
		.amdhsa_inst_pref_size 1
		.amdhsa_round_robin_scheduling 0
		.amdhsa_exception_fp_ieee_invalid_op 0
		.amdhsa_exception_fp_denorm_src 0
		.amdhsa_exception_fp_ieee_div_zero 0
		.amdhsa_exception_fp_ieee_overflow 0
		.amdhsa_exception_fp_ieee_underflow 0
		.amdhsa_exception_fp_ieee_inexact 0
		.amdhsa_exception_int_div_zero 0
	.end_amdhsa_kernel
	.section	.text._Z39paged_attention_ll4mi_QKV_mfma16_kernelI14__hip_bfloat16hLN4vllm18Fp8KVCacheDataTypeE1ES0_Li16ELi64ELi256ELb1ELi5EEvPKT_PKT0_S8_ifPKiSA_SA_iPKfiiiPfSD_PS3_PT2_iSC_SC_,"axG",@progbits,_Z39paged_attention_ll4mi_QKV_mfma16_kernelI14__hip_bfloat16hLN4vllm18Fp8KVCacheDataTypeE1ES0_Li16ELi64ELi256ELb1ELi5EEvPKT_PKT0_S8_ifPKiSA_SA_iPKfiiiPfSD_PS3_PT2_iSC_SC_,comdat
.Lfunc_end1134:
	.size	_Z39paged_attention_ll4mi_QKV_mfma16_kernelI14__hip_bfloat16hLN4vllm18Fp8KVCacheDataTypeE1ES0_Li16ELi64ELi256ELb1ELi5EEvPKT_PKT0_S8_ifPKiSA_SA_iPKfiiiPfSD_PS3_PT2_iSC_SC_, .Lfunc_end1134-_Z39paged_attention_ll4mi_QKV_mfma16_kernelI14__hip_bfloat16hLN4vllm18Fp8KVCacheDataTypeE1ES0_Li16ELi64ELi256ELb1ELi5EEvPKT_PKT0_S8_ifPKiSA_SA_iPKfiiiPfSD_PS3_PT2_iSC_SC_
                                        ; -- End function
	.set _Z39paged_attention_ll4mi_QKV_mfma16_kernelI14__hip_bfloat16hLN4vllm18Fp8KVCacheDataTypeE1ES0_Li16ELi64ELi256ELb1ELi5EEvPKT_PKT0_S8_ifPKiSA_SA_iPKfiiiPfSD_PS3_PT2_iSC_SC_.num_vgpr, max(3, .L__assert_fail.num_vgpr)
	.set _Z39paged_attention_ll4mi_QKV_mfma16_kernelI14__hip_bfloat16hLN4vllm18Fp8KVCacheDataTypeE1ES0_Li16ELi64ELi256ELb1ELi5EEvPKT_PKT0_S8_ifPKiSA_SA_iPKfiiiPfSD_PS3_PT2_iSC_SC_.num_agpr, max(0, .L__assert_fail.num_agpr)
	.set _Z39paged_attention_ll4mi_QKV_mfma16_kernelI14__hip_bfloat16hLN4vllm18Fp8KVCacheDataTypeE1ES0_Li16ELi64ELi256ELb1ELi5EEvPKT_PKT0_S8_ifPKiSA_SA_iPKfiiiPfSD_PS3_PT2_iSC_SC_.numbered_sgpr, max(33, .L__assert_fail.numbered_sgpr)
	.set _Z39paged_attention_ll4mi_QKV_mfma16_kernelI14__hip_bfloat16hLN4vllm18Fp8KVCacheDataTypeE1ES0_Li16ELi64ELi256ELb1ELi5EEvPKT_PKT0_S8_ifPKiSA_SA_iPKfiiiPfSD_PS3_PT2_iSC_SC_.num_named_barrier, max(0, .L__assert_fail.num_named_barrier)
	.set _Z39paged_attention_ll4mi_QKV_mfma16_kernelI14__hip_bfloat16hLN4vllm18Fp8KVCacheDataTypeE1ES0_Li16ELi64ELi256ELb1ELi5EEvPKT_PKT0_S8_ifPKiSA_SA_iPKfiiiPfSD_PS3_PT2_iSC_SC_.private_seg_size, 0+max(.L__assert_fail.private_seg_size)
	.set _Z39paged_attention_ll4mi_QKV_mfma16_kernelI14__hip_bfloat16hLN4vllm18Fp8KVCacheDataTypeE1ES0_Li16ELi64ELi256ELb1ELi5EEvPKT_PKT0_S8_ifPKiSA_SA_iPKfiiiPfSD_PS3_PT2_iSC_SC_.uses_vcc, or(1, .L__assert_fail.uses_vcc)
	.set _Z39paged_attention_ll4mi_QKV_mfma16_kernelI14__hip_bfloat16hLN4vllm18Fp8KVCacheDataTypeE1ES0_Li16ELi64ELi256ELb1ELi5EEvPKT_PKT0_S8_ifPKiSA_SA_iPKfiiiPfSD_PS3_PT2_iSC_SC_.uses_flat_scratch, or(0, .L__assert_fail.uses_flat_scratch)
	.set _Z39paged_attention_ll4mi_QKV_mfma16_kernelI14__hip_bfloat16hLN4vllm18Fp8KVCacheDataTypeE1ES0_Li16ELi64ELi256ELb1ELi5EEvPKT_PKT0_S8_ifPKiSA_SA_iPKfiiiPfSD_PS3_PT2_iSC_SC_.has_dyn_sized_stack, or(0, .L__assert_fail.has_dyn_sized_stack)
	.set _Z39paged_attention_ll4mi_QKV_mfma16_kernelI14__hip_bfloat16hLN4vllm18Fp8KVCacheDataTypeE1ES0_Li16ELi64ELi256ELb1ELi5EEvPKT_PKT0_S8_ifPKiSA_SA_iPKfiiiPfSD_PS3_PT2_iSC_SC_.has_recursion, or(0, .L__assert_fail.has_recursion)
	.set _Z39paged_attention_ll4mi_QKV_mfma16_kernelI14__hip_bfloat16hLN4vllm18Fp8KVCacheDataTypeE1ES0_Li16ELi64ELi256ELb1ELi5EEvPKT_PKT0_S8_ifPKiSA_SA_iPKfiiiPfSD_PS3_PT2_iSC_SC_.has_indirect_call, or(0, .L__assert_fail.has_indirect_call)
	.section	.AMDGPU.csdata,"",@progbits
; Kernel info:
; codeLenInByte = 68
; TotalNumSgprs: 36
; NumVgprs: 51
; ScratchSize: 64
; MemoryBound: 0
; FloatMode: 240
; IeeeMode: 1
; LDSByteSize: 0 bytes/workgroup (compile time only)
; SGPRBlocks: 0
; VGPRBlocks: 3
; NumSGPRsForWavesPerEU: 36
; NumVGPRsForWavesPerEU: 51
; NamedBarCnt: 0
; Occupancy: 16
; WaveLimiterHint : 1
; COMPUTE_PGM_RSRC2:SCRATCH_EN: 1
; COMPUTE_PGM_RSRC2:USER_SGPR: 2
; COMPUTE_PGM_RSRC2:TRAP_HANDLER: 0
; COMPUTE_PGM_RSRC2:TGID_X_EN: 1
; COMPUTE_PGM_RSRC2:TGID_Y_EN: 0
; COMPUTE_PGM_RSRC2:TGID_Z_EN: 0
; COMPUTE_PGM_RSRC2:TIDIG_COMP_CNT: 0
	.section	.text._Z39paged_attention_ll4mi_QKV_mfma16_kernelI14__hip_bfloat16hLN4vllm18Fp8KVCacheDataTypeE1ES0_Li16ELi64ELi256ELb1ELi6EEvPKT_PKT0_S8_ifPKiSA_SA_iPKfiiiPfSD_PS3_PT2_iSC_SC_,"axG",@progbits,_Z39paged_attention_ll4mi_QKV_mfma16_kernelI14__hip_bfloat16hLN4vllm18Fp8KVCacheDataTypeE1ES0_Li16ELi64ELi256ELb1ELi6EEvPKT_PKT0_S8_ifPKiSA_SA_iPKfiiiPfSD_PS3_PT2_iSC_SC_,comdat
	.protected	_Z39paged_attention_ll4mi_QKV_mfma16_kernelI14__hip_bfloat16hLN4vllm18Fp8KVCacheDataTypeE1ES0_Li16ELi64ELi256ELb1ELi6EEvPKT_PKT0_S8_ifPKiSA_SA_iPKfiiiPfSD_PS3_PT2_iSC_SC_ ; -- Begin function _Z39paged_attention_ll4mi_QKV_mfma16_kernelI14__hip_bfloat16hLN4vllm18Fp8KVCacheDataTypeE1ES0_Li16ELi64ELi256ELb1ELi6EEvPKT_PKT0_S8_ifPKiSA_SA_iPKfiiiPfSD_PS3_PT2_iSC_SC_
	.globl	_Z39paged_attention_ll4mi_QKV_mfma16_kernelI14__hip_bfloat16hLN4vllm18Fp8KVCacheDataTypeE1ES0_Li16ELi64ELi256ELb1ELi6EEvPKT_PKT0_S8_ifPKiSA_SA_iPKfiiiPfSD_PS3_PT2_iSC_SC_
	.p2align	8
	.type	_Z39paged_attention_ll4mi_QKV_mfma16_kernelI14__hip_bfloat16hLN4vllm18Fp8KVCacheDataTypeE1ES0_Li16ELi64ELi256ELb1ELi6EEvPKT_PKT0_S8_ifPKiSA_SA_iPKfiiiPfSD_PS3_PT2_iSC_SC_,@function
_Z39paged_attention_ll4mi_QKV_mfma16_kernelI14__hip_bfloat16hLN4vllm18Fp8KVCacheDataTypeE1ES0_Li16ELi64ELi256ELb1ELi6EEvPKT_PKT0_S8_ifPKiSA_SA_iPKfiiiPfSD_PS3_PT2_iSC_SC_: ; @_Z39paged_attention_ll4mi_QKV_mfma16_kernelI14__hip_bfloat16hLN4vllm18Fp8KVCacheDataTypeE1ES0_Li16ELi64ELi256ELb1ELi6EEvPKT_PKT0_S8_ifPKiSA_SA_iPKfiiiPfSD_PS3_PT2_iSC_SC_
; %bb.0:
	s_get_pc_i64 s[2:3]
	s_add_nc_u64 s[2:3], s[2:3], __PRETTY_FUNCTION__._Z39paged_attention_ll4mi_QKV_mfma16_kernelI14__hip_bfloat16hLN4vllm18Fp8KVCacheDataTypeE1ES0_Li16ELi64ELi256ELb1ELi6EEvPKT_PKT0_S8_ifPKiSA_SA_iPKfiiiPfSD_PS3_PT2_iSC_SC_@rel64+4
	s_delay_alu instid0(SALU_CYCLE_1)
	v_dual_mov_b32 v0, 0xbb3 :: v_dual_mov_b32 v1, s2
	v_mov_b32_e32 v2, s3
	s_add_nc_u64 s[8:9], s[0:1], 0x90
	s_get_pc_i64 s[0:1]
	s_add_nc_u64 s[0:1], s[0:1], __assert_fail@rel64+4
	s_mov_b32 s32, 0
	s_swap_pc_i64 s[30:31], s[0:1]
	.section	.rodata,"a",@progbits
	.p2align	6, 0x0
	.amdhsa_kernel _Z39paged_attention_ll4mi_QKV_mfma16_kernelI14__hip_bfloat16hLN4vllm18Fp8KVCacheDataTypeE1ES0_Li16ELi64ELi256ELb1ELi6EEvPKT_PKT0_S8_ifPKiSA_SA_iPKfiiiPfSD_PS3_PT2_iSC_SC_
		.amdhsa_group_segment_fixed_size 0
		.amdhsa_private_segment_fixed_size 64
		.amdhsa_kernarg_size 400
		.amdhsa_user_sgpr_count 2
		.amdhsa_user_sgpr_dispatch_ptr 0
		.amdhsa_user_sgpr_queue_ptr 0
		.amdhsa_user_sgpr_kernarg_segment_ptr 1
		.amdhsa_user_sgpr_dispatch_id 0
		.amdhsa_user_sgpr_kernarg_preload_length 0
		.amdhsa_user_sgpr_kernarg_preload_offset 0
		.amdhsa_user_sgpr_private_segment_size 0
		.amdhsa_wavefront_size32 1
		.amdhsa_uses_dynamic_stack 0
		.amdhsa_enable_private_segment 1
		.amdhsa_system_sgpr_workgroup_id_x 1
		.amdhsa_system_sgpr_workgroup_id_y 0
		.amdhsa_system_sgpr_workgroup_id_z 0
		.amdhsa_system_sgpr_workgroup_info 0
		.amdhsa_system_vgpr_workitem_id 0
		.amdhsa_next_free_vgpr 51
		.amdhsa_next_free_sgpr 34
		.amdhsa_named_barrier_count 0
		.amdhsa_reserve_vcc 1
		.amdhsa_float_round_mode_32 0
		.amdhsa_float_round_mode_16_64 0
		.amdhsa_float_denorm_mode_32 3
		.amdhsa_float_denorm_mode_16_64 3
		.amdhsa_fp16_overflow 0
		.amdhsa_memory_ordered 1
		.amdhsa_forward_progress 1
		.amdhsa_inst_pref_size 1
		.amdhsa_round_robin_scheduling 0
		.amdhsa_exception_fp_ieee_invalid_op 0
		.amdhsa_exception_fp_denorm_src 0
		.amdhsa_exception_fp_ieee_div_zero 0
		.amdhsa_exception_fp_ieee_overflow 0
		.amdhsa_exception_fp_ieee_underflow 0
		.amdhsa_exception_fp_ieee_inexact 0
		.amdhsa_exception_int_div_zero 0
	.end_amdhsa_kernel
	.section	.text._Z39paged_attention_ll4mi_QKV_mfma16_kernelI14__hip_bfloat16hLN4vllm18Fp8KVCacheDataTypeE1ES0_Li16ELi64ELi256ELb1ELi6EEvPKT_PKT0_S8_ifPKiSA_SA_iPKfiiiPfSD_PS3_PT2_iSC_SC_,"axG",@progbits,_Z39paged_attention_ll4mi_QKV_mfma16_kernelI14__hip_bfloat16hLN4vllm18Fp8KVCacheDataTypeE1ES0_Li16ELi64ELi256ELb1ELi6EEvPKT_PKT0_S8_ifPKiSA_SA_iPKfiiiPfSD_PS3_PT2_iSC_SC_,comdat
.Lfunc_end1135:
	.size	_Z39paged_attention_ll4mi_QKV_mfma16_kernelI14__hip_bfloat16hLN4vllm18Fp8KVCacheDataTypeE1ES0_Li16ELi64ELi256ELb1ELi6EEvPKT_PKT0_S8_ifPKiSA_SA_iPKfiiiPfSD_PS3_PT2_iSC_SC_, .Lfunc_end1135-_Z39paged_attention_ll4mi_QKV_mfma16_kernelI14__hip_bfloat16hLN4vllm18Fp8KVCacheDataTypeE1ES0_Li16ELi64ELi256ELb1ELi6EEvPKT_PKT0_S8_ifPKiSA_SA_iPKfiiiPfSD_PS3_PT2_iSC_SC_
                                        ; -- End function
	.set _Z39paged_attention_ll4mi_QKV_mfma16_kernelI14__hip_bfloat16hLN4vllm18Fp8KVCacheDataTypeE1ES0_Li16ELi64ELi256ELb1ELi6EEvPKT_PKT0_S8_ifPKiSA_SA_iPKfiiiPfSD_PS3_PT2_iSC_SC_.num_vgpr, max(3, .L__assert_fail.num_vgpr)
	.set _Z39paged_attention_ll4mi_QKV_mfma16_kernelI14__hip_bfloat16hLN4vllm18Fp8KVCacheDataTypeE1ES0_Li16ELi64ELi256ELb1ELi6EEvPKT_PKT0_S8_ifPKiSA_SA_iPKfiiiPfSD_PS3_PT2_iSC_SC_.num_agpr, max(0, .L__assert_fail.num_agpr)
	.set _Z39paged_attention_ll4mi_QKV_mfma16_kernelI14__hip_bfloat16hLN4vllm18Fp8KVCacheDataTypeE1ES0_Li16ELi64ELi256ELb1ELi6EEvPKT_PKT0_S8_ifPKiSA_SA_iPKfiiiPfSD_PS3_PT2_iSC_SC_.numbered_sgpr, max(33, .L__assert_fail.numbered_sgpr)
	.set _Z39paged_attention_ll4mi_QKV_mfma16_kernelI14__hip_bfloat16hLN4vllm18Fp8KVCacheDataTypeE1ES0_Li16ELi64ELi256ELb1ELi6EEvPKT_PKT0_S8_ifPKiSA_SA_iPKfiiiPfSD_PS3_PT2_iSC_SC_.num_named_barrier, max(0, .L__assert_fail.num_named_barrier)
	.set _Z39paged_attention_ll4mi_QKV_mfma16_kernelI14__hip_bfloat16hLN4vllm18Fp8KVCacheDataTypeE1ES0_Li16ELi64ELi256ELb1ELi6EEvPKT_PKT0_S8_ifPKiSA_SA_iPKfiiiPfSD_PS3_PT2_iSC_SC_.private_seg_size, 0+max(.L__assert_fail.private_seg_size)
	.set _Z39paged_attention_ll4mi_QKV_mfma16_kernelI14__hip_bfloat16hLN4vllm18Fp8KVCacheDataTypeE1ES0_Li16ELi64ELi256ELb1ELi6EEvPKT_PKT0_S8_ifPKiSA_SA_iPKfiiiPfSD_PS3_PT2_iSC_SC_.uses_vcc, or(1, .L__assert_fail.uses_vcc)
	.set _Z39paged_attention_ll4mi_QKV_mfma16_kernelI14__hip_bfloat16hLN4vllm18Fp8KVCacheDataTypeE1ES0_Li16ELi64ELi256ELb1ELi6EEvPKT_PKT0_S8_ifPKiSA_SA_iPKfiiiPfSD_PS3_PT2_iSC_SC_.uses_flat_scratch, or(0, .L__assert_fail.uses_flat_scratch)
	.set _Z39paged_attention_ll4mi_QKV_mfma16_kernelI14__hip_bfloat16hLN4vllm18Fp8KVCacheDataTypeE1ES0_Li16ELi64ELi256ELb1ELi6EEvPKT_PKT0_S8_ifPKiSA_SA_iPKfiiiPfSD_PS3_PT2_iSC_SC_.has_dyn_sized_stack, or(0, .L__assert_fail.has_dyn_sized_stack)
	.set _Z39paged_attention_ll4mi_QKV_mfma16_kernelI14__hip_bfloat16hLN4vllm18Fp8KVCacheDataTypeE1ES0_Li16ELi64ELi256ELb1ELi6EEvPKT_PKT0_S8_ifPKiSA_SA_iPKfiiiPfSD_PS3_PT2_iSC_SC_.has_recursion, or(0, .L__assert_fail.has_recursion)
	.set _Z39paged_attention_ll4mi_QKV_mfma16_kernelI14__hip_bfloat16hLN4vllm18Fp8KVCacheDataTypeE1ES0_Li16ELi64ELi256ELb1ELi6EEvPKT_PKT0_S8_ifPKiSA_SA_iPKfiiiPfSD_PS3_PT2_iSC_SC_.has_indirect_call, or(0, .L__assert_fail.has_indirect_call)
	.section	.AMDGPU.csdata,"",@progbits
; Kernel info:
; codeLenInByte = 68
; TotalNumSgprs: 36
; NumVgprs: 51
; ScratchSize: 64
; MemoryBound: 0
; FloatMode: 240
; IeeeMode: 1
; LDSByteSize: 0 bytes/workgroup (compile time only)
; SGPRBlocks: 0
; VGPRBlocks: 3
; NumSGPRsForWavesPerEU: 36
; NumVGPRsForWavesPerEU: 51
; NamedBarCnt: 0
; Occupancy: 16
; WaveLimiterHint : 1
; COMPUTE_PGM_RSRC2:SCRATCH_EN: 1
; COMPUTE_PGM_RSRC2:USER_SGPR: 2
; COMPUTE_PGM_RSRC2:TRAP_HANDLER: 0
; COMPUTE_PGM_RSRC2:TGID_X_EN: 1
; COMPUTE_PGM_RSRC2:TGID_Y_EN: 0
; COMPUTE_PGM_RSRC2:TGID_Z_EN: 0
; COMPUTE_PGM_RSRC2:TIDIG_COMP_CNT: 0
	.section	.text._Z39paged_attention_ll4mi_QKV_mfma16_kernelI14__hip_bfloat16hLN4vllm18Fp8KVCacheDataTypeE1ES0_Li16ELi64ELi256ELb1ELi7EEvPKT_PKT0_S8_ifPKiSA_SA_iPKfiiiPfSD_PS3_PT2_iSC_SC_,"axG",@progbits,_Z39paged_attention_ll4mi_QKV_mfma16_kernelI14__hip_bfloat16hLN4vllm18Fp8KVCacheDataTypeE1ES0_Li16ELi64ELi256ELb1ELi7EEvPKT_PKT0_S8_ifPKiSA_SA_iPKfiiiPfSD_PS3_PT2_iSC_SC_,comdat
	.protected	_Z39paged_attention_ll4mi_QKV_mfma16_kernelI14__hip_bfloat16hLN4vllm18Fp8KVCacheDataTypeE1ES0_Li16ELi64ELi256ELb1ELi7EEvPKT_PKT0_S8_ifPKiSA_SA_iPKfiiiPfSD_PS3_PT2_iSC_SC_ ; -- Begin function _Z39paged_attention_ll4mi_QKV_mfma16_kernelI14__hip_bfloat16hLN4vllm18Fp8KVCacheDataTypeE1ES0_Li16ELi64ELi256ELb1ELi7EEvPKT_PKT0_S8_ifPKiSA_SA_iPKfiiiPfSD_PS3_PT2_iSC_SC_
	.globl	_Z39paged_attention_ll4mi_QKV_mfma16_kernelI14__hip_bfloat16hLN4vllm18Fp8KVCacheDataTypeE1ES0_Li16ELi64ELi256ELb1ELi7EEvPKT_PKT0_S8_ifPKiSA_SA_iPKfiiiPfSD_PS3_PT2_iSC_SC_
	.p2align	8
	.type	_Z39paged_attention_ll4mi_QKV_mfma16_kernelI14__hip_bfloat16hLN4vllm18Fp8KVCacheDataTypeE1ES0_Li16ELi64ELi256ELb1ELi7EEvPKT_PKT0_S8_ifPKiSA_SA_iPKfiiiPfSD_PS3_PT2_iSC_SC_,@function
_Z39paged_attention_ll4mi_QKV_mfma16_kernelI14__hip_bfloat16hLN4vllm18Fp8KVCacheDataTypeE1ES0_Li16ELi64ELi256ELb1ELi7EEvPKT_PKT0_S8_ifPKiSA_SA_iPKfiiiPfSD_PS3_PT2_iSC_SC_: ; @_Z39paged_attention_ll4mi_QKV_mfma16_kernelI14__hip_bfloat16hLN4vllm18Fp8KVCacheDataTypeE1ES0_Li16ELi64ELi256ELb1ELi7EEvPKT_PKT0_S8_ifPKiSA_SA_iPKfiiiPfSD_PS3_PT2_iSC_SC_
; %bb.0:
	s_get_pc_i64 s[2:3]
	s_add_nc_u64 s[2:3], s[2:3], __PRETTY_FUNCTION__._Z39paged_attention_ll4mi_QKV_mfma16_kernelI14__hip_bfloat16hLN4vllm18Fp8KVCacheDataTypeE1ES0_Li16ELi64ELi256ELb1ELi7EEvPKT_PKT0_S8_ifPKiSA_SA_iPKfiiiPfSD_PS3_PT2_iSC_SC_@rel64+4
	s_delay_alu instid0(SALU_CYCLE_1)
	v_dual_mov_b32 v0, 0xbb3 :: v_dual_mov_b32 v1, s2
	v_mov_b32_e32 v2, s3
	s_add_nc_u64 s[8:9], s[0:1], 0x90
	s_get_pc_i64 s[0:1]
	s_add_nc_u64 s[0:1], s[0:1], __assert_fail@rel64+4
	s_mov_b32 s32, 0
	s_swap_pc_i64 s[30:31], s[0:1]
	.section	.rodata,"a",@progbits
	.p2align	6, 0x0
	.amdhsa_kernel _Z39paged_attention_ll4mi_QKV_mfma16_kernelI14__hip_bfloat16hLN4vllm18Fp8KVCacheDataTypeE1ES0_Li16ELi64ELi256ELb1ELi7EEvPKT_PKT0_S8_ifPKiSA_SA_iPKfiiiPfSD_PS3_PT2_iSC_SC_
		.amdhsa_group_segment_fixed_size 0
		.amdhsa_private_segment_fixed_size 64
		.amdhsa_kernarg_size 400
		.amdhsa_user_sgpr_count 2
		.amdhsa_user_sgpr_dispatch_ptr 0
		.amdhsa_user_sgpr_queue_ptr 0
		.amdhsa_user_sgpr_kernarg_segment_ptr 1
		.amdhsa_user_sgpr_dispatch_id 0
		.amdhsa_user_sgpr_kernarg_preload_length 0
		.amdhsa_user_sgpr_kernarg_preload_offset 0
		.amdhsa_user_sgpr_private_segment_size 0
		.amdhsa_wavefront_size32 1
		.amdhsa_uses_dynamic_stack 0
		.amdhsa_enable_private_segment 1
		.amdhsa_system_sgpr_workgroup_id_x 1
		.amdhsa_system_sgpr_workgroup_id_y 0
		.amdhsa_system_sgpr_workgroup_id_z 0
		.amdhsa_system_sgpr_workgroup_info 0
		.amdhsa_system_vgpr_workitem_id 0
		.amdhsa_next_free_vgpr 51
		.amdhsa_next_free_sgpr 34
		.amdhsa_named_barrier_count 0
		.amdhsa_reserve_vcc 1
		.amdhsa_float_round_mode_32 0
		.amdhsa_float_round_mode_16_64 0
		.amdhsa_float_denorm_mode_32 3
		.amdhsa_float_denorm_mode_16_64 3
		.amdhsa_fp16_overflow 0
		.amdhsa_memory_ordered 1
		.amdhsa_forward_progress 1
		.amdhsa_inst_pref_size 1
		.amdhsa_round_robin_scheduling 0
		.amdhsa_exception_fp_ieee_invalid_op 0
		.amdhsa_exception_fp_denorm_src 0
		.amdhsa_exception_fp_ieee_div_zero 0
		.amdhsa_exception_fp_ieee_overflow 0
		.amdhsa_exception_fp_ieee_underflow 0
		.amdhsa_exception_fp_ieee_inexact 0
		.amdhsa_exception_int_div_zero 0
	.end_amdhsa_kernel
	.section	.text._Z39paged_attention_ll4mi_QKV_mfma16_kernelI14__hip_bfloat16hLN4vllm18Fp8KVCacheDataTypeE1ES0_Li16ELi64ELi256ELb1ELi7EEvPKT_PKT0_S8_ifPKiSA_SA_iPKfiiiPfSD_PS3_PT2_iSC_SC_,"axG",@progbits,_Z39paged_attention_ll4mi_QKV_mfma16_kernelI14__hip_bfloat16hLN4vllm18Fp8KVCacheDataTypeE1ES0_Li16ELi64ELi256ELb1ELi7EEvPKT_PKT0_S8_ifPKiSA_SA_iPKfiiiPfSD_PS3_PT2_iSC_SC_,comdat
.Lfunc_end1136:
	.size	_Z39paged_attention_ll4mi_QKV_mfma16_kernelI14__hip_bfloat16hLN4vllm18Fp8KVCacheDataTypeE1ES0_Li16ELi64ELi256ELb1ELi7EEvPKT_PKT0_S8_ifPKiSA_SA_iPKfiiiPfSD_PS3_PT2_iSC_SC_, .Lfunc_end1136-_Z39paged_attention_ll4mi_QKV_mfma16_kernelI14__hip_bfloat16hLN4vllm18Fp8KVCacheDataTypeE1ES0_Li16ELi64ELi256ELb1ELi7EEvPKT_PKT0_S8_ifPKiSA_SA_iPKfiiiPfSD_PS3_PT2_iSC_SC_
                                        ; -- End function
	.set _Z39paged_attention_ll4mi_QKV_mfma16_kernelI14__hip_bfloat16hLN4vllm18Fp8KVCacheDataTypeE1ES0_Li16ELi64ELi256ELb1ELi7EEvPKT_PKT0_S8_ifPKiSA_SA_iPKfiiiPfSD_PS3_PT2_iSC_SC_.num_vgpr, max(3, .L__assert_fail.num_vgpr)
	.set _Z39paged_attention_ll4mi_QKV_mfma16_kernelI14__hip_bfloat16hLN4vllm18Fp8KVCacheDataTypeE1ES0_Li16ELi64ELi256ELb1ELi7EEvPKT_PKT0_S8_ifPKiSA_SA_iPKfiiiPfSD_PS3_PT2_iSC_SC_.num_agpr, max(0, .L__assert_fail.num_agpr)
	.set _Z39paged_attention_ll4mi_QKV_mfma16_kernelI14__hip_bfloat16hLN4vllm18Fp8KVCacheDataTypeE1ES0_Li16ELi64ELi256ELb1ELi7EEvPKT_PKT0_S8_ifPKiSA_SA_iPKfiiiPfSD_PS3_PT2_iSC_SC_.numbered_sgpr, max(33, .L__assert_fail.numbered_sgpr)
	.set _Z39paged_attention_ll4mi_QKV_mfma16_kernelI14__hip_bfloat16hLN4vllm18Fp8KVCacheDataTypeE1ES0_Li16ELi64ELi256ELb1ELi7EEvPKT_PKT0_S8_ifPKiSA_SA_iPKfiiiPfSD_PS3_PT2_iSC_SC_.num_named_barrier, max(0, .L__assert_fail.num_named_barrier)
	.set _Z39paged_attention_ll4mi_QKV_mfma16_kernelI14__hip_bfloat16hLN4vllm18Fp8KVCacheDataTypeE1ES0_Li16ELi64ELi256ELb1ELi7EEvPKT_PKT0_S8_ifPKiSA_SA_iPKfiiiPfSD_PS3_PT2_iSC_SC_.private_seg_size, 0+max(.L__assert_fail.private_seg_size)
	.set _Z39paged_attention_ll4mi_QKV_mfma16_kernelI14__hip_bfloat16hLN4vllm18Fp8KVCacheDataTypeE1ES0_Li16ELi64ELi256ELb1ELi7EEvPKT_PKT0_S8_ifPKiSA_SA_iPKfiiiPfSD_PS3_PT2_iSC_SC_.uses_vcc, or(1, .L__assert_fail.uses_vcc)
	.set _Z39paged_attention_ll4mi_QKV_mfma16_kernelI14__hip_bfloat16hLN4vllm18Fp8KVCacheDataTypeE1ES0_Li16ELi64ELi256ELb1ELi7EEvPKT_PKT0_S8_ifPKiSA_SA_iPKfiiiPfSD_PS3_PT2_iSC_SC_.uses_flat_scratch, or(0, .L__assert_fail.uses_flat_scratch)
	.set _Z39paged_attention_ll4mi_QKV_mfma16_kernelI14__hip_bfloat16hLN4vllm18Fp8KVCacheDataTypeE1ES0_Li16ELi64ELi256ELb1ELi7EEvPKT_PKT0_S8_ifPKiSA_SA_iPKfiiiPfSD_PS3_PT2_iSC_SC_.has_dyn_sized_stack, or(0, .L__assert_fail.has_dyn_sized_stack)
	.set _Z39paged_attention_ll4mi_QKV_mfma16_kernelI14__hip_bfloat16hLN4vllm18Fp8KVCacheDataTypeE1ES0_Li16ELi64ELi256ELb1ELi7EEvPKT_PKT0_S8_ifPKiSA_SA_iPKfiiiPfSD_PS3_PT2_iSC_SC_.has_recursion, or(0, .L__assert_fail.has_recursion)
	.set _Z39paged_attention_ll4mi_QKV_mfma16_kernelI14__hip_bfloat16hLN4vllm18Fp8KVCacheDataTypeE1ES0_Li16ELi64ELi256ELb1ELi7EEvPKT_PKT0_S8_ifPKiSA_SA_iPKfiiiPfSD_PS3_PT2_iSC_SC_.has_indirect_call, or(0, .L__assert_fail.has_indirect_call)
	.section	.AMDGPU.csdata,"",@progbits
; Kernel info:
; codeLenInByte = 68
; TotalNumSgprs: 36
; NumVgprs: 51
; ScratchSize: 64
; MemoryBound: 0
; FloatMode: 240
; IeeeMode: 1
; LDSByteSize: 0 bytes/workgroup (compile time only)
; SGPRBlocks: 0
; VGPRBlocks: 3
; NumSGPRsForWavesPerEU: 36
; NumVGPRsForWavesPerEU: 51
; NamedBarCnt: 0
; Occupancy: 16
; WaveLimiterHint : 1
; COMPUTE_PGM_RSRC2:SCRATCH_EN: 1
; COMPUTE_PGM_RSRC2:USER_SGPR: 2
; COMPUTE_PGM_RSRC2:TRAP_HANDLER: 0
; COMPUTE_PGM_RSRC2:TGID_X_EN: 1
; COMPUTE_PGM_RSRC2:TGID_Y_EN: 0
; COMPUTE_PGM_RSRC2:TGID_Z_EN: 0
; COMPUTE_PGM_RSRC2:TIDIG_COMP_CNT: 0
	.section	.text._Z39paged_attention_ll4mi_QKV_mfma16_kernelI14__hip_bfloat16hLN4vllm18Fp8KVCacheDataTypeE1ES0_Li16ELi64ELi256ELb1ELi8EEvPKT_PKT0_S8_ifPKiSA_SA_iPKfiiiPfSD_PS3_PT2_iSC_SC_,"axG",@progbits,_Z39paged_attention_ll4mi_QKV_mfma16_kernelI14__hip_bfloat16hLN4vllm18Fp8KVCacheDataTypeE1ES0_Li16ELi64ELi256ELb1ELi8EEvPKT_PKT0_S8_ifPKiSA_SA_iPKfiiiPfSD_PS3_PT2_iSC_SC_,comdat
	.protected	_Z39paged_attention_ll4mi_QKV_mfma16_kernelI14__hip_bfloat16hLN4vllm18Fp8KVCacheDataTypeE1ES0_Li16ELi64ELi256ELb1ELi8EEvPKT_PKT0_S8_ifPKiSA_SA_iPKfiiiPfSD_PS3_PT2_iSC_SC_ ; -- Begin function _Z39paged_attention_ll4mi_QKV_mfma16_kernelI14__hip_bfloat16hLN4vllm18Fp8KVCacheDataTypeE1ES0_Li16ELi64ELi256ELb1ELi8EEvPKT_PKT0_S8_ifPKiSA_SA_iPKfiiiPfSD_PS3_PT2_iSC_SC_
	.globl	_Z39paged_attention_ll4mi_QKV_mfma16_kernelI14__hip_bfloat16hLN4vllm18Fp8KVCacheDataTypeE1ES0_Li16ELi64ELi256ELb1ELi8EEvPKT_PKT0_S8_ifPKiSA_SA_iPKfiiiPfSD_PS3_PT2_iSC_SC_
	.p2align	8
	.type	_Z39paged_attention_ll4mi_QKV_mfma16_kernelI14__hip_bfloat16hLN4vllm18Fp8KVCacheDataTypeE1ES0_Li16ELi64ELi256ELb1ELi8EEvPKT_PKT0_S8_ifPKiSA_SA_iPKfiiiPfSD_PS3_PT2_iSC_SC_,@function
_Z39paged_attention_ll4mi_QKV_mfma16_kernelI14__hip_bfloat16hLN4vllm18Fp8KVCacheDataTypeE1ES0_Li16ELi64ELi256ELb1ELi8EEvPKT_PKT0_S8_ifPKiSA_SA_iPKfiiiPfSD_PS3_PT2_iSC_SC_: ; @_Z39paged_attention_ll4mi_QKV_mfma16_kernelI14__hip_bfloat16hLN4vllm18Fp8KVCacheDataTypeE1ES0_Li16ELi64ELi256ELb1ELi8EEvPKT_PKT0_S8_ifPKiSA_SA_iPKfiiiPfSD_PS3_PT2_iSC_SC_
; %bb.0:
	s_get_pc_i64 s[2:3]
	s_add_nc_u64 s[2:3], s[2:3], __PRETTY_FUNCTION__._Z39paged_attention_ll4mi_QKV_mfma16_kernelI14__hip_bfloat16hLN4vllm18Fp8KVCacheDataTypeE1ES0_Li16ELi64ELi256ELb1ELi8EEvPKT_PKT0_S8_ifPKiSA_SA_iPKfiiiPfSD_PS3_PT2_iSC_SC_@rel64+4
	s_delay_alu instid0(SALU_CYCLE_1)
	v_dual_mov_b32 v0, 0xbb3 :: v_dual_mov_b32 v1, s2
	v_mov_b32_e32 v2, s3
	s_add_nc_u64 s[8:9], s[0:1], 0x90
	s_get_pc_i64 s[0:1]
	s_add_nc_u64 s[0:1], s[0:1], __assert_fail@rel64+4
	s_mov_b32 s32, 0
	s_swap_pc_i64 s[30:31], s[0:1]
	.section	.rodata,"a",@progbits
	.p2align	6, 0x0
	.amdhsa_kernel _Z39paged_attention_ll4mi_QKV_mfma16_kernelI14__hip_bfloat16hLN4vllm18Fp8KVCacheDataTypeE1ES0_Li16ELi64ELi256ELb1ELi8EEvPKT_PKT0_S8_ifPKiSA_SA_iPKfiiiPfSD_PS3_PT2_iSC_SC_
		.amdhsa_group_segment_fixed_size 0
		.amdhsa_private_segment_fixed_size 64
		.amdhsa_kernarg_size 400
		.amdhsa_user_sgpr_count 2
		.amdhsa_user_sgpr_dispatch_ptr 0
		.amdhsa_user_sgpr_queue_ptr 0
		.amdhsa_user_sgpr_kernarg_segment_ptr 1
		.amdhsa_user_sgpr_dispatch_id 0
		.amdhsa_user_sgpr_kernarg_preload_length 0
		.amdhsa_user_sgpr_kernarg_preload_offset 0
		.amdhsa_user_sgpr_private_segment_size 0
		.amdhsa_wavefront_size32 1
		.amdhsa_uses_dynamic_stack 0
		.amdhsa_enable_private_segment 1
		.amdhsa_system_sgpr_workgroup_id_x 1
		.amdhsa_system_sgpr_workgroup_id_y 0
		.amdhsa_system_sgpr_workgroup_id_z 0
		.amdhsa_system_sgpr_workgroup_info 0
		.amdhsa_system_vgpr_workitem_id 0
		.amdhsa_next_free_vgpr 51
		.amdhsa_next_free_sgpr 34
		.amdhsa_named_barrier_count 0
		.amdhsa_reserve_vcc 1
		.amdhsa_float_round_mode_32 0
		.amdhsa_float_round_mode_16_64 0
		.amdhsa_float_denorm_mode_32 3
		.amdhsa_float_denorm_mode_16_64 3
		.amdhsa_fp16_overflow 0
		.amdhsa_memory_ordered 1
		.amdhsa_forward_progress 1
		.amdhsa_inst_pref_size 1
		.amdhsa_round_robin_scheduling 0
		.amdhsa_exception_fp_ieee_invalid_op 0
		.amdhsa_exception_fp_denorm_src 0
		.amdhsa_exception_fp_ieee_div_zero 0
		.amdhsa_exception_fp_ieee_overflow 0
		.amdhsa_exception_fp_ieee_underflow 0
		.amdhsa_exception_fp_ieee_inexact 0
		.amdhsa_exception_int_div_zero 0
	.end_amdhsa_kernel
	.section	.text._Z39paged_attention_ll4mi_QKV_mfma16_kernelI14__hip_bfloat16hLN4vllm18Fp8KVCacheDataTypeE1ES0_Li16ELi64ELi256ELb1ELi8EEvPKT_PKT0_S8_ifPKiSA_SA_iPKfiiiPfSD_PS3_PT2_iSC_SC_,"axG",@progbits,_Z39paged_attention_ll4mi_QKV_mfma16_kernelI14__hip_bfloat16hLN4vllm18Fp8KVCacheDataTypeE1ES0_Li16ELi64ELi256ELb1ELi8EEvPKT_PKT0_S8_ifPKiSA_SA_iPKfiiiPfSD_PS3_PT2_iSC_SC_,comdat
.Lfunc_end1137:
	.size	_Z39paged_attention_ll4mi_QKV_mfma16_kernelI14__hip_bfloat16hLN4vllm18Fp8KVCacheDataTypeE1ES0_Li16ELi64ELi256ELb1ELi8EEvPKT_PKT0_S8_ifPKiSA_SA_iPKfiiiPfSD_PS3_PT2_iSC_SC_, .Lfunc_end1137-_Z39paged_attention_ll4mi_QKV_mfma16_kernelI14__hip_bfloat16hLN4vllm18Fp8KVCacheDataTypeE1ES0_Li16ELi64ELi256ELb1ELi8EEvPKT_PKT0_S8_ifPKiSA_SA_iPKfiiiPfSD_PS3_PT2_iSC_SC_
                                        ; -- End function
	.set _Z39paged_attention_ll4mi_QKV_mfma16_kernelI14__hip_bfloat16hLN4vllm18Fp8KVCacheDataTypeE1ES0_Li16ELi64ELi256ELb1ELi8EEvPKT_PKT0_S8_ifPKiSA_SA_iPKfiiiPfSD_PS3_PT2_iSC_SC_.num_vgpr, max(3, .L__assert_fail.num_vgpr)
	.set _Z39paged_attention_ll4mi_QKV_mfma16_kernelI14__hip_bfloat16hLN4vllm18Fp8KVCacheDataTypeE1ES0_Li16ELi64ELi256ELb1ELi8EEvPKT_PKT0_S8_ifPKiSA_SA_iPKfiiiPfSD_PS3_PT2_iSC_SC_.num_agpr, max(0, .L__assert_fail.num_agpr)
	.set _Z39paged_attention_ll4mi_QKV_mfma16_kernelI14__hip_bfloat16hLN4vllm18Fp8KVCacheDataTypeE1ES0_Li16ELi64ELi256ELb1ELi8EEvPKT_PKT0_S8_ifPKiSA_SA_iPKfiiiPfSD_PS3_PT2_iSC_SC_.numbered_sgpr, max(33, .L__assert_fail.numbered_sgpr)
	.set _Z39paged_attention_ll4mi_QKV_mfma16_kernelI14__hip_bfloat16hLN4vllm18Fp8KVCacheDataTypeE1ES0_Li16ELi64ELi256ELb1ELi8EEvPKT_PKT0_S8_ifPKiSA_SA_iPKfiiiPfSD_PS3_PT2_iSC_SC_.num_named_barrier, max(0, .L__assert_fail.num_named_barrier)
	.set _Z39paged_attention_ll4mi_QKV_mfma16_kernelI14__hip_bfloat16hLN4vllm18Fp8KVCacheDataTypeE1ES0_Li16ELi64ELi256ELb1ELi8EEvPKT_PKT0_S8_ifPKiSA_SA_iPKfiiiPfSD_PS3_PT2_iSC_SC_.private_seg_size, 0+max(.L__assert_fail.private_seg_size)
	.set _Z39paged_attention_ll4mi_QKV_mfma16_kernelI14__hip_bfloat16hLN4vllm18Fp8KVCacheDataTypeE1ES0_Li16ELi64ELi256ELb1ELi8EEvPKT_PKT0_S8_ifPKiSA_SA_iPKfiiiPfSD_PS3_PT2_iSC_SC_.uses_vcc, or(1, .L__assert_fail.uses_vcc)
	.set _Z39paged_attention_ll4mi_QKV_mfma16_kernelI14__hip_bfloat16hLN4vllm18Fp8KVCacheDataTypeE1ES0_Li16ELi64ELi256ELb1ELi8EEvPKT_PKT0_S8_ifPKiSA_SA_iPKfiiiPfSD_PS3_PT2_iSC_SC_.uses_flat_scratch, or(0, .L__assert_fail.uses_flat_scratch)
	.set _Z39paged_attention_ll4mi_QKV_mfma16_kernelI14__hip_bfloat16hLN4vllm18Fp8KVCacheDataTypeE1ES0_Li16ELi64ELi256ELb1ELi8EEvPKT_PKT0_S8_ifPKiSA_SA_iPKfiiiPfSD_PS3_PT2_iSC_SC_.has_dyn_sized_stack, or(0, .L__assert_fail.has_dyn_sized_stack)
	.set _Z39paged_attention_ll4mi_QKV_mfma16_kernelI14__hip_bfloat16hLN4vllm18Fp8KVCacheDataTypeE1ES0_Li16ELi64ELi256ELb1ELi8EEvPKT_PKT0_S8_ifPKiSA_SA_iPKfiiiPfSD_PS3_PT2_iSC_SC_.has_recursion, or(0, .L__assert_fail.has_recursion)
	.set _Z39paged_attention_ll4mi_QKV_mfma16_kernelI14__hip_bfloat16hLN4vllm18Fp8KVCacheDataTypeE1ES0_Li16ELi64ELi256ELb1ELi8EEvPKT_PKT0_S8_ifPKiSA_SA_iPKfiiiPfSD_PS3_PT2_iSC_SC_.has_indirect_call, or(0, .L__assert_fail.has_indirect_call)
	.section	.AMDGPU.csdata,"",@progbits
; Kernel info:
; codeLenInByte = 68
; TotalNumSgprs: 36
; NumVgprs: 51
; ScratchSize: 64
; MemoryBound: 0
; FloatMode: 240
; IeeeMode: 1
; LDSByteSize: 0 bytes/workgroup (compile time only)
; SGPRBlocks: 0
; VGPRBlocks: 3
; NumSGPRsForWavesPerEU: 36
; NumVGPRsForWavesPerEU: 51
; NamedBarCnt: 0
; Occupancy: 16
; WaveLimiterHint : 1
; COMPUTE_PGM_RSRC2:SCRATCH_EN: 1
; COMPUTE_PGM_RSRC2:USER_SGPR: 2
; COMPUTE_PGM_RSRC2:TRAP_HANDLER: 0
; COMPUTE_PGM_RSRC2:TGID_X_EN: 1
; COMPUTE_PGM_RSRC2:TGID_Y_EN: 0
; COMPUTE_PGM_RSRC2:TGID_Z_EN: 0
; COMPUTE_PGM_RSRC2:TIDIG_COMP_CNT: 0
	.section	.text._Z39paged_attention_ll4mi_QKV_mfma16_kernelI14__hip_bfloat16hLN4vllm18Fp8KVCacheDataTypeE1ES0_Li16ELi64ELi256ELb1ELi9EEvPKT_PKT0_S8_ifPKiSA_SA_iPKfiiiPfSD_PS3_PT2_iSC_SC_,"axG",@progbits,_Z39paged_attention_ll4mi_QKV_mfma16_kernelI14__hip_bfloat16hLN4vllm18Fp8KVCacheDataTypeE1ES0_Li16ELi64ELi256ELb1ELi9EEvPKT_PKT0_S8_ifPKiSA_SA_iPKfiiiPfSD_PS3_PT2_iSC_SC_,comdat
	.protected	_Z39paged_attention_ll4mi_QKV_mfma16_kernelI14__hip_bfloat16hLN4vllm18Fp8KVCacheDataTypeE1ES0_Li16ELi64ELi256ELb1ELi9EEvPKT_PKT0_S8_ifPKiSA_SA_iPKfiiiPfSD_PS3_PT2_iSC_SC_ ; -- Begin function _Z39paged_attention_ll4mi_QKV_mfma16_kernelI14__hip_bfloat16hLN4vllm18Fp8KVCacheDataTypeE1ES0_Li16ELi64ELi256ELb1ELi9EEvPKT_PKT0_S8_ifPKiSA_SA_iPKfiiiPfSD_PS3_PT2_iSC_SC_
	.globl	_Z39paged_attention_ll4mi_QKV_mfma16_kernelI14__hip_bfloat16hLN4vllm18Fp8KVCacheDataTypeE1ES0_Li16ELi64ELi256ELb1ELi9EEvPKT_PKT0_S8_ifPKiSA_SA_iPKfiiiPfSD_PS3_PT2_iSC_SC_
	.p2align	8
	.type	_Z39paged_attention_ll4mi_QKV_mfma16_kernelI14__hip_bfloat16hLN4vllm18Fp8KVCacheDataTypeE1ES0_Li16ELi64ELi256ELb1ELi9EEvPKT_PKT0_S8_ifPKiSA_SA_iPKfiiiPfSD_PS3_PT2_iSC_SC_,@function
_Z39paged_attention_ll4mi_QKV_mfma16_kernelI14__hip_bfloat16hLN4vllm18Fp8KVCacheDataTypeE1ES0_Li16ELi64ELi256ELb1ELi9EEvPKT_PKT0_S8_ifPKiSA_SA_iPKfiiiPfSD_PS3_PT2_iSC_SC_: ; @_Z39paged_attention_ll4mi_QKV_mfma16_kernelI14__hip_bfloat16hLN4vllm18Fp8KVCacheDataTypeE1ES0_Li16ELi64ELi256ELb1ELi9EEvPKT_PKT0_S8_ifPKiSA_SA_iPKfiiiPfSD_PS3_PT2_iSC_SC_
; %bb.0:
	s_get_pc_i64 s[2:3]
	s_add_nc_u64 s[2:3], s[2:3], __PRETTY_FUNCTION__._Z39paged_attention_ll4mi_QKV_mfma16_kernelI14__hip_bfloat16hLN4vllm18Fp8KVCacheDataTypeE1ES0_Li16ELi64ELi256ELb1ELi9EEvPKT_PKT0_S8_ifPKiSA_SA_iPKfiiiPfSD_PS3_PT2_iSC_SC_@rel64+4
	s_delay_alu instid0(SALU_CYCLE_1)
	v_dual_mov_b32 v0, 0xbb3 :: v_dual_mov_b32 v1, s2
	v_mov_b32_e32 v2, s3
	s_add_nc_u64 s[8:9], s[0:1], 0x90
	s_get_pc_i64 s[0:1]
	s_add_nc_u64 s[0:1], s[0:1], __assert_fail@rel64+4
	s_mov_b32 s32, 0
	s_swap_pc_i64 s[30:31], s[0:1]
	.section	.rodata,"a",@progbits
	.p2align	6, 0x0
	.amdhsa_kernel _Z39paged_attention_ll4mi_QKV_mfma16_kernelI14__hip_bfloat16hLN4vllm18Fp8KVCacheDataTypeE1ES0_Li16ELi64ELi256ELb1ELi9EEvPKT_PKT0_S8_ifPKiSA_SA_iPKfiiiPfSD_PS3_PT2_iSC_SC_
		.amdhsa_group_segment_fixed_size 0
		.amdhsa_private_segment_fixed_size 64
		.amdhsa_kernarg_size 400
		.amdhsa_user_sgpr_count 2
		.amdhsa_user_sgpr_dispatch_ptr 0
		.amdhsa_user_sgpr_queue_ptr 0
		.amdhsa_user_sgpr_kernarg_segment_ptr 1
		.amdhsa_user_sgpr_dispatch_id 0
		.amdhsa_user_sgpr_kernarg_preload_length 0
		.amdhsa_user_sgpr_kernarg_preload_offset 0
		.amdhsa_user_sgpr_private_segment_size 0
		.amdhsa_wavefront_size32 1
		.amdhsa_uses_dynamic_stack 0
		.amdhsa_enable_private_segment 1
		.amdhsa_system_sgpr_workgroup_id_x 1
		.amdhsa_system_sgpr_workgroup_id_y 0
		.amdhsa_system_sgpr_workgroup_id_z 0
		.amdhsa_system_sgpr_workgroup_info 0
		.amdhsa_system_vgpr_workitem_id 0
		.amdhsa_next_free_vgpr 51
		.amdhsa_next_free_sgpr 34
		.amdhsa_named_barrier_count 0
		.amdhsa_reserve_vcc 1
		.amdhsa_float_round_mode_32 0
		.amdhsa_float_round_mode_16_64 0
		.amdhsa_float_denorm_mode_32 3
		.amdhsa_float_denorm_mode_16_64 3
		.amdhsa_fp16_overflow 0
		.amdhsa_memory_ordered 1
		.amdhsa_forward_progress 1
		.amdhsa_inst_pref_size 1
		.amdhsa_round_robin_scheduling 0
		.amdhsa_exception_fp_ieee_invalid_op 0
		.amdhsa_exception_fp_denorm_src 0
		.amdhsa_exception_fp_ieee_div_zero 0
		.amdhsa_exception_fp_ieee_overflow 0
		.amdhsa_exception_fp_ieee_underflow 0
		.amdhsa_exception_fp_ieee_inexact 0
		.amdhsa_exception_int_div_zero 0
	.end_amdhsa_kernel
	.section	.text._Z39paged_attention_ll4mi_QKV_mfma16_kernelI14__hip_bfloat16hLN4vllm18Fp8KVCacheDataTypeE1ES0_Li16ELi64ELi256ELb1ELi9EEvPKT_PKT0_S8_ifPKiSA_SA_iPKfiiiPfSD_PS3_PT2_iSC_SC_,"axG",@progbits,_Z39paged_attention_ll4mi_QKV_mfma16_kernelI14__hip_bfloat16hLN4vllm18Fp8KVCacheDataTypeE1ES0_Li16ELi64ELi256ELb1ELi9EEvPKT_PKT0_S8_ifPKiSA_SA_iPKfiiiPfSD_PS3_PT2_iSC_SC_,comdat
.Lfunc_end1138:
	.size	_Z39paged_attention_ll4mi_QKV_mfma16_kernelI14__hip_bfloat16hLN4vllm18Fp8KVCacheDataTypeE1ES0_Li16ELi64ELi256ELb1ELi9EEvPKT_PKT0_S8_ifPKiSA_SA_iPKfiiiPfSD_PS3_PT2_iSC_SC_, .Lfunc_end1138-_Z39paged_attention_ll4mi_QKV_mfma16_kernelI14__hip_bfloat16hLN4vllm18Fp8KVCacheDataTypeE1ES0_Li16ELi64ELi256ELb1ELi9EEvPKT_PKT0_S8_ifPKiSA_SA_iPKfiiiPfSD_PS3_PT2_iSC_SC_
                                        ; -- End function
	.set _Z39paged_attention_ll4mi_QKV_mfma16_kernelI14__hip_bfloat16hLN4vllm18Fp8KVCacheDataTypeE1ES0_Li16ELi64ELi256ELb1ELi9EEvPKT_PKT0_S8_ifPKiSA_SA_iPKfiiiPfSD_PS3_PT2_iSC_SC_.num_vgpr, max(3, .L__assert_fail.num_vgpr)
	.set _Z39paged_attention_ll4mi_QKV_mfma16_kernelI14__hip_bfloat16hLN4vllm18Fp8KVCacheDataTypeE1ES0_Li16ELi64ELi256ELb1ELi9EEvPKT_PKT0_S8_ifPKiSA_SA_iPKfiiiPfSD_PS3_PT2_iSC_SC_.num_agpr, max(0, .L__assert_fail.num_agpr)
	.set _Z39paged_attention_ll4mi_QKV_mfma16_kernelI14__hip_bfloat16hLN4vllm18Fp8KVCacheDataTypeE1ES0_Li16ELi64ELi256ELb1ELi9EEvPKT_PKT0_S8_ifPKiSA_SA_iPKfiiiPfSD_PS3_PT2_iSC_SC_.numbered_sgpr, max(33, .L__assert_fail.numbered_sgpr)
	.set _Z39paged_attention_ll4mi_QKV_mfma16_kernelI14__hip_bfloat16hLN4vllm18Fp8KVCacheDataTypeE1ES0_Li16ELi64ELi256ELb1ELi9EEvPKT_PKT0_S8_ifPKiSA_SA_iPKfiiiPfSD_PS3_PT2_iSC_SC_.num_named_barrier, max(0, .L__assert_fail.num_named_barrier)
	.set _Z39paged_attention_ll4mi_QKV_mfma16_kernelI14__hip_bfloat16hLN4vllm18Fp8KVCacheDataTypeE1ES0_Li16ELi64ELi256ELb1ELi9EEvPKT_PKT0_S8_ifPKiSA_SA_iPKfiiiPfSD_PS3_PT2_iSC_SC_.private_seg_size, 0+max(.L__assert_fail.private_seg_size)
	.set _Z39paged_attention_ll4mi_QKV_mfma16_kernelI14__hip_bfloat16hLN4vllm18Fp8KVCacheDataTypeE1ES0_Li16ELi64ELi256ELb1ELi9EEvPKT_PKT0_S8_ifPKiSA_SA_iPKfiiiPfSD_PS3_PT2_iSC_SC_.uses_vcc, or(1, .L__assert_fail.uses_vcc)
	.set _Z39paged_attention_ll4mi_QKV_mfma16_kernelI14__hip_bfloat16hLN4vllm18Fp8KVCacheDataTypeE1ES0_Li16ELi64ELi256ELb1ELi9EEvPKT_PKT0_S8_ifPKiSA_SA_iPKfiiiPfSD_PS3_PT2_iSC_SC_.uses_flat_scratch, or(0, .L__assert_fail.uses_flat_scratch)
	.set _Z39paged_attention_ll4mi_QKV_mfma16_kernelI14__hip_bfloat16hLN4vllm18Fp8KVCacheDataTypeE1ES0_Li16ELi64ELi256ELb1ELi9EEvPKT_PKT0_S8_ifPKiSA_SA_iPKfiiiPfSD_PS3_PT2_iSC_SC_.has_dyn_sized_stack, or(0, .L__assert_fail.has_dyn_sized_stack)
	.set _Z39paged_attention_ll4mi_QKV_mfma16_kernelI14__hip_bfloat16hLN4vllm18Fp8KVCacheDataTypeE1ES0_Li16ELi64ELi256ELb1ELi9EEvPKT_PKT0_S8_ifPKiSA_SA_iPKfiiiPfSD_PS3_PT2_iSC_SC_.has_recursion, or(0, .L__assert_fail.has_recursion)
	.set _Z39paged_attention_ll4mi_QKV_mfma16_kernelI14__hip_bfloat16hLN4vllm18Fp8KVCacheDataTypeE1ES0_Li16ELi64ELi256ELb1ELi9EEvPKT_PKT0_S8_ifPKiSA_SA_iPKfiiiPfSD_PS3_PT2_iSC_SC_.has_indirect_call, or(0, .L__assert_fail.has_indirect_call)
	.section	.AMDGPU.csdata,"",@progbits
; Kernel info:
; codeLenInByte = 68
; TotalNumSgprs: 36
; NumVgprs: 51
; ScratchSize: 64
; MemoryBound: 0
; FloatMode: 240
; IeeeMode: 1
; LDSByteSize: 0 bytes/workgroup (compile time only)
; SGPRBlocks: 0
; VGPRBlocks: 3
; NumSGPRsForWavesPerEU: 36
; NumVGPRsForWavesPerEU: 51
; NamedBarCnt: 0
; Occupancy: 16
; WaveLimiterHint : 1
; COMPUTE_PGM_RSRC2:SCRATCH_EN: 1
; COMPUTE_PGM_RSRC2:USER_SGPR: 2
; COMPUTE_PGM_RSRC2:TRAP_HANDLER: 0
; COMPUTE_PGM_RSRC2:TGID_X_EN: 1
; COMPUTE_PGM_RSRC2:TGID_Y_EN: 0
; COMPUTE_PGM_RSRC2:TGID_Z_EN: 0
; COMPUTE_PGM_RSRC2:TIDIG_COMP_CNT: 0
	.section	.text._Z39paged_attention_ll4mi_QKV_mfma16_kernelI14__hip_bfloat16hLN4vllm18Fp8KVCacheDataTypeE1ES0_Li16ELi64ELi256ELb1ELi10EEvPKT_PKT0_S8_ifPKiSA_SA_iPKfiiiPfSD_PS3_PT2_iSC_SC_,"axG",@progbits,_Z39paged_attention_ll4mi_QKV_mfma16_kernelI14__hip_bfloat16hLN4vllm18Fp8KVCacheDataTypeE1ES0_Li16ELi64ELi256ELb1ELi10EEvPKT_PKT0_S8_ifPKiSA_SA_iPKfiiiPfSD_PS3_PT2_iSC_SC_,comdat
	.protected	_Z39paged_attention_ll4mi_QKV_mfma16_kernelI14__hip_bfloat16hLN4vllm18Fp8KVCacheDataTypeE1ES0_Li16ELi64ELi256ELb1ELi10EEvPKT_PKT0_S8_ifPKiSA_SA_iPKfiiiPfSD_PS3_PT2_iSC_SC_ ; -- Begin function _Z39paged_attention_ll4mi_QKV_mfma16_kernelI14__hip_bfloat16hLN4vllm18Fp8KVCacheDataTypeE1ES0_Li16ELi64ELi256ELb1ELi10EEvPKT_PKT0_S8_ifPKiSA_SA_iPKfiiiPfSD_PS3_PT2_iSC_SC_
	.globl	_Z39paged_attention_ll4mi_QKV_mfma16_kernelI14__hip_bfloat16hLN4vllm18Fp8KVCacheDataTypeE1ES0_Li16ELi64ELi256ELb1ELi10EEvPKT_PKT0_S8_ifPKiSA_SA_iPKfiiiPfSD_PS3_PT2_iSC_SC_
	.p2align	8
	.type	_Z39paged_attention_ll4mi_QKV_mfma16_kernelI14__hip_bfloat16hLN4vllm18Fp8KVCacheDataTypeE1ES0_Li16ELi64ELi256ELb1ELi10EEvPKT_PKT0_S8_ifPKiSA_SA_iPKfiiiPfSD_PS3_PT2_iSC_SC_,@function
_Z39paged_attention_ll4mi_QKV_mfma16_kernelI14__hip_bfloat16hLN4vllm18Fp8KVCacheDataTypeE1ES0_Li16ELi64ELi256ELb1ELi10EEvPKT_PKT0_S8_ifPKiSA_SA_iPKfiiiPfSD_PS3_PT2_iSC_SC_: ; @_Z39paged_attention_ll4mi_QKV_mfma16_kernelI14__hip_bfloat16hLN4vllm18Fp8KVCacheDataTypeE1ES0_Li16ELi64ELi256ELb1ELi10EEvPKT_PKT0_S8_ifPKiSA_SA_iPKfiiiPfSD_PS3_PT2_iSC_SC_
; %bb.0:
	s_get_pc_i64 s[2:3]
	s_add_nc_u64 s[2:3], s[2:3], __PRETTY_FUNCTION__._Z39paged_attention_ll4mi_QKV_mfma16_kernelI14__hip_bfloat16hLN4vllm18Fp8KVCacheDataTypeE1ES0_Li16ELi64ELi256ELb1ELi10EEvPKT_PKT0_S8_ifPKiSA_SA_iPKfiiiPfSD_PS3_PT2_iSC_SC_@rel64+4
	s_delay_alu instid0(SALU_CYCLE_1)
	v_dual_mov_b32 v0, 0xbb3 :: v_dual_mov_b32 v1, s2
	v_mov_b32_e32 v2, s3
	s_add_nc_u64 s[8:9], s[0:1], 0x90
	s_get_pc_i64 s[0:1]
	s_add_nc_u64 s[0:1], s[0:1], __assert_fail@rel64+4
	s_mov_b32 s32, 0
	s_swap_pc_i64 s[30:31], s[0:1]
	.section	.rodata,"a",@progbits
	.p2align	6, 0x0
	.amdhsa_kernel _Z39paged_attention_ll4mi_QKV_mfma16_kernelI14__hip_bfloat16hLN4vllm18Fp8KVCacheDataTypeE1ES0_Li16ELi64ELi256ELb1ELi10EEvPKT_PKT0_S8_ifPKiSA_SA_iPKfiiiPfSD_PS3_PT2_iSC_SC_
		.amdhsa_group_segment_fixed_size 0
		.amdhsa_private_segment_fixed_size 64
		.amdhsa_kernarg_size 400
		.amdhsa_user_sgpr_count 2
		.amdhsa_user_sgpr_dispatch_ptr 0
		.amdhsa_user_sgpr_queue_ptr 0
		.amdhsa_user_sgpr_kernarg_segment_ptr 1
		.amdhsa_user_sgpr_dispatch_id 0
		.amdhsa_user_sgpr_kernarg_preload_length 0
		.amdhsa_user_sgpr_kernarg_preload_offset 0
		.amdhsa_user_sgpr_private_segment_size 0
		.amdhsa_wavefront_size32 1
		.amdhsa_uses_dynamic_stack 0
		.amdhsa_enable_private_segment 1
		.amdhsa_system_sgpr_workgroup_id_x 1
		.amdhsa_system_sgpr_workgroup_id_y 0
		.amdhsa_system_sgpr_workgroup_id_z 0
		.amdhsa_system_sgpr_workgroup_info 0
		.amdhsa_system_vgpr_workitem_id 0
		.amdhsa_next_free_vgpr 51
		.amdhsa_next_free_sgpr 34
		.amdhsa_named_barrier_count 0
		.amdhsa_reserve_vcc 1
		.amdhsa_float_round_mode_32 0
		.amdhsa_float_round_mode_16_64 0
		.amdhsa_float_denorm_mode_32 3
		.amdhsa_float_denorm_mode_16_64 3
		.amdhsa_fp16_overflow 0
		.amdhsa_memory_ordered 1
		.amdhsa_forward_progress 1
		.amdhsa_inst_pref_size 1
		.amdhsa_round_robin_scheduling 0
		.amdhsa_exception_fp_ieee_invalid_op 0
		.amdhsa_exception_fp_denorm_src 0
		.amdhsa_exception_fp_ieee_div_zero 0
		.amdhsa_exception_fp_ieee_overflow 0
		.amdhsa_exception_fp_ieee_underflow 0
		.amdhsa_exception_fp_ieee_inexact 0
		.amdhsa_exception_int_div_zero 0
	.end_amdhsa_kernel
	.section	.text._Z39paged_attention_ll4mi_QKV_mfma16_kernelI14__hip_bfloat16hLN4vllm18Fp8KVCacheDataTypeE1ES0_Li16ELi64ELi256ELb1ELi10EEvPKT_PKT0_S8_ifPKiSA_SA_iPKfiiiPfSD_PS3_PT2_iSC_SC_,"axG",@progbits,_Z39paged_attention_ll4mi_QKV_mfma16_kernelI14__hip_bfloat16hLN4vllm18Fp8KVCacheDataTypeE1ES0_Li16ELi64ELi256ELb1ELi10EEvPKT_PKT0_S8_ifPKiSA_SA_iPKfiiiPfSD_PS3_PT2_iSC_SC_,comdat
.Lfunc_end1139:
	.size	_Z39paged_attention_ll4mi_QKV_mfma16_kernelI14__hip_bfloat16hLN4vllm18Fp8KVCacheDataTypeE1ES0_Li16ELi64ELi256ELb1ELi10EEvPKT_PKT0_S8_ifPKiSA_SA_iPKfiiiPfSD_PS3_PT2_iSC_SC_, .Lfunc_end1139-_Z39paged_attention_ll4mi_QKV_mfma16_kernelI14__hip_bfloat16hLN4vllm18Fp8KVCacheDataTypeE1ES0_Li16ELi64ELi256ELb1ELi10EEvPKT_PKT0_S8_ifPKiSA_SA_iPKfiiiPfSD_PS3_PT2_iSC_SC_
                                        ; -- End function
	.set _Z39paged_attention_ll4mi_QKV_mfma16_kernelI14__hip_bfloat16hLN4vllm18Fp8KVCacheDataTypeE1ES0_Li16ELi64ELi256ELb1ELi10EEvPKT_PKT0_S8_ifPKiSA_SA_iPKfiiiPfSD_PS3_PT2_iSC_SC_.num_vgpr, max(3, .L__assert_fail.num_vgpr)
	.set _Z39paged_attention_ll4mi_QKV_mfma16_kernelI14__hip_bfloat16hLN4vllm18Fp8KVCacheDataTypeE1ES0_Li16ELi64ELi256ELb1ELi10EEvPKT_PKT0_S8_ifPKiSA_SA_iPKfiiiPfSD_PS3_PT2_iSC_SC_.num_agpr, max(0, .L__assert_fail.num_agpr)
	.set _Z39paged_attention_ll4mi_QKV_mfma16_kernelI14__hip_bfloat16hLN4vllm18Fp8KVCacheDataTypeE1ES0_Li16ELi64ELi256ELb1ELi10EEvPKT_PKT0_S8_ifPKiSA_SA_iPKfiiiPfSD_PS3_PT2_iSC_SC_.numbered_sgpr, max(33, .L__assert_fail.numbered_sgpr)
	.set _Z39paged_attention_ll4mi_QKV_mfma16_kernelI14__hip_bfloat16hLN4vllm18Fp8KVCacheDataTypeE1ES0_Li16ELi64ELi256ELb1ELi10EEvPKT_PKT0_S8_ifPKiSA_SA_iPKfiiiPfSD_PS3_PT2_iSC_SC_.num_named_barrier, max(0, .L__assert_fail.num_named_barrier)
	.set _Z39paged_attention_ll4mi_QKV_mfma16_kernelI14__hip_bfloat16hLN4vllm18Fp8KVCacheDataTypeE1ES0_Li16ELi64ELi256ELb1ELi10EEvPKT_PKT0_S8_ifPKiSA_SA_iPKfiiiPfSD_PS3_PT2_iSC_SC_.private_seg_size, 0+max(.L__assert_fail.private_seg_size)
	.set _Z39paged_attention_ll4mi_QKV_mfma16_kernelI14__hip_bfloat16hLN4vllm18Fp8KVCacheDataTypeE1ES0_Li16ELi64ELi256ELb1ELi10EEvPKT_PKT0_S8_ifPKiSA_SA_iPKfiiiPfSD_PS3_PT2_iSC_SC_.uses_vcc, or(1, .L__assert_fail.uses_vcc)
	.set _Z39paged_attention_ll4mi_QKV_mfma16_kernelI14__hip_bfloat16hLN4vllm18Fp8KVCacheDataTypeE1ES0_Li16ELi64ELi256ELb1ELi10EEvPKT_PKT0_S8_ifPKiSA_SA_iPKfiiiPfSD_PS3_PT2_iSC_SC_.uses_flat_scratch, or(0, .L__assert_fail.uses_flat_scratch)
	.set _Z39paged_attention_ll4mi_QKV_mfma16_kernelI14__hip_bfloat16hLN4vllm18Fp8KVCacheDataTypeE1ES0_Li16ELi64ELi256ELb1ELi10EEvPKT_PKT0_S8_ifPKiSA_SA_iPKfiiiPfSD_PS3_PT2_iSC_SC_.has_dyn_sized_stack, or(0, .L__assert_fail.has_dyn_sized_stack)
	.set _Z39paged_attention_ll4mi_QKV_mfma16_kernelI14__hip_bfloat16hLN4vllm18Fp8KVCacheDataTypeE1ES0_Li16ELi64ELi256ELb1ELi10EEvPKT_PKT0_S8_ifPKiSA_SA_iPKfiiiPfSD_PS3_PT2_iSC_SC_.has_recursion, or(0, .L__assert_fail.has_recursion)
	.set _Z39paged_attention_ll4mi_QKV_mfma16_kernelI14__hip_bfloat16hLN4vllm18Fp8KVCacheDataTypeE1ES0_Li16ELi64ELi256ELb1ELi10EEvPKT_PKT0_S8_ifPKiSA_SA_iPKfiiiPfSD_PS3_PT2_iSC_SC_.has_indirect_call, or(0, .L__assert_fail.has_indirect_call)
	.section	.AMDGPU.csdata,"",@progbits
; Kernel info:
; codeLenInByte = 68
; TotalNumSgprs: 36
; NumVgprs: 51
; ScratchSize: 64
; MemoryBound: 0
; FloatMode: 240
; IeeeMode: 1
; LDSByteSize: 0 bytes/workgroup (compile time only)
; SGPRBlocks: 0
; VGPRBlocks: 3
; NumSGPRsForWavesPerEU: 36
; NumVGPRsForWavesPerEU: 51
; NamedBarCnt: 0
; Occupancy: 16
; WaveLimiterHint : 1
; COMPUTE_PGM_RSRC2:SCRATCH_EN: 1
; COMPUTE_PGM_RSRC2:USER_SGPR: 2
; COMPUTE_PGM_RSRC2:TRAP_HANDLER: 0
; COMPUTE_PGM_RSRC2:TGID_X_EN: 1
; COMPUTE_PGM_RSRC2:TGID_Y_EN: 0
; COMPUTE_PGM_RSRC2:TGID_Z_EN: 0
; COMPUTE_PGM_RSRC2:TIDIG_COMP_CNT: 0
	.section	.text._Z39paged_attention_ll4mi_QKV_mfma16_kernelI14__hip_bfloat16hLN4vllm18Fp8KVCacheDataTypeE1ES0_Li16ELi64ELi256ELb1ELi11EEvPKT_PKT0_S8_ifPKiSA_SA_iPKfiiiPfSD_PS3_PT2_iSC_SC_,"axG",@progbits,_Z39paged_attention_ll4mi_QKV_mfma16_kernelI14__hip_bfloat16hLN4vllm18Fp8KVCacheDataTypeE1ES0_Li16ELi64ELi256ELb1ELi11EEvPKT_PKT0_S8_ifPKiSA_SA_iPKfiiiPfSD_PS3_PT2_iSC_SC_,comdat
	.protected	_Z39paged_attention_ll4mi_QKV_mfma16_kernelI14__hip_bfloat16hLN4vllm18Fp8KVCacheDataTypeE1ES0_Li16ELi64ELi256ELb1ELi11EEvPKT_PKT0_S8_ifPKiSA_SA_iPKfiiiPfSD_PS3_PT2_iSC_SC_ ; -- Begin function _Z39paged_attention_ll4mi_QKV_mfma16_kernelI14__hip_bfloat16hLN4vllm18Fp8KVCacheDataTypeE1ES0_Li16ELi64ELi256ELb1ELi11EEvPKT_PKT0_S8_ifPKiSA_SA_iPKfiiiPfSD_PS3_PT2_iSC_SC_
	.globl	_Z39paged_attention_ll4mi_QKV_mfma16_kernelI14__hip_bfloat16hLN4vllm18Fp8KVCacheDataTypeE1ES0_Li16ELi64ELi256ELb1ELi11EEvPKT_PKT0_S8_ifPKiSA_SA_iPKfiiiPfSD_PS3_PT2_iSC_SC_
	.p2align	8
	.type	_Z39paged_attention_ll4mi_QKV_mfma16_kernelI14__hip_bfloat16hLN4vllm18Fp8KVCacheDataTypeE1ES0_Li16ELi64ELi256ELb1ELi11EEvPKT_PKT0_S8_ifPKiSA_SA_iPKfiiiPfSD_PS3_PT2_iSC_SC_,@function
_Z39paged_attention_ll4mi_QKV_mfma16_kernelI14__hip_bfloat16hLN4vllm18Fp8KVCacheDataTypeE1ES0_Li16ELi64ELi256ELb1ELi11EEvPKT_PKT0_S8_ifPKiSA_SA_iPKfiiiPfSD_PS3_PT2_iSC_SC_: ; @_Z39paged_attention_ll4mi_QKV_mfma16_kernelI14__hip_bfloat16hLN4vllm18Fp8KVCacheDataTypeE1ES0_Li16ELi64ELi256ELb1ELi11EEvPKT_PKT0_S8_ifPKiSA_SA_iPKfiiiPfSD_PS3_PT2_iSC_SC_
; %bb.0:
	s_get_pc_i64 s[2:3]
	s_add_nc_u64 s[2:3], s[2:3], __PRETTY_FUNCTION__._Z39paged_attention_ll4mi_QKV_mfma16_kernelI14__hip_bfloat16hLN4vllm18Fp8KVCacheDataTypeE1ES0_Li16ELi64ELi256ELb1ELi11EEvPKT_PKT0_S8_ifPKiSA_SA_iPKfiiiPfSD_PS3_PT2_iSC_SC_@rel64+4
	s_delay_alu instid0(SALU_CYCLE_1)
	v_dual_mov_b32 v0, 0xbb3 :: v_dual_mov_b32 v1, s2
	v_mov_b32_e32 v2, s3
	s_add_nc_u64 s[8:9], s[0:1], 0x90
	s_get_pc_i64 s[0:1]
	s_add_nc_u64 s[0:1], s[0:1], __assert_fail@rel64+4
	s_mov_b32 s32, 0
	s_swap_pc_i64 s[30:31], s[0:1]
	.section	.rodata,"a",@progbits
	.p2align	6, 0x0
	.amdhsa_kernel _Z39paged_attention_ll4mi_QKV_mfma16_kernelI14__hip_bfloat16hLN4vllm18Fp8KVCacheDataTypeE1ES0_Li16ELi64ELi256ELb1ELi11EEvPKT_PKT0_S8_ifPKiSA_SA_iPKfiiiPfSD_PS3_PT2_iSC_SC_
		.amdhsa_group_segment_fixed_size 0
		.amdhsa_private_segment_fixed_size 64
		.amdhsa_kernarg_size 400
		.amdhsa_user_sgpr_count 2
		.amdhsa_user_sgpr_dispatch_ptr 0
		.amdhsa_user_sgpr_queue_ptr 0
		.amdhsa_user_sgpr_kernarg_segment_ptr 1
		.amdhsa_user_sgpr_dispatch_id 0
		.amdhsa_user_sgpr_kernarg_preload_length 0
		.amdhsa_user_sgpr_kernarg_preload_offset 0
		.amdhsa_user_sgpr_private_segment_size 0
		.amdhsa_wavefront_size32 1
		.amdhsa_uses_dynamic_stack 0
		.amdhsa_enable_private_segment 1
		.amdhsa_system_sgpr_workgroup_id_x 1
		.amdhsa_system_sgpr_workgroup_id_y 0
		.amdhsa_system_sgpr_workgroup_id_z 0
		.amdhsa_system_sgpr_workgroup_info 0
		.amdhsa_system_vgpr_workitem_id 0
		.amdhsa_next_free_vgpr 51
		.amdhsa_next_free_sgpr 34
		.amdhsa_named_barrier_count 0
		.amdhsa_reserve_vcc 1
		.amdhsa_float_round_mode_32 0
		.amdhsa_float_round_mode_16_64 0
		.amdhsa_float_denorm_mode_32 3
		.amdhsa_float_denorm_mode_16_64 3
		.amdhsa_fp16_overflow 0
		.amdhsa_memory_ordered 1
		.amdhsa_forward_progress 1
		.amdhsa_inst_pref_size 1
		.amdhsa_round_robin_scheduling 0
		.amdhsa_exception_fp_ieee_invalid_op 0
		.amdhsa_exception_fp_denorm_src 0
		.amdhsa_exception_fp_ieee_div_zero 0
		.amdhsa_exception_fp_ieee_overflow 0
		.amdhsa_exception_fp_ieee_underflow 0
		.amdhsa_exception_fp_ieee_inexact 0
		.amdhsa_exception_int_div_zero 0
	.end_amdhsa_kernel
	.section	.text._Z39paged_attention_ll4mi_QKV_mfma16_kernelI14__hip_bfloat16hLN4vllm18Fp8KVCacheDataTypeE1ES0_Li16ELi64ELi256ELb1ELi11EEvPKT_PKT0_S8_ifPKiSA_SA_iPKfiiiPfSD_PS3_PT2_iSC_SC_,"axG",@progbits,_Z39paged_attention_ll4mi_QKV_mfma16_kernelI14__hip_bfloat16hLN4vllm18Fp8KVCacheDataTypeE1ES0_Li16ELi64ELi256ELb1ELi11EEvPKT_PKT0_S8_ifPKiSA_SA_iPKfiiiPfSD_PS3_PT2_iSC_SC_,comdat
.Lfunc_end1140:
	.size	_Z39paged_attention_ll4mi_QKV_mfma16_kernelI14__hip_bfloat16hLN4vllm18Fp8KVCacheDataTypeE1ES0_Li16ELi64ELi256ELb1ELi11EEvPKT_PKT0_S8_ifPKiSA_SA_iPKfiiiPfSD_PS3_PT2_iSC_SC_, .Lfunc_end1140-_Z39paged_attention_ll4mi_QKV_mfma16_kernelI14__hip_bfloat16hLN4vllm18Fp8KVCacheDataTypeE1ES0_Li16ELi64ELi256ELb1ELi11EEvPKT_PKT0_S8_ifPKiSA_SA_iPKfiiiPfSD_PS3_PT2_iSC_SC_
                                        ; -- End function
	.set _Z39paged_attention_ll4mi_QKV_mfma16_kernelI14__hip_bfloat16hLN4vllm18Fp8KVCacheDataTypeE1ES0_Li16ELi64ELi256ELb1ELi11EEvPKT_PKT0_S8_ifPKiSA_SA_iPKfiiiPfSD_PS3_PT2_iSC_SC_.num_vgpr, max(3, .L__assert_fail.num_vgpr)
	.set _Z39paged_attention_ll4mi_QKV_mfma16_kernelI14__hip_bfloat16hLN4vllm18Fp8KVCacheDataTypeE1ES0_Li16ELi64ELi256ELb1ELi11EEvPKT_PKT0_S8_ifPKiSA_SA_iPKfiiiPfSD_PS3_PT2_iSC_SC_.num_agpr, max(0, .L__assert_fail.num_agpr)
	.set _Z39paged_attention_ll4mi_QKV_mfma16_kernelI14__hip_bfloat16hLN4vllm18Fp8KVCacheDataTypeE1ES0_Li16ELi64ELi256ELb1ELi11EEvPKT_PKT0_S8_ifPKiSA_SA_iPKfiiiPfSD_PS3_PT2_iSC_SC_.numbered_sgpr, max(33, .L__assert_fail.numbered_sgpr)
	.set _Z39paged_attention_ll4mi_QKV_mfma16_kernelI14__hip_bfloat16hLN4vllm18Fp8KVCacheDataTypeE1ES0_Li16ELi64ELi256ELb1ELi11EEvPKT_PKT0_S8_ifPKiSA_SA_iPKfiiiPfSD_PS3_PT2_iSC_SC_.num_named_barrier, max(0, .L__assert_fail.num_named_barrier)
	.set _Z39paged_attention_ll4mi_QKV_mfma16_kernelI14__hip_bfloat16hLN4vllm18Fp8KVCacheDataTypeE1ES0_Li16ELi64ELi256ELb1ELi11EEvPKT_PKT0_S8_ifPKiSA_SA_iPKfiiiPfSD_PS3_PT2_iSC_SC_.private_seg_size, 0+max(.L__assert_fail.private_seg_size)
	.set _Z39paged_attention_ll4mi_QKV_mfma16_kernelI14__hip_bfloat16hLN4vllm18Fp8KVCacheDataTypeE1ES0_Li16ELi64ELi256ELb1ELi11EEvPKT_PKT0_S8_ifPKiSA_SA_iPKfiiiPfSD_PS3_PT2_iSC_SC_.uses_vcc, or(1, .L__assert_fail.uses_vcc)
	.set _Z39paged_attention_ll4mi_QKV_mfma16_kernelI14__hip_bfloat16hLN4vllm18Fp8KVCacheDataTypeE1ES0_Li16ELi64ELi256ELb1ELi11EEvPKT_PKT0_S8_ifPKiSA_SA_iPKfiiiPfSD_PS3_PT2_iSC_SC_.uses_flat_scratch, or(0, .L__assert_fail.uses_flat_scratch)
	.set _Z39paged_attention_ll4mi_QKV_mfma16_kernelI14__hip_bfloat16hLN4vllm18Fp8KVCacheDataTypeE1ES0_Li16ELi64ELi256ELb1ELi11EEvPKT_PKT0_S8_ifPKiSA_SA_iPKfiiiPfSD_PS3_PT2_iSC_SC_.has_dyn_sized_stack, or(0, .L__assert_fail.has_dyn_sized_stack)
	.set _Z39paged_attention_ll4mi_QKV_mfma16_kernelI14__hip_bfloat16hLN4vllm18Fp8KVCacheDataTypeE1ES0_Li16ELi64ELi256ELb1ELi11EEvPKT_PKT0_S8_ifPKiSA_SA_iPKfiiiPfSD_PS3_PT2_iSC_SC_.has_recursion, or(0, .L__assert_fail.has_recursion)
	.set _Z39paged_attention_ll4mi_QKV_mfma16_kernelI14__hip_bfloat16hLN4vllm18Fp8KVCacheDataTypeE1ES0_Li16ELi64ELi256ELb1ELi11EEvPKT_PKT0_S8_ifPKiSA_SA_iPKfiiiPfSD_PS3_PT2_iSC_SC_.has_indirect_call, or(0, .L__assert_fail.has_indirect_call)
	.section	.AMDGPU.csdata,"",@progbits
; Kernel info:
; codeLenInByte = 68
; TotalNumSgprs: 36
; NumVgprs: 51
; ScratchSize: 64
; MemoryBound: 0
; FloatMode: 240
; IeeeMode: 1
; LDSByteSize: 0 bytes/workgroup (compile time only)
; SGPRBlocks: 0
; VGPRBlocks: 3
; NumSGPRsForWavesPerEU: 36
; NumVGPRsForWavesPerEU: 51
; NamedBarCnt: 0
; Occupancy: 16
; WaveLimiterHint : 1
; COMPUTE_PGM_RSRC2:SCRATCH_EN: 1
; COMPUTE_PGM_RSRC2:USER_SGPR: 2
; COMPUTE_PGM_RSRC2:TRAP_HANDLER: 0
; COMPUTE_PGM_RSRC2:TGID_X_EN: 1
; COMPUTE_PGM_RSRC2:TGID_Y_EN: 0
; COMPUTE_PGM_RSRC2:TGID_Z_EN: 0
; COMPUTE_PGM_RSRC2:TIDIG_COMP_CNT: 0
	.section	.text._Z39paged_attention_ll4mi_QKV_mfma16_kernelI14__hip_bfloat16hLN4vllm18Fp8KVCacheDataTypeE1ES0_Li16ELi64ELi256ELb1ELi12EEvPKT_PKT0_S8_ifPKiSA_SA_iPKfiiiPfSD_PS3_PT2_iSC_SC_,"axG",@progbits,_Z39paged_attention_ll4mi_QKV_mfma16_kernelI14__hip_bfloat16hLN4vllm18Fp8KVCacheDataTypeE1ES0_Li16ELi64ELi256ELb1ELi12EEvPKT_PKT0_S8_ifPKiSA_SA_iPKfiiiPfSD_PS3_PT2_iSC_SC_,comdat
	.protected	_Z39paged_attention_ll4mi_QKV_mfma16_kernelI14__hip_bfloat16hLN4vllm18Fp8KVCacheDataTypeE1ES0_Li16ELi64ELi256ELb1ELi12EEvPKT_PKT0_S8_ifPKiSA_SA_iPKfiiiPfSD_PS3_PT2_iSC_SC_ ; -- Begin function _Z39paged_attention_ll4mi_QKV_mfma16_kernelI14__hip_bfloat16hLN4vllm18Fp8KVCacheDataTypeE1ES0_Li16ELi64ELi256ELb1ELi12EEvPKT_PKT0_S8_ifPKiSA_SA_iPKfiiiPfSD_PS3_PT2_iSC_SC_
	.globl	_Z39paged_attention_ll4mi_QKV_mfma16_kernelI14__hip_bfloat16hLN4vllm18Fp8KVCacheDataTypeE1ES0_Li16ELi64ELi256ELb1ELi12EEvPKT_PKT0_S8_ifPKiSA_SA_iPKfiiiPfSD_PS3_PT2_iSC_SC_
	.p2align	8
	.type	_Z39paged_attention_ll4mi_QKV_mfma16_kernelI14__hip_bfloat16hLN4vllm18Fp8KVCacheDataTypeE1ES0_Li16ELi64ELi256ELb1ELi12EEvPKT_PKT0_S8_ifPKiSA_SA_iPKfiiiPfSD_PS3_PT2_iSC_SC_,@function
_Z39paged_attention_ll4mi_QKV_mfma16_kernelI14__hip_bfloat16hLN4vllm18Fp8KVCacheDataTypeE1ES0_Li16ELi64ELi256ELb1ELi12EEvPKT_PKT0_S8_ifPKiSA_SA_iPKfiiiPfSD_PS3_PT2_iSC_SC_: ; @_Z39paged_attention_ll4mi_QKV_mfma16_kernelI14__hip_bfloat16hLN4vllm18Fp8KVCacheDataTypeE1ES0_Li16ELi64ELi256ELb1ELi12EEvPKT_PKT0_S8_ifPKiSA_SA_iPKfiiiPfSD_PS3_PT2_iSC_SC_
; %bb.0:
	s_get_pc_i64 s[2:3]
	s_add_nc_u64 s[2:3], s[2:3], __PRETTY_FUNCTION__._Z39paged_attention_ll4mi_QKV_mfma16_kernelI14__hip_bfloat16hLN4vllm18Fp8KVCacheDataTypeE1ES0_Li16ELi64ELi256ELb1ELi12EEvPKT_PKT0_S8_ifPKiSA_SA_iPKfiiiPfSD_PS3_PT2_iSC_SC_@rel64+4
	s_delay_alu instid0(SALU_CYCLE_1)
	v_dual_mov_b32 v0, 0xbb3 :: v_dual_mov_b32 v1, s2
	v_mov_b32_e32 v2, s3
	s_add_nc_u64 s[8:9], s[0:1], 0x90
	s_get_pc_i64 s[0:1]
	s_add_nc_u64 s[0:1], s[0:1], __assert_fail@rel64+4
	s_mov_b32 s32, 0
	s_swap_pc_i64 s[30:31], s[0:1]
	.section	.rodata,"a",@progbits
	.p2align	6, 0x0
	.amdhsa_kernel _Z39paged_attention_ll4mi_QKV_mfma16_kernelI14__hip_bfloat16hLN4vllm18Fp8KVCacheDataTypeE1ES0_Li16ELi64ELi256ELb1ELi12EEvPKT_PKT0_S8_ifPKiSA_SA_iPKfiiiPfSD_PS3_PT2_iSC_SC_
		.amdhsa_group_segment_fixed_size 0
		.amdhsa_private_segment_fixed_size 64
		.amdhsa_kernarg_size 400
		.amdhsa_user_sgpr_count 2
		.amdhsa_user_sgpr_dispatch_ptr 0
		.amdhsa_user_sgpr_queue_ptr 0
		.amdhsa_user_sgpr_kernarg_segment_ptr 1
		.amdhsa_user_sgpr_dispatch_id 0
		.amdhsa_user_sgpr_kernarg_preload_length 0
		.amdhsa_user_sgpr_kernarg_preload_offset 0
		.amdhsa_user_sgpr_private_segment_size 0
		.amdhsa_wavefront_size32 1
		.amdhsa_uses_dynamic_stack 0
		.amdhsa_enable_private_segment 1
		.amdhsa_system_sgpr_workgroup_id_x 1
		.amdhsa_system_sgpr_workgroup_id_y 0
		.amdhsa_system_sgpr_workgroup_id_z 0
		.amdhsa_system_sgpr_workgroup_info 0
		.amdhsa_system_vgpr_workitem_id 0
		.amdhsa_next_free_vgpr 51
		.amdhsa_next_free_sgpr 34
		.amdhsa_named_barrier_count 0
		.amdhsa_reserve_vcc 1
		.amdhsa_float_round_mode_32 0
		.amdhsa_float_round_mode_16_64 0
		.amdhsa_float_denorm_mode_32 3
		.amdhsa_float_denorm_mode_16_64 3
		.amdhsa_fp16_overflow 0
		.amdhsa_memory_ordered 1
		.amdhsa_forward_progress 1
		.amdhsa_inst_pref_size 1
		.amdhsa_round_robin_scheduling 0
		.amdhsa_exception_fp_ieee_invalid_op 0
		.amdhsa_exception_fp_denorm_src 0
		.amdhsa_exception_fp_ieee_div_zero 0
		.amdhsa_exception_fp_ieee_overflow 0
		.amdhsa_exception_fp_ieee_underflow 0
		.amdhsa_exception_fp_ieee_inexact 0
		.amdhsa_exception_int_div_zero 0
	.end_amdhsa_kernel
	.section	.text._Z39paged_attention_ll4mi_QKV_mfma16_kernelI14__hip_bfloat16hLN4vllm18Fp8KVCacheDataTypeE1ES0_Li16ELi64ELi256ELb1ELi12EEvPKT_PKT0_S8_ifPKiSA_SA_iPKfiiiPfSD_PS3_PT2_iSC_SC_,"axG",@progbits,_Z39paged_attention_ll4mi_QKV_mfma16_kernelI14__hip_bfloat16hLN4vllm18Fp8KVCacheDataTypeE1ES0_Li16ELi64ELi256ELb1ELi12EEvPKT_PKT0_S8_ifPKiSA_SA_iPKfiiiPfSD_PS3_PT2_iSC_SC_,comdat
.Lfunc_end1141:
	.size	_Z39paged_attention_ll4mi_QKV_mfma16_kernelI14__hip_bfloat16hLN4vllm18Fp8KVCacheDataTypeE1ES0_Li16ELi64ELi256ELb1ELi12EEvPKT_PKT0_S8_ifPKiSA_SA_iPKfiiiPfSD_PS3_PT2_iSC_SC_, .Lfunc_end1141-_Z39paged_attention_ll4mi_QKV_mfma16_kernelI14__hip_bfloat16hLN4vllm18Fp8KVCacheDataTypeE1ES0_Li16ELi64ELi256ELb1ELi12EEvPKT_PKT0_S8_ifPKiSA_SA_iPKfiiiPfSD_PS3_PT2_iSC_SC_
                                        ; -- End function
	.set _Z39paged_attention_ll4mi_QKV_mfma16_kernelI14__hip_bfloat16hLN4vllm18Fp8KVCacheDataTypeE1ES0_Li16ELi64ELi256ELb1ELi12EEvPKT_PKT0_S8_ifPKiSA_SA_iPKfiiiPfSD_PS3_PT2_iSC_SC_.num_vgpr, max(3, .L__assert_fail.num_vgpr)
	.set _Z39paged_attention_ll4mi_QKV_mfma16_kernelI14__hip_bfloat16hLN4vllm18Fp8KVCacheDataTypeE1ES0_Li16ELi64ELi256ELb1ELi12EEvPKT_PKT0_S8_ifPKiSA_SA_iPKfiiiPfSD_PS3_PT2_iSC_SC_.num_agpr, max(0, .L__assert_fail.num_agpr)
	.set _Z39paged_attention_ll4mi_QKV_mfma16_kernelI14__hip_bfloat16hLN4vllm18Fp8KVCacheDataTypeE1ES0_Li16ELi64ELi256ELb1ELi12EEvPKT_PKT0_S8_ifPKiSA_SA_iPKfiiiPfSD_PS3_PT2_iSC_SC_.numbered_sgpr, max(33, .L__assert_fail.numbered_sgpr)
	.set _Z39paged_attention_ll4mi_QKV_mfma16_kernelI14__hip_bfloat16hLN4vllm18Fp8KVCacheDataTypeE1ES0_Li16ELi64ELi256ELb1ELi12EEvPKT_PKT0_S8_ifPKiSA_SA_iPKfiiiPfSD_PS3_PT2_iSC_SC_.num_named_barrier, max(0, .L__assert_fail.num_named_barrier)
	.set _Z39paged_attention_ll4mi_QKV_mfma16_kernelI14__hip_bfloat16hLN4vllm18Fp8KVCacheDataTypeE1ES0_Li16ELi64ELi256ELb1ELi12EEvPKT_PKT0_S8_ifPKiSA_SA_iPKfiiiPfSD_PS3_PT2_iSC_SC_.private_seg_size, 0+max(.L__assert_fail.private_seg_size)
	.set _Z39paged_attention_ll4mi_QKV_mfma16_kernelI14__hip_bfloat16hLN4vllm18Fp8KVCacheDataTypeE1ES0_Li16ELi64ELi256ELb1ELi12EEvPKT_PKT0_S8_ifPKiSA_SA_iPKfiiiPfSD_PS3_PT2_iSC_SC_.uses_vcc, or(1, .L__assert_fail.uses_vcc)
	.set _Z39paged_attention_ll4mi_QKV_mfma16_kernelI14__hip_bfloat16hLN4vllm18Fp8KVCacheDataTypeE1ES0_Li16ELi64ELi256ELb1ELi12EEvPKT_PKT0_S8_ifPKiSA_SA_iPKfiiiPfSD_PS3_PT2_iSC_SC_.uses_flat_scratch, or(0, .L__assert_fail.uses_flat_scratch)
	.set _Z39paged_attention_ll4mi_QKV_mfma16_kernelI14__hip_bfloat16hLN4vllm18Fp8KVCacheDataTypeE1ES0_Li16ELi64ELi256ELb1ELi12EEvPKT_PKT0_S8_ifPKiSA_SA_iPKfiiiPfSD_PS3_PT2_iSC_SC_.has_dyn_sized_stack, or(0, .L__assert_fail.has_dyn_sized_stack)
	.set _Z39paged_attention_ll4mi_QKV_mfma16_kernelI14__hip_bfloat16hLN4vllm18Fp8KVCacheDataTypeE1ES0_Li16ELi64ELi256ELb1ELi12EEvPKT_PKT0_S8_ifPKiSA_SA_iPKfiiiPfSD_PS3_PT2_iSC_SC_.has_recursion, or(0, .L__assert_fail.has_recursion)
	.set _Z39paged_attention_ll4mi_QKV_mfma16_kernelI14__hip_bfloat16hLN4vllm18Fp8KVCacheDataTypeE1ES0_Li16ELi64ELi256ELb1ELi12EEvPKT_PKT0_S8_ifPKiSA_SA_iPKfiiiPfSD_PS3_PT2_iSC_SC_.has_indirect_call, or(0, .L__assert_fail.has_indirect_call)
	.section	.AMDGPU.csdata,"",@progbits
; Kernel info:
; codeLenInByte = 68
; TotalNumSgprs: 36
; NumVgprs: 51
; ScratchSize: 64
; MemoryBound: 0
; FloatMode: 240
; IeeeMode: 1
; LDSByteSize: 0 bytes/workgroup (compile time only)
; SGPRBlocks: 0
; VGPRBlocks: 3
; NumSGPRsForWavesPerEU: 36
; NumVGPRsForWavesPerEU: 51
; NamedBarCnt: 0
; Occupancy: 16
; WaveLimiterHint : 1
; COMPUTE_PGM_RSRC2:SCRATCH_EN: 1
; COMPUTE_PGM_RSRC2:USER_SGPR: 2
; COMPUTE_PGM_RSRC2:TRAP_HANDLER: 0
; COMPUTE_PGM_RSRC2:TGID_X_EN: 1
; COMPUTE_PGM_RSRC2:TGID_Y_EN: 0
; COMPUTE_PGM_RSRC2:TGID_Z_EN: 0
; COMPUTE_PGM_RSRC2:TIDIG_COMP_CNT: 0
	.section	.text._Z39paged_attention_ll4mi_QKV_mfma16_kernelI14__hip_bfloat16hLN4vllm18Fp8KVCacheDataTypeE1ES0_Li16ELi64ELi256ELb1ELi13EEvPKT_PKT0_S8_ifPKiSA_SA_iPKfiiiPfSD_PS3_PT2_iSC_SC_,"axG",@progbits,_Z39paged_attention_ll4mi_QKV_mfma16_kernelI14__hip_bfloat16hLN4vllm18Fp8KVCacheDataTypeE1ES0_Li16ELi64ELi256ELb1ELi13EEvPKT_PKT0_S8_ifPKiSA_SA_iPKfiiiPfSD_PS3_PT2_iSC_SC_,comdat
	.protected	_Z39paged_attention_ll4mi_QKV_mfma16_kernelI14__hip_bfloat16hLN4vllm18Fp8KVCacheDataTypeE1ES0_Li16ELi64ELi256ELb1ELi13EEvPKT_PKT0_S8_ifPKiSA_SA_iPKfiiiPfSD_PS3_PT2_iSC_SC_ ; -- Begin function _Z39paged_attention_ll4mi_QKV_mfma16_kernelI14__hip_bfloat16hLN4vllm18Fp8KVCacheDataTypeE1ES0_Li16ELi64ELi256ELb1ELi13EEvPKT_PKT0_S8_ifPKiSA_SA_iPKfiiiPfSD_PS3_PT2_iSC_SC_
	.globl	_Z39paged_attention_ll4mi_QKV_mfma16_kernelI14__hip_bfloat16hLN4vllm18Fp8KVCacheDataTypeE1ES0_Li16ELi64ELi256ELb1ELi13EEvPKT_PKT0_S8_ifPKiSA_SA_iPKfiiiPfSD_PS3_PT2_iSC_SC_
	.p2align	8
	.type	_Z39paged_attention_ll4mi_QKV_mfma16_kernelI14__hip_bfloat16hLN4vllm18Fp8KVCacheDataTypeE1ES0_Li16ELi64ELi256ELb1ELi13EEvPKT_PKT0_S8_ifPKiSA_SA_iPKfiiiPfSD_PS3_PT2_iSC_SC_,@function
_Z39paged_attention_ll4mi_QKV_mfma16_kernelI14__hip_bfloat16hLN4vllm18Fp8KVCacheDataTypeE1ES0_Li16ELi64ELi256ELb1ELi13EEvPKT_PKT0_S8_ifPKiSA_SA_iPKfiiiPfSD_PS3_PT2_iSC_SC_: ; @_Z39paged_attention_ll4mi_QKV_mfma16_kernelI14__hip_bfloat16hLN4vllm18Fp8KVCacheDataTypeE1ES0_Li16ELi64ELi256ELb1ELi13EEvPKT_PKT0_S8_ifPKiSA_SA_iPKfiiiPfSD_PS3_PT2_iSC_SC_
; %bb.0:
	s_get_pc_i64 s[2:3]
	s_add_nc_u64 s[2:3], s[2:3], __PRETTY_FUNCTION__._Z39paged_attention_ll4mi_QKV_mfma16_kernelI14__hip_bfloat16hLN4vllm18Fp8KVCacheDataTypeE1ES0_Li16ELi64ELi256ELb1ELi13EEvPKT_PKT0_S8_ifPKiSA_SA_iPKfiiiPfSD_PS3_PT2_iSC_SC_@rel64+4
	s_delay_alu instid0(SALU_CYCLE_1)
	v_dual_mov_b32 v0, 0xbb3 :: v_dual_mov_b32 v1, s2
	v_mov_b32_e32 v2, s3
	s_add_nc_u64 s[8:9], s[0:1], 0x90
	s_get_pc_i64 s[0:1]
	s_add_nc_u64 s[0:1], s[0:1], __assert_fail@rel64+4
	s_mov_b32 s32, 0
	s_swap_pc_i64 s[30:31], s[0:1]
	.section	.rodata,"a",@progbits
	.p2align	6, 0x0
	.amdhsa_kernel _Z39paged_attention_ll4mi_QKV_mfma16_kernelI14__hip_bfloat16hLN4vllm18Fp8KVCacheDataTypeE1ES0_Li16ELi64ELi256ELb1ELi13EEvPKT_PKT0_S8_ifPKiSA_SA_iPKfiiiPfSD_PS3_PT2_iSC_SC_
		.amdhsa_group_segment_fixed_size 0
		.amdhsa_private_segment_fixed_size 64
		.amdhsa_kernarg_size 400
		.amdhsa_user_sgpr_count 2
		.amdhsa_user_sgpr_dispatch_ptr 0
		.amdhsa_user_sgpr_queue_ptr 0
		.amdhsa_user_sgpr_kernarg_segment_ptr 1
		.amdhsa_user_sgpr_dispatch_id 0
		.amdhsa_user_sgpr_kernarg_preload_length 0
		.amdhsa_user_sgpr_kernarg_preload_offset 0
		.amdhsa_user_sgpr_private_segment_size 0
		.amdhsa_wavefront_size32 1
		.amdhsa_uses_dynamic_stack 0
		.amdhsa_enable_private_segment 1
		.amdhsa_system_sgpr_workgroup_id_x 1
		.amdhsa_system_sgpr_workgroup_id_y 0
		.amdhsa_system_sgpr_workgroup_id_z 0
		.amdhsa_system_sgpr_workgroup_info 0
		.amdhsa_system_vgpr_workitem_id 0
		.amdhsa_next_free_vgpr 51
		.amdhsa_next_free_sgpr 34
		.amdhsa_named_barrier_count 0
		.amdhsa_reserve_vcc 1
		.amdhsa_float_round_mode_32 0
		.amdhsa_float_round_mode_16_64 0
		.amdhsa_float_denorm_mode_32 3
		.amdhsa_float_denorm_mode_16_64 3
		.amdhsa_fp16_overflow 0
		.amdhsa_memory_ordered 1
		.amdhsa_forward_progress 1
		.amdhsa_inst_pref_size 1
		.amdhsa_round_robin_scheduling 0
		.amdhsa_exception_fp_ieee_invalid_op 0
		.amdhsa_exception_fp_denorm_src 0
		.amdhsa_exception_fp_ieee_div_zero 0
		.amdhsa_exception_fp_ieee_overflow 0
		.amdhsa_exception_fp_ieee_underflow 0
		.amdhsa_exception_fp_ieee_inexact 0
		.amdhsa_exception_int_div_zero 0
	.end_amdhsa_kernel
	.section	.text._Z39paged_attention_ll4mi_QKV_mfma16_kernelI14__hip_bfloat16hLN4vllm18Fp8KVCacheDataTypeE1ES0_Li16ELi64ELi256ELb1ELi13EEvPKT_PKT0_S8_ifPKiSA_SA_iPKfiiiPfSD_PS3_PT2_iSC_SC_,"axG",@progbits,_Z39paged_attention_ll4mi_QKV_mfma16_kernelI14__hip_bfloat16hLN4vllm18Fp8KVCacheDataTypeE1ES0_Li16ELi64ELi256ELb1ELi13EEvPKT_PKT0_S8_ifPKiSA_SA_iPKfiiiPfSD_PS3_PT2_iSC_SC_,comdat
.Lfunc_end1142:
	.size	_Z39paged_attention_ll4mi_QKV_mfma16_kernelI14__hip_bfloat16hLN4vllm18Fp8KVCacheDataTypeE1ES0_Li16ELi64ELi256ELb1ELi13EEvPKT_PKT0_S8_ifPKiSA_SA_iPKfiiiPfSD_PS3_PT2_iSC_SC_, .Lfunc_end1142-_Z39paged_attention_ll4mi_QKV_mfma16_kernelI14__hip_bfloat16hLN4vllm18Fp8KVCacheDataTypeE1ES0_Li16ELi64ELi256ELb1ELi13EEvPKT_PKT0_S8_ifPKiSA_SA_iPKfiiiPfSD_PS3_PT2_iSC_SC_
                                        ; -- End function
	.set _Z39paged_attention_ll4mi_QKV_mfma16_kernelI14__hip_bfloat16hLN4vllm18Fp8KVCacheDataTypeE1ES0_Li16ELi64ELi256ELb1ELi13EEvPKT_PKT0_S8_ifPKiSA_SA_iPKfiiiPfSD_PS3_PT2_iSC_SC_.num_vgpr, max(3, .L__assert_fail.num_vgpr)
	.set _Z39paged_attention_ll4mi_QKV_mfma16_kernelI14__hip_bfloat16hLN4vllm18Fp8KVCacheDataTypeE1ES0_Li16ELi64ELi256ELb1ELi13EEvPKT_PKT0_S8_ifPKiSA_SA_iPKfiiiPfSD_PS3_PT2_iSC_SC_.num_agpr, max(0, .L__assert_fail.num_agpr)
	.set _Z39paged_attention_ll4mi_QKV_mfma16_kernelI14__hip_bfloat16hLN4vllm18Fp8KVCacheDataTypeE1ES0_Li16ELi64ELi256ELb1ELi13EEvPKT_PKT0_S8_ifPKiSA_SA_iPKfiiiPfSD_PS3_PT2_iSC_SC_.numbered_sgpr, max(33, .L__assert_fail.numbered_sgpr)
	.set _Z39paged_attention_ll4mi_QKV_mfma16_kernelI14__hip_bfloat16hLN4vllm18Fp8KVCacheDataTypeE1ES0_Li16ELi64ELi256ELb1ELi13EEvPKT_PKT0_S8_ifPKiSA_SA_iPKfiiiPfSD_PS3_PT2_iSC_SC_.num_named_barrier, max(0, .L__assert_fail.num_named_barrier)
	.set _Z39paged_attention_ll4mi_QKV_mfma16_kernelI14__hip_bfloat16hLN4vllm18Fp8KVCacheDataTypeE1ES0_Li16ELi64ELi256ELb1ELi13EEvPKT_PKT0_S8_ifPKiSA_SA_iPKfiiiPfSD_PS3_PT2_iSC_SC_.private_seg_size, 0+max(.L__assert_fail.private_seg_size)
	.set _Z39paged_attention_ll4mi_QKV_mfma16_kernelI14__hip_bfloat16hLN4vllm18Fp8KVCacheDataTypeE1ES0_Li16ELi64ELi256ELb1ELi13EEvPKT_PKT0_S8_ifPKiSA_SA_iPKfiiiPfSD_PS3_PT2_iSC_SC_.uses_vcc, or(1, .L__assert_fail.uses_vcc)
	.set _Z39paged_attention_ll4mi_QKV_mfma16_kernelI14__hip_bfloat16hLN4vllm18Fp8KVCacheDataTypeE1ES0_Li16ELi64ELi256ELb1ELi13EEvPKT_PKT0_S8_ifPKiSA_SA_iPKfiiiPfSD_PS3_PT2_iSC_SC_.uses_flat_scratch, or(0, .L__assert_fail.uses_flat_scratch)
	.set _Z39paged_attention_ll4mi_QKV_mfma16_kernelI14__hip_bfloat16hLN4vllm18Fp8KVCacheDataTypeE1ES0_Li16ELi64ELi256ELb1ELi13EEvPKT_PKT0_S8_ifPKiSA_SA_iPKfiiiPfSD_PS3_PT2_iSC_SC_.has_dyn_sized_stack, or(0, .L__assert_fail.has_dyn_sized_stack)
	.set _Z39paged_attention_ll4mi_QKV_mfma16_kernelI14__hip_bfloat16hLN4vllm18Fp8KVCacheDataTypeE1ES0_Li16ELi64ELi256ELb1ELi13EEvPKT_PKT0_S8_ifPKiSA_SA_iPKfiiiPfSD_PS3_PT2_iSC_SC_.has_recursion, or(0, .L__assert_fail.has_recursion)
	.set _Z39paged_attention_ll4mi_QKV_mfma16_kernelI14__hip_bfloat16hLN4vllm18Fp8KVCacheDataTypeE1ES0_Li16ELi64ELi256ELb1ELi13EEvPKT_PKT0_S8_ifPKiSA_SA_iPKfiiiPfSD_PS3_PT2_iSC_SC_.has_indirect_call, or(0, .L__assert_fail.has_indirect_call)
	.section	.AMDGPU.csdata,"",@progbits
; Kernel info:
; codeLenInByte = 68
; TotalNumSgprs: 36
; NumVgprs: 51
; ScratchSize: 64
; MemoryBound: 0
; FloatMode: 240
; IeeeMode: 1
; LDSByteSize: 0 bytes/workgroup (compile time only)
; SGPRBlocks: 0
; VGPRBlocks: 3
; NumSGPRsForWavesPerEU: 36
; NumVGPRsForWavesPerEU: 51
; NamedBarCnt: 0
; Occupancy: 16
; WaveLimiterHint : 1
; COMPUTE_PGM_RSRC2:SCRATCH_EN: 1
; COMPUTE_PGM_RSRC2:USER_SGPR: 2
; COMPUTE_PGM_RSRC2:TRAP_HANDLER: 0
; COMPUTE_PGM_RSRC2:TGID_X_EN: 1
; COMPUTE_PGM_RSRC2:TGID_Y_EN: 0
; COMPUTE_PGM_RSRC2:TGID_Z_EN: 0
; COMPUTE_PGM_RSRC2:TIDIG_COMP_CNT: 0
	.section	.text._Z39paged_attention_ll4mi_QKV_mfma16_kernelI14__hip_bfloat16hLN4vllm18Fp8KVCacheDataTypeE1ES0_Li16ELi64ELi256ELb1ELi14EEvPKT_PKT0_S8_ifPKiSA_SA_iPKfiiiPfSD_PS3_PT2_iSC_SC_,"axG",@progbits,_Z39paged_attention_ll4mi_QKV_mfma16_kernelI14__hip_bfloat16hLN4vllm18Fp8KVCacheDataTypeE1ES0_Li16ELi64ELi256ELb1ELi14EEvPKT_PKT0_S8_ifPKiSA_SA_iPKfiiiPfSD_PS3_PT2_iSC_SC_,comdat
	.protected	_Z39paged_attention_ll4mi_QKV_mfma16_kernelI14__hip_bfloat16hLN4vllm18Fp8KVCacheDataTypeE1ES0_Li16ELi64ELi256ELb1ELi14EEvPKT_PKT0_S8_ifPKiSA_SA_iPKfiiiPfSD_PS3_PT2_iSC_SC_ ; -- Begin function _Z39paged_attention_ll4mi_QKV_mfma16_kernelI14__hip_bfloat16hLN4vllm18Fp8KVCacheDataTypeE1ES0_Li16ELi64ELi256ELb1ELi14EEvPKT_PKT0_S8_ifPKiSA_SA_iPKfiiiPfSD_PS3_PT2_iSC_SC_
	.globl	_Z39paged_attention_ll4mi_QKV_mfma16_kernelI14__hip_bfloat16hLN4vllm18Fp8KVCacheDataTypeE1ES0_Li16ELi64ELi256ELb1ELi14EEvPKT_PKT0_S8_ifPKiSA_SA_iPKfiiiPfSD_PS3_PT2_iSC_SC_
	.p2align	8
	.type	_Z39paged_attention_ll4mi_QKV_mfma16_kernelI14__hip_bfloat16hLN4vllm18Fp8KVCacheDataTypeE1ES0_Li16ELi64ELi256ELb1ELi14EEvPKT_PKT0_S8_ifPKiSA_SA_iPKfiiiPfSD_PS3_PT2_iSC_SC_,@function
_Z39paged_attention_ll4mi_QKV_mfma16_kernelI14__hip_bfloat16hLN4vllm18Fp8KVCacheDataTypeE1ES0_Li16ELi64ELi256ELb1ELi14EEvPKT_PKT0_S8_ifPKiSA_SA_iPKfiiiPfSD_PS3_PT2_iSC_SC_: ; @_Z39paged_attention_ll4mi_QKV_mfma16_kernelI14__hip_bfloat16hLN4vllm18Fp8KVCacheDataTypeE1ES0_Li16ELi64ELi256ELb1ELi14EEvPKT_PKT0_S8_ifPKiSA_SA_iPKfiiiPfSD_PS3_PT2_iSC_SC_
; %bb.0:
	s_get_pc_i64 s[2:3]
	s_add_nc_u64 s[2:3], s[2:3], __PRETTY_FUNCTION__._Z39paged_attention_ll4mi_QKV_mfma16_kernelI14__hip_bfloat16hLN4vllm18Fp8KVCacheDataTypeE1ES0_Li16ELi64ELi256ELb1ELi14EEvPKT_PKT0_S8_ifPKiSA_SA_iPKfiiiPfSD_PS3_PT2_iSC_SC_@rel64+4
	s_delay_alu instid0(SALU_CYCLE_1)
	v_dual_mov_b32 v0, 0xbb3 :: v_dual_mov_b32 v1, s2
	v_mov_b32_e32 v2, s3
	s_add_nc_u64 s[8:9], s[0:1], 0x90
	s_get_pc_i64 s[0:1]
	s_add_nc_u64 s[0:1], s[0:1], __assert_fail@rel64+4
	s_mov_b32 s32, 0
	s_swap_pc_i64 s[30:31], s[0:1]
	.section	.rodata,"a",@progbits
	.p2align	6, 0x0
	.amdhsa_kernel _Z39paged_attention_ll4mi_QKV_mfma16_kernelI14__hip_bfloat16hLN4vllm18Fp8KVCacheDataTypeE1ES0_Li16ELi64ELi256ELb1ELi14EEvPKT_PKT0_S8_ifPKiSA_SA_iPKfiiiPfSD_PS3_PT2_iSC_SC_
		.amdhsa_group_segment_fixed_size 0
		.amdhsa_private_segment_fixed_size 64
		.amdhsa_kernarg_size 400
		.amdhsa_user_sgpr_count 2
		.amdhsa_user_sgpr_dispatch_ptr 0
		.amdhsa_user_sgpr_queue_ptr 0
		.amdhsa_user_sgpr_kernarg_segment_ptr 1
		.amdhsa_user_sgpr_dispatch_id 0
		.amdhsa_user_sgpr_kernarg_preload_length 0
		.amdhsa_user_sgpr_kernarg_preload_offset 0
		.amdhsa_user_sgpr_private_segment_size 0
		.amdhsa_wavefront_size32 1
		.amdhsa_uses_dynamic_stack 0
		.amdhsa_enable_private_segment 1
		.amdhsa_system_sgpr_workgroup_id_x 1
		.amdhsa_system_sgpr_workgroup_id_y 0
		.amdhsa_system_sgpr_workgroup_id_z 0
		.amdhsa_system_sgpr_workgroup_info 0
		.amdhsa_system_vgpr_workitem_id 0
		.amdhsa_next_free_vgpr 51
		.amdhsa_next_free_sgpr 34
		.amdhsa_named_barrier_count 0
		.amdhsa_reserve_vcc 1
		.amdhsa_float_round_mode_32 0
		.amdhsa_float_round_mode_16_64 0
		.amdhsa_float_denorm_mode_32 3
		.amdhsa_float_denorm_mode_16_64 3
		.amdhsa_fp16_overflow 0
		.amdhsa_memory_ordered 1
		.amdhsa_forward_progress 1
		.amdhsa_inst_pref_size 1
		.amdhsa_round_robin_scheduling 0
		.amdhsa_exception_fp_ieee_invalid_op 0
		.amdhsa_exception_fp_denorm_src 0
		.amdhsa_exception_fp_ieee_div_zero 0
		.amdhsa_exception_fp_ieee_overflow 0
		.amdhsa_exception_fp_ieee_underflow 0
		.amdhsa_exception_fp_ieee_inexact 0
		.amdhsa_exception_int_div_zero 0
	.end_amdhsa_kernel
	.section	.text._Z39paged_attention_ll4mi_QKV_mfma16_kernelI14__hip_bfloat16hLN4vllm18Fp8KVCacheDataTypeE1ES0_Li16ELi64ELi256ELb1ELi14EEvPKT_PKT0_S8_ifPKiSA_SA_iPKfiiiPfSD_PS3_PT2_iSC_SC_,"axG",@progbits,_Z39paged_attention_ll4mi_QKV_mfma16_kernelI14__hip_bfloat16hLN4vllm18Fp8KVCacheDataTypeE1ES0_Li16ELi64ELi256ELb1ELi14EEvPKT_PKT0_S8_ifPKiSA_SA_iPKfiiiPfSD_PS3_PT2_iSC_SC_,comdat
.Lfunc_end1143:
	.size	_Z39paged_attention_ll4mi_QKV_mfma16_kernelI14__hip_bfloat16hLN4vllm18Fp8KVCacheDataTypeE1ES0_Li16ELi64ELi256ELb1ELi14EEvPKT_PKT0_S8_ifPKiSA_SA_iPKfiiiPfSD_PS3_PT2_iSC_SC_, .Lfunc_end1143-_Z39paged_attention_ll4mi_QKV_mfma16_kernelI14__hip_bfloat16hLN4vllm18Fp8KVCacheDataTypeE1ES0_Li16ELi64ELi256ELb1ELi14EEvPKT_PKT0_S8_ifPKiSA_SA_iPKfiiiPfSD_PS3_PT2_iSC_SC_
                                        ; -- End function
	.set _Z39paged_attention_ll4mi_QKV_mfma16_kernelI14__hip_bfloat16hLN4vllm18Fp8KVCacheDataTypeE1ES0_Li16ELi64ELi256ELb1ELi14EEvPKT_PKT0_S8_ifPKiSA_SA_iPKfiiiPfSD_PS3_PT2_iSC_SC_.num_vgpr, max(3, .L__assert_fail.num_vgpr)
	.set _Z39paged_attention_ll4mi_QKV_mfma16_kernelI14__hip_bfloat16hLN4vllm18Fp8KVCacheDataTypeE1ES0_Li16ELi64ELi256ELb1ELi14EEvPKT_PKT0_S8_ifPKiSA_SA_iPKfiiiPfSD_PS3_PT2_iSC_SC_.num_agpr, max(0, .L__assert_fail.num_agpr)
	.set _Z39paged_attention_ll4mi_QKV_mfma16_kernelI14__hip_bfloat16hLN4vllm18Fp8KVCacheDataTypeE1ES0_Li16ELi64ELi256ELb1ELi14EEvPKT_PKT0_S8_ifPKiSA_SA_iPKfiiiPfSD_PS3_PT2_iSC_SC_.numbered_sgpr, max(33, .L__assert_fail.numbered_sgpr)
	.set _Z39paged_attention_ll4mi_QKV_mfma16_kernelI14__hip_bfloat16hLN4vllm18Fp8KVCacheDataTypeE1ES0_Li16ELi64ELi256ELb1ELi14EEvPKT_PKT0_S8_ifPKiSA_SA_iPKfiiiPfSD_PS3_PT2_iSC_SC_.num_named_barrier, max(0, .L__assert_fail.num_named_barrier)
	.set _Z39paged_attention_ll4mi_QKV_mfma16_kernelI14__hip_bfloat16hLN4vllm18Fp8KVCacheDataTypeE1ES0_Li16ELi64ELi256ELb1ELi14EEvPKT_PKT0_S8_ifPKiSA_SA_iPKfiiiPfSD_PS3_PT2_iSC_SC_.private_seg_size, 0+max(.L__assert_fail.private_seg_size)
	.set _Z39paged_attention_ll4mi_QKV_mfma16_kernelI14__hip_bfloat16hLN4vllm18Fp8KVCacheDataTypeE1ES0_Li16ELi64ELi256ELb1ELi14EEvPKT_PKT0_S8_ifPKiSA_SA_iPKfiiiPfSD_PS3_PT2_iSC_SC_.uses_vcc, or(1, .L__assert_fail.uses_vcc)
	.set _Z39paged_attention_ll4mi_QKV_mfma16_kernelI14__hip_bfloat16hLN4vllm18Fp8KVCacheDataTypeE1ES0_Li16ELi64ELi256ELb1ELi14EEvPKT_PKT0_S8_ifPKiSA_SA_iPKfiiiPfSD_PS3_PT2_iSC_SC_.uses_flat_scratch, or(0, .L__assert_fail.uses_flat_scratch)
	.set _Z39paged_attention_ll4mi_QKV_mfma16_kernelI14__hip_bfloat16hLN4vllm18Fp8KVCacheDataTypeE1ES0_Li16ELi64ELi256ELb1ELi14EEvPKT_PKT0_S8_ifPKiSA_SA_iPKfiiiPfSD_PS3_PT2_iSC_SC_.has_dyn_sized_stack, or(0, .L__assert_fail.has_dyn_sized_stack)
	.set _Z39paged_attention_ll4mi_QKV_mfma16_kernelI14__hip_bfloat16hLN4vllm18Fp8KVCacheDataTypeE1ES0_Li16ELi64ELi256ELb1ELi14EEvPKT_PKT0_S8_ifPKiSA_SA_iPKfiiiPfSD_PS3_PT2_iSC_SC_.has_recursion, or(0, .L__assert_fail.has_recursion)
	.set _Z39paged_attention_ll4mi_QKV_mfma16_kernelI14__hip_bfloat16hLN4vllm18Fp8KVCacheDataTypeE1ES0_Li16ELi64ELi256ELb1ELi14EEvPKT_PKT0_S8_ifPKiSA_SA_iPKfiiiPfSD_PS3_PT2_iSC_SC_.has_indirect_call, or(0, .L__assert_fail.has_indirect_call)
	.section	.AMDGPU.csdata,"",@progbits
; Kernel info:
; codeLenInByte = 68
; TotalNumSgprs: 36
; NumVgprs: 51
; ScratchSize: 64
; MemoryBound: 0
; FloatMode: 240
; IeeeMode: 1
; LDSByteSize: 0 bytes/workgroup (compile time only)
; SGPRBlocks: 0
; VGPRBlocks: 3
; NumSGPRsForWavesPerEU: 36
; NumVGPRsForWavesPerEU: 51
; NamedBarCnt: 0
; Occupancy: 16
; WaveLimiterHint : 1
; COMPUTE_PGM_RSRC2:SCRATCH_EN: 1
; COMPUTE_PGM_RSRC2:USER_SGPR: 2
; COMPUTE_PGM_RSRC2:TRAP_HANDLER: 0
; COMPUTE_PGM_RSRC2:TGID_X_EN: 1
; COMPUTE_PGM_RSRC2:TGID_Y_EN: 0
; COMPUTE_PGM_RSRC2:TGID_Z_EN: 0
; COMPUTE_PGM_RSRC2:TIDIG_COMP_CNT: 0
	.section	.text._Z39paged_attention_ll4mi_QKV_mfma16_kernelI14__hip_bfloat16hLN4vllm18Fp8KVCacheDataTypeE1ES0_Li16ELi64ELi256ELb1ELi15EEvPKT_PKT0_S8_ifPKiSA_SA_iPKfiiiPfSD_PS3_PT2_iSC_SC_,"axG",@progbits,_Z39paged_attention_ll4mi_QKV_mfma16_kernelI14__hip_bfloat16hLN4vllm18Fp8KVCacheDataTypeE1ES0_Li16ELi64ELi256ELb1ELi15EEvPKT_PKT0_S8_ifPKiSA_SA_iPKfiiiPfSD_PS3_PT2_iSC_SC_,comdat
	.protected	_Z39paged_attention_ll4mi_QKV_mfma16_kernelI14__hip_bfloat16hLN4vllm18Fp8KVCacheDataTypeE1ES0_Li16ELi64ELi256ELb1ELi15EEvPKT_PKT0_S8_ifPKiSA_SA_iPKfiiiPfSD_PS3_PT2_iSC_SC_ ; -- Begin function _Z39paged_attention_ll4mi_QKV_mfma16_kernelI14__hip_bfloat16hLN4vllm18Fp8KVCacheDataTypeE1ES0_Li16ELi64ELi256ELb1ELi15EEvPKT_PKT0_S8_ifPKiSA_SA_iPKfiiiPfSD_PS3_PT2_iSC_SC_
	.globl	_Z39paged_attention_ll4mi_QKV_mfma16_kernelI14__hip_bfloat16hLN4vllm18Fp8KVCacheDataTypeE1ES0_Li16ELi64ELi256ELb1ELi15EEvPKT_PKT0_S8_ifPKiSA_SA_iPKfiiiPfSD_PS3_PT2_iSC_SC_
	.p2align	8
	.type	_Z39paged_attention_ll4mi_QKV_mfma16_kernelI14__hip_bfloat16hLN4vllm18Fp8KVCacheDataTypeE1ES0_Li16ELi64ELi256ELb1ELi15EEvPKT_PKT0_S8_ifPKiSA_SA_iPKfiiiPfSD_PS3_PT2_iSC_SC_,@function
_Z39paged_attention_ll4mi_QKV_mfma16_kernelI14__hip_bfloat16hLN4vllm18Fp8KVCacheDataTypeE1ES0_Li16ELi64ELi256ELb1ELi15EEvPKT_PKT0_S8_ifPKiSA_SA_iPKfiiiPfSD_PS3_PT2_iSC_SC_: ; @_Z39paged_attention_ll4mi_QKV_mfma16_kernelI14__hip_bfloat16hLN4vllm18Fp8KVCacheDataTypeE1ES0_Li16ELi64ELi256ELb1ELi15EEvPKT_PKT0_S8_ifPKiSA_SA_iPKfiiiPfSD_PS3_PT2_iSC_SC_
; %bb.0:
	s_get_pc_i64 s[2:3]
	s_add_nc_u64 s[2:3], s[2:3], __PRETTY_FUNCTION__._Z39paged_attention_ll4mi_QKV_mfma16_kernelI14__hip_bfloat16hLN4vllm18Fp8KVCacheDataTypeE1ES0_Li16ELi64ELi256ELb1ELi15EEvPKT_PKT0_S8_ifPKiSA_SA_iPKfiiiPfSD_PS3_PT2_iSC_SC_@rel64+4
	s_delay_alu instid0(SALU_CYCLE_1)
	v_dual_mov_b32 v0, 0xbb3 :: v_dual_mov_b32 v1, s2
	v_mov_b32_e32 v2, s3
	s_add_nc_u64 s[8:9], s[0:1], 0x90
	s_get_pc_i64 s[0:1]
	s_add_nc_u64 s[0:1], s[0:1], __assert_fail@rel64+4
	s_mov_b32 s32, 0
	s_swap_pc_i64 s[30:31], s[0:1]
	.section	.rodata,"a",@progbits
	.p2align	6, 0x0
	.amdhsa_kernel _Z39paged_attention_ll4mi_QKV_mfma16_kernelI14__hip_bfloat16hLN4vllm18Fp8KVCacheDataTypeE1ES0_Li16ELi64ELi256ELb1ELi15EEvPKT_PKT0_S8_ifPKiSA_SA_iPKfiiiPfSD_PS3_PT2_iSC_SC_
		.amdhsa_group_segment_fixed_size 0
		.amdhsa_private_segment_fixed_size 64
		.amdhsa_kernarg_size 400
		.amdhsa_user_sgpr_count 2
		.amdhsa_user_sgpr_dispatch_ptr 0
		.amdhsa_user_sgpr_queue_ptr 0
		.amdhsa_user_sgpr_kernarg_segment_ptr 1
		.amdhsa_user_sgpr_dispatch_id 0
		.amdhsa_user_sgpr_kernarg_preload_length 0
		.amdhsa_user_sgpr_kernarg_preload_offset 0
		.amdhsa_user_sgpr_private_segment_size 0
		.amdhsa_wavefront_size32 1
		.amdhsa_uses_dynamic_stack 0
		.amdhsa_enable_private_segment 1
		.amdhsa_system_sgpr_workgroup_id_x 1
		.amdhsa_system_sgpr_workgroup_id_y 0
		.amdhsa_system_sgpr_workgroup_id_z 0
		.amdhsa_system_sgpr_workgroup_info 0
		.amdhsa_system_vgpr_workitem_id 0
		.amdhsa_next_free_vgpr 51
		.amdhsa_next_free_sgpr 34
		.amdhsa_named_barrier_count 0
		.amdhsa_reserve_vcc 1
		.amdhsa_float_round_mode_32 0
		.amdhsa_float_round_mode_16_64 0
		.amdhsa_float_denorm_mode_32 3
		.amdhsa_float_denorm_mode_16_64 3
		.amdhsa_fp16_overflow 0
		.amdhsa_memory_ordered 1
		.amdhsa_forward_progress 1
		.amdhsa_inst_pref_size 1
		.amdhsa_round_robin_scheduling 0
		.amdhsa_exception_fp_ieee_invalid_op 0
		.amdhsa_exception_fp_denorm_src 0
		.amdhsa_exception_fp_ieee_div_zero 0
		.amdhsa_exception_fp_ieee_overflow 0
		.amdhsa_exception_fp_ieee_underflow 0
		.amdhsa_exception_fp_ieee_inexact 0
		.amdhsa_exception_int_div_zero 0
	.end_amdhsa_kernel
	.section	.text._Z39paged_attention_ll4mi_QKV_mfma16_kernelI14__hip_bfloat16hLN4vllm18Fp8KVCacheDataTypeE1ES0_Li16ELi64ELi256ELb1ELi15EEvPKT_PKT0_S8_ifPKiSA_SA_iPKfiiiPfSD_PS3_PT2_iSC_SC_,"axG",@progbits,_Z39paged_attention_ll4mi_QKV_mfma16_kernelI14__hip_bfloat16hLN4vllm18Fp8KVCacheDataTypeE1ES0_Li16ELi64ELi256ELb1ELi15EEvPKT_PKT0_S8_ifPKiSA_SA_iPKfiiiPfSD_PS3_PT2_iSC_SC_,comdat
.Lfunc_end1144:
	.size	_Z39paged_attention_ll4mi_QKV_mfma16_kernelI14__hip_bfloat16hLN4vllm18Fp8KVCacheDataTypeE1ES0_Li16ELi64ELi256ELb1ELi15EEvPKT_PKT0_S8_ifPKiSA_SA_iPKfiiiPfSD_PS3_PT2_iSC_SC_, .Lfunc_end1144-_Z39paged_attention_ll4mi_QKV_mfma16_kernelI14__hip_bfloat16hLN4vllm18Fp8KVCacheDataTypeE1ES0_Li16ELi64ELi256ELb1ELi15EEvPKT_PKT0_S8_ifPKiSA_SA_iPKfiiiPfSD_PS3_PT2_iSC_SC_
                                        ; -- End function
	.set _Z39paged_attention_ll4mi_QKV_mfma16_kernelI14__hip_bfloat16hLN4vllm18Fp8KVCacheDataTypeE1ES0_Li16ELi64ELi256ELb1ELi15EEvPKT_PKT0_S8_ifPKiSA_SA_iPKfiiiPfSD_PS3_PT2_iSC_SC_.num_vgpr, max(3, .L__assert_fail.num_vgpr)
	.set _Z39paged_attention_ll4mi_QKV_mfma16_kernelI14__hip_bfloat16hLN4vllm18Fp8KVCacheDataTypeE1ES0_Li16ELi64ELi256ELb1ELi15EEvPKT_PKT0_S8_ifPKiSA_SA_iPKfiiiPfSD_PS3_PT2_iSC_SC_.num_agpr, max(0, .L__assert_fail.num_agpr)
	.set _Z39paged_attention_ll4mi_QKV_mfma16_kernelI14__hip_bfloat16hLN4vllm18Fp8KVCacheDataTypeE1ES0_Li16ELi64ELi256ELb1ELi15EEvPKT_PKT0_S8_ifPKiSA_SA_iPKfiiiPfSD_PS3_PT2_iSC_SC_.numbered_sgpr, max(33, .L__assert_fail.numbered_sgpr)
	.set _Z39paged_attention_ll4mi_QKV_mfma16_kernelI14__hip_bfloat16hLN4vllm18Fp8KVCacheDataTypeE1ES0_Li16ELi64ELi256ELb1ELi15EEvPKT_PKT0_S8_ifPKiSA_SA_iPKfiiiPfSD_PS3_PT2_iSC_SC_.num_named_barrier, max(0, .L__assert_fail.num_named_barrier)
	.set _Z39paged_attention_ll4mi_QKV_mfma16_kernelI14__hip_bfloat16hLN4vllm18Fp8KVCacheDataTypeE1ES0_Li16ELi64ELi256ELb1ELi15EEvPKT_PKT0_S8_ifPKiSA_SA_iPKfiiiPfSD_PS3_PT2_iSC_SC_.private_seg_size, 0+max(.L__assert_fail.private_seg_size)
	.set _Z39paged_attention_ll4mi_QKV_mfma16_kernelI14__hip_bfloat16hLN4vllm18Fp8KVCacheDataTypeE1ES0_Li16ELi64ELi256ELb1ELi15EEvPKT_PKT0_S8_ifPKiSA_SA_iPKfiiiPfSD_PS3_PT2_iSC_SC_.uses_vcc, or(1, .L__assert_fail.uses_vcc)
	.set _Z39paged_attention_ll4mi_QKV_mfma16_kernelI14__hip_bfloat16hLN4vllm18Fp8KVCacheDataTypeE1ES0_Li16ELi64ELi256ELb1ELi15EEvPKT_PKT0_S8_ifPKiSA_SA_iPKfiiiPfSD_PS3_PT2_iSC_SC_.uses_flat_scratch, or(0, .L__assert_fail.uses_flat_scratch)
	.set _Z39paged_attention_ll4mi_QKV_mfma16_kernelI14__hip_bfloat16hLN4vllm18Fp8KVCacheDataTypeE1ES0_Li16ELi64ELi256ELb1ELi15EEvPKT_PKT0_S8_ifPKiSA_SA_iPKfiiiPfSD_PS3_PT2_iSC_SC_.has_dyn_sized_stack, or(0, .L__assert_fail.has_dyn_sized_stack)
	.set _Z39paged_attention_ll4mi_QKV_mfma16_kernelI14__hip_bfloat16hLN4vllm18Fp8KVCacheDataTypeE1ES0_Li16ELi64ELi256ELb1ELi15EEvPKT_PKT0_S8_ifPKiSA_SA_iPKfiiiPfSD_PS3_PT2_iSC_SC_.has_recursion, or(0, .L__assert_fail.has_recursion)
	.set _Z39paged_attention_ll4mi_QKV_mfma16_kernelI14__hip_bfloat16hLN4vllm18Fp8KVCacheDataTypeE1ES0_Li16ELi64ELi256ELb1ELi15EEvPKT_PKT0_S8_ifPKiSA_SA_iPKfiiiPfSD_PS3_PT2_iSC_SC_.has_indirect_call, or(0, .L__assert_fail.has_indirect_call)
	.section	.AMDGPU.csdata,"",@progbits
; Kernel info:
; codeLenInByte = 68
; TotalNumSgprs: 36
; NumVgprs: 51
; ScratchSize: 64
; MemoryBound: 0
; FloatMode: 240
; IeeeMode: 1
; LDSByteSize: 0 bytes/workgroup (compile time only)
; SGPRBlocks: 0
; VGPRBlocks: 3
; NumSGPRsForWavesPerEU: 36
; NumVGPRsForWavesPerEU: 51
; NamedBarCnt: 0
; Occupancy: 16
; WaveLimiterHint : 1
; COMPUTE_PGM_RSRC2:SCRATCH_EN: 1
; COMPUTE_PGM_RSRC2:USER_SGPR: 2
; COMPUTE_PGM_RSRC2:TRAP_HANDLER: 0
; COMPUTE_PGM_RSRC2:TGID_X_EN: 1
; COMPUTE_PGM_RSRC2:TGID_Y_EN: 0
; COMPUTE_PGM_RSRC2:TGID_Z_EN: 0
; COMPUTE_PGM_RSRC2:TIDIG_COMP_CNT: 0
	.section	.text._Z39paged_attention_ll4mi_QKV_mfma16_kernelI14__hip_bfloat16hLN4vllm18Fp8KVCacheDataTypeE1ES0_Li16ELi64ELi256ELb1ELi16EEvPKT_PKT0_S8_ifPKiSA_SA_iPKfiiiPfSD_PS3_PT2_iSC_SC_,"axG",@progbits,_Z39paged_attention_ll4mi_QKV_mfma16_kernelI14__hip_bfloat16hLN4vllm18Fp8KVCacheDataTypeE1ES0_Li16ELi64ELi256ELb1ELi16EEvPKT_PKT0_S8_ifPKiSA_SA_iPKfiiiPfSD_PS3_PT2_iSC_SC_,comdat
	.protected	_Z39paged_attention_ll4mi_QKV_mfma16_kernelI14__hip_bfloat16hLN4vllm18Fp8KVCacheDataTypeE1ES0_Li16ELi64ELi256ELb1ELi16EEvPKT_PKT0_S8_ifPKiSA_SA_iPKfiiiPfSD_PS3_PT2_iSC_SC_ ; -- Begin function _Z39paged_attention_ll4mi_QKV_mfma16_kernelI14__hip_bfloat16hLN4vllm18Fp8KVCacheDataTypeE1ES0_Li16ELi64ELi256ELb1ELi16EEvPKT_PKT0_S8_ifPKiSA_SA_iPKfiiiPfSD_PS3_PT2_iSC_SC_
	.globl	_Z39paged_attention_ll4mi_QKV_mfma16_kernelI14__hip_bfloat16hLN4vllm18Fp8KVCacheDataTypeE1ES0_Li16ELi64ELi256ELb1ELi16EEvPKT_PKT0_S8_ifPKiSA_SA_iPKfiiiPfSD_PS3_PT2_iSC_SC_
	.p2align	8
	.type	_Z39paged_attention_ll4mi_QKV_mfma16_kernelI14__hip_bfloat16hLN4vllm18Fp8KVCacheDataTypeE1ES0_Li16ELi64ELi256ELb1ELi16EEvPKT_PKT0_S8_ifPKiSA_SA_iPKfiiiPfSD_PS3_PT2_iSC_SC_,@function
_Z39paged_attention_ll4mi_QKV_mfma16_kernelI14__hip_bfloat16hLN4vllm18Fp8KVCacheDataTypeE1ES0_Li16ELi64ELi256ELb1ELi16EEvPKT_PKT0_S8_ifPKiSA_SA_iPKfiiiPfSD_PS3_PT2_iSC_SC_: ; @_Z39paged_attention_ll4mi_QKV_mfma16_kernelI14__hip_bfloat16hLN4vllm18Fp8KVCacheDataTypeE1ES0_Li16ELi64ELi256ELb1ELi16EEvPKT_PKT0_S8_ifPKiSA_SA_iPKfiiiPfSD_PS3_PT2_iSC_SC_
; %bb.0:
	s_get_pc_i64 s[2:3]
	s_add_nc_u64 s[2:3], s[2:3], __PRETTY_FUNCTION__._Z39paged_attention_ll4mi_QKV_mfma16_kernelI14__hip_bfloat16hLN4vllm18Fp8KVCacheDataTypeE1ES0_Li16ELi64ELi256ELb1ELi16EEvPKT_PKT0_S8_ifPKiSA_SA_iPKfiiiPfSD_PS3_PT2_iSC_SC_@rel64+4
	s_delay_alu instid0(SALU_CYCLE_1)
	v_dual_mov_b32 v0, 0xbb3 :: v_dual_mov_b32 v1, s2
	v_mov_b32_e32 v2, s3
	s_add_nc_u64 s[8:9], s[0:1], 0x90
	s_get_pc_i64 s[0:1]
	s_add_nc_u64 s[0:1], s[0:1], __assert_fail@rel64+4
	s_mov_b32 s32, 0
	s_swap_pc_i64 s[30:31], s[0:1]
	.section	.rodata,"a",@progbits
	.p2align	6, 0x0
	.amdhsa_kernel _Z39paged_attention_ll4mi_QKV_mfma16_kernelI14__hip_bfloat16hLN4vllm18Fp8KVCacheDataTypeE1ES0_Li16ELi64ELi256ELb1ELi16EEvPKT_PKT0_S8_ifPKiSA_SA_iPKfiiiPfSD_PS3_PT2_iSC_SC_
		.amdhsa_group_segment_fixed_size 0
		.amdhsa_private_segment_fixed_size 64
		.amdhsa_kernarg_size 400
		.amdhsa_user_sgpr_count 2
		.amdhsa_user_sgpr_dispatch_ptr 0
		.amdhsa_user_sgpr_queue_ptr 0
		.amdhsa_user_sgpr_kernarg_segment_ptr 1
		.amdhsa_user_sgpr_dispatch_id 0
		.amdhsa_user_sgpr_kernarg_preload_length 0
		.amdhsa_user_sgpr_kernarg_preload_offset 0
		.amdhsa_user_sgpr_private_segment_size 0
		.amdhsa_wavefront_size32 1
		.amdhsa_uses_dynamic_stack 0
		.amdhsa_enable_private_segment 1
		.amdhsa_system_sgpr_workgroup_id_x 1
		.amdhsa_system_sgpr_workgroup_id_y 0
		.amdhsa_system_sgpr_workgroup_id_z 0
		.amdhsa_system_sgpr_workgroup_info 0
		.amdhsa_system_vgpr_workitem_id 0
		.amdhsa_next_free_vgpr 51
		.amdhsa_next_free_sgpr 34
		.amdhsa_named_barrier_count 0
		.amdhsa_reserve_vcc 1
		.amdhsa_float_round_mode_32 0
		.amdhsa_float_round_mode_16_64 0
		.amdhsa_float_denorm_mode_32 3
		.amdhsa_float_denorm_mode_16_64 3
		.amdhsa_fp16_overflow 0
		.amdhsa_memory_ordered 1
		.amdhsa_forward_progress 1
		.amdhsa_inst_pref_size 1
		.amdhsa_round_robin_scheduling 0
		.amdhsa_exception_fp_ieee_invalid_op 0
		.amdhsa_exception_fp_denorm_src 0
		.amdhsa_exception_fp_ieee_div_zero 0
		.amdhsa_exception_fp_ieee_overflow 0
		.amdhsa_exception_fp_ieee_underflow 0
		.amdhsa_exception_fp_ieee_inexact 0
		.amdhsa_exception_int_div_zero 0
	.end_amdhsa_kernel
	.section	.text._Z39paged_attention_ll4mi_QKV_mfma16_kernelI14__hip_bfloat16hLN4vllm18Fp8KVCacheDataTypeE1ES0_Li16ELi64ELi256ELb1ELi16EEvPKT_PKT0_S8_ifPKiSA_SA_iPKfiiiPfSD_PS3_PT2_iSC_SC_,"axG",@progbits,_Z39paged_attention_ll4mi_QKV_mfma16_kernelI14__hip_bfloat16hLN4vllm18Fp8KVCacheDataTypeE1ES0_Li16ELi64ELi256ELb1ELi16EEvPKT_PKT0_S8_ifPKiSA_SA_iPKfiiiPfSD_PS3_PT2_iSC_SC_,comdat
.Lfunc_end1145:
	.size	_Z39paged_attention_ll4mi_QKV_mfma16_kernelI14__hip_bfloat16hLN4vllm18Fp8KVCacheDataTypeE1ES0_Li16ELi64ELi256ELb1ELi16EEvPKT_PKT0_S8_ifPKiSA_SA_iPKfiiiPfSD_PS3_PT2_iSC_SC_, .Lfunc_end1145-_Z39paged_attention_ll4mi_QKV_mfma16_kernelI14__hip_bfloat16hLN4vllm18Fp8KVCacheDataTypeE1ES0_Li16ELi64ELi256ELb1ELi16EEvPKT_PKT0_S8_ifPKiSA_SA_iPKfiiiPfSD_PS3_PT2_iSC_SC_
                                        ; -- End function
	.set _Z39paged_attention_ll4mi_QKV_mfma16_kernelI14__hip_bfloat16hLN4vllm18Fp8KVCacheDataTypeE1ES0_Li16ELi64ELi256ELb1ELi16EEvPKT_PKT0_S8_ifPKiSA_SA_iPKfiiiPfSD_PS3_PT2_iSC_SC_.num_vgpr, max(3, .L__assert_fail.num_vgpr)
	.set _Z39paged_attention_ll4mi_QKV_mfma16_kernelI14__hip_bfloat16hLN4vllm18Fp8KVCacheDataTypeE1ES0_Li16ELi64ELi256ELb1ELi16EEvPKT_PKT0_S8_ifPKiSA_SA_iPKfiiiPfSD_PS3_PT2_iSC_SC_.num_agpr, max(0, .L__assert_fail.num_agpr)
	.set _Z39paged_attention_ll4mi_QKV_mfma16_kernelI14__hip_bfloat16hLN4vllm18Fp8KVCacheDataTypeE1ES0_Li16ELi64ELi256ELb1ELi16EEvPKT_PKT0_S8_ifPKiSA_SA_iPKfiiiPfSD_PS3_PT2_iSC_SC_.numbered_sgpr, max(33, .L__assert_fail.numbered_sgpr)
	.set _Z39paged_attention_ll4mi_QKV_mfma16_kernelI14__hip_bfloat16hLN4vllm18Fp8KVCacheDataTypeE1ES0_Li16ELi64ELi256ELb1ELi16EEvPKT_PKT0_S8_ifPKiSA_SA_iPKfiiiPfSD_PS3_PT2_iSC_SC_.num_named_barrier, max(0, .L__assert_fail.num_named_barrier)
	.set _Z39paged_attention_ll4mi_QKV_mfma16_kernelI14__hip_bfloat16hLN4vllm18Fp8KVCacheDataTypeE1ES0_Li16ELi64ELi256ELb1ELi16EEvPKT_PKT0_S8_ifPKiSA_SA_iPKfiiiPfSD_PS3_PT2_iSC_SC_.private_seg_size, 0+max(.L__assert_fail.private_seg_size)
	.set _Z39paged_attention_ll4mi_QKV_mfma16_kernelI14__hip_bfloat16hLN4vllm18Fp8KVCacheDataTypeE1ES0_Li16ELi64ELi256ELb1ELi16EEvPKT_PKT0_S8_ifPKiSA_SA_iPKfiiiPfSD_PS3_PT2_iSC_SC_.uses_vcc, or(1, .L__assert_fail.uses_vcc)
	.set _Z39paged_attention_ll4mi_QKV_mfma16_kernelI14__hip_bfloat16hLN4vllm18Fp8KVCacheDataTypeE1ES0_Li16ELi64ELi256ELb1ELi16EEvPKT_PKT0_S8_ifPKiSA_SA_iPKfiiiPfSD_PS3_PT2_iSC_SC_.uses_flat_scratch, or(0, .L__assert_fail.uses_flat_scratch)
	.set _Z39paged_attention_ll4mi_QKV_mfma16_kernelI14__hip_bfloat16hLN4vllm18Fp8KVCacheDataTypeE1ES0_Li16ELi64ELi256ELb1ELi16EEvPKT_PKT0_S8_ifPKiSA_SA_iPKfiiiPfSD_PS3_PT2_iSC_SC_.has_dyn_sized_stack, or(0, .L__assert_fail.has_dyn_sized_stack)
	.set _Z39paged_attention_ll4mi_QKV_mfma16_kernelI14__hip_bfloat16hLN4vllm18Fp8KVCacheDataTypeE1ES0_Li16ELi64ELi256ELb1ELi16EEvPKT_PKT0_S8_ifPKiSA_SA_iPKfiiiPfSD_PS3_PT2_iSC_SC_.has_recursion, or(0, .L__assert_fail.has_recursion)
	.set _Z39paged_attention_ll4mi_QKV_mfma16_kernelI14__hip_bfloat16hLN4vllm18Fp8KVCacheDataTypeE1ES0_Li16ELi64ELi256ELb1ELi16EEvPKT_PKT0_S8_ifPKiSA_SA_iPKfiiiPfSD_PS3_PT2_iSC_SC_.has_indirect_call, or(0, .L__assert_fail.has_indirect_call)
	.section	.AMDGPU.csdata,"",@progbits
; Kernel info:
; codeLenInByte = 68
; TotalNumSgprs: 36
; NumVgprs: 51
; ScratchSize: 64
; MemoryBound: 0
; FloatMode: 240
; IeeeMode: 1
; LDSByteSize: 0 bytes/workgroup (compile time only)
; SGPRBlocks: 0
; VGPRBlocks: 3
; NumSGPRsForWavesPerEU: 36
; NumVGPRsForWavesPerEU: 51
; NamedBarCnt: 0
; Occupancy: 16
; WaveLimiterHint : 1
; COMPUTE_PGM_RSRC2:SCRATCH_EN: 1
; COMPUTE_PGM_RSRC2:USER_SGPR: 2
; COMPUTE_PGM_RSRC2:TRAP_HANDLER: 0
; COMPUTE_PGM_RSRC2:TGID_X_EN: 1
; COMPUTE_PGM_RSRC2:TGID_Y_EN: 0
; COMPUTE_PGM_RSRC2:TGID_Z_EN: 0
; COMPUTE_PGM_RSRC2:TIDIG_COMP_CNT: 0
	.section	.text._Z39paged_attention_ll4mi_QKV_mfma16_kernelI14__hip_bfloat16hLN4vllm18Fp8KVCacheDataTypeE1ES0_Li16ELi64ELi256ELb1ELi1EEvPKT_PKT0_S8_ifPKiSA_SA_iPKfiiiPfSD_PS3_PT2_iSC_SC_,"axG",@progbits,_Z39paged_attention_ll4mi_QKV_mfma16_kernelI14__hip_bfloat16hLN4vllm18Fp8KVCacheDataTypeE1ES0_Li16ELi64ELi256ELb1ELi1EEvPKT_PKT0_S8_ifPKiSA_SA_iPKfiiiPfSD_PS3_PT2_iSC_SC_,comdat
	.protected	_Z39paged_attention_ll4mi_QKV_mfma16_kernelI14__hip_bfloat16hLN4vllm18Fp8KVCacheDataTypeE1ES0_Li16ELi64ELi256ELb1ELi1EEvPKT_PKT0_S8_ifPKiSA_SA_iPKfiiiPfSD_PS3_PT2_iSC_SC_ ; -- Begin function _Z39paged_attention_ll4mi_QKV_mfma16_kernelI14__hip_bfloat16hLN4vllm18Fp8KVCacheDataTypeE1ES0_Li16ELi64ELi256ELb1ELi1EEvPKT_PKT0_S8_ifPKiSA_SA_iPKfiiiPfSD_PS3_PT2_iSC_SC_
	.globl	_Z39paged_attention_ll4mi_QKV_mfma16_kernelI14__hip_bfloat16hLN4vllm18Fp8KVCacheDataTypeE1ES0_Li16ELi64ELi256ELb1ELi1EEvPKT_PKT0_S8_ifPKiSA_SA_iPKfiiiPfSD_PS3_PT2_iSC_SC_
	.p2align	8
	.type	_Z39paged_attention_ll4mi_QKV_mfma16_kernelI14__hip_bfloat16hLN4vllm18Fp8KVCacheDataTypeE1ES0_Li16ELi64ELi256ELb1ELi1EEvPKT_PKT0_S8_ifPKiSA_SA_iPKfiiiPfSD_PS3_PT2_iSC_SC_,@function
_Z39paged_attention_ll4mi_QKV_mfma16_kernelI14__hip_bfloat16hLN4vllm18Fp8KVCacheDataTypeE1ES0_Li16ELi64ELi256ELb1ELi1EEvPKT_PKT0_S8_ifPKiSA_SA_iPKfiiiPfSD_PS3_PT2_iSC_SC_: ; @_Z39paged_attention_ll4mi_QKV_mfma16_kernelI14__hip_bfloat16hLN4vllm18Fp8KVCacheDataTypeE1ES0_Li16ELi64ELi256ELb1ELi1EEvPKT_PKT0_S8_ifPKiSA_SA_iPKfiiiPfSD_PS3_PT2_iSC_SC_
; %bb.0:
	s_get_pc_i64 s[2:3]
	s_add_nc_u64 s[2:3], s[2:3], __PRETTY_FUNCTION__._Z39paged_attention_ll4mi_QKV_mfma16_kernelI14__hip_bfloat16hLN4vllm18Fp8KVCacheDataTypeE1ES0_Li16ELi64ELi256ELb1ELi1EEvPKT_PKT0_S8_ifPKiSA_SA_iPKfiiiPfSD_PS3_PT2_iSC_SC_@rel64+4
	s_delay_alu instid0(SALU_CYCLE_1)
	v_dual_mov_b32 v0, 0xbb3 :: v_dual_mov_b32 v1, s2
	v_mov_b32_e32 v2, s3
	s_add_nc_u64 s[8:9], s[0:1], 0x90
	s_get_pc_i64 s[0:1]
	s_add_nc_u64 s[0:1], s[0:1], __assert_fail@rel64+4
	s_mov_b32 s32, 0
	s_swap_pc_i64 s[30:31], s[0:1]
	.section	.rodata,"a",@progbits
	.p2align	6, 0x0
	.amdhsa_kernel _Z39paged_attention_ll4mi_QKV_mfma16_kernelI14__hip_bfloat16hLN4vllm18Fp8KVCacheDataTypeE1ES0_Li16ELi64ELi256ELb1ELi1EEvPKT_PKT0_S8_ifPKiSA_SA_iPKfiiiPfSD_PS3_PT2_iSC_SC_
		.amdhsa_group_segment_fixed_size 0
		.amdhsa_private_segment_fixed_size 64
		.amdhsa_kernarg_size 400
		.amdhsa_user_sgpr_count 2
		.amdhsa_user_sgpr_dispatch_ptr 0
		.amdhsa_user_sgpr_queue_ptr 0
		.amdhsa_user_sgpr_kernarg_segment_ptr 1
		.amdhsa_user_sgpr_dispatch_id 0
		.amdhsa_user_sgpr_kernarg_preload_length 0
		.amdhsa_user_sgpr_kernarg_preload_offset 0
		.amdhsa_user_sgpr_private_segment_size 0
		.amdhsa_wavefront_size32 1
		.amdhsa_uses_dynamic_stack 0
		.amdhsa_enable_private_segment 1
		.amdhsa_system_sgpr_workgroup_id_x 1
		.amdhsa_system_sgpr_workgroup_id_y 0
		.amdhsa_system_sgpr_workgroup_id_z 0
		.amdhsa_system_sgpr_workgroup_info 0
		.amdhsa_system_vgpr_workitem_id 0
		.amdhsa_next_free_vgpr 51
		.amdhsa_next_free_sgpr 34
		.amdhsa_named_barrier_count 0
		.amdhsa_reserve_vcc 1
		.amdhsa_float_round_mode_32 0
		.amdhsa_float_round_mode_16_64 0
		.amdhsa_float_denorm_mode_32 3
		.amdhsa_float_denorm_mode_16_64 3
		.amdhsa_fp16_overflow 0
		.amdhsa_memory_ordered 1
		.amdhsa_forward_progress 1
		.amdhsa_inst_pref_size 1
		.amdhsa_round_robin_scheduling 0
		.amdhsa_exception_fp_ieee_invalid_op 0
		.amdhsa_exception_fp_denorm_src 0
		.amdhsa_exception_fp_ieee_div_zero 0
		.amdhsa_exception_fp_ieee_overflow 0
		.amdhsa_exception_fp_ieee_underflow 0
		.amdhsa_exception_fp_ieee_inexact 0
		.amdhsa_exception_int_div_zero 0
	.end_amdhsa_kernel
	.section	.text._Z39paged_attention_ll4mi_QKV_mfma16_kernelI14__hip_bfloat16hLN4vllm18Fp8KVCacheDataTypeE1ES0_Li16ELi64ELi256ELb1ELi1EEvPKT_PKT0_S8_ifPKiSA_SA_iPKfiiiPfSD_PS3_PT2_iSC_SC_,"axG",@progbits,_Z39paged_attention_ll4mi_QKV_mfma16_kernelI14__hip_bfloat16hLN4vllm18Fp8KVCacheDataTypeE1ES0_Li16ELi64ELi256ELb1ELi1EEvPKT_PKT0_S8_ifPKiSA_SA_iPKfiiiPfSD_PS3_PT2_iSC_SC_,comdat
.Lfunc_end1146:
	.size	_Z39paged_attention_ll4mi_QKV_mfma16_kernelI14__hip_bfloat16hLN4vllm18Fp8KVCacheDataTypeE1ES0_Li16ELi64ELi256ELb1ELi1EEvPKT_PKT0_S8_ifPKiSA_SA_iPKfiiiPfSD_PS3_PT2_iSC_SC_, .Lfunc_end1146-_Z39paged_attention_ll4mi_QKV_mfma16_kernelI14__hip_bfloat16hLN4vllm18Fp8KVCacheDataTypeE1ES0_Li16ELi64ELi256ELb1ELi1EEvPKT_PKT0_S8_ifPKiSA_SA_iPKfiiiPfSD_PS3_PT2_iSC_SC_
                                        ; -- End function
	.set _Z39paged_attention_ll4mi_QKV_mfma16_kernelI14__hip_bfloat16hLN4vllm18Fp8KVCacheDataTypeE1ES0_Li16ELi64ELi256ELb1ELi1EEvPKT_PKT0_S8_ifPKiSA_SA_iPKfiiiPfSD_PS3_PT2_iSC_SC_.num_vgpr, max(3, .L__assert_fail.num_vgpr)
	.set _Z39paged_attention_ll4mi_QKV_mfma16_kernelI14__hip_bfloat16hLN4vllm18Fp8KVCacheDataTypeE1ES0_Li16ELi64ELi256ELb1ELi1EEvPKT_PKT0_S8_ifPKiSA_SA_iPKfiiiPfSD_PS3_PT2_iSC_SC_.num_agpr, max(0, .L__assert_fail.num_agpr)
	.set _Z39paged_attention_ll4mi_QKV_mfma16_kernelI14__hip_bfloat16hLN4vllm18Fp8KVCacheDataTypeE1ES0_Li16ELi64ELi256ELb1ELi1EEvPKT_PKT0_S8_ifPKiSA_SA_iPKfiiiPfSD_PS3_PT2_iSC_SC_.numbered_sgpr, max(33, .L__assert_fail.numbered_sgpr)
	.set _Z39paged_attention_ll4mi_QKV_mfma16_kernelI14__hip_bfloat16hLN4vllm18Fp8KVCacheDataTypeE1ES0_Li16ELi64ELi256ELb1ELi1EEvPKT_PKT0_S8_ifPKiSA_SA_iPKfiiiPfSD_PS3_PT2_iSC_SC_.num_named_barrier, max(0, .L__assert_fail.num_named_barrier)
	.set _Z39paged_attention_ll4mi_QKV_mfma16_kernelI14__hip_bfloat16hLN4vllm18Fp8KVCacheDataTypeE1ES0_Li16ELi64ELi256ELb1ELi1EEvPKT_PKT0_S8_ifPKiSA_SA_iPKfiiiPfSD_PS3_PT2_iSC_SC_.private_seg_size, 0+max(.L__assert_fail.private_seg_size)
	.set _Z39paged_attention_ll4mi_QKV_mfma16_kernelI14__hip_bfloat16hLN4vllm18Fp8KVCacheDataTypeE1ES0_Li16ELi64ELi256ELb1ELi1EEvPKT_PKT0_S8_ifPKiSA_SA_iPKfiiiPfSD_PS3_PT2_iSC_SC_.uses_vcc, or(1, .L__assert_fail.uses_vcc)
	.set _Z39paged_attention_ll4mi_QKV_mfma16_kernelI14__hip_bfloat16hLN4vllm18Fp8KVCacheDataTypeE1ES0_Li16ELi64ELi256ELb1ELi1EEvPKT_PKT0_S8_ifPKiSA_SA_iPKfiiiPfSD_PS3_PT2_iSC_SC_.uses_flat_scratch, or(0, .L__assert_fail.uses_flat_scratch)
	.set _Z39paged_attention_ll4mi_QKV_mfma16_kernelI14__hip_bfloat16hLN4vllm18Fp8KVCacheDataTypeE1ES0_Li16ELi64ELi256ELb1ELi1EEvPKT_PKT0_S8_ifPKiSA_SA_iPKfiiiPfSD_PS3_PT2_iSC_SC_.has_dyn_sized_stack, or(0, .L__assert_fail.has_dyn_sized_stack)
	.set _Z39paged_attention_ll4mi_QKV_mfma16_kernelI14__hip_bfloat16hLN4vllm18Fp8KVCacheDataTypeE1ES0_Li16ELi64ELi256ELb1ELi1EEvPKT_PKT0_S8_ifPKiSA_SA_iPKfiiiPfSD_PS3_PT2_iSC_SC_.has_recursion, or(0, .L__assert_fail.has_recursion)
	.set _Z39paged_attention_ll4mi_QKV_mfma16_kernelI14__hip_bfloat16hLN4vllm18Fp8KVCacheDataTypeE1ES0_Li16ELi64ELi256ELb1ELi1EEvPKT_PKT0_S8_ifPKiSA_SA_iPKfiiiPfSD_PS3_PT2_iSC_SC_.has_indirect_call, or(0, .L__assert_fail.has_indirect_call)
	.section	.AMDGPU.csdata,"",@progbits
; Kernel info:
; codeLenInByte = 68
; TotalNumSgprs: 36
; NumVgprs: 51
; ScratchSize: 64
; MemoryBound: 0
; FloatMode: 240
; IeeeMode: 1
; LDSByteSize: 0 bytes/workgroup (compile time only)
; SGPRBlocks: 0
; VGPRBlocks: 3
; NumSGPRsForWavesPerEU: 36
; NumVGPRsForWavesPerEU: 51
; NamedBarCnt: 0
; Occupancy: 16
; WaveLimiterHint : 1
; COMPUTE_PGM_RSRC2:SCRATCH_EN: 1
; COMPUTE_PGM_RSRC2:USER_SGPR: 2
; COMPUTE_PGM_RSRC2:TRAP_HANDLER: 0
; COMPUTE_PGM_RSRC2:TGID_X_EN: 1
; COMPUTE_PGM_RSRC2:TGID_Y_EN: 0
; COMPUTE_PGM_RSRC2:TGID_Z_EN: 0
; COMPUTE_PGM_RSRC2:TIDIG_COMP_CNT: 0
	.section	.text._Z39paged_attention_ll4mi_QKV_mfma16_kernelI14__hip_bfloat16hLN4vllm18Fp8KVCacheDataTypeE1ES0_Li16ELi64ELi256ELb1ELi2EEvPKT_PKT0_S8_ifPKiSA_SA_iPKfiiiPfSD_PS3_PT2_iSC_SC_,"axG",@progbits,_Z39paged_attention_ll4mi_QKV_mfma16_kernelI14__hip_bfloat16hLN4vllm18Fp8KVCacheDataTypeE1ES0_Li16ELi64ELi256ELb1ELi2EEvPKT_PKT0_S8_ifPKiSA_SA_iPKfiiiPfSD_PS3_PT2_iSC_SC_,comdat
	.protected	_Z39paged_attention_ll4mi_QKV_mfma16_kernelI14__hip_bfloat16hLN4vllm18Fp8KVCacheDataTypeE1ES0_Li16ELi64ELi256ELb1ELi2EEvPKT_PKT0_S8_ifPKiSA_SA_iPKfiiiPfSD_PS3_PT2_iSC_SC_ ; -- Begin function _Z39paged_attention_ll4mi_QKV_mfma16_kernelI14__hip_bfloat16hLN4vllm18Fp8KVCacheDataTypeE1ES0_Li16ELi64ELi256ELb1ELi2EEvPKT_PKT0_S8_ifPKiSA_SA_iPKfiiiPfSD_PS3_PT2_iSC_SC_
	.globl	_Z39paged_attention_ll4mi_QKV_mfma16_kernelI14__hip_bfloat16hLN4vllm18Fp8KVCacheDataTypeE1ES0_Li16ELi64ELi256ELb1ELi2EEvPKT_PKT0_S8_ifPKiSA_SA_iPKfiiiPfSD_PS3_PT2_iSC_SC_
	.p2align	8
	.type	_Z39paged_attention_ll4mi_QKV_mfma16_kernelI14__hip_bfloat16hLN4vllm18Fp8KVCacheDataTypeE1ES0_Li16ELi64ELi256ELb1ELi2EEvPKT_PKT0_S8_ifPKiSA_SA_iPKfiiiPfSD_PS3_PT2_iSC_SC_,@function
_Z39paged_attention_ll4mi_QKV_mfma16_kernelI14__hip_bfloat16hLN4vllm18Fp8KVCacheDataTypeE1ES0_Li16ELi64ELi256ELb1ELi2EEvPKT_PKT0_S8_ifPKiSA_SA_iPKfiiiPfSD_PS3_PT2_iSC_SC_: ; @_Z39paged_attention_ll4mi_QKV_mfma16_kernelI14__hip_bfloat16hLN4vllm18Fp8KVCacheDataTypeE1ES0_Li16ELi64ELi256ELb1ELi2EEvPKT_PKT0_S8_ifPKiSA_SA_iPKfiiiPfSD_PS3_PT2_iSC_SC_
; %bb.0:
	s_get_pc_i64 s[2:3]
	s_add_nc_u64 s[2:3], s[2:3], __PRETTY_FUNCTION__._Z39paged_attention_ll4mi_QKV_mfma16_kernelI14__hip_bfloat16hLN4vllm18Fp8KVCacheDataTypeE1ES0_Li16ELi64ELi256ELb1ELi2EEvPKT_PKT0_S8_ifPKiSA_SA_iPKfiiiPfSD_PS3_PT2_iSC_SC_@rel64+4
	s_delay_alu instid0(SALU_CYCLE_1)
	v_dual_mov_b32 v0, 0xbb3 :: v_dual_mov_b32 v1, s2
	v_mov_b32_e32 v2, s3
	s_add_nc_u64 s[8:9], s[0:1], 0x90
	s_get_pc_i64 s[0:1]
	s_add_nc_u64 s[0:1], s[0:1], __assert_fail@rel64+4
	s_mov_b32 s32, 0
	s_swap_pc_i64 s[30:31], s[0:1]
	.section	.rodata,"a",@progbits
	.p2align	6, 0x0
	.amdhsa_kernel _Z39paged_attention_ll4mi_QKV_mfma16_kernelI14__hip_bfloat16hLN4vllm18Fp8KVCacheDataTypeE1ES0_Li16ELi64ELi256ELb1ELi2EEvPKT_PKT0_S8_ifPKiSA_SA_iPKfiiiPfSD_PS3_PT2_iSC_SC_
		.amdhsa_group_segment_fixed_size 0
		.amdhsa_private_segment_fixed_size 64
		.amdhsa_kernarg_size 400
		.amdhsa_user_sgpr_count 2
		.amdhsa_user_sgpr_dispatch_ptr 0
		.amdhsa_user_sgpr_queue_ptr 0
		.amdhsa_user_sgpr_kernarg_segment_ptr 1
		.amdhsa_user_sgpr_dispatch_id 0
		.amdhsa_user_sgpr_kernarg_preload_length 0
		.amdhsa_user_sgpr_kernarg_preload_offset 0
		.amdhsa_user_sgpr_private_segment_size 0
		.amdhsa_wavefront_size32 1
		.amdhsa_uses_dynamic_stack 0
		.amdhsa_enable_private_segment 1
		.amdhsa_system_sgpr_workgroup_id_x 1
		.amdhsa_system_sgpr_workgroup_id_y 0
		.amdhsa_system_sgpr_workgroup_id_z 0
		.amdhsa_system_sgpr_workgroup_info 0
		.amdhsa_system_vgpr_workitem_id 0
		.amdhsa_next_free_vgpr 51
		.amdhsa_next_free_sgpr 34
		.amdhsa_named_barrier_count 0
		.amdhsa_reserve_vcc 1
		.amdhsa_float_round_mode_32 0
		.amdhsa_float_round_mode_16_64 0
		.amdhsa_float_denorm_mode_32 3
		.amdhsa_float_denorm_mode_16_64 3
		.amdhsa_fp16_overflow 0
		.amdhsa_memory_ordered 1
		.amdhsa_forward_progress 1
		.amdhsa_inst_pref_size 1
		.amdhsa_round_robin_scheduling 0
		.amdhsa_exception_fp_ieee_invalid_op 0
		.amdhsa_exception_fp_denorm_src 0
		.amdhsa_exception_fp_ieee_div_zero 0
		.amdhsa_exception_fp_ieee_overflow 0
		.amdhsa_exception_fp_ieee_underflow 0
		.amdhsa_exception_fp_ieee_inexact 0
		.amdhsa_exception_int_div_zero 0
	.end_amdhsa_kernel
	.section	.text._Z39paged_attention_ll4mi_QKV_mfma16_kernelI14__hip_bfloat16hLN4vllm18Fp8KVCacheDataTypeE1ES0_Li16ELi64ELi256ELb1ELi2EEvPKT_PKT0_S8_ifPKiSA_SA_iPKfiiiPfSD_PS3_PT2_iSC_SC_,"axG",@progbits,_Z39paged_attention_ll4mi_QKV_mfma16_kernelI14__hip_bfloat16hLN4vllm18Fp8KVCacheDataTypeE1ES0_Li16ELi64ELi256ELb1ELi2EEvPKT_PKT0_S8_ifPKiSA_SA_iPKfiiiPfSD_PS3_PT2_iSC_SC_,comdat
.Lfunc_end1147:
	.size	_Z39paged_attention_ll4mi_QKV_mfma16_kernelI14__hip_bfloat16hLN4vllm18Fp8KVCacheDataTypeE1ES0_Li16ELi64ELi256ELb1ELi2EEvPKT_PKT0_S8_ifPKiSA_SA_iPKfiiiPfSD_PS3_PT2_iSC_SC_, .Lfunc_end1147-_Z39paged_attention_ll4mi_QKV_mfma16_kernelI14__hip_bfloat16hLN4vllm18Fp8KVCacheDataTypeE1ES0_Li16ELi64ELi256ELb1ELi2EEvPKT_PKT0_S8_ifPKiSA_SA_iPKfiiiPfSD_PS3_PT2_iSC_SC_
                                        ; -- End function
	.set _Z39paged_attention_ll4mi_QKV_mfma16_kernelI14__hip_bfloat16hLN4vllm18Fp8KVCacheDataTypeE1ES0_Li16ELi64ELi256ELb1ELi2EEvPKT_PKT0_S8_ifPKiSA_SA_iPKfiiiPfSD_PS3_PT2_iSC_SC_.num_vgpr, max(3, .L__assert_fail.num_vgpr)
	.set _Z39paged_attention_ll4mi_QKV_mfma16_kernelI14__hip_bfloat16hLN4vllm18Fp8KVCacheDataTypeE1ES0_Li16ELi64ELi256ELb1ELi2EEvPKT_PKT0_S8_ifPKiSA_SA_iPKfiiiPfSD_PS3_PT2_iSC_SC_.num_agpr, max(0, .L__assert_fail.num_agpr)
	.set _Z39paged_attention_ll4mi_QKV_mfma16_kernelI14__hip_bfloat16hLN4vllm18Fp8KVCacheDataTypeE1ES0_Li16ELi64ELi256ELb1ELi2EEvPKT_PKT0_S8_ifPKiSA_SA_iPKfiiiPfSD_PS3_PT2_iSC_SC_.numbered_sgpr, max(33, .L__assert_fail.numbered_sgpr)
	.set _Z39paged_attention_ll4mi_QKV_mfma16_kernelI14__hip_bfloat16hLN4vllm18Fp8KVCacheDataTypeE1ES0_Li16ELi64ELi256ELb1ELi2EEvPKT_PKT0_S8_ifPKiSA_SA_iPKfiiiPfSD_PS3_PT2_iSC_SC_.num_named_barrier, max(0, .L__assert_fail.num_named_barrier)
	.set _Z39paged_attention_ll4mi_QKV_mfma16_kernelI14__hip_bfloat16hLN4vllm18Fp8KVCacheDataTypeE1ES0_Li16ELi64ELi256ELb1ELi2EEvPKT_PKT0_S8_ifPKiSA_SA_iPKfiiiPfSD_PS3_PT2_iSC_SC_.private_seg_size, 0+max(.L__assert_fail.private_seg_size)
	.set _Z39paged_attention_ll4mi_QKV_mfma16_kernelI14__hip_bfloat16hLN4vllm18Fp8KVCacheDataTypeE1ES0_Li16ELi64ELi256ELb1ELi2EEvPKT_PKT0_S8_ifPKiSA_SA_iPKfiiiPfSD_PS3_PT2_iSC_SC_.uses_vcc, or(1, .L__assert_fail.uses_vcc)
	.set _Z39paged_attention_ll4mi_QKV_mfma16_kernelI14__hip_bfloat16hLN4vllm18Fp8KVCacheDataTypeE1ES0_Li16ELi64ELi256ELb1ELi2EEvPKT_PKT0_S8_ifPKiSA_SA_iPKfiiiPfSD_PS3_PT2_iSC_SC_.uses_flat_scratch, or(0, .L__assert_fail.uses_flat_scratch)
	.set _Z39paged_attention_ll4mi_QKV_mfma16_kernelI14__hip_bfloat16hLN4vllm18Fp8KVCacheDataTypeE1ES0_Li16ELi64ELi256ELb1ELi2EEvPKT_PKT0_S8_ifPKiSA_SA_iPKfiiiPfSD_PS3_PT2_iSC_SC_.has_dyn_sized_stack, or(0, .L__assert_fail.has_dyn_sized_stack)
	.set _Z39paged_attention_ll4mi_QKV_mfma16_kernelI14__hip_bfloat16hLN4vllm18Fp8KVCacheDataTypeE1ES0_Li16ELi64ELi256ELb1ELi2EEvPKT_PKT0_S8_ifPKiSA_SA_iPKfiiiPfSD_PS3_PT2_iSC_SC_.has_recursion, or(0, .L__assert_fail.has_recursion)
	.set _Z39paged_attention_ll4mi_QKV_mfma16_kernelI14__hip_bfloat16hLN4vllm18Fp8KVCacheDataTypeE1ES0_Li16ELi64ELi256ELb1ELi2EEvPKT_PKT0_S8_ifPKiSA_SA_iPKfiiiPfSD_PS3_PT2_iSC_SC_.has_indirect_call, or(0, .L__assert_fail.has_indirect_call)
	.section	.AMDGPU.csdata,"",@progbits
; Kernel info:
; codeLenInByte = 68
; TotalNumSgprs: 36
; NumVgprs: 51
; ScratchSize: 64
; MemoryBound: 0
; FloatMode: 240
; IeeeMode: 1
; LDSByteSize: 0 bytes/workgroup (compile time only)
; SGPRBlocks: 0
; VGPRBlocks: 3
; NumSGPRsForWavesPerEU: 36
; NumVGPRsForWavesPerEU: 51
; NamedBarCnt: 0
; Occupancy: 16
; WaveLimiterHint : 1
; COMPUTE_PGM_RSRC2:SCRATCH_EN: 1
; COMPUTE_PGM_RSRC2:USER_SGPR: 2
; COMPUTE_PGM_RSRC2:TRAP_HANDLER: 0
; COMPUTE_PGM_RSRC2:TGID_X_EN: 1
; COMPUTE_PGM_RSRC2:TGID_Y_EN: 0
; COMPUTE_PGM_RSRC2:TGID_Z_EN: 0
; COMPUTE_PGM_RSRC2:TIDIG_COMP_CNT: 0
	.section	.text._Z39paged_attention_ll4mi_QKV_mfma16_kernelI14__hip_bfloat16hLN4vllm18Fp8KVCacheDataTypeE1ES0_Li16ELi64ELi256ELb1ELi3EEvPKT_PKT0_S8_ifPKiSA_SA_iPKfiiiPfSD_PS3_PT2_iSC_SC_,"axG",@progbits,_Z39paged_attention_ll4mi_QKV_mfma16_kernelI14__hip_bfloat16hLN4vllm18Fp8KVCacheDataTypeE1ES0_Li16ELi64ELi256ELb1ELi3EEvPKT_PKT0_S8_ifPKiSA_SA_iPKfiiiPfSD_PS3_PT2_iSC_SC_,comdat
	.protected	_Z39paged_attention_ll4mi_QKV_mfma16_kernelI14__hip_bfloat16hLN4vllm18Fp8KVCacheDataTypeE1ES0_Li16ELi64ELi256ELb1ELi3EEvPKT_PKT0_S8_ifPKiSA_SA_iPKfiiiPfSD_PS3_PT2_iSC_SC_ ; -- Begin function _Z39paged_attention_ll4mi_QKV_mfma16_kernelI14__hip_bfloat16hLN4vllm18Fp8KVCacheDataTypeE1ES0_Li16ELi64ELi256ELb1ELi3EEvPKT_PKT0_S8_ifPKiSA_SA_iPKfiiiPfSD_PS3_PT2_iSC_SC_
	.globl	_Z39paged_attention_ll4mi_QKV_mfma16_kernelI14__hip_bfloat16hLN4vllm18Fp8KVCacheDataTypeE1ES0_Li16ELi64ELi256ELb1ELi3EEvPKT_PKT0_S8_ifPKiSA_SA_iPKfiiiPfSD_PS3_PT2_iSC_SC_
	.p2align	8
	.type	_Z39paged_attention_ll4mi_QKV_mfma16_kernelI14__hip_bfloat16hLN4vllm18Fp8KVCacheDataTypeE1ES0_Li16ELi64ELi256ELb1ELi3EEvPKT_PKT0_S8_ifPKiSA_SA_iPKfiiiPfSD_PS3_PT2_iSC_SC_,@function
_Z39paged_attention_ll4mi_QKV_mfma16_kernelI14__hip_bfloat16hLN4vllm18Fp8KVCacheDataTypeE1ES0_Li16ELi64ELi256ELb1ELi3EEvPKT_PKT0_S8_ifPKiSA_SA_iPKfiiiPfSD_PS3_PT2_iSC_SC_: ; @_Z39paged_attention_ll4mi_QKV_mfma16_kernelI14__hip_bfloat16hLN4vllm18Fp8KVCacheDataTypeE1ES0_Li16ELi64ELi256ELb1ELi3EEvPKT_PKT0_S8_ifPKiSA_SA_iPKfiiiPfSD_PS3_PT2_iSC_SC_
; %bb.0:
	s_get_pc_i64 s[2:3]
	s_add_nc_u64 s[2:3], s[2:3], __PRETTY_FUNCTION__._Z39paged_attention_ll4mi_QKV_mfma16_kernelI14__hip_bfloat16hLN4vllm18Fp8KVCacheDataTypeE1ES0_Li16ELi64ELi256ELb1ELi3EEvPKT_PKT0_S8_ifPKiSA_SA_iPKfiiiPfSD_PS3_PT2_iSC_SC_@rel64+4
	s_delay_alu instid0(SALU_CYCLE_1)
	v_dual_mov_b32 v0, 0xbb3 :: v_dual_mov_b32 v1, s2
	v_mov_b32_e32 v2, s3
	s_add_nc_u64 s[8:9], s[0:1], 0x90
	s_get_pc_i64 s[0:1]
	s_add_nc_u64 s[0:1], s[0:1], __assert_fail@rel64+4
	s_mov_b32 s32, 0
	s_swap_pc_i64 s[30:31], s[0:1]
	.section	.rodata,"a",@progbits
	.p2align	6, 0x0
	.amdhsa_kernel _Z39paged_attention_ll4mi_QKV_mfma16_kernelI14__hip_bfloat16hLN4vllm18Fp8KVCacheDataTypeE1ES0_Li16ELi64ELi256ELb1ELi3EEvPKT_PKT0_S8_ifPKiSA_SA_iPKfiiiPfSD_PS3_PT2_iSC_SC_
		.amdhsa_group_segment_fixed_size 0
		.amdhsa_private_segment_fixed_size 64
		.amdhsa_kernarg_size 400
		.amdhsa_user_sgpr_count 2
		.amdhsa_user_sgpr_dispatch_ptr 0
		.amdhsa_user_sgpr_queue_ptr 0
		.amdhsa_user_sgpr_kernarg_segment_ptr 1
		.amdhsa_user_sgpr_dispatch_id 0
		.amdhsa_user_sgpr_kernarg_preload_length 0
		.amdhsa_user_sgpr_kernarg_preload_offset 0
		.amdhsa_user_sgpr_private_segment_size 0
		.amdhsa_wavefront_size32 1
		.amdhsa_uses_dynamic_stack 0
		.amdhsa_enable_private_segment 1
		.amdhsa_system_sgpr_workgroup_id_x 1
		.amdhsa_system_sgpr_workgroup_id_y 0
		.amdhsa_system_sgpr_workgroup_id_z 0
		.amdhsa_system_sgpr_workgroup_info 0
		.amdhsa_system_vgpr_workitem_id 0
		.amdhsa_next_free_vgpr 51
		.amdhsa_next_free_sgpr 34
		.amdhsa_named_barrier_count 0
		.amdhsa_reserve_vcc 1
		.amdhsa_float_round_mode_32 0
		.amdhsa_float_round_mode_16_64 0
		.amdhsa_float_denorm_mode_32 3
		.amdhsa_float_denorm_mode_16_64 3
		.amdhsa_fp16_overflow 0
		.amdhsa_memory_ordered 1
		.amdhsa_forward_progress 1
		.amdhsa_inst_pref_size 1
		.amdhsa_round_robin_scheduling 0
		.amdhsa_exception_fp_ieee_invalid_op 0
		.amdhsa_exception_fp_denorm_src 0
		.amdhsa_exception_fp_ieee_div_zero 0
		.amdhsa_exception_fp_ieee_overflow 0
		.amdhsa_exception_fp_ieee_underflow 0
		.amdhsa_exception_fp_ieee_inexact 0
		.amdhsa_exception_int_div_zero 0
	.end_amdhsa_kernel
	.section	.text._Z39paged_attention_ll4mi_QKV_mfma16_kernelI14__hip_bfloat16hLN4vllm18Fp8KVCacheDataTypeE1ES0_Li16ELi64ELi256ELb1ELi3EEvPKT_PKT0_S8_ifPKiSA_SA_iPKfiiiPfSD_PS3_PT2_iSC_SC_,"axG",@progbits,_Z39paged_attention_ll4mi_QKV_mfma16_kernelI14__hip_bfloat16hLN4vllm18Fp8KVCacheDataTypeE1ES0_Li16ELi64ELi256ELb1ELi3EEvPKT_PKT0_S8_ifPKiSA_SA_iPKfiiiPfSD_PS3_PT2_iSC_SC_,comdat
.Lfunc_end1148:
	.size	_Z39paged_attention_ll4mi_QKV_mfma16_kernelI14__hip_bfloat16hLN4vllm18Fp8KVCacheDataTypeE1ES0_Li16ELi64ELi256ELb1ELi3EEvPKT_PKT0_S8_ifPKiSA_SA_iPKfiiiPfSD_PS3_PT2_iSC_SC_, .Lfunc_end1148-_Z39paged_attention_ll4mi_QKV_mfma16_kernelI14__hip_bfloat16hLN4vllm18Fp8KVCacheDataTypeE1ES0_Li16ELi64ELi256ELb1ELi3EEvPKT_PKT0_S8_ifPKiSA_SA_iPKfiiiPfSD_PS3_PT2_iSC_SC_
                                        ; -- End function
	.set _Z39paged_attention_ll4mi_QKV_mfma16_kernelI14__hip_bfloat16hLN4vllm18Fp8KVCacheDataTypeE1ES0_Li16ELi64ELi256ELb1ELi3EEvPKT_PKT0_S8_ifPKiSA_SA_iPKfiiiPfSD_PS3_PT2_iSC_SC_.num_vgpr, max(3, .L__assert_fail.num_vgpr)
	.set _Z39paged_attention_ll4mi_QKV_mfma16_kernelI14__hip_bfloat16hLN4vllm18Fp8KVCacheDataTypeE1ES0_Li16ELi64ELi256ELb1ELi3EEvPKT_PKT0_S8_ifPKiSA_SA_iPKfiiiPfSD_PS3_PT2_iSC_SC_.num_agpr, max(0, .L__assert_fail.num_agpr)
	.set _Z39paged_attention_ll4mi_QKV_mfma16_kernelI14__hip_bfloat16hLN4vllm18Fp8KVCacheDataTypeE1ES0_Li16ELi64ELi256ELb1ELi3EEvPKT_PKT0_S8_ifPKiSA_SA_iPKfiiiPfSD_PS3_PT2_iSC_SC_.numbered_sgpr, max(33, .L__assert_fail.numbered_sgpr)
	.set _Z39paged_attention_ll4mi_QKV_mfma16_kernelI14__hip_bfloat16hLN4vllm18Fp8KVCacheDataTypeE1ES0_Li16ELi64ELi256ELb1ELi3EEvPKT_PKT0_S8_ifPKiSA_SA_iPKfiiiPfSD_PS3_PT2_iSC_SC_.num_named_barrier, max(0, .L__assert_fail.num_named_barrier)
	.set _Z39paged_attention_ll4mi_QKV_mfma16_kernelI14__hip_bfloat16hLN4vllm18Fp8KVCacheDataTypeE1ES0_Li16ELi64ELi256ELb1ELi3EEvPKT_PKT0_S8_ifPKiSA_SA_iPKfiiiPfSD_PS3_PT2_iSC_SC_.private_seg_size, 0+max(.L__assert_fail.private_seg_size)
	.set _Z39paged_attention_ll4mi_QKV_mfma16_kernelI14__hip_bfloat16hLN4vllm18Fp8KVCacheDataTypeE1ES0_Li16ELi64ELi256ELb1ELi3EEvPKT_PKT0_S8_ifPKiSA_SA_iPKfiiiPfSD_PS3_PT2_iSC_SC_.uses_vcc, or(1, .L__assert_fail.uses_vcc)
	.set _Z39paged_attention_ll4mi_QKV_mfma16_kernelI14__hip_bfloat16hLN4vllm18Fp8KVCacheDataTypeE1ES0_Li16ELi64ELi256ELb1ELi3EEvPKT_PKT0_S8_ifPKiSA_SA_iPKfiiiPfSD_PS3_PT2_iSC_SC_.uses_flat_scratch, or(0, .L__assert_fail.uses_flat_scratch)
	.set _Z39paged_attention_ll4mi_QKV_mfma16_kernelI14__hip_bfloat16hLN4vllm18Fp8KVCacheDataTypeE1ES0_Li16ELi64ELi256ELb1ELi3EEvPKT_PKT0_S8_ifPKiSA_SA_iPKfiiiPfSD_PS3_PT2_iSC_SC_.has_dyn_sized_stack, or(0, .L__assert_fail.has_dyn_sized_stack)
	.set _Z39paged_attention_ll4mi_QKV_mfma16_kernelI14__hip_bfloat16hLN4vllm18Fp8KVCacheDataTypeE1ES0_Li16ELi64ELi256ELb1ELi3EEvPKT_PKT0_S8_ifPKiSA_SA_iPKfiiiPfSD_PS3_PT2_iSC_SC_.has_recursion, or(0, .L__assert_fail.has_recursion)
	.set _Z39paged_attention_ll4mi_QKV_mfma16_kernelI14__hip_bfloat16hLN4vllm18Fp8KVCacheDataTypeE1ES0_Li16ELi64ELi256ELb1ELi3EEvPKT_PKT0_S8_ifPKiSA_SA_iPKfiiiPfSD_PS3_PT2_iSC_SC_.has_indirect_call, or(0, .L__assert_fail.has_indirect_call)
	.section	.AMDGPU.csdata,"",@progbits
; Kernel info:
; codeLenInByte = 68
; TotalNumSgprs: 36
; NumVgprs: 51
; ScratchSize: 64
; MemoryBound: 0
; FloatMode: 240
; IeeeMode: 1
; LDSByteSize: 0 bytes/workgroup (compile time only)
; SGPRBlocks: 0
; VGPRBlocks: 3
; NumSGPRsForWavesPerEU: 36
; NumVGPRsForWavesPerEU: 51
; NamedBarCnt: 0
; Occupancy: 16
; WaveLimiterHint : 1
; COMPUTE_PGM_RSRC2:SCRATCH_EN: 1
; COMPUTE_PGM_RSRC2:USER_SGPR: 2
; COMPUTE_PGM_RSRC2:TRAP_HANDLER: 0
; COMPUTE_PGM_RSRC2:TGID_X_EN: 1
; COMPUTE_PGM_RSRC2:TGID_Y_EN: 0
; COMPUTE_PGM_RSRC2:TGID_Z_EN: 0
; COMPUTE_PGM_RSRC2:TIDIG_COMP_CNT: 0
	.section	.text._Z39paged_attention_ll4mi_QKV_mfma16_kernelI14__hip_bfloat16hLN4vllm18Fp8KVCacheDataTypeE1ES0_Li16ELi64ELi256ELb1ELi4EEvPKT_PKT0_S8_ifPKiSA_SA_iPKfiiiPfSD_PS3_PT2_iSC_SC_,"axG",@progbits,_Z39paged_attention_ll4mi_QKV_mfma16_kernelI14__hip_bfloat16hLN4vllm18Fp8KVCacheDataTypeE1ES0_Li16ELi64ELi256ELb1ELi4EEvPKT_PKT0_S8_ifPKiSA_SA_iPKfiiiPfSD_PS3_PT2_iSC_SC_,comdat
	.protected	_Z39paged_attention_ll4mi_QKV_mfma16_kernelI14__hip_bfloat16hLN4vllm18Fp8KVCacheDataTypeE1ES0_Li16ELi64ELi256ELb1ELi4EEvPKT_PKT0_S8_ifPKiSA_SA_iPKfiiiPfSD_PS3_PT2_iSC_SC_ ; -- Begin function _Z39paged_attention_ll4mi_QKV_mfma16_kernelI14__hip_bfloat16hLN4vllm18Fp8KVCacheDataTypeE1ES0_Li16ELi64ELi256ELb1ELi4EEvPKT_PKT0_S8_ifPKiSA_SA_iPKfiiiPfSD_PS3_PT2_iSC_SC_
	.globl	_Z39paged_attention_ll4mi_QKV_mfma16_kernelI14__hip_bfloat16hLN4vllm18Fp8KVCacheDataTypeE1ES0_Li16ELi64ELi256ELb1ELi4EEvPKT_PKT0_S8_ifPKiSA_SA_iPKfiiiPfSD_PS3_PT2_iSC_SC_
	.p2align	8
	.type	_Z39paged_attention_ll4mi_QKV_mfma16_kernelI14__hip_bfloat16hLN4vllm18Fp8KVCacheDataTypeE1ES0_Li16ELi64ELi256ELb1ELi4EEvPKT_PKT0_S8_ifPKiSA_SA_iPKfiiiPfSD_PS3_PT2_iSC_SC_,@function
_Z39paged_attention_ll4mi_QKV_mfma16_kernelI14__hip_bfloat16hLN4vllm18Fp8KVCacheDataTypeE1ES0_Li16ELi64ELi256ELb1ELi4EEvPKT_PKT0_S8_ifPKiSA_SA_iPKfiiiPfSD_PS3_PT2_iSC_SC_: ; @_Z39paged_attention_ll4mi_QKV_mfma16_kernelI14__hip_bfloat16hLN4vllm18Fp8KVCacheDataTypeE1ES0_Li16ELi64ELi256ELb1ELi4EEvPKT_PKT0_S8_ifPKiSA_SA_iPKfiiiPfSD_PS3_PT2_iSC_SC_
; %bb.0:
	s_get_pc_i64 s[2:3]
	s_add_nc_u64 s[2:3], s[2:3], __PRETTY_FUNCTION__._Z39paged_attention_ll4mi_QKV_mfma16_kernelI14__hip_bfloat16hLN4vllm18Fp8KVCacheDataTypeE1ES0_Li16ELi64ELi256ELb1ELi4EEvPKT_PKT0_S8_ifPKiSA_SA_iPKfiiiPfSD_PS3_PT2_iSC_SC_@rel64+4
	s_delay_alu instid0(SALU_CYCLE_1)
	v_dual_mov_b32 v0, 0xbb3 :: v_dual_mov_b32 v1, s2
	v_mov_b32_e32 v2, s3
	s_add_nc_u64 s[8:9], s[0:1], 0x90
	s_get_pc_i64 s[0:1]
	s_add_nc_u64 s[0:1], s[0:1], __assert_fail@rel64+4
	s_mov_b32 s32, 0
	s_swap_pc_i64 s[30:31], s[0:1]
	.section	.rodata,"a",@progbits
	.p2align	6, 0x0
	.amdhsa_kernel _Z39paged_attention_ll4mi_QKV_mfma16_kernelI14__hip_bfloat16hLN4vllm18Fp8KVCacheDataTypeE1ES0_Li16ELi64ELi256ELb1ELi4EEvPKT_PKT0_S8_ifPKiSA_SA_iPKfiiiPfSD_PS3_PT2_iSC_SC_
		.amdhsa_group_segment_fixed_size 0
		.amdhsa_private_segment_fixed_size 64
		.amdhsa_kernarg_size 400
		.amdhsa_user_sgpr_count 2
		.amdhsa_user_sgpr_dispatch_ptr 0
		.amdhsa_user_sgpr_queue_ptr 0
		.amdhsa_user_sgpr_kernarg_segment_ptr 1
		.amdhsa_user_sgpr_dispatch_id 0
		.amdhsa_user_sgpr_kernarg_preload_length 0
		.amdhsa_user_sgpr_kernarg_preload_offset 0
		.amdhsa_user_sgpr_private_segment_size 0
		.amdhsa_wavefront_size32 1
		.amdhsa_uses_dynamic_stack 0
		.amdhsa_enable_private_segment 1
		.amdhsa_system_sgpr_workgroup_id_x 1
		.amdhsa_system_sgpr_workgroup_id_y 0
		.amdhsa_system_sgpr_workgroup_id_z 0
		.amdhsa_system_sgpr_workgroup_info 0
		.amdhsa_system_vgpr_workitem_id 0
		.amdhsa_next_free_vgpr 51
		.amdhsa_next_free_sgpr 34
		.amdhsa_named_barrier_count 0
		.amdhsa_reserve_vcc 1
		.amdhsa_float_round_mode_32 0
		.amdhsa_float_round_mode_16_64 0
		.amdhsa_float_denorm_mode_32 3
		.amdhsa_float_denorm_mode_16_64 3
		.amdhsa_fp16_overflow 0
		.amdhsa_memory_ordered 1
		.amdhsa_forward_progress 1
		.amdhsa_inst_pref_size 1
		.amdhsa_round_robin_scheduling 0
		.amdhsa_exception_fp_ieee_invalid_op 0
		.amdhsa_exception_fp_denorm_src 0
		.amdhsa_exception_fp_ieee_div_zero 0
		.amdhsa_exception_fp_ieee_overflow 0
		.amdhsa_exception_fp_ieee_underflow 0
		.amdhsa_exception_fp_ieee_inexact 0
		.amdhsa_exception_int_div_zero 0
	.end_amdhsa_kernel
	.section	.text._Z39paged_attention_ll4mi_QKV_mfma16_kernelI14__hip_bfloat16hLN4vllm18Fp8KVCacheDataTypeE1ES0_Li16ELi64ELi256ELb1ELi4EEvPKT_PKT0_S8_ifPKiSA_SA_iPKfiiiPfSD_PS3_PT2_iSC_SC_,"axG",@progbits,_Z39paged_attention_ll4mi_QKV_mfma16_kernelI14__hip_bfloat16hLN4vllm18Fp8KVCacheDataTypeE1ES0_Li16ELi64ELi256ELb1ELi4EEvPKT_PKT0_S8_ifPKiSA_SA_iPKfiiiPfSD_PS3_PT2_iSC_SC_,comdat
.Lfunc_end1149:
	.size	_Z39paged_attention_ll4mi_QKV_mfma16_kernelI14__hip_bfloat16hLN4vllm18Fp8KVCacheDataTypeE1ES0_Li16ELi64ELi256ELb1ELi4EEvPKT_PKT0_S8_ifPKiSA_SA_iPKfiiiPfSD_PS3_PT2_iSC_SC_, .Lfunc_end1149-_Z39paged_attention_ll4mi_QKV_mfma16_kernelI14__hip_bfloat16hLN4vllm18Fp8KVCacheDataTypeE1ES0_Li16ELi64ELi256ELb1ELi4EEvPKT_PKT0_S8_ifPKiSA_SA_iPKfiiiPfSD_PS3_PT2_iSC_SC_
                                        ; -- End function
	.set _Z39paged_attention_ll4mi_QKV_mfma16_kernelI14__hip_bfloat16hLN4vllm18Fp8KVCacheDataTypeE1ES0_Li16ELi64ELi256ELb1ELi4EEvPKT_PKT0_S8_ifPKiSA_SA_iPKfiiiPfSD_PS3_PT2_iSC_SC_.num_vgpr, max(3, .L__assert_fail.num_vgpr)
	.set _Z39paged_attention_ll4mi_QKV_mfma16_kernelI14__hip_bfloat16hLN4vllm18Fp8KVCacheDataTypeE1ES0_Li16ELi64ELi256ELb1ELi4EEvPKT_PKT0_S8_ifPKiSA_SA_iPKfiiiPfSD_PS3_PT2_iSC_SC_.num_agpr, max(0, .L__assert_fail.num_agpr)
	.set _Z39paged_attention_ll4mi_QKV_mfma16_kernelI14__hip_bfloat16hLN4vllm18Fp8KVCacheDataTypeE1ES0_Li16ELi64ELi256ELb1ELi4EEvPKT_PKT0_S8_ifPKiSA_SA_iPKfiiiPfSD_PS3_PT2_iSC_SC_.numbered_sgpr, max(33, .L__assert_fail.numbered_sgpr)
	.set _Z39paged_attention_ll4mi_QKV_mfma16_kernelI14__hip_bfloat16hLN4vllm18Fp8KVCacheDataTypeE1ES0_Li16ELi64ELi256ELb1ELi4EEvPKT_PKT0_S8_ifPKiSA_SA_iPKfiiiPfSD_PS3_PT2_iSC_SC_.num_named_barrier, max(0, .L__assert_fail.num_named_barrier)
	.set _Z39paged_attention_ll4mi_QKV_mfma16_kernelI14__hip_bfloat16hLN4vllm18Fp8KVCacheDataTypeE1ES0_Li16ELi64ELi256ELb1ELi4EEvPKT_PKT0_S8_ifPKiSA_SA_iPKfiiiPfSD_PS3_PT2_iSC_SC_.private_seg_size, 0+max(.L__assert_fail.private_seg_size)
	.set _Z39paged_attention_ll4mi_QKV_mfma16_kernelI14__hip_bfloat16hLN4vllm18Fp8KVCacheDataTypeE1ES0_Li16ELi64ELi256ELb1ELi4EEvPKT_PKT0_S8_ifPKiSA_SA_iPKfiiiPfSD_PS3_PT2_iSC_SC_.uses_vcc, or(1, .L__assert_fail.uses_vcc)
	.set _Z39paged_attention_ll4mi_QKV_mfma16_kernelI14__hip_bfloat16hLN4vllm18Fp8KVCacheDataTypeE1ES0_Li16ELi64ELi256ELb1ELi4EEvPKT_PKT0_S8_ifPKiSA_SA_iPKfiiiPfSD_PS3_PT2_iSC_SC_.uses_flat_scratch, or(0, .L__assert_fail.uses_flat_scratch)
	.set _Z39paged_attention_ll4mi_QKV_mfma16_kernelI14__hip_bfloat16hLN4vllm18Fp8KVCacheDataTypeE1ES0_Li16ELi64ELi256ELb1ELi4EEvPKT_PKT0_S8_ifPKiSA_SA_iPKfiiiPfSD_PS3_PT2_iSC_SC_.has_dyn_sized_stack, or(0, .L__assert_fail.has_dyn_sized_stack)
	.set _Z39paged_attention_ll4mi_QKV_mfma16_kernelI14__hip_bfloat16hLN4vllm18Fp8KVCacheDataTypeE1ES0_Li16ELi64ELi256ELb1ELi4EEvPKT_PKT0_S8_ifPKiSA_SA_iPKfiiiPfSD_PS3_PT2_iSC_SC_.has_recursion, or(0, .L__assert_fail.has_recursion)
	.set _Z39paged_attention_ll4mi_QKV_mfma16_kernelI14__hip_bfloat16hLN4vllm18Fp8KVCacheDataTypeE1ES0_Li16ELi64ELi256ELb1ELi4EEvPKT_PKT0_S8_ifPKiSA_SA_iPKfiiiPfSD_PS3_PT2_iSC_SC_.has_indirect_call, or(0, .L__assert_fail.has_indirect_call)
	.section	.AMDGPU.csdata,"",@progbits
; Kernel info:
; codeLenInByte = 68
; TotalNumSgprs: 36
; NumVgprs: 51
; ScratchSize: 64
; MemoryBound: 0
; FloatMode: 240
; IeeeMode: 1
; LDSByteSize: 0 bytes/workgroup (compile time only)
; SGPRBlocks: 0
; VGPRBlocks: 3
; NumSGPRsForWavesPerEU: 36
; NumVGPRsForWavesPerEU: 51
; NamedBarCnt: 0
; Occupancy: 16
; WaveLimiterHint : 1
; COMPUTE_PGM_RSRC2:SCRATCH_EN: 1
; COMPUTE_PGM_RSRC2:USER_SGPR: 2
; COMPUTE_PGM_RSRC2:TRAP_HANDLER: 0
; COMPUTE_PGM_RSRC2:TGID_X_EN: 1
; COMPUTE_PGM_RSRC2:TGID_Y_EN: 0
; COMPUTE_PGM_RSRC2:TGID_Z_EN: 0
; COMPUTE_PGM_RSRC2:TIDIG_COMP_CNT: 0
	.section	.text._Z38paged_attention_ll4mi_QKV_mfma4_kernelI14__hip_bfloat16hLN4vllm18Fp8KVCacheDataTypeE1ES0_Li16ELi64ELi256ELb0ELi1EEvPKT_PKT0_S8_ifPKiSA_SA_iPKfiiiPfSD_PS3_PT2_iSC_SC_,"axG",@progbits,_Z38paged_attention_ll4mi_QKV_mfma4_kernelI14__hip_bfloat16hLN4vllm18Fp8KVCacheDataTypeE1ES0_Li16ELi64ELi256ELb0ELi1EEvPKT_PKT0_S8_ifPKiSA_SA_iPKfiiiPfSD_PS3_PT2_iSC_SC_,comdat
	.protected	_Z38paged_attention_ll4mi_QKV_mfma4_kernelI14__hip_bfloat16hLN4vllm18Fp8KVCacheDataTypeE1ES0_Li16ELi64ELi256ELb0ELi1EEvPKT_PKT0_S8_ifPKiSA_SA_iPKfiiiPfSD_PS3_PT2_iSC_SC_ ; -- Begin function _Z38paged_attention_ll4mi_QKV_mfma4_kernelI14__hip_bfloat16hLN4vllm18Fp8KVCacheDataTypeE1ES0_Li16ELi64ELi256ELb0ELi1EEvPKT_PKT0_S8_ifPKiSA_SA_iPKfiiiPfSD_PS3_PT2_iSC_SC_
	.globl	_Z38paged_attention_ll4mi_QKV_mfma4_kernelI14__hip_bfloat16hLN4vllm18Fp8KVCacheDataTypeE1ES0_Li16ELi64ELi256ELb0ELi1EEvPKT_PKT0_S8_ifPKiSA_SA_iPKfiiiPfSD_PS3_PT2_iSC_SC_
	.p2align	8
	.type	_Z38paged_attention_ll4mi_QKV_mfma4_kernelI14__hip_bfloat16hLN4vllm18Fp8KVCacheDataTypeE1ES0_Li16ELi64ELi256ELb0ELi1EEvPKT_PKT0_S8_ifPKiSA_SA_iPKfiiiPfSD_PS3_PT2_iSC_SC_,@function
_Z38paged_attention_ll4mi_QKV_mfma4_kernelI14__hip_bfloat16hLN4vllm18Fp8KVCacheDataTypeE1ES0_Li16ELi64ELi256ELb0ELi1EEvPKT_PKT0_S8_ifPKiSA_SA_iPKfiiiPfSD_PS3_PT2_iSC_SC_: ; @_Z38paged_attention_ll4mi_QKV_mfma4_kernelI14__hip_bfloat16hLN4vllm18Fp8KVCacheDataTypeE1ES0_Li16ELi64ELi256ELb0ELi1EEvPKT_PKT0_S8_ifPKiSA_SA_iPKfiiiPfSD_PS3_PT2_iSC_SC_
; %bb.0:
	s_get_pc_i64 s[2:3]
	s_add_nc_u64 s[2:3], s[2:3], __PRETTY_FUNCTION__._Z38paged_attention_ll4mi_QKV_mfma4_kernelI14__hip_bfloat16hLN4vllm18Fp8KVCacheDataTypeE1ES0_Li16ELi64ELi256ELb0ELi1EEvPKT_PKT0_S8_ifPKiSA_SA_iPKfiiiPfSD_PS3_PT2_iSC_SC_@rel64+4
	s_delay_alu instid0(SALU_CYCLE_1)
	v_dual_mov_b32 v0, 0xbce :: v_dual_mov_b32 v1, s2
	v_mov_b32_e32 v2, s3
	s_add_nc_u64 s[8:9], s[0:1], 0x90
	s_get_pc_i64 s[0:1]
	s_add_nc_u64 s[0:1], s[0:1], __assert_fail@rel64+4
	s_mov_b32 s32, 0
	s_swap_pc_i64 s[30:31], s[0:1]
	.section	.rodata,"a",@progbits
	.p2align	6, 0x0
	.amdhsa_kernel _Z38paged_attention_ll4mi_QKV_mfma4_kernelI14__hip_bfloat16hLN4vllm18Fp8KVCacheDataTypeE1ES0_Li16ELi64ELi256ELb0ELi1EEvPKT_PKT0_S8_ifPKiSA_SA_iPKfiiiPfSD_PS3_PT2_iSC_SC_
		.amdhsa_group_segment_fixed_size 0
		.amdhsa_private_segment_fixed_size 64
		.amdhsa_kernarg_size 400
		.amdhsa_user_sgpr_count 2
		.amdhsa_user_sgpr_dispatch_ptr 0
		.amdhsa_user_sgpr_queue_ptr 0
		.amdhsa_user_sgpr_kernarg_segment_ptr 1
		.amdhsa_user_sgpr_dispatch_id 0
		.amdhsa_user_sgpr_kernarg_preload_length 0
		.amdhsa_user_sgpr_kernarg_preload_offset 0
		.amdhsa_user_sgpr_private_segment_size 0
		.amdhsa_wavefront_size32 1
		.amdhsa_uses_dynamic_stack 0
		.amdhsa_enable_private_segment 1
		.amdhsa_system_sgpr_workgroup_id_x 1
		.amdhsa_system_sgpr_workgroup_id_y 0
		.amdhsa_system_sgpr_workgroup_id_z 0
		.amdhsa_system_sgpr_workgroup_info 0
		.amdhsa_system_vgpr_workitem_id 0
		.amdhsa_next_free_vgpr 51
		.amdhsa_next_free_sgpr 34
		.amdhsa_named_barrier_count 0
		.amdhsa_reserve_vcc 1
		.amdhsa_float_round_mode_32 0
		.amdhsa_float_round_mode_16_64 0
		.amdhsa_float_denorm_mode_32 3
		.amdhsa_float_denorm_mode_16_64 3
		.amdhsa_fp16_overflow 0
		.amdhsa_memory_ordered 1
		.amdhsa_forward_progress 1
		.amdhsa_inst_pref_size 1
		.amdhsa_round_robin_scheduling 0
		.amdhsa_exception_fp_ieee_invalid_op 0
		.amdhsa_exception_fp_denorm_src 0
		.amdhsa_exception_fp_ieee_div_zero 0
		.amdhsa_exception_fp_ieee_overflow 0
		.amdhsa_exception_fp_ieee_underflow 0
		.amdhsa_exception_fp_ieee_inexact 0
		.amdhsa_exception_int_div_zero 0
	.end_amdhsa_kernel
	.section	.text._Z38paged_attention_ll4mi_QKV_mfma4_kernelI14__hip_bfloat16hLN4vllm18Fp8KVCacheDataTypeE1ES0_Li16ELi64ELi256ELb0ELi1EEvPKT_PKT0_S8_ifPKiSA_SA_iPKfiiiPfSD_PS3_PT2_iSC_SC_,"axG",@progbits,_Z38paged_attention_ll4mi_QKV_mfma4_kernelI14__hip_bfloat16hLN4vllm18Fp8KVCacheDataTypeE1ES0_Li16ELi64ELi256ELb0ELi1EEvPKT_PKT0_S8_ifPKiSA_SA_iPKfiiiPfSD_PS3_PT2_iSC_SC_,comdat
.Lfunc_end1150:
	.size	_Z38paged_attention_ll4mi_QKV_mfma4_kernelI14__hip_bfloat16hLN4vllm18Fp8KVCacheDataTypeE1ES0_Li16ELi64ELi256ELb0ELi1EEvPKT_PKT0_S8_ifPKiSA_SA_iPKfiiiPfSD_PS3_PT2_iSC_SC_, .Lfunc_end1150-_Z38paged_attention_ll4mi_QKV_mfma4_kernelI14__hip_bfloat16hLN4vllm18Fp8KVCacheDataTypeE1ES0_Li16ELi64ELi256ELb0ELi1EEvPKT_PKT0_S8_ifPKiSA_SA_iPKfiiiPfSD_PS3_PT2_iSC_SC_
                                        ; -- End function
	.set _Z38paged_attention_ll4mi_QKV_mfma4_kernelI14__hip_bfloat16hLN4vllm18Fp8KVCacheDataTypeE1ES0_Li16ELi64ELi256ELb0ELi1EEvPKT_PKT0_S8_ifPKiSA_SA_iPKfiiiPfSD_PS3_PT2_iSC_SC_.num_vgpr, max(3, .L__assert_fail.num_vgpr)
	.set _Z38paged_attention_ll4mi_QKV_mfma4_kernelI14__hip_bfloat16hLN4vllm18Fp8KVCacheDataTypeE1ES0_Li16ELi64ELi256ELb0ELi1EEvPKT_PKT0_S8_ifPKiSA_SA_iPKfiiiPfSD_PS3_PT2_iSC_SC_.num_agpr, max(0, .L__assert_fail.num_agpr)
	.set _Z38paged_attention_ll4mi_QKV_mfma4_kernelI14__hip_bfloat16hLN4vllm18Fp8KVCacheDataTypeE1ES0_Li16ELi64ELi256ELb0ELi1EEvPKT_PKT0_S8_ifPKiSA_SA_iPKfiiiPfSD_PS3_PT2_iSC_SC_.numbered_sgpr, max(33, .L__assert_fail.numbered_sgpr)
	.set _Z38paged_attention_ll4mi_QKV_mfma4_kernelI14__hip_bfloat16hLN4vllm18Fp8KVCacheDataTypeE1ES0_Li16ELi64ELi256ELb0ELi1EEvPKT_PKT0_S8_ifPKiSA_SA_iPKfiiiPfSD_PS3_PT2_iSC_SC_.num_named_barrier, max(0, .L__assert_fail.num_named_barrier)
	.set _Z38paged_attention_ll4mi_QKV_mfma4_kernelI14__hip_bfloat16hLN4vllm18Fp8KVCacheDataTypeE1ES0_Li16ELi64ELi256ELb0ELi1EEvPKT_PKT0_S8_ifPKiSA_SA_iPKfiiiPfSD_PS3_PT2_iSC_SC_.private_seg_size, 0+max(.L__assert_fail.private_seg_size)
	.set _Z38paged_attention_ll4mi_QKV_mfma4_kernelI14__hip_bfloat16hLN4vllm18Fp8KVCacheDataTypeE1ES0_Li16ELi64ELi256ELb0ELi1EEvPKT_PKT0_S8_ifPKiSA_SA_iPKfiiiPfSD_PS3_PT2_iSC_SC_.uses_vcc, or(1, .L__assert_fail.uses_vcc)
	.set _Z38paged_attention_ll4mi_QKV_mfma4_kernelI14__hip_bfloat16hLN4vllm18Fp8KVCacheDataTypeE1ES0_Li16ELi64ELi256ELb0ELi1EEvPKT_PKT0_S8_ifPKiSA_SA_iPKfiiiPfSD_PS3_PT2_iSC_SC_.uses_flat_scratch, or(0, .L__assert_fail.uses_flat_scratch)
	.set _Z38paged_attention_ll4mi_QKV_mfma4_kernelI14__hip_bfloat16hLN4vllm18Fp8KVCacheDataTypeE1ES0_Li16ELi64ELi256ELb0ELi1EEvPKT_PKT0_S8_ifPKiSA_SA_iPKfiiiPfSD_PS3_PT2_iSC_SC_.has_dyn_sized_stack, or(0, .L__assert_fail.has_dyn_sized_stack)
	.set _Z38paged_attention_ll4mi_QKV_mfma4_kernelI14__hip_bfloat16hLN4vllm18Fp8KVCacheDataTypeE1ES0_Li16ELi64ELi256ELb0ELi1EEvPKT_PKT0_S8_ifPKiSA_SA_iPKfiiiPfSD_PS3_PT2_iSC_SC_.has_recursion, or(0, .L__assert_fail.has_recursion)
	.set _Z38paged_attention_ll4mi_QKV_mfma4_kernelI14__hip_bfloat16hLN4vllm18Fp8KVCacheDataTypeE1ES0_Li16ELi64ELi256ELb0ELi1EEvPKT_PKT0_S8_ifPKiSA_SA_iPKfiiiPfSD_PS3_PT2_iSC_SC_.has_indirect_call, or(0, .L__assert_fail.has_indirect_call)
	.section	.AMDGPU.csdata,"",@progbits
; Kernel info:
; codeLenInByte = 68
; TotalNumSgprs: 36
; NumVgprs: 51
; ScratchSize: 64
; MemoryBound: 0
; FloatMode: 240
; IeeeMode: 1
; LDSByteSize: 0 bytes/workgroup (compile time only)
; SGPRBlocks: 0
; VGPRBlocks: 3
; NumSGPRsForWavesPerEU: 36
; NumVGPRsForWavesPerEU: 51
; NamedBarCnt: 0
; Occupancy: 16
; WaveLimiterHint : 1
; COMPUTE_PGM_RSRC2:SCRATCH_EN: 1
; COMPUTE_PGM_RSRC2:USER_SGPR: 2
; COMPUTE_PGM_RSRC2:TRAP_HANDLER: 0
; COMPUTE_PGM_RSRC2:TGID_X_EN: 1
; COMPUTE_PGM_RSRC2:TGID_Y_EN: 0
; COMPUTE_PGM_RSRC2:TGID_Z_EN: 0
; COMPUTE_PGM_RSRC2:TIDIG_COMP_CNT: 0
	.section	.text._Z38paged_attention_ll4mi_QKV_mfma4_kernelI14__hip_bfloat16hLN4vllm18Fp8KVCacheDataTypeE1ES0_Li16ELi64ELi256ELb0ELi2EEvPKT_PKT0_S8_ifPKiSA_SA_iPKfiiiPfSD_PS3_PT2_iSC_SC_,"axG",@progbits,_Z38paged_attention_ll4mi_QKV_mfma4_kernelI14__hip_bfloat16hLN4vllm18Fp8KVCacheDataTypeE1ES0_Li16ELi64ELi256ELb0ELi2EEvPKT_PKT0_S8_ifPKiSA_SA_iPKfiiiPfSD_PS3_PT2_iSC_SC_,comdat
	.protected	_Z38paged_attention_ll4mi_QKV_mfma4_kernelI14__hip_bfloat16hLN4vllm18Fp8KVCacheDataTypeE1ES0_Li16ELi64ELi256ELb0ELi2EEvPKT_PKT0_S8_ifPKiSA_SA_iPKfiiiPfSD_PS3_PT2_iSC_SC_ ; -- Begin function _Z38paged_attention_ll4mi_QKV_mfma4_kernelI14__hip_bfloat16hLN4vllm18Fp8KVCacheDataTypeE1ES0_Li16ELi64ELi256ELb0ELi2EEvPKT_PKT0_S8_ifPKiSA_SA_iPKfiiiPfSD_PS3_PT2_iSC_SC_
	.globl	_Z38paged_attention_ll4mi_QKV_mfma4_kernelI14__hip_bfloat16hLN4vllm18Fp8KVCacheDataTypeE1ES0_Li16ELi64ELi256ELb0ELi2EEvPKT_PKT0_S8_ifPKiSA_SA_iPKfiiiPfSD_PS3_PT2_iSC_SC_
	.p2align	8
	.type	_Z38paged_attention_ll4mi_QKV_mfma4_kernelI14__hip_bfloat16hLN4vllm18Fp8KVCacheDataTypeE1ES0_Li16ELi64ELi256ELb0ELi2EEvPKT_PKT0_S8_ifPKiSA_SA_iPKfiiiPfSD_PS3_PT2_iSC_SC_,@function
_Z38paged_attention_ll4mi_QKV_mfma4_kernelI14__hip_bfloat16hLN4vllm18Fp8KVCacheDataTypeE1ES0_Li16ELi64ELi256ELb0ELi2EEvPKT_PKT0_S8_ifPKiSA_SA_iPKfiiiPfSD_PS3_PT2_iSC_SC_: ; @_Z38paged_attention_ll4mi_QKV_mfma4_kernelI14__hip_bfloat16hLN4vllm18Fp8KVCacheDataTypeE1ES0_Li16ELi64ELi256ELb0ELi2EEvPKT_PKT0_S8_ifPKiSA_SA_iPKfiiiPfSD_PS3_PT2_iSC_SC_
; %bb.0:
	s_get_pc_i64 s[2:3]
	s_add_nc_u64 s[2:3], s[2:3], __PRETTY_FUNCTION__._Z38paged_attention_ll4mi_QKV_mfma4_kernelI14__hip_bfloat16hLN4vllm18Fp8KVCacheDataTypeE1ES0_Li16ELi64ELi256ELb0ELi2EEvPKT_PKT0_S8_ifPKiSA_SA_iPKfiiiPfSD_PS3_PT2_iSC_SC_@rel64+4
	s_delay_alu instid0(SALU_CYCLE_1)
	v_dual_mov_b32 v0, 0xbce :: v_dual_mov_b32 v1, s2
	v_mov_b32_e32 v2, s3
	s_add_nc_u64 s[8:9], s[0:1], 0x90
	s_get_pc_i64 s[0:1]
	s_add_nc_u64 s[0:1], s[0:1], __assert_fail@rel64+4
	s_mov_b32 s32, 0
	s_swap_pc_i64 s[30:31], s[0:1]
	.section	.rodata,"a",@progbits
	.p2align	6, 0x0
	.amdhsa_kernel _Z38paged_attention_ll4mi_QKV_mfma4_kernelI14__hip_bfloat16hLN4vllm18Fp8KVCacheDataTypeE1ES0_Li16ELi64ELi256ELb0ELi2EEvPKT_PKT0_S8_ifPKiSA_SA_iPKfiiiPfSD_PS3_PT2_iSC_SC_
		.amdhsa_group_segment_fixed_size 0
		.amdhsa_private_segment_fixed_size 64
		.amdhsa_kernarg_size 400
		.amdhsa_user_sgpr_count 2
		.amdhsa_user_sgpr_dispatch_ptr 0
		.amdhsa_user_sgpr_queue_ptr 0
		.amdhsa_user_sgpr_kernarg_segment_ptr 1
		.amdhsa_user_sgpr_dispatch_id 0
		.amdhsa_user_sgpr_kernarg_preload_length 0
		.amdhsa_user_sgpr_kernarg_preload_offset 0
		.amdhsa_user_sgpr_private_segment_size 0
		.amdhsa_wavefront_size32 1
		.amdhsa_uses_dynamic_stack 0
		.amdhsa_enable_private_segment 1
		.amdhsa_system_sgpr_workgroup_id_x 1
		.amdhsa_system_sgpr_workgroup_id_y 0
		.amdhsa_system_sgpr_workgroup_id_z 0
		.amdhsa_system_sgpr_workgroup_info 0
		.amdhsa_system_vgpr_workitem_id 0
		.amdhsa_next_free_vgpr 51
		.amdhsa_next_free_sgpr 34
		.amdhsa_named_barrier_count 0
		.amdhsa_reserve_vcc 1
		.amdhsa_float_round_mode_32 0
		.amdhsa_float_round_mode_16_64 0
		.amdhsa_float_denorm_mode_32 3
		.amdhsa_float_denorm_mode_16_64 3
		.amdhsa_fp16_overflow 0
		.amdhsa_memory_ordered 1
		.amdhsa_forward_progress 1
		.amdhsa_inst_pref_size 1
		.amdhsa_round_robin_scheduling 0
		.amdhsa_exception_fp_ieee_invalid_op 0
		.amdhsa_exception_fp_denorm_src 0
		.amdhsa_exception_fp_ieee_div_zero 0
		.amdhsa_exception_fp_ieee_overflow 0
		.amdhsa_exception_fp_ieee_underflow 0
		.amdhsa_exception_fp_ieee_inexact 0
		.amdhsa_exception_int_div_zero 0
	.end_amdhsa_kernel
	.section	.text._Z38paged_attention_ll4mi_QKV_mfma4_kernelI14__hip_bfloat16hLN4vllm18Fp8KVCacheDataTypeE1ES0_Li16ELi64ELi256ELb0ELi2EEvPKT_PKT0_S8_ifPKiSA_SA_iPKfiiiPfSD_PS3_PT2_iSC_SC_,"axG",@progbits,_Z38paged_attention_ll4mi_QKV_mfma4_kernelI14__hip_bfloat16hLN4vllm18Fp8KVCacheDataTypeE1ES0_Li16ELi64ELi256ELb0ELi2EEvPKT_PKT0_S8_ifPKiSA_SA_iPKfiiiPfSD_PS3_PT2_iSC_SC_,comdat
.Lfunc_end1151:
	.size	_Z38paged_attention_ll4mi_QKV_mfma4_kernelI14__hip_bfloat16hLN4vllm18Fp8KVCacheDataTypeE1ES0_Li16ELi64ELi256ELb0ELi2EEvPKT_PKT0_S8_ifPKiSA_SA_iPKfiiiPfSD_PS3_PT2_iSC_SC_, .Lfunc_end1151-_Z38paged_attention_ll4mi_QKV_mfma4_kernelI14__hip_bfloat16hLN4vllm18Fp8KVCacheDataTypeE1ES0_Li16ELi64ELi256ELb0ELi2EEvPKT_PKT0_S8_ifPKiSA_SA_iPKfiiiPfSD_PS3_PT2_iSC_SC_
                                        ; -- End function
	.set _Z38paged_attention_ll4mi_QKV_mfma4_kernelI14__hip_bfloat16hLN4vllm18Fp8KVCacheDataTypeE1ES0_Li16ELi64ELi256ELb0ELi2EEvPKT_PKT0_S8_ifPKiSA_SA_iPKfiiiPfSD_PS3_PT2_iSC_SC_.num_vgpr, max(3, .L__assert_fail.num_vgpr)
	.set _Z38paged_attention_ll4mi_QKV_mfma4_kernelI14__hip_bfloat16hLN4vllm18Fp8KVCacheDataTypeE1ES0_Li16ELi64ELi256ELb0ELi2EEvPKT_PKT0_S8_ifPKiSA_SA_iPKfiiiPfSD_PS3_PT2_iSC_SC_.num_agpr, max(0, .L__assert_fail.num_agpr)
	.set _Z38paged_attention_ll4mi_QKV_mfma4_kernelI14__hip_bfloat16hLN4vllm18Fp8KVCacheDataTypeE1ES0_Li16ELi64ELi256ELb0ELi2EEvPKT_PKT0_S8_ifPKiSA_SA_iPKfiiiPfSD_PS3_PT2_iSC_SC_.numbered_sgpr, max(33, .L__assert_fail.numbered_sgpr)
	.set _Z38paged_attention_ll4mi_QKV_mfma4_kernelI14__hip_bfloat16hLN4vllm18Fp8KVCacheDataTypeE1ES0_Li16ELi64ELi256ELb0ELi2EEvPKT_PKT0_S8_ifPKiSA_SA_iPKfiiiPfSD_PS3_PT2_iSC_SC_.num_named_barrier, max(0, .L__assert_fail.num_named_barrier)
	.set _Z38paged_attention_ll4mi_QKV_mfma4_kernelI14__hip_bfloat16hLN4vllm18Fp8KVCacheDataTypeE1ES0_Li16ELi64ELi256ELb0ELi2EEvPKT_PKT0_S8_ifPKiSA_SA_iPKfiiiPfSD_PS3_PT2_iSC_SC_.private_seg_size, 0+max(.L__assert_fail.private_seg_size)
	.set _Z38paged_attention_ll4mi_QKV_mfma4_kernelI14__hip_bfloat16hLN4vllm18Fp8KVCacheDataTypeE1ES0_Li16ELi64ELi256ELb0ELi2EEvPKT_PKT0_S8_ifPKiSA_SA_iPKfiiiPfSD_PS3_PT2_iSC_SC_.uses_vcc, or(1, .L__assert_fail.uses_vcc)
	.set _Z38paged_attention_ll4mi_QKV_mfma4_kernelI14__hip_bfloat16hLN4vllm18Fp8KVCacheDataTypeE1ES0_Li16ELi64ELi256ELb0ELi2EEvPKT_PKT0_S8_ifPKiSA_SA_iPKfiiiPfSD_PS3_PT2_iSC_SC_.uses_flat_scratch, or(0, .L__assert_fail.uses_flat_scratch)
	.set _Z38paged_attention_ll4mi_QKV_mfma4_kernelI14__hip_bfloat16hLN4vllm18Fp8KVCacheDataTypeE1ES0_Li16ELi64ELi256ELb0ELi2EEvPKT_PKT0_S8_ifPKiSA_SA_iPKfiiiPfSD_PS3_PT2_iSC_SC_.has_dyn_sized_stack, or(0, .L__assert_fail.has_dyn_sized_stack)
	.set _Z38paged_attention_ll4mi_QKV_mfma4_kernelI14__hip_bfloat16hLN4vllm18Fp8KVCacheDataTypeE1ES0_Li16ELi64ELi256ELb0ELi2EEvPKT_PKT0_S8_ifPKiSA_SA_iPKfiiiPfSD_PS3_PT2_iSC_SC_.has_recursion, or(0, .L__assert_fail.has_recursion)
	.set _Z38paged_attention_ll4mi_QKV_mfma4_kernelI14__hip_bfloat16hLN4vllm18Fp8KVCacheDataTypeE1ES0_Li16ELi64ELi256ELb0ELi2EEvPKT_PKT0_S8_ifPKiSA_SA_iPKfiiiPfSD_PS3_PT2_iSC_SC_.has_indirect_call, or(0, .L__assert_fail.has_indirect_call)
	.section	.AMDGPU.csdata,"",@progbits
; Kernel info:
; codeLenInByte = 68
; TotalNumSgprs: 36
; NumVgprs: 51
; ScratchSize: 64
; MemoryBound: 0
; FloatMode: 240
; IeeeMode: 1
; LDSByteSize: 0 bytes/workgroup (compile time only)
; SGPRBlocks: 0
; VGPRBlocks: 3
; NumSGPRsForWavesPerEU: 36
; NumVGPRsForWavesPerEU: 51
; NamedBarCnt: 0
; Occupancy: 16
; WaveLimiterHint : 1
; COMPUTE_PGM_RSRC2:SCRATCH_EN: 1
; COMPUTE_PGM_RSRC2:USER_SGPR: 2
; COMPUTE_PGM_RSRC2:TRAP_HANDLER: 0
; COMPUTE_PGM_RSRC2:TGID_X_EN: 1
; COMPUTE_PGM_RSRC2:TGID_Y_EN: 0
; COMPUTE_PGM_RSRC2:TGID_Z_EN: 0
; COMPUTE_PGM_RSRC2:TIDIG_COMP_CNT: 0
	.section	.text._Z38paged_attention_ll4mi_QKV_mfma4_kernelI14__hip_bfloat16hLN4vllm18Fp8KVCacheDataTypeE1ES0_Li16ELi64ELi256ELb0ELi3EEvPKT_PKT0_S8_ifPKiSA_SA_iPKfiiiPfSD_PS3_PT2_iSC_SC_,"axG",@progbits,_Z38paged_attention_ll4mi_QKV_mfma4_kernelI14__hip_bfloat16hLN4vllm18Fp8KVCacheDataTypeE1ES0_Li16ELi64ELi256ELb0ELi3EEvPKT_PKT0_S8_ifPKiSA_SA_iPKfiiiPfSD_PS3_PT2_iSC_SC_,comdat
	.protected	_Z38paged_attention_ll4mi_QKV_mfma4_kernelI14__hip_bfloat16hLN4vllm18Fp8KVCacheDataTypeE1ES0_Li16ELi64ELi256ELb0ELi3EEvPKT_PKT0_S8_ifPKiSA_SA_iPKfiiiPfSD_PS3_PT2_iSC_SC_ ; -- Begin function _Z38paged_attention_ll4mi_QKV_mfma4_kernelI14__hip_bfloat16hLN4vllm18Fp8KVCacheDataTypeE1ES0_Li16ELi64ELi256ELb0ELi3EEvPKT_PKT0_S8_ifPKiSA_SA_iPKfiiiPfSD_PS3_PT2_iSC_SC_
	.globl	_Z38paged_attention_ll4mi_QKV_mfma4_kernelI14__hip_bfloat16hLN4vllm18Fp8KVCacheDataTypeE1ES0_Li16ELi64ELi256ELb0ELi3EEvPKT_PKT0_S8_ifPKiSA_SA_iPKfiiiPfSD_PS3_PT2_iSC_SC_
	.p2align	8
	.type	_Z38paged_attention_ll4mi_QKV_mfma4_kernelI14__hip_bfloat16hLN4vllm18Fp8KVCacheDataTypeE1ES0_Li16ELi64ELi256ELb0ELi3EEvPKT_PKT0_S8_ifPKiSA_SA_iPKfiiiPfSD_PS3_PT2_iSC_SC_,@function
_Z38paged_attention_ll4mi_QKV_mfma4_kernelI14__hip_bfloat16hLN4vllm18Fp8KVCacheDataTypeE1ES0_Li16ELi64ELi256ELb0ELi3EEvPKT_PKT0_S8_ifPKiSA_SA_iPKfiiiPfSD_PS3_PT2_iSC_SC_: ; @_Z38paged_attention_ll4mi_QKV_mfma4_kernelI14__hip_bfloat16hLN4vllm18Fp8KVCacheDataTypeE1ES0_Li16ELi64ELi256ELb0ELi3EEvPKT_PKT0_S8_ifPKiSA_SA_iPKfiiiPfSD_PS3_PT2_iSC_SC_
; %bb.0:
	s_get_pc_i64 s[2:3]
	s_add_nc_u64 s[2:3], s[2:3], __PRETTY_FUNCTION__._Z38paged_attention_ll4mi_QKV_mfma4_kernelI14__hip_bfloat16hLN4vllm18Fp8KVCacheDataTypeE1ES0_Li16ELi64ELi256ELb0ELi3EEvPKT_PKT0_S8_ifPKiSA_SA_iPKfiiiPfSD_PS3_PT2_iSC_SC_@rel64+4
	s_delay_alu instid0(SALU_CYCLE_1)
	v_dual_mov_b32 v0, 0xbce :: v_dual_mov_b32 v1, s2
	v_mov_b32_e32 v2, s3
	s_add_nc_u64 s[8:9], s[0:1], 0x90
	s_get_pc_i64 s[0:1]
	s_add_nc_u64 s[0:1], s[0:1], __assert_fail@rel64+4
	s_mov_b32 s32, 0
	s_swap_pc_i64 s[30:31], s[0:1]
	.section	.rodata,"a",@progbits
	.p2align	6, 0x0
	.amdhsa_kernel _Z38paged_attention_ll4mi_QKV_mfma4_kernelI14__hip_bfloat16hLN4vllm18Fp8KVCacheDataTypeE1ES0_Li16ELi64ELi256ELb0ELi3EEvPKT_PKT0_S8_ifPKiSA_SA_iPKfiiiPfSD_PS3_PT2_iSC_SC_
		.amdhsa_group_segment_fixed_size 0
		.amdhsa_private_segment_fixed_size 64
		.amdhsa_kernarg_size 400
		.amdhsa_user_sgpr_count 2
		.amdhsa_user_sgpr_dispatch_ptr 0
		.amdhsa_user_sgpr_queue_ptr 0
		.amdhsa_user_sgpr_kernarg_segment_ptr 1
		.amdhsa_user_sgpr_dispatch_id 0
		.amdhsa_user_sgpr_kernarg_preload_length 0
		.amdhsa_user_sgpr_kernarg_preload_offset 0
		.amdhsa_user_sgpr_private_segment_size 0
		.amdhsa_wavefront_size32 1
		.amdhsa_uses_dynamic_stack 0
		.amdhsa_enable_private_segment 1
		.amdhsa_system_sgpr_workgroup_id_x 1
		.amdhsa_system_sgpr_workgroup_id_y 0
		.amdhsa_system_sgpr_workgroup_id_z 0
		.amdhsa_system_sgpr_workgroup_info 0
		.amdhsa_system_vgpr_workitem_id 0
		.amdhsa_next_free_vgpr 51
		.amdhsa_next_free_sgpr 34
		.amdhsa_named_barrier_count 0
		.amdhsa_reserve_vcc 1
		.amdhsa_float_round_mode_32 0
		.amdhsa_float_round_mode_16_64 0
		.amdhsa_float_denorm_mode_32 3
		.amdhsa_float_denorm_mode_16_64 3
		.amdhsa_fp16_overflow 0
		.amdhsa_memory_ordered 1
		.amdhsa_forward_progress 1
		.amdhsa_inst_pref_size 1
		.amdhsa_round_robin_scheduling 0
		.amdhsa_exception_fp_ieee_invalid_op 0
		.amdhsa_exception_fp_denorm_src 0
		.amdhsa_exception_fp_ieee_div_zero 0
		.amdhsa_exception_fp_ieee_overflow 0
		.amdhsa_exception_fp_ieee_underflow 0
		.amdhsa_exception_fp_ieee_inexact 0
		.amdhsa_exception_int_div_zero 0
	.end_amdhsa_kernel
	.section	.text._Z38paged_attention_ll4mi_QKV_mfma4_kernelI14__hip_bfloat16hLN4vllm18Fp8KVCacheDataTypeE1ES0_Li16ELi64ELi256ELb0ELi3EEvPKT_PKT0_S8_ifPKiSA_SA_iPKfiiiPfSD_PS3_PT2_iSC_SC_,"axG",@progbits,_Z38paged_attention_ll4mi_QKV_mfma4_kernelI14__hip_bfloat16hLN4vllm18Fp8KVCacheDataTypeE1ES0_Li16ELi64ELi256ELb0ELi3EEvPKT_PKT0_S8_ifPKiSA_SA_iPKfiiiPfSD_PS3_PT2_iSC_SC_,comdat
.Lfunc_end1152:
	.size	_Z38paged_attention_ll4mi_QKV_mfma4_kernelI14__hip_bfloat16hLN4vllm18Fp8KVCacheDataTypeE1ES0_Li16ELi64ELi256ELb0ELi3EEvPKT_PKT0_S8_ifPKiSA_SA_iPKfiiiPfSD_PS3_PT2_iSC_SC_, .Lfunc_end1152-_Z38paged_attention_ll4mi_QKV_mfma4_kernelI14__hip_bfloat16hLN4vllm18Fp8KVCacheDataTypeE1ES0_Li16ELi64ELi256ELb0ELi3EEvPKT_PKT0_S8_ifPKiSA_SA_iPKfiiiPfSD_PS3_PT2_iSC_SC_
                                        ; -- End function
	.set _Z38paged_attention_ll4mi_QKV_mfma4_kernelI14__hip_bfloat16hLN4vllm18Fp8KVCacheDataTypeE1ES0_Li16ELi64ELi256ELb0ELi3EEvPKT_PKT0_S8_ifPKiSA_SA_iPKfiiiPfSD_PS3_PT2_iSC_SC_.num_vgpr, max(3, .L__assert_fail.num_vgpr)
	.set _Z38paged_attention_ll4mi_QKV_mfma4_kernelI14__hip_bfloat16hLN4vllm18Fp8KVCacheDataTypeE1ES0_Li16ELi64ELi256ELb0ELi3EEvPKT_PKT0_S8_ifPKiSA_SA_iPKfiiiPfSD_PS3_PT2_iSC_SC_.num_agpr, max(0, .L__assert_fail.num_agpr)
	.set _Z38paged_attention_ll4mi_QKV_mfma4_kernelI14__hip_bfloat16hLN4vllm18Fp8KVCacheDataTypeE1ES0_Li16ELi64ELi256ELb0ELi3EEvPKT_PKT0_S8_ifPKiSA_SA_iPKfiiiPfSD_PS3_PT2_iSC_SC_.numbered_sgpr, max(33, .L__assert_fail.numbered_sgpr)
	.set _Z38paged_attention_ll4mi_QKV_mfma4_kernelI14__hip_bfloat16hLN4vllm18Fp8KVCacheDataTypeE1ES0_Li16ELi64ELi256ELb0ELi3EEvPKT_PKT0_S8_ifPKiSA_SA_iPKfiiiPfSD_PS3_PT2_iSC_SC_.num_named_barrier, max(0, .L__assert_fail.num_named_barrier)
	.set _Z38paged_attention_ll4mi_QKV_mfma4_kernelI14__hip_bfloat16hLN4vllm18Fp8KVCacheDataTypeE1ES0_Li16ELi64ELi256ELb0ELi3EEvPKT_PKT0_S8_ifPKiSA_SA_iPKfiiiPfSD_PS3_PT2_iSC_SC_.private_seg_size, 0+max(.L__assert_fail.private_seg_size)
	.set _Z38paged_attention_ll4mi_QKV_mfma4_kernelI14__hip_bfloat16hLN4vllm18Fp8KVCacheDataTypeE1ES0_Li16ELi64ELi256ELb0ELi3EEvPKT_PKT0_S8_ifPKiSA_SA_iPKfiiiPfSD_PS3_PT2_iSC_SC_.uses_vcc, or(1, .L__assert_fail.uses_vcc)
	.set _Z38paged_attention_ll4mi_QKV_mfma4_kernelI14__hip_bfloat16hLN4vllm18Fp8KVCacheDataTypeE1ES0_Li16ELi64ELi256ELb0ELi3EEvPKT_PKT0_S8_ifPKiSA_SA_iPKfiiiPfSD_PS3_PT2_iSC_SC_.uses_flat_scratch, or(0, .L__assert_fail.uses_flat_scratch)
	.set _Z38paged_attention_ll4mi_QKV_mfma4_kernelI14__hip_bfloat16hLN4vllm18Fp8KVCacheDataTypeE1ES0_Li16ELi64ELi256ELb0ELi3EEvPKT_PKT0_S8_ifPKiSA_SA_iPKfiiiPfSD_PS3_PT2_iSC_SC_.has_dyn_sized_stack, or(0, .L__assert_fail.has_dyn_sized_stack)
	.set _Z38paged_attention_ll4mi_QKV_mfma4_kernelI14__hip_bfloat16hLN4vllm18Fp8KVCacheDataTypeE1ES0_Li16ELi64ELi256ELb0ELi3EEvPKT_PKT0_S8_ifPKiSA_SA_iPKfiiiPfSD_PS3_PT2_iSC_SC_.has_recursion, or(0, .L__assert_fail.has_recursion)
	.set _Z38paged_attention_ll4mi_QKV_mfma4_kernelI14__hip_bfloat16hLN4vllm18Fp8KVCacheDataTypeE1ES0_Li16ELi64ELi256ELb0ELi3EEvPKT_PKT0_S8_ifPKiSA_SA_iPKfiiiPfSD_PS3_PT2_iSC_SC_.has_indirect_call, or(0, .L__assert_fail.has_indirect_call)
	.section	.AMDGPU.csdata,"",@progbits
; Kernel info:
; codeLenInByte = 68
; TotalNumSgprs: 36
; NumVgprs: 51
; ScratchSize: 64
; MemoryBound: 0
; FloatMode: 240
; IeeeMode: 1
; LDSByteSize: 0 bytes/workgroup (compile time only)
; SGPRBlocks: 0
; VGPRBlocks: 3
; NumSGPRsForWavesPerEU: 36
; NumVGPRsForWavesPerEU: 51
; NamedBarCnt: 0
; Occupancy: 16
; WaveLimiterHint : 1
; COMPUTE_PGM_RSRC2:SCRATCH_EN: 1
; COMPUTE_PGM_RSRC2:USER_SGPR: 2
; COMPUTE_PGM_RSRC2:TRAP_HANDLER: 0
; COMPUTE_PGM_RSRC2:TGID_X_EN: 1
; COMPUTE_PGM_RSRC2:TGID_Y_EN: 0
; COMPUTE_PGM_RSRC2:TGID_Z_EN: 0
; COMPUTE_PGM_RSRC2:TIDIG_COMP_CNT: 0
	.section	.text._Z38paged_attention_ll4mi_QKV_mfma4_kernelI14__hip_bfloat16hLN4vllm18Fp8KVCacheDataTypeE1ES0_Li16ELi64ELi256ELb0ELi4EEvPKT_PKT0_S8_ifPKiSA_SA_iPKfiiiPfSD_PS3_PT2_iSC_SC_,"axG",@progbits,_Z38paged_attention_ll4mi_QKV_mfma4_kernelI14__hip_bfloat16hLN4vllm18Fp8KVCacheDataTypeE1ES0_Li16ELi64ELi256ELb0ELi4EEvPKT_PKT0_S8_ifPKiSA_SA_iPKfiiiPfSD_PS3_PT2_iSC_SC_,comdat
	.protected	_Z38paged_attention_ll4mi_QKV_mfma4_kernelI14__hip_bfloat16hLN4vllm18Fp8KVCacheDataTypeE1ES0_Li16ELi64ELi256ELb0ELi4EEvPKT_PKT0_S8_ifPKiSA_SA_iPKfiiiPfSD_PS3_PT2_iSC_SC_ ; -- Begin function _Z38paged_attention_ll4mi_QKV_mfma4_kernelI14__hip_bfloat16hLN4vllm18Fp8KVCacheDataTypeE1ES0_Li16ELi64ELi256ELb0ELi4EEvPKT_PKT0_S8_ifPKiSA_SA_iPKfiiiPfSD_PS3_PT2_iSC_SC_
	.globl	_Z38paged_attention_ll4mi_QKV_mfma4_kernelI14__hip_bfloat16hLN4vllm18Fp8KVCacheDataTypeE1ES0_Li16ELi64ELi256ELb0ELi4EEvPKT_PKT0_S8_ifPKiSA_SA_iPKfiiiPfSD_PS3_PT2_iSC_SC_
	.p2align	8
	.type	_Z38paged_attention_ll4mi_QKV_mfma4_kernelI14__hip_bfloat16hLN4vllm18Fp8KVCacheDataTypeE1ES0_Li16ELi64ELi256ELb0ELi4EEvPKT_PKT0_S8_ifPKiSA_SA_iPKfiiiPfSD_PS3_PT2_iSC_SC_,@function
_Z38paged_attention_ll4mi_QKV_mfma4_kernelI14__hip_bfloat16hLN4vllm18Fp8KVCacheDataTypeE1ES0_Li16ELi64ELi256ELb0ELi4EEvPKT_PKT0_S8_ifPKiSA_SA_iPKfiiiPfSD_PS3_PT2_iSC_SC_: ; @_Z38paged_attention_ll4mi_QKV_mfma4_kernelI14__hip_bfloat16hLN4vllm18Fp8KVCacheDataTypeE1ES0_Li16ELi64ELi256ELb0ELi4EEvPKT_PKT0_S8_ifPKiSA_SA_iPKfiiiPfSD_PS3_PT2_iSC_SC_
; %bb.0:
	s_get_pc_i64 s[2:3]
	s_add_nc_u64 s[2:3], s[2:3], __PRETTY_FUNCTION__._Z38paged_attention_ll4mi_QKV_mfma4_kernelI14__hip_bfloat16hLN4vllm18Fp8KVCacheDataTypeE1ES0_Li16ELi64ELi256ELb0ELi4EEvPKT_PKT0_S8_ifPKiSA_SA_iPKfiiiPfSD_PS3_PT2_iSC_SC_@rel64+4
	s_delay_alu instid0(SALU_CYCLE_1)
	v_dual_mov_b32 v0, 0xbce :: v_dual_mov_b32 v1, s2
	v_mov_b32_e32 v2, s3
	s_add_nc_u64 s[8:9], s[0:1], 0x90
	s_get_pc_i64 s[0:1]
	s_add_nc_u64 s[0:1], s[0:1], __assert_fail@rel64+4
	s_mov_b32 s32, 0
	s_swap_pc_i64 s[30:31], s[0:1]
	.section	.rodata,"a",@progbits
	.p2align	6, 0x0
	.amdhsa_kernel _Z38paged_attention_ll4mi_QKV_mfma4_kernelI14__hip_bfloat16hLN4vllm18Fp8KVCacheDataTypeE1ES0_Li16ELi64ELi256ELb0ELi4EEvPKT_PKT0_S8_ifPKiSA_SA_iPKfiiiPfSD_PS3_PT2_iSC_SC_
		.amdhsa_group_segment_fixed_size 0
		.amdhsa_private_segment_fixed_size 64
		.amdhsa_kernarg_size 400
		.amdhsa_user_sgpr_count 2
		.amdhsa_user_sgpr_dispatch_ptr 0
		.amdhsa_user_sgpr_queue_ptr 0
		.amdhsa_user_sgpr_kernarg_segment_ptr 1
		.amdhsa_user_sgpr_dispatch_id 0
		.amdhsa_user_sgpr_kernarg_preload_length 0
		.amdhsa_user_sgpr_kernarg_preload_offset 0
		.amdhsa_user_sgpr_private_segment_size 0
		.amdhsa_wavefront_size32 1
		.amdhsa_uses_dynamic_stack 0
		.amdhsa_enable_private_segment 1
		.amdhsa_system_sgpr_workgroup_id_x 1
		.amdhsa_system_sgpr_workgroup_id_y 0
		.amdhsa_system_sgpr_workgroup_id_z 0
		.amdhsa_system_sgpr_workgroup_info 0
		.amdhsa_system_vgpr_workitem_id 0
		.amdhsa_next_free_vgpr 51
		.amdhsa_next_free_sgpr 34
		.amdhsa_named_barrier_count 0
		.amdhsa_reserve_vcc 1
		.amdhsa_float_round_mode_32 0
		.amdhsa_float_round_mode_16_64 0
		.amdhsa_float_denorm_mode_32 3
		.amdhsa_float_denorm_mode_16_64 3
		.amdhsa_fp16_overflow 0
		.amdhsa_memory_ordered 1
		.amdhsa_forward_progress 1
		.amdhsa_inst_pref_size 1
		.amdhsa_round_robin_scheduling 0
		.amdhsa_exception_fp_ieee_invalid_op 0
		.amdhsa_exception_fp_denorm_src 0
		.amdhsa_exception_fp_ieee_div_zero 0
		.amdhsa_exception_fp_ieee_overflow 0
		.amdhsa_exception_fp_ieee_underflow 0
		.amdhsa_exception_fp_ieee_inexact 0
		.amdhsa_exception_int_div_zero 0
	.end_amdhsa_kernel
	.section	.text._Z38paged_attention_ll4mi_QKV_mfma4_kernelI14__hip_bfloat16hLN4vllm18Fp8KVCacheDataTypeE1ES0_Li16ELi64ELi256ELb0ELi4EEvPKT_PKT0_S8_ifPKiSA_SA_iPKfiiiPfSD_PS3_PT2_iSC_SC_,"axG",@progbits,_Z38paged_attention_ll4mi_QKV_mfma4_kernelI14__hip_bfloat16hLN4vllm18Fp8KVCacheDataTypeE1ES0_Li16ELi64ELi256ELb0ELi4EEvPKT_PKT0_S8_ifPKiSA_SA_iPKfiiiPfSD_PS3_PT2_iSC_SC_,comdat
.Lfunc_end1153:
	.size	_Z38paged_attention_ll4mi_QKV_mfma4_kernelI14__hip_bfloat16hLN4vllm18Fp8KVCacheDataTypeE1ES0_Li16ELi64ELi256ELb0ELi4EEvPKT_PKT0_S8_ifPKiSA_SA_iPKfiiiPfSD_PS3_PT2_iSC_SC_, .Lfunc_end1153-_Z38paged_attention_ll4mi_QKV_mfma4_kernelI14__hip_bfloat16hLN4vllm18Fp8KVCacheDataTypeE1ES0_Li16ELi64ELi256ELb0ELi4EEvPKT_PKT0_S8_ifPKiSA_SA_iPKfiiiPfSD_PS3_PT2_iSC_SC_
                                        ; -- End function
	.set _Z38paged_attention_ll4mi_QKV_mfma4_kernelI14__hip_bfloat16hLN4vllm18Fp8KVCacheDataTypeE1ES0_Li16ELi64ELi256ELb0ELi4EEvPKT_PKT0_S8_ifPKiSA_SA_iPKfiiiPfSD_PS3_PT2_iSC_SC_.num_vgpr, max(3, .L__assert_fail.num_vgpr)
	.set _Z38paged_attention_ll4mi_QKV_mfma4_kernelI14__hip_bfloat16hLN4vllm18Fp8KVCacheDataTypeE1ES0_Li16ELi64ELi256ELb0ELi4EEvPKT_PKT0_S8_ifPKiSA_SA_iPKfiiiPfSD_PS3_PT2_iSC_SC_.num_agpr, max(0, .L__assert_fail.num_agpr)
	.set _Z38paged_attention_ll4mi_QKV_mfma4_kernelI14__hip_bfloat16hLN4vllm18Fp8KVCacheDataTypeE1ES0_Li16ELi64ELi256ELb0ELi4EEvPKT_PKT0_S8_ifPKiSA_SA_iPKfiiiPfSD_PS3_PT2_iSC_SC_.numbered_sgpr, max(33, .L__assert_fail.numbered_sgpr)
	.set _Z38paged_attention_ll4mi_QKV_mfma4_kernelI14__hip_bfloat16hLN4vllm18Fp8KVCacheDataTypeE1ES0_Li16ELi64ELi256ELb0ELi4EEvPKT_PKT0_S8_ifPKiSA_SA_iPKfiiiPfSD_PS3_PT2_iSC_SC_.num_named_barrier, max(0, .L__assert_fail.num_named_barrier)
	.set _Z38paged_attention_ll4mi_QKV_mfma4_kernelI14__hip_bfloat16hLN4vllm18Fp8KVCacheDataTypeE1ES0_Li16ELi64ELi256ELb0ELi4EEvPKT_PKT0_S8_ifPKiSA_SA_iPKfiiiPfSD_PS3_PT2_iSC_SC_.private_seg_size, 0+max(.L__assert_fail.private_seg_size)
	.set _Z38paged_attention_ll4mi_QKV_mfma4_kernelI14__hip_bfloat16hLN4vllm18Fp8KVCacheDataTypeE1ES0_Li16ELi64ELi256ELb0ELi4EEvPKT_PKT0_S8_ifPKiSA_SA_iPKfiiiPfSD_PS3_PT2_iSC_SC_.uses_vcc, or(1, .L__assert_fail.uses_vcc)
	.set _Z38paged_attention_ll4mi_QKV_mfma4_kernelI14__hip_bfloat16hLN4vllm18Fp8KVCacheDataTypeE1ES0_Li16ELi64ELi256ELb0ELi4EEvPKT_PKT0_S8_ifPKiSA_SA_iPKfiiiPfSD_PS3_PT2_iSC_SC_.uses_flat_scratch, or(0, .L__assert_fail.uses_flat_scratch)
	.set _Z38paged_attention_ll4mi_QKV_mfma4_kernelI14__hip_bfloat16hLN4vllm18Fp8KVCacheDataTypeE1ES0_Li16ELi64ELi256ELb0ELi4EEvPKT_PKT0_S8_ifPKiSA_SA_iPKfiiiPfSD_PS3_PT2_iSC_SC_.has_dyn_sized_stack, or(0, .L__assert_fail.has_dyn_sized_stack)
	.set _Z38paged_attention_ll4mi_QKV_mfma4_kernelI14__hip_bfloat16hLN4vllm18Fp8KVCacheDataTypeE1ES0_Li16ELi64ELi256ELb0ELi4EEvPKT_PKT0_S8_ifPKiSA_SA_iPKfiiiPfSD_PS3_PT2_iSC_SC_.has_recursion, or(0, .L__assert_fail.has_recursion)
	.set _Z38paged_attention_ll4mi_QKV_mfma4_kernelI14__hip_bfloat16hLN4vllm18Fp8KVCacheDataTypeE1ES0_Li16ELi64ELi256ELb0ELi4EEvPKT_PKT0_S8_ifPKiSA_SA_iPKfiiiPfSD_PS3_PT2_iSC_SC_.has_indirect_call, or(0, .L__assert_fail.has_indirect_call)
	.section	.AMDGPU.csdata,"",@progbits
; Kernel info:
; codeLenInByte = 68
; TotalNumSgprs: 36
; NumVgprs: 51
; ScratchSize: 64
; MemoryBound: 0
; FloatMode: 240
; IeeeMode: 1
; LDSByteSize: 0 bytes/workgroup (compile time only)
; SGPRBlocks: 0
; VGPRBlocks: 3
; NumSGPRsForWavesPerEU: 36
; NumVGPRsForWavesPerEU: 51
; NamedBarCnt: 0
; Occupancy: 16
; WaveLimiterHint : 1
; COMPUTE_PGM_RSRC2:SCRATCH_EN: 1
; COMPUTE_PGM_RSRC2:USER_SGPR: 2
; COMPUTE_PGM_RSRC2:TRAP_HANDLER: 0
; COMPUTE_PGM_RSRC2:TGID_X_EN: 1
; COMPUTE_PGM_RSRC2:TGID_Y_EN: 0
; COMPUTE_PGM_RSRC2:TGID_Z_EN: 0
; COMPUTE_PGM_RSRC2:TIDIG_COMP_CNT: 0
	.section	.text._Z39paged_attention_ll4mi_QKV_mfma16_kernelI14__hip_bfloat16hLN4vllm18Fp8KVCacheDataTypeE1ES0_Li16ELi64ELi256ELb0ELi5EEvPKT_PKT0_S8_ifPKiSA_SA_iPKfiiiPfSD_PS3_PT2_iSC_SC_,"axG",@progbits,_Z39paged_attention_ll4mi_QKV_mfma16_kernelI14__hip_bfloat16hLN4vllm18Fp8KVCacheDataTypeE1ES0_Li16ELi64ELi256ELb0ELi5EEvPKT_PKT0_S8_ifPKiSA_SA_iPKfiiiPfSD_PS3_PT2_iSC_SC_,comdat
	.protected	_Z39paged_attention_ll4mi_QKV_mfma16_kernelI14__hip_bfloat16hLN4vllm18Fp8KVCacheDataTypeE1ES0_Li16ELi64ELi256ELb0ELi5EEvPKT_PKT0_S8_ifPKiSA_SA_iPKfiiiPfSD_PS3_PT2_iSC_SC_ ; -- Begin function _Z39paged_attention_ll4mi_QKV_mfma16_kernelI14__hip_bfloat16hLN4vllm18Fp8KVCacheDataTypeE1ES0_Li16ELi64ELi256ELb0ELi5EEvPKT_PKT0_S8_ifPKiSA_SA_iPKfiiiPfSD_PS3_PT2_iSC_SC_
	.globl	_Z39paged_attention_ll4mi_QKV_mfma16_kernelI14__hip_bfloat16hLN4vllm18Fp8KVCacheDataTypeE1ES0_Li16ELi64ELi256ELb0ELi5EEvPKT_PKT0_S8_ifPKiSA_SA_iPKfiiiPfSD_PS3_PT2_iSC_SC_
	.p2align	8
	.type	_Z39paged_attention_ll4mi_QKV_mfma16_kernelI14__hip_bfloat16hLN4vllm18Fp8KVCacheDataTypeE1ES0_Li16ELi64ELi256ELb0ELi5EEvPKT_PKT0_S8_ifPKiSA_SA_iPKfiiiPfSD_PS3_PT2_iSC_SC_,@function
_Z39paged_attention_ll4mi_QKV_mfma16_kernelI14__hip_bfloat16hLN4vllm18Fp8KVCacheDataTypeE1ES0_Li16ELi64ELi256ELb0ELi5EEvPKT_PKT0_S8_ifPKiSA_SA_iPKfiiiPfSD_PS3_PT2_iSC_SC_: ; @_Z39paged_attention_ll4mi_QKV_mfma16_kernelI14__hip_bfloat16hLN4vllm18Fp8KVCacheDataTypeE1ES0_Li16ELi64ELi256ELb0ELi5EEvPKT_PKT0_S8_ifPKiSA_SA_iPKfiiiPfSD_PS3_PT2_iSC_SC_
; %bb.0:
	s_get_pc_i64 s[2:3]
	s_add_nc_u64 s[2:3], s[2:3], __PRETTY_FUNCTION__._Z39paged_attention_ll4mi_QKV_mfma16_kernelI14__hip_bfloat16hLN4vllm18Fp8KVCacheDataTypeE1ES0_Li16ELi64ELi256ELb0ELi5EEvPKT_PKT0_S8_ifPKiSA_SA_iPKfiiiPfSD_PS3_PT2_iSC_SC_@rel64+4
	s_delay_alu instid0(SALU_CYCLE_1)
	v_dual_mov_b32 v0, 0xbb3 :: v_dual_mov_b32 v1, s2
	v_mov_b32_e32 v2, s3
	s_add_nc_u64 s[8:9], s[0:1], 0x90
	s_get_pc_i64 s[0:1]
	s_add_nc_u64 s[0:1], s[0:1], __assert_fail@rel64+4
	s_mov_b32 s32, 0
	s_swap_pc_i64 s[30:31], s[0:1]
	.section	.rodata,"a",@progbits
	.p2align	6, 0x0
	.amdhsa_kernel _Z39paged_attention_ll4mi_QKV_mfma16_kernelI14__hip_bfloat16hLN4vllm18Fp8KVCacheDataTypeE1ES0_Li16ELi64ELi256ELb0ELi5EEvPKT_PKT0_S8_ifPKiSA_SA_iPKfiiiPfSD_PS3_PT2_iSC_SC_
		.amdhsa_group_segment_fixed_size 0
		.amdhsa_private_segment_fixed_size 64
		.amdhsa_kernarg_size 400
		.amdhsa_user_sgpr_count 2
		.amdhsa_user_sgpr_dispatch_ptr 0
		.amdhsa_user_sgpr_queue_ptr 0
		.amdhsa_user_sgpr_kernarg_segment_ptr 1
		.amdhsa_user_sgpr_dispatch_id 0
		.amdhsa_user_sgpr_kernarg_preload_length 0
		.amdhsa_user_sgpr_kernarg_preload_offset 0
		.amdhsa_user_sgpr_private_segment_size 0
		.amdhsa_wavefront_size32 1
		.amdhsa_uses_dynamic_stack 0
		.amdhsa_enable_private_segment 1
		.amdhsa_system_sgpr_workgroup_id_x 1
		.amdhsa_system_sgpr_workgroup_id_y 0
		.amdhsa_system_sgpr_workgroup_id_z 0
		.amdhsa_system_sgpr_workgroup_info 0
		.amdhsa_system_vgpr_workitem_id 0
		.amdhsa_next_free_vgpr 51
		.amdhsa_next_free_sgpr 34
		.amdhsa_named_barrier_count 0
		.amdhsa_reserve_vcc 1
		.amdhsa_float_round_mode_32 0
		.amdhsa_float_round_mode_16_64 0
		.amdhsa_float_denorm_mode_32 3
		.amdhsa_float_denorm_mode_16_64 3
		.amdhsa_fp16_overflow 0
		.amdhsa_memory_ordered 1
		.amdhsa_forward_progress 1
		.amdhsa_inst_pref_size 1
		.amdhsa_round_robin_scheduling 0
		.amdhsa_exception_fp_ieee_invalid_op 0
		.amdhsa_exception_fp_denorm_src 0
		.amdhsa_exception_fp_ieee_div_zero 0
		.amdhsa_exception_fp_ieee_overflow 0
		.amdhsa_exception_fp_ieee_underflow 0
		.amdhsa_exception_fp_ieee_inexact 0
		.amdhsa_exception_int_div_zero 0
	.end_amdhsa_kernel
	.section	.text._Z39paged_attention_ll4mi_QKV_mfma16_kernelI14__hip_bfloat16hLN4vllm18Fp8KVCacheDataTypeE1ES0_Li16ELi64ELi256ELb0ELi5EEvPKT_PKT0_S8_ifPKiSA_SA_iPKfiiiPfSD_PS3_PT2_iSC_SC_,"axG",@progbits,_Z39paged_attention_ll4mi_QKV_mfma16_kernelI14__hip_bfloat16hLN4vllm18Fp8KVCacheDataTypeE1ES0_Li16ELi64ELi256ELb0ELi5EEvPKT_PKT0_S8_ifPKiSA_SA_iPKfiiiPfSD_PS3_PT2_iSC_SC_,comdat
.Lfunc_end1154:
	.size	_Z39paged_attention_ll4mi_QKV_mfma16_kernelI14__hip_bfloat16hLN4vllm18Fp8KVCacheDataTypeE1ES0_Li16ELi64ELi256ELb0ELi5EEvPKT_PKT0_S8_ifPKiSA_SA_iPKfiiiPfSD_PS3_PT2_iSC_SC_, .Lfunc_end1154-_Z39paged_attention_ll4mi_QKV_mfma16_kernelI14__hip_bfloat16hLN4vllm18Fp8KVCacheDataTypeE1ES0_Li16ELi64ELi256ELb0ELi5EEvPKT_PKT0_S8_ifPKiSA_SA_iPKfiiiPfSD_PS3_PT2_iSC_SC_
                                        ; -- End function
	.set _Z39paged_attention_ll4mi_QKV_mfma16_kernelI14__hip_bfloat16hLN4vllm18Fp8KVCacheDataTypeE1ES0_Li16ELi64ELi256ELb0ELi5EEvPKT_PKT0_S8_ifPKiSA_SA_iPKfiiiPfSD_PS3_PT2_iSC_SC_.num_vgpr, max(3, .L__assert_fail.num_vgpr)
	.set _Z39paged_attention_ll4mi_QKV_mfma16_kernelI14__hip_bfloat16hLN4vllm18Fp8KVCacheDataTypeE1ES0_Li16ELi64ELi256ELb0ELi5EEvPKT_PKT0_S8_ifPKiSA_SA_iPKfiiiPfSD_PS3_PT2_iSC_SC_.num_agpr, max(0, .L__assert_fail.num_agpr)
	.set _Z39paged_attention_ll4mi_QKV_mfma16_kernelI14__hip_bfloat16hLN4vllm18Fp8KVCacheDataTypeE1ES0_Li16ELi64ELi256ELb0ELi5EEvPKT_PKT0_S8_ifPKiSA_SA_iPKfiiiPfSD_PS3_PT2_iSC_SC_.numbered_sgpr, max(33, .L__assert_fail.numbered_sgpr)
	.set _Z39paged_attention_ll4mi_QKV_mfma16_kernelI14__hip_bfloat16hLN4vllm18Fp8KVCacheDataTypeE1ES0_Li16ELi64ELi256ELb0ELi5EEvPKT_PKT0_S8_ifPKiSA_SA_iPKfiiiPfSD_PS3_PT2_iSC_SC_.num_named_barrier, max(0, .L__assert_fail.num_named_barrier)
	.set _Z39paged_attention_ll4mi_QKV_mfma16_kernelI14__hip_bfloat16hLN4vllm18Fp8KVCacheDataTypeE1ES0_Li16ELi64ELi256ELb0ELi5EEvPKT_PKT0_S8_ifPKiSA_SA_iPKfiiiPfSD_PS3_PT2_iSC_SC_.private_seg_size, 0+max(.L__assert_fail.private_seg_size)
	.set _Z39paged_attention_ll4mi_QKV_mfma16_kernelI14__hip_bfloat16hLN4vllm18Fp8KVCacheDataTypeE1ES0_Li16ELi64ELi256ELb0ELi5EEvPKT_PKT0_S8_ifPKiSA_SA_iPKfiiiPfSD_PS3_PT2_iSC_SC_.uses_vcc, or(1, .L__assert_fail.uses_vcc)
	.set _Z39paged_attention_ll4mi_QKV_mfma16_kernelI14__hip_bfloat16hLN4vllm18Fp8KVCacheDataTypeE1ES0_Li16ELi64ELi256ELb0ELi5EEvPKT_PKT0_S8_ifPKiSA_SA_iPKfiiiPfSD_PS3_PT2_iSC_SC_.uses_flat_scratch, or(0, .L__assert_fail.uses_flat_scratch)
	.set _Z39paged_attention_ll4mi_QKV_mfma16_kernelI14__hip_bfloat16hLN4vllm18Fp8KVCacheDataTypeE1ES0_Li16ELi64ELi256ELb0ELi5EEvPKT_PKT0_S8_ifPKiSA_SA_iPKfiiiPfSD_PS3_PT2_iSC_SC_.has_dyn_sized_stack, or(0, .L__assert_fail.has_dyn_sized_stack)
	.set _Z39paged_attention_ll4mi_QKV_mfma16_kernelI14__hip_bfloat16hLN4vllm18Fp8KVCacheDataTypeE1ES0_Li16ELi64ELi256ELb0ELi5EEvPKT_PKT0_S8_ifPKiSA_SA_iPKfiiiPfSD_PS3_PT2_iSC_SC_.has_recursion, or(0, .L__assert_fail.has_recursion)
	.set _Z39paged_attention_ll4mi_QKV_mfma16_kernelI14__hip_bfloat16hLN4vllm18Fp8KVCacheDataTypeE1ES0_Li16ELi64ELi256ELb0ELi5EEvPKT_PKT0_S8_ifPKiSA_SA_iPKfiiiPfSD_PS3_PT2_iSC_SC_.has_indirect_call, or(0, .L__assert_fail.has_indirect_call)
	.section	.AMDGPU.csdata,"",@progbits
; Kernel info:
; codeLenInByte = 68
; TotalNumSgprs: 36
; NumVgprs: 51
; ScratchSize: 64
; MemoryBound: 0
; FloatMode: 240
; IeeeMode: 1
; LDSByteSize: 0 bytes/workgroup (compile time only)
; SGPRBlocks: 0
; VGPRBlocks: 3
; NumSGPRsForWavesPerEU: 36
; NumVGPRsForWavesPerEU: 51
; NamedBarCnt: 0
; Occupancy: 16
; WaveLimiterHint : 1
; COMPUTE_PGM_RSRC2:SCRATCH_EN: 1
; COMPUTE_PGM_RSRC2:USER_SGPR: 2
; COMPUTE_PGM_RSRC2:TRAP_HANDLER: 0
; COMPUTE_PGM_RSRC2:TGID_X_EN: 1
; COMPUTE_PGM_RSRC2:TGID_Y_EN: 0
; COMPUTE_PGM_RSRC2:TGID_Z_EN: 0
; COMPUTE_PGM_RSRC2:TIDIG_COMP_CNT: 0
	.section	.text._Z39paged_attention_ll4mi_QKV_mfma16_kernelI14__hip_bfloat16hLN4vllm18Fp8KVCacheDataTypeE1ES0_Li16ELi64ELi256ELb0ELi6EEvPKT_PKT0_S8_ifPKiSA_SA_iPKfiiiPfSD_PS3_PT2_iSC_SC_,"axG",@progbits,_Z39paged_attention_ll4mi_QKV_mfma16_kernelI14__hip_bfloat16hLN4vllm18Fp8KVCacheDataTypeE1ES0_Li16ELi64ELi256ELb0ELi6EEvPKT_PKT0_S8_ifPKiSA_SA_iPKfiiiPfSD_PS3_PT2_iSC_SC_,comdat
	.protected	_Z39paged_attention_ll4mi_QKV_mfma16_kernelI14__hip_bfloat16hLN4vllm18Fp8KVCacheDataTypeE1ES0_Li16ELi64ELi256ELb0ELi6EEvPKT_PKT0_S8_ifPKiSA_SA_iPKfiiiPfSD_PS3_PT2_iSC_SC_ ; -- Begin function _Z39paged_attention_ll4mi_QKV_mfma16_kernelI14__hip_bfloat16hLN4vllm18Fp8KVCacheDataTypeE1ES0_Li16ELi64ELi256ELb0ELi6EEvPKT_PKT0_S8_ifPKiSA_SA_iPKfiiiPfSD_PS3_PT2_iSC_SC_
	.globl	_Z39paged_attention_ll4mi_QKV_mfma16_kernelI14__hip_bfloat16hLN4vllm18Fp8KVCacheDataTypeE1ES0_Li16ELi64ELi256ELb0ELi6EEvPKT_PKT0_S8_ifPKiSA_SA_iPKfiiiPfSD_PS3_PT2_iSC_SC_
	.p2align	8
	.type	_Z39paged_attention_ll4mi_QKV_mfma16_kernelI14__hip_bfloat16hLN4vllm18Fp8KVCacheDataTypeE1ES0_Li16ELi64ELi256ELb0ELi6EEvPKT_PKT0_S8_ifPKiSA_SA_iPKfiiiPfSD_PS3_PT2_iSC_SC_,@function
_Z39paged_attention_ll4mi_QKV_mfma16_kernelI14__hip_bfloat16hLN4vllm18Fp8KVCacheDataTypeE1ES0_Li16ELi64ELi256ELb0ELi6EEvPKT_PKT0_S8_ifPKiSA_SA_iPKfiiiPfSD_PS3_PT2_iSC_SC_: ; @_Z39paged_attention_ll4mi_QKV_mfma16_kernelI14__hip_bfloat16hLN4vllm18Fp8KVCacheDataTypeE1ES0_Li16ELi64ELi256ELb0ELi6EEvPKT_PKT0_S8_ifPKiSA_SA_iPKfiiiPfSD_PS3_PT2_iSC_SC_
; %bb.0:
	s_get_pc_i64 s[2:3]
	s_add_nc_u64 s[2:3], s[2:3], __PRETTY_FUNCTION__._Z39paged_attention_ll4mi_QKV_mfma16_kernelI14__hip_bfloat16hLN4vllm18Fp8KVCacheDataTypeE1ES0_Li16ELi64ELi256ELb0ELi6EEvPKT_PKT0_S8_ifPKiSA_SA_iPKfiiiPfSD_PS3_PT2_iSC_SC_@rel64+4
	s_delay_alu instid0(SALU_CYCLE_1)
	v_dual_mov_b32 v0, 0xbb3 :: v_dual_mov_b32 v1, s2
	v_mov_b32_e32 v2, s3
	s_add_nc_u64 s[8:9], s[0:1], 0x90
	s_get_pc_i64 s[0:1]
	s_add_nc_u64 s[0:1], s[0:1], __assert_fail@rel64+4
	s_mov_b32 s32, 0
	s_swap_pc_i64 s[30:31], s[0:1]
	.section	.rodata,"a",@progbits
	.p2align	6, 0x0
	.amdhsa_kernel _Z39paged_attention_ll4mi_QKV_mfma16_kernelI14__hip_bfloat16hLN4vllm18Fp8KVCacheDataTypeE1ES0_Li16ELi64ELi256ELb0ELi6EEvPKT_PKT0_S8_ifPKiSA_SA_iPKfiiiPfSD_PS3_PT2_iSC_SC_
		.amdhsa_group_segment_fixed_size 0
		.amdhsa_private_segment_fixed_size 64
		.amdhsa_kernarg_size 400
		.amdhsa_user_sgpr_count 2
		.amdhsa_user_sgpr_dispatch_ptr 0
		.amdhsa_user_sgpr_queue_ptr 0
		.amdhsa_user_sgpr_kernarg_segment_ptr 1
		.amdhsa_user_sgpr_dispatch_id 0
		.amdhsa_user_sgpr_kernarg_preload_length 0
		.amdhsa_user_sgpr_kernarg_preload_offset 0
		.amdhsa_user_sgpr_private_segment_size 0
		.amdhsa_wavefront_size32 1
		.amdhsa_uses_dynamic_stack 0
		.amdhsa_enable_private_segment 1
		.amdhsa_system_sgpr_workgroup_id_x 1
		.amdhsa_system_sgpr_workgroup_id_y 0
		.amdhsa_system_sgpr_workgroup_id_z 0
		.amdhsa_system_sgpr_workgroup_info 0
		.amdhsa_system_vgpr_workitem_id 0
		.amdhsa_next_free_vgpr 51
		.amdhsa_next_free_sgpr 34
		.amdhsa_named_barrier_count 0
		.amdhsa_reserve_vcc 1
		.amdhsa_float_round_mode_32 0
		.amdhsa_float_round_mode_16_64 0
		.amdhsa_float_denorm_mode_32 3
		.amdhsa_float_denorm_mode_16_64 3
		.amdhsa_fp16_overflow 0
		.amdhsa_memory_ordered 1
		.amdhsa_forward_progress 1
		.amdhsa_inst_pref_size 1
		.amdhsa_round_robin_scheduling 0
		.amdhsa_exception_fp_ieee_invalid_op 0
		.amdhsa_exception_fp_denorm_src 0
		.amdhsa_exception_fp_ieee_div_zero 0
		.amdhsa_exception_fp_ieee_overflow 0
		.amdhsa_exception_fp_ieee_underflow 0
		.amdhsa_exception_fp_ieee_inexact 0
		.amdhsa_exception_int_div_zero 0
	.end_amdhsa_kernel
	.section	.text._Z39paged_attention_ll4mi_QKV_mfma16_kernelI14__hip_bfloat16hLN4vllm18Fp8KVCacheDataTypeE1ES0_Li16ELi64ELi256ELb0ELi6EEvPKT_PKT0_S8_ifPKiSA_SA_iPKfiiiPfSD_PS3_PT2_iSC_SC_,"axG",@progbits,_Z39paged_attention_ll4mi_QKV_mfma16_kernelI14__hip_bfloat16hLN4vllm18Fp8KVCacheDataTypeE1ES0_Li16ELi64ELi256ELb0ELi6EEvPKT_PKT0_S8_ifPKiSA_SA_iPKfiiiPfSD_PS3_PT2_iSC_SC_,comdat
.Lfunc_end1155:
	.size	_Z39paged_attention_ll4mi_QKV_mfma16_kernelI14__hip_bfloat16hLN4vllm18Fp8KVCacheDataTypeE1ES0_Li16ELi64ELi256ELb0ELi6EEvPKT_PKT0_S8_ifPKiSA_SA_iPKfiiiPfSD_PS3_PT2_iSC_SC_, .Lfunc_end1155-_Z39paged_attention_ll4mi_QKV_mfma16_kernelI14__hip_bfloat16hLN4vllm18Fp8KVCacheDataTypeE1ES0_Li16ELi64ELi256ELb0ELi6EEvPKT_PKT0_S8_ifPKiSA_SA_iPKfiiiPfSD_PS3_PT2_iSC_SC_
                                        ; -- End function
	.set _Z39paged_attention_ll4mi_QKV_mfma16_kernelI14__hip_bfloat16hLN4vllm18Fp8KVCacheDataTypeE1ES0_Li16ELi64ELi256ELb0ELi6EEvPKT_PKT0_S8_ifPKiSA_SA_iPKfiiiPfSD_PS3_PT2_iSC_SC_.num_vgpr, max(3, .L__assert_fail.num_vgpr)
	.set _Z39paged_attention_ll4mi_QKV_mfma16_kernelI14__hip_bfloat16hLN4vllm18Fp8KVCacheDataTypeE1ES0_Li16ELi64ELi256ELb0ELi6EEvPKT_PKT0_S8_ifPKiSA_SA_iPKfiiiPfSD_PS3_PT2_iSC_SC_.num_agpr, max(0, .L__assert_fail.num_agpr)
	.set _Z39paged_attention_ll4mi_QKV_mfma16_kernelI14__hip_bfloat16hLN4vllm18Fp8KVCacheDataTypeE1ES0_Li16ELi64ELi256ELb0ELi6EEvPKT_PKT0_S8_ifPKiSA_SA_iPKfiiiPfSD_PS3_PT2_iSC_SC_.numbered_sgpr, max(33, .L__assert_fail.numbered_sgpr)
	.set _Z39paged_attention_ll4mi_QKV_mfma16_kernelI14__hip_bfloat16hLN4vllm18Fp8KVCacheDataTypeE1ES0_Li16ELi64ELi256ELb0ELi6EEvPKT_PKT0_S8_ifPKiSA_SA_iPKfiiiPfSD_PS3_PT2_iSC_SC_.num_named_barrier, max(0, .L__assert_fail.num_named_barrier)
	.set _Z39paged_attention_ll4mi_QKV_mfma16_kernelI14__hip_bfloat16hLN4vllm18Fp8KVCacheDataTypeE1ES0_Li16ELi64ELi256ELb0ELi6EEvPKT_PKT0_S8_ifPKiSA_SA_iPKfiiiPfSD_PS3_PT2_iSC_SC_.private_seg_size, 0+max(.L__assert_fail.private_seg_size)
	.set _Z39paged_attention_ll4mi_QKV_mfma16_kernelI14__hip_bfloat16hLN4vllm18Fp8KVCacheDataTypeE1ES0_Li16ELi64ELi256ELb0ELi6EEvPKT_PKT0_S8_ifPKiSA_SA_iPKfiiiPfSD_PS3_PT2_iSC_SC_.uses_vcc, or(1, .L__assert_fail.uses_vcc)
	.set _Z39paged_attention_ll4mi_QKV_mfma16_kernelI14__hip_bfloat16hLN4vllm18Fp8KVCacheDataTypeE1ES0_Li16ELi64ELi256ELb0ELi6EEvPKT_PKT0_S8_ifPKiSA_SA_iPKfiiiPfSD_PS3_PT2_iSC_SC_.uses_flat_scratch, or(0, .L__assert_fail.uses_flat_scratch)
	.set _Z39paged_attention_ll4mi_QKV_mfma16_kernelI14__hip_bfloat16hLN4vllm18Fp8KVCacheDataTypeE1ES0_Li16ELi64ELi256ELb0ELi6EEvPKT_PKT0_S8_ifPKiSA_SA_iPKfiiiPfSD_PS3_PT2_iSC_SC_.has_dyn_sized_stack, or(0, .L__assert_fail.has_dyn_sized_stack)
	.set _Z39paged_attention_ll4mi_QKV_mfma16_kernelI14__hip_bfloat16hLN4vllm18Fp8KVCacheDataTypeE1ES0_Li16ELi64ELi256ELb0ELi6EEvPKT_PKT0_S8_ifPKiSA_SA_iPKfiiiPfSD_PS3_PT2_iSC_SC_.has_recursion, or(0, .L__assert_fail.has_recursion)
	.set _Z39paged_attention_ll4mi_QKV_mfma16_kernelI14__hip_bfloat16hLN4vllm18Fp8KVCacheDataTypeE1ES0_Li16ELi64ELi256ELb0ELi6EEvPKT_PKT0_S8_ifPKiSA_SA_iPKfiiiPfSD_PS3_PT2_iSC_SC_.has_indirect_call, or(0, .L__assert_fail.has_indirect_call)
	.section	.AMDGPU.csdata,"",@progbits
; Kernel info:
; codeLenInByte = 68
; TotalNumSgprs: 36
; NumVgprs: 51
; ScratchSize: 64
; MemoryBound: 0
; FloatMode: 240
; IeeeMode: 1
; LDSByteSize: 0 bytes/workgroup (compile time only)
; SGPRBlocks: 0
; VGPRBlocks: 3
; NumSGPRsForWavesPerEU: 36
; NumVGPRsForWavesPerEU: 51
; NamedBarCnt: 0
; Occupancy: 16
; WaveLimiterHint : 1
; COMPUTE_PGM_RSRC2:SCRATCH_EN: 1
; COMPUTE_PGM_RSRC2:USER_SGPR: 2
; COMPUTE_PGM_RSRC2:TRAP_HANDLER: 0
; COMPUTE_PGM_RSRC2:TGID_X_EN: 1
; COMPUTE_PGM_RSRC2:TGID_Y_EN: 0
; COMPUTE_PGM_RSRC2:TGID_Z_EN: 0
; COMPUTE_PGM_RSRC2:TIDIG_COMP_CNT: 0
	.section	.text._Z39paged_attention_ll4mi_QKV_mfma16_kernelI14__hip_bfloat16hLN4vllm18Fp8KVCacheDataTypeE1ES0_Li16ELi64ELi256ELb0ELi7EEvPKT_PKT0_S8_ifPKiSA_SA_iPKfiiiPfSD_PS3_PT2_iSC_SC_,"axG",@progbits,_Z39paged_attention_ll4mi_QKV_mfma16_kernelI14__hip_bfloat16hLN4vllm18Fp8KVCacheDataTypeE1ES0_Li16ELi64ELi256ELb0ELi7EEvPKT_PKT0_S8_ifPKiSA_SA_iPKfiiiPfSD_PS3_PT2_iSC_SC_,comdat
	.protected	_Z39paged_attention_ll4mi_QKV_mfma16_kernelI14__hip_bfloat16hLN4vllm18Fp8KVCacheDataTypeE1ES0_Li16ELi64ELi256ELb0ELi7EEvPKT_PKT0_S8_ifPKiSA_SA_iPKfiiiPfSD_PS3_PT2_iSC_SC_ ; -- Begin function _Z39paged_attention_ll4mi_QKV_mfma16_kernelI14__hip_bfloat16hLN4vllm18Fp8KVCacheDataTypeE1ES0_Li16ELi64ELi256ELb0ELi7EEvPKT_PKT0_S8_ifPKiSA_SA_iPKfiiiPfSD_PS3_PT2_iSC_SC_
	.globl	_Z39paged_attention_ll4mi_QKV_mfma16_kernelI14__hip_bfloat16hLN4vllm18Fp8KVCacheDataTypeE1ES0_Li16ELi64ELi256ELb0ELi7EEvPKT_PKT0_S8_ifPKiSA_SA_iPKfiiiPfSD_PS3_PT2_iSC_SC_
	.p2align	8
	.type	_Z39paged_attention_ll4mi_QKV_mfma16_kernelI14__hip_bfloat16hLN4vllm18Fp8KVCacheDataTypeE1ES0_Li16ELi64ELi256ELb0ELi7EEvPKT_PKT0_S8_ifPKiSA_SA_iPKfiiiPfSD_PS3_PT2_iSC_SC_,@function
_Z39paged_attention_ll4mi_QKV_mfma16_kernelI14__hip_bfloat16hLN4vllm18Fp8KVCacheDataTypeE1ES0_Li16ELi64ELi256ELb0ELi7EEvPKT_PKT0_S8_ifPKiSA_SA_iPKfiiiPfSD_PS3_PT2_iSC_SC_: ; @_Z39paged_attention_ll4mi_QKV_mfma16_kernelI14__hip_bfloat16hLN4vllm18Fp8KVCacheDataTypeE1ES0_Li16ELi64ELi256ELb0ELi7EEvPKT_PKT0_S8_ifPKiSA_SA_iPKfiiiPfSD_PS3_PT2_iSC_SC_
; %bb.0:
	s_get_pc_i64 s[2:3]
	s_add_nc_u64 s[2:3], s[2:3], __PRETTY_FUNCTION__._Z39paged_attention_ll4mi_QKV_mfma16_kernelI14__hip_bfloat16hLN4vllm18Fp8KVCacheDataTypeE1ES0_Li16ELi64ELi256ELb0ELi7EEvPKT_PKT0_S8_ifPKiSA_SA_iPKfiiiPfSD_PS3_PT2_iSC_SC_@rel64+4
	s_delay_alu instid0(SALU_CYCLE_1)
	v_dual_mov_b32 v0, 0xbb3 :: v_dual_mov_b32 v1, s2
	v_mov_b32_e32 v2, s3
	s_add_nc_u64 s[8:9], s[0:1], 0x90
	s_get_pc_i64 s[0:1]
	s_add_nc_u64 s[0:1], s[0:1], __assert_fail@rel64+4
	s_mov_b32 s32, 0
	s_swap_pc_i64 s[30:31], s[0:1]
	.section	.rodata,"a",@progbits
	.p2align	6, 0x0
	.amdhsa_kernel _Z39paged_attention_ll4mi_QKV_mfma16_kernelI14__hip_bfloat16hLN4vllm18Fp8KVCacheDataTypeE1ES0_Li16ELi64ELi256ELb0ELi7EEvPKT_PKT0_S8_ifPKiSA_SA_iPKfiiiPfSD_PS3_PT2_iSC_SC_
		.amdhsa_group_segment_fixed_size 0
		.amdhsa_private_segment_fixed_size 64
		.amdhsa_kernarg_size 400
		.amdhsa_user_sgpr_count 2
		.amdhsa_user_sgpr_dispatch_ptr 0
		.amdhsa_user_sgpr_queue_ptr 0
		.amdhsa_user_sgpr_kernarg_segment_ptr 1
		.amdhsa_user_sgpr_dispatch_id 0
		.amdhsa_user_sgpr_kernarg_preload_length 0
		.amdhsa_user_sgpr_kernarg_preload_offset 0
		.amdhsa_user_sgpr_private_segment_size 0
		.amdhsa_wavefront_size32 1
		.amdhsa_uses_dynamic_stack 0
		.amdhsa_enable_private_segment 1
		.amdhsa_system_sgpr_workgroup_id_x 1
		.amdhsa_system_sgpr_workgroup_id_y 0
		.amdhsa_system_sgpr_workgroup_id_z 0
		.amdhsa_system_sgpr_workgroup_info 0
		.amdhsa_system_vgpr_workitem_id 0
		.amdhsa_next_free_vgpr 51
		.amdhsa_next_free_sgpr 34
		.amdhsa_named_barrier_count 0
		.amdhsa_reserve_vcc 1
		.amdhsa_float_round_mode_32 0
		.amdhsa_float_round_mode_16_64 0
		.amdhsa_float_denorm_mode_32 3
		.amdhsa_float_denorm_mode_16_64 3
		.amdhsa_fp16_overflow 0
		.amdhsa_memory_ordered 1
		.amdhsa_forward_progress 1
		.amdhsa_inst_pref_size 1
		.amdhsa_round_robin_scheduling 0
		.amdhsa_exception_fp_ieee_invalid_op 0
		.amdhsa_exception_fp_denorm_src 0
		.amdhsa_exception_fp_ieee_div_zero 0
		.amdhsa_exception_fp_ieee_overflow 0
		.amdhsa_exception_fp_ieee_underflow 0
		.amdhsa_exception_fp_ieee_inexact 0
		.amdhsa_exception_int_div_zero 0
	.end_amdhsa_kernel
	.section	.text._Z39paged_attention_ll4mi_QKV_mfma16_kernelI14__hip_bfloat16hLN4vllm18Fp8KVCacheDataTypeE1ES0_Li16ELi64ELi256ELb0ELi7EEvPKT_PKT0_S8_ifPKiSA_SA_iPKfiiiPfSD_PS3_PT2_iSC_SC_,"axG",@progbits,_Z39paged_attention_ll4mi_QKV_mfma16_kernelI14__hip_bfloat16hLN4vllm18Fp8KVCacheDataTypeE1ES0_Li16ELi64ELi256ELb0ELi7EEvPKT_PKT0_S8_ifPKiSA_SA_iPKfiiiPfSD_PS3_PT2_iSC_SC_,comdat
.Lfunc_end1156:
	.size	_Z39paged_attention_ll4mi_QKV_mfma16_kernelI14__hip_bfloat16hLN4vllm18Fp8KVCacheDataTypeE1ES0_Li16ELi64ELi256ELb0ELi7EEvPKT_PKT0_S8_ifPKiSA_SA_iPKfiiiPfSD_PS3_PT2_iSC_SC_, .Lfunc_end1156-_Z39paged_attention_ll4mi_QKV_mfma16_kernelI14__hip_bfloat16hLN4vllm18Fp8KVCacheDataTypeE1ES0_Li16ELi64ELi256ELb0ELi7EEvPKT_PKT0_S8_ifPKiSA_SA_iPKfiiiPfSD_PS3_PT2_iSC_SC_
                                        ; -- End function
	.set _Z39paged_attention_ll4mi_QKV_mfma16_kernelI14__hip_bfloat16hLN4vllm18Fp8KVCacheDataTypeE1ES0_Li16ELi64ELi256ELb0ELi7EEvPKT_PKT0_S8_ifPKiSA_SA_iPKfiiiPfSD_PS3_PT2_iSC_SC_.num_vgpr, max(3, .L__assert_fail.num_vgpr)
	.set _Z39paged_attention_ll4mi_QKV_mfma16_kernelI14__hip_bfloat16hLN4vllm18Fp8KVCacheDataTypeE1ES0_Li16ELi64ELi256ELb0ELi7EEvPKT_PKT0_S8_ifPKiSA_SA_iPKfiiiPfSD_PS3_PT2_iSC_SC_.num_agpr, max(0, .L__assert_fail.num_agpr)
	.set _Z39paged_attention_ll4mi_QKV_mfma16_kernelI14__hip_bfloat16hLN4vllm18Fp8KVCacheDataTypeE1ES0_Li16ELi64ELi256ELb0ELi7EEvPKT_PKT0_S8_ifPKiSA_SA_iPKfiiiPfSD_PS3_PT2_iSC_SC_.numbered_sgpr, max(33, .L__assert_fail.numbered_sgpr)
	.set _Z39paged_attention_ll4mi_QKV_mfma16_kernelI14__hip_bfloat16hLN4vllm18Fp8KVCacheDataTypeE1ES0_Li16ELi64ELi256ELb0ELi7EEvPKT_PKT0_S8_ifPKiSA_SA_iPKfiiiPfSD_PS3_PT2_iSC_SC_.num_named_barrier, max(0, .L__assert_fail.num_named_barrier)
	.set _Z39paged_attention_ll4mi_QKV_mfma16_kernelI14__hip_bfloat16hLN4vllm18Fp8KVCacheDataTypeE1ES0_Li16ELi64ELi256ELb0ELi7EEvPKT_PKT0_S8_ifPKiSA_SA_iPKfiiiPfSD_PS3_PT2_iSC_SC_.private_seg_size, 0+max(.L__assert_fail.private_seg_size)
	.set _Z39paged_attention_ll4mi_QKV_mfma16_kernelI14__hip_bfloat16hLN4vllm18Fp8KVCacheDataTypeE1ES0_Li16ELi64ELi256ELb0ELi7EEvPKT_PKT0_S8_ifPKiSA_SA_iPKfiiiPfSD_PS3_PT2_iSC_SC_.uses_vcc, or(1, .L__assert_fail.uses_vcc)
	.set _Z39paged_attention_ll4mi_QKV_mfma16_kernelI14__hip_bfloat16hLN4vllm18Fp8KVCacheDataTypeE1ES0_Li16ELi64ELi256ELb0ELi7EEvPKT_PKT0_S8_ifPKiSA_SA_iPKfiiiPfSD_PS3_PT2_iSC_SC_.uses_flat_scratch, or(0, .L__assert_fail.uses_flat_scratch)
	.set _Z39paged_attention_ll4mi_QKV_mfma16_kernelI14__hip_bfloat16hLN4vllm18Fp8KVCacheDataTypeE1ES0_Li16ELi64ELi256ELb0ELi7EEvPKT_PKT0_S8_ifPKiSA_SA_iPKfiiiPfSD_PS3_PT2_iSC_SC_.has_dyn_sized_stack, or(0, .L__assert_fail.has_dyn_sized_stack)
	.set _Z39paged_attention_ll4mi_QKV_mfma16_kernelI14__hip_bfloat16hLN4vllm18Fp8KVCacheDataTypeE1ES0_Li16ELi64ELi256ELb0ELi7EEvPKT_PKT0_S8_ifPKiSA_SA_iPKfiiiPfSD_PS3_PT2_iSC_SC_.has_recursion, or(0, .L__assert_fail.has_recursion)
	.set _Z39paged_attention_ll4mi_QKV_mfma16_kernelI14__hip_bfloat16hLN4vllm18Fp8KVCacheDataTypeE1ES0_Li16ELi64ELi256ELb0ELi7EEvPKT_PKT0_S8_ifPKiSA_SA_iPKfiiiPfSD_PS3_PT2_iSC_SC_.has_indirect_call, or(0, .L__assert_fail.has_indirect_call)
	.section	.AMDGPU.csdata,"",@progbits
; Kernel info:
; codeLenInByte = 68
; TotalNumSgprs: 36
; NumVgprs: 51
; ScratchSize: 64
; MemoryBound: 0
; FloatMode: 240
; IeeeMode: 1
; LDSByteSize: 0 bytes/workgroup (compile time only)
; SGPRBlocks: 0
; VGPRBlocks: 3
; NumSGPRsForWavesPerEU: 36
; NumVGPRsForWavesPerEU: 51
; NamedBarCnt: 0
; Occupancy: 16
; WaveLimiterHint : 1
; COMPUTE_PGM_RSRC2:SCRATCH_EN: 1
; COMPUTE_PGM_RSRC2:USER_SGPR: 2
; COMPUTE_PGM_RSRC2:TRAP_HANDLER: 0
; COMPUTE_PGM_RSRC2:TGID_X_EN: 1
; COMPUTE_PGM_RSRC2:TGID_Y_EN: 0
; COMPUTE_PGM_RSRC2:TGID_Z_EN: 0
; COMPUTE_PGM_RSRC2:TIDIG_COMP_CNT: 0
	.section	.text._Z39paged_attention_ll4mi_QKV_mfma16_kernelI14__hip_bfloat16hLN4vllm18Fp8KVCacheDataTypeE1ES0_Li16ELi64ELi256ELb0ELi8EEvPKT_PKT0_S8_ifPKiSA_SA_iPKfiiiPfSD_PS3_PT2_iSC_SC_,"axG",@progbits,_Z39paged_attention_ll4mi_QKV_mfma16_kernelI14__hip_bfloat16hLN4vllm18Fp8KVCacheDataTypeE1ES0_Li16ELi64ELi256ELb0ELi8EEvPKT_PKT0_S8_ifPKiSA_SA_iPKfiiiPfSD_PS3_PT2_iSC_SC_,comdat
	.protected	_Z39paged_attention_ll4mi_QKV_mfma16_kernelI14__hip_bfloat16hLN4vllm18Fp8KVCacheDataTypeE1ES0_Li16ELi64ELi256ELb0ELi8EEvPKT_PKT0_S8_ifPKiSA_SA_iPKfiiiPfSD_PS3_PT2_iSC_SC_ ; -- Begin function _Z39paged_attention_ll4mi_QKV_mfma16_kernelI14__hip_bfloat16hLN4vllm18Fp8KVCacheDataTypeE1ES0_Li16ELi64ELi256ELb0ELi8EEvPKT_PKT0_S8_ifPKiSA_SA_iPKfiiiPfSD_PS3_PT2_iSC_SC_
	.globl	_Z39paged_attention_ll4mi_QKV_mfma16_kernelI14__hip_bfloat16hLN4vllm18Fp8KVCacheDataTypeE1ES0_Li16ELi64ELi256ELb0ELi8EEvPKT_PKT0_S8_ifPKiSA_SA_iPKfiiiPfSD_PS3_PT2_iSC_SC_
	.p2align	8
	.type	_Z39paged_attention_ll4mi_QKV_mfma16_kernelI14__hip_bfloat16hLN4vllm18Fp8KVCacheDataTypeE1ES0_Li16ELi64ELi256ELb0ELi8EEvPKT_PKT0_S8_ifPKiSA_SA_iPKfiiiPfSD_PS3_PT2_iSC_SC_,@function
_Z39paged_attention_ll4mi_QKV_mfma16_kernelI14__hip_bfloat16hLN4vllm18Fp8KVCacheDataTypeE1ES0_Li16ELi64ELi256ELb0ELi8EEvPKT_PKT0_S8_ifPKiSA_SA_iPKfiiiPfSD_PS3_PT2_iSC_SC_: ; @_Z39paged_attention_ll4mi_QKV_mfma16_kernelI14__hip_bfloat16hLN4vllm18Fp8KVCacheDataTypeE1ES0_Li16ELi64ELi256ELb0ELi8EEvPKT_PKT0_S8_ifPKiSA_SA_iPKfiiiPfSD_PS3_PT2_iSC_SC_
; %bb.0:
	s_get_pc_i64 s[2:3]
	s_add_nc_u64 s[2:3], s[2:3], __PRETTY_FUNCTION__._Z39paged_attention_ll4mi_QKV_mfma16_kernelI14__hip_bfloat16hLN4vllm18Fp8KVCacheDataTypeE1ES0_Li16ELi64ELi256ELb0ELi8EEvPKT_PKT0_S8_ifPKiSA_SA_iPKfiiiPfSD_PS3_PT2_iSC_SC_@rel64+4
	s_delay_alu instid0(SALU_CYCLE_1)
	v_dual_mov_b32 v0, 0xbb3 :: v_dual_mov_b32 v1, s2
	v_mov_b32_e32 v2, s3
	s_add_nc_u64 s[8:9], s[0:1], 0x90
	s_get_pc_i64 s[0:1]
	s_add_nc_u64 s[0:1], s[0:1], __assert_fail@rel64+4
	s_mov_b32 s32, 0
	s_swap_pc_i64 s[30:31], s[0:1]
	.section	.rodata,"a",@progbits
	.p2align	6, 0x0
	.amdhsa_kernel _Z39paged_attention_ll4mi_QKV_mfma16_kernelI14__hip_bfloat16hLN4vllm18Fp8KVCacheDataTypeE1ES0_Li16ELi64ELi256ELb0ELi8EEvPKT_PKT0_S8_ifPKiSA_SA_iPKfiiiPfSD_PS3_PT2_iSC_SC_
		.amdhsa_group_segment_fixed_size 0
		.amdhsa_private_segment_fixed_size 64
		.amdhsa_kernarg_size 400
		.amdhsa_user_sgpr_count 2
		.amdhsa_user_sgpr_dispatch_ptr 0
		.amdhsa_user_sgpr_queue_ptr 0
		.amdhsa_user_sgpr_kernarg_segment_ptr 1
		.amdhsa_user_sgpr_dispatch_id 0
		.amdhsa_user_sgpr_kernarg_preload_length 0
		.amdhsa_user_sgpr_kernarg_preload_offset 0
		.amdhsa_user_sgpr_private_segment_size 0
		.amdhsa_wavefront_size32 1
		.amdhsa_uses_dynamic_stack 0
		.amdhsa_enable_private_segment 1
		.amdhsa_system_sgpr_workgroup_id_x 1
		.amdhsa_system_sgpr_workgroup_id_y 0
		.amdhsa_system_sgpr_workgroup_id_z 0
		.amdhsa_system_sgpr_workgroup_info 0
		.amdhsa_system_vgpr_workitem_id 0
		.amdhsa_next_free_vgpr 51
		.amdhsa_next_free_sgpr 34
		.amdhsa_named_barrier_count 0
		.amdhsa_reserve_vcc 1
		.amdhsa_float_round_mode_32 0
		.amdhsa_float_round_mode_16_64 0
		.amdhsa_float_denorm_mode_32 3
		.amdhsa_float_denorm_mode_16_64 3
		.amdhsa_fp16_overflow 0
		.amdhsa_memory_ordered 1
		.amdhsa_forward_progress 1
		.amdhsa_inst_pref_size 1
		.amdhsa_round_robin_scheduling 0
		.amdhsa_exception_fp_ieee_invalid_op 0
		.amdhsa_exception_fp_denorm_src 0
		.amdhsa_exception_fp_ieee_div_zero 0
		.amdhsa_exception_fp_ieee_overflow 0
		.amdhsa_exception_fp_ieee_underflow 0
		.amdhsa_exception_fp_ieee_inexact 0
		.amdhsa_exception_int_div_zero 0
	.end_amdhsa_kernel
	.section	.text._Z39paged_attention_ll4mi_QKV_mfma16_kernelI14__hip_bfloat16hLN4vllm18Fp8KVCacheDataTypeE1ES0_Li16ELi64ELi256ELb0ELi8EEvPKT_PKT0_S8_ifPKiSA_SA_iPKfiiiPfSD_PS3_PT2_iSC_SC_,"axG",@progbits,_Z39paged_attention_ll4mi_QKV_mfma16_kernelI14__hip_bfloat16hLN4vllm18Fp8KVCacheDataTypeE1ES0_Li16ELi64ELi256ELb0ELi8EEvPKT_PKT0_S8_ifPKiSA_SA_iPKfiiiPfSD_PS3_PT2_iSC_SC_,comdat
.Lfunc_end1157:
	.size	_Z39paged_attention_ll4mi_QKV_mfma16_kernelI14__hip_bfloat16hLN4vllm18Fp8KVCacheDataTypeE1ES0_Li16ELi64ELi256ELb0ELi8EEvPKT_PKT0_S8_ifPKiSA_SA_iPKfiiiPfSD_PS3_PT2_iSC_SC_, .Lfunc_end1157-_Z39paged_attention_ll4mi_QKV_mfma16_kernelI14__hip_bfloat16hLN4vllm18Fp8KVCacheDataTypeE1ES0_Li16ELi64ELi256ELb0ELi8EEvPKT_PKT0_S8_ifPKiSA_SA_iPKfiiiPfSD_PS3_PT2_iSC_SC_
                                        ; -- End function
	.set _Z39paged_attention_ll4mi_QKV_mfma16_kernelI14__hip_bfloat16hLN4vllm18Fp8KVCacheDataTypeE1ES0_Li16ELi64ELi256ELb0ELi8EEvPKT_PKT0_S8_ifPKiSA_SA_iPKfiiiPfSD_PS3_PT2_iSC_SC_.num_vgpr, max(3, .L__assert_fail.num_vgpr)
	.set _Z39paged_attention_ll4mi_QKV_mfma16_kernelI14__hip_bfloat16hLN4vllm18Fp8KVCacheDataTypeE1ES0_Li16ELi64ELi256ELb0ELi8EEvPKT_PKT0_S8_ifPKiSA_SA_iPKfiiiPfSD_PS3_PT2_iSC_SC_.num_agpr, max(0, .L__assert_fail.num_agpr)
	.set _Z39paged_attention_ll4mi_QKV_mfma16_kernelI14__hip_bfloat16hLN4vllm18Fp8KVCacheDataTypeE1ES0_Li16ELi64ELi256ELb0ELi8EEvPKT_PKT0_S8_ifPKiSA_SA_iPKfiiiPfSD_PS3_PT2_iSC_SC_.numbered_sgpr, max(33, .L__assert_fail.numbered_sgpr)
	.set _Z39paged_attention_ll4mi_QKV_mfma16_kernelI14__hip_bfloat16hLN4vllm18Fp8KVCacheDataTypeE1ES0_Li16ELi64ELi256ELb0ELi8EEvPKT_PKT0_S8_ifPKiSA_SA_iPKfiiiPfSD_PS3_PT2_iSC_SC_.num_named_barrier, max(0, .L__assert_fail.num_named_barrier)
	.set _Z39paged_attention_ll4mi_QKV_mfma16_kernelI14__hip_bfloat16hLN4vllm18Fp8KVCacheDataTypeE1ES0_Li16ELi64ELi256ELb0ELi8EEvPKT_PKT0_S8_ifPKiSA_SA_iPKfiiiPfSD_PS3_PT2_iSC_SC_.private_seg_size, 0+max(.L__assert_fail.private_seg_size)
	.set _Z39paged_attention_ll4mi_QKV_mfma16_kernelI14__hip_bfloat16hLN4vllm18Fp8KVCacheDataTypeE1ES0_Li16ELi64ELi256ELb0ELi8EEvPKT_PKT0_S8_ifPKiSA_SA_iPKfiiiPfSD_PS3_PT2_iSC_SC_.uses_vcc, or(1, .L__assert_fail.uses_vcc)
	.set _Z39paged_attention_ll4mi_QKV_mfma16_kernelI14__hip_bfloat16hLN4vllm18Fp8KVCacheDataTypeE1ES0_Li16ELi64ELi256ELb0ELi8EEvPKT_PKT0_S8_ifPKiSA_SA_iPKfiiiPfSD_PS3_PT2_iSC_SC_.uses_flat_scratch, or(0, .L__assert_fail.uses_flat_scratch)
	.set _Z39paged_attention_ll4mi_QKV_mfma16_kernelI14__hip_bfloat16hLN4vllm18Fp8KVCacheDataTypeE1ES0_Li16ELi64ELi256ELb0ELi8EEvPKT_PKT0_S8_ifPKiSA_SA_iPKfiiiPfSD_PS3_PT2_iSC_SC_.has_dyn_sized_stack, or(0, .L__assert_fail.has_dyn_sized_stack)
	.set _Z39paged_attention_ll4mi_QKV_mfma16_kernelI14__hip_bfloat16hLN4vllm18Fp8KVCacheDataTypeE1ES0_Li16ELi64ELi256ELb0ELi8EEvPKT_PKT0_S8_ifPKiSA_SA_iPKfiiiPfSD_PS3_PT2_iSC_SC_.has_recursion, or(0, .L__assert_fail.has_recursion)
	.set _Z39paged_attention_ll4mi_QKV_mfma16_kernelI14__hip_bfloat16hLN4vllm18Fp8KVCacheDataTypeE1ES0_Li16ELi64ELi256ELb0ELi8EEvPKT_PKT0_S8_ifPKiSA_SA_iPKfiiiPfSD_PS3_PT2_iSC_SC_.has_indirect_call, or(0, .L__assert_fail.has_indirect_call)
	.section	.AMDGPU.csdata,"",@progbits
; Kernel info:
; codeLenInByte = 68
; TotalNumSgprs: 36
; NumVgprs: 51
; ScratchSize: 64
; MemoryBound: 0
; FloatMode: 240
; IeeeMode: 1
; LDSByteSize: 0 bytes/workgroup (compile time only)
; SGPRBlocks: 0
; VGPRBlocks: 3
; NumSGPRsForWavesPerEU: 36
; NumVGPRsForWavesPerEU: 51
; NamedBarCnt: 0
; Occupancy: 16
; WaveLimiterHint : 1
; COMPUTE_PGM_RSRC2:SCRATCH_EN: 1
; COMPUTE_PGM_RSRC2:USER_SGPR: 2
; COMPUTE_PGM_RSRC2:TRAP_HANDLER: 0
; COMPUTE_PGM_RSRC2:TGID_X_EN: 1
; COMPUTE_PGM_RSRC2:TGID_Y_EN: 0
; COMPUTE_PGM_RSRC2:TGID_Z_EN: 0
; COMPUTE_PGM_RSRC2:TIDIG_COMP_CNT: 0
	.section	.text._Z39paged_attention_ll4mi_QKV_mfma16_kernelI14__hip_bfloat16hLN4vllm18Fp8KVCacheDataTypeE1ES0_Li16ELi64ELi256ELb0ELi9EEvPKT_PKT0_S8_ifPKiSA_SA_iPKfiiiPfSD_PS3_PT2_iSC_SC_,"axG",@progbits,_Z39paged_attention_ll4mi_QKV_mfma16_kernelI14__hip_bfloat16hLN4vllm18Fp8KVCacheDataTypeE1ES0_Li16ELi64ELi256ELb0ELi9EEvPKT_PKT0_S8_ifPKiSA_SA_iPKfiiiPfSD_PS3_PT2_iSC_SC_,comdat
	.protected	_Z39paged_attention_ll4mi_QKV_mfma16_kernelI14__hip_bfloat16hLN4vllm18Fp8KVCacheDataTypeE1ES0_Li16ELi64ELi256ELb0ELi9EEvPKT_PKT0_S8_ifPKiSA_SA_iPKfiiiPfSD_PS3_PT2_iSC_SC_ ; -- Begin function _Z39paged_attention_ll4mi_QKV_mfma16_kernelI14__hip_bfloat16hLN4vllm18Fp8KVCacheDataTypeE1ES0_Li16ELi64ELi256ELb0ELi9EEvPKT_PKT0_S8_ifPKiSA_SA_iPKfiiiPfSD_PS3_PT2_iSC_SC_
	.globl	_Z39paged_attention_ll4mi_QKV_mfma16_kernelI14__hip_bfloat16hLN4vllm18Fp8KVCacheDataTypeE1ES0_Li16ELi64ELi256ELb0ELi9EEvPKT_PKT0_S8_ifPKiSA_SA_iPKfiiiPfSD_PS3_PT2_iSC_SC_
	.p2align	8
	.type	_Z39paged_attention_ll4mi_QKV_mfma16_kernelI14__hip_bfloat16hLN4vllm18Fp8KVCacheDataTypeE1ES0_Li16ELi64ELi256ELb0ELi9EEvPKT_PKT0_S8_ifPKiSA_SA_iPKfiiiPfSD_PS3_PT2_iSC_SC_,@function
_Z39paged_attention_ll4mi_QKV_mfma16_kernelI14__hip_bfloat16hLN4vllm18Fp8KVCacheDataTypeE1ES0_Li16ELi64ELi256ELb0ELi9EEvPKT_PKT0_S8_ifPKiSA_SA_iPKfiiiPfSD_PS3_PT2_iSC_SC_: ; @_Z39paged_attention_ll4mi_QKV_mfma16_kernelI14__hip_bfloat16hLN4vllm18Fp8KVCacheDataTypeE1ES0_Li16ELi64ELi256ELb0ELi9EEvPKT_PKT0_S8_ifPKiSA_SA_iPKfiiiPfSD_PS3_PT2_iSC_SC_
; %bb.0:
	s_get_pc_i64 s[2:3]
	s_add_nc_u64 s[2:3], s[2:3], __PRETTY_FUNCTION__._Z39paged_attention_ll4mi_QKV_mfma16_kernelI14__hip_bfloat16hLN4vllm18Fp8KVCacheDataTypeE1ES0_Li16ELi64ELi256ELb0ELi9EEvPKT_PKT0_S8_ifPKiSA_SA_iPKfiiiPfSD_PS3_PT2_iSC_SC_@rel64+4
	s_delay_alu instid0(SALU_CYCLE_1)
	v_dual_mov_b32 v0, 0xbb3 :: v_dual_mov_b32 v1, s2
	v_mov_b32_e32 v2, s3
	s_add_nc_u64 s[8:9], s[0:1], 0x90
	s_get_pc_i64 s[0:1]
	s_add_nc_u64 s[0:1], s[0:1], __assert_fail@rel64+4
	s_mov_b32 s32, 0
	s_swap_pc_i64 s[30:31], s[0:1]
	.section	.rodata,"a",@progbits
	.p2align	6, 0x0
	.amdhsa_kernel _Z39paged_attention_ll4mi_QKV_mfma16_kernelI14__hip_bfloat16hLN4vllm18Fp8KVCacheDataTypeE1ES0_Li16ELi64ELi256ELb0ELi9EEvPKT_PKT0_S8_ifPKiSA_SA_iPKfiiiPfSD_PS3_PT2_iSC_SC_
		.amdhsa_group_segment_fixed_size 0
		.amdhsa_private_segment_fixed_size 64
		.amdhsa_kernarg_size 400
		.amdhsa_user_sgpr_count 2
		.amdhsa_user_sgpr_dispatch_ptr 0
		.amdhsa_user_sgpr_queue_ptr 0
		.amdhsa_user_sgpr_kernarg_segment_ptr 1
		.amdhsa_user_sgpr_dispatch_id 0
		.amdhsa_user_sgpr_kernarg_preload_length 0
		.amdhsa_user_sgpr_kernarg_preload_offset 0
		.amdhsa_user_sgpr_private_segment_size 0
		.amdhsa_wavefront_size32 1
		.amdhsa_uses_dynamic_stack 0
		.amdhsa_enable_private_segment 1
		.amdhsa_system_sgpr_workgroup_id_x 1
		.amdhsa_system_sgpr_workgroup_id_y 0
		.amdhsa_system_sgpr_workgroup_id_z 0
		.amdhsa_system_sgpr_workgroup_info 0
		.amdhsa_system_vgpr_workitem_id 0
		.amdhsa_next_free_vgpr 51
		.amdhsa_next_free_sgpr 34
		.amdhsa_named_barrier_count 0
		.amdhsa_reserve_vcc 1
		.amdhsa_float_round_mode_32 0
		.amdhsa_float_round_mode_16_64 0
		.amdhsa_float_denorm_mode_32 3
		.amdhsa_float_denorm_mode_16_64 3
		.amdhsa_fp16_overflow 0
		.amdhsa_memory_ordered 1
		.amdhsa_forward_progress 1
		.amdhsa_inst_pref_size 1
		.amdhsa_round_robin_scheduling 0
		.amdhsa_exception_fp_ieee_invalid_op 0
		.amdhsa_exception_fp_denorm_src 0
		.amdhsa_exception_fp_ieee_div_zero 0
		.amdhsa_exception_fp_ieee_overflow 0
		.amdhsa_exception_fp_ieee_underflow 0
		.amdhsa_exception_fp_ieee_inexact 0
		.amdhsa_exception_int_div_zero 0
	.end_amdhsa_kernel
	.section	.text._Z39paged_attention_ll4mi_QKV_mfma16_kernelI14__hip_bfloat16hLN4vllm18Fp8KVCacheDataTypeE1ES0_Li16ELi64ELi256ELb0ELi9EEvPKT_PKT0_S8_ifPKiSA_SA_iPKfiiiPfSD_PS3_PT2_iSC_SC_,"axG",@progbits,_Z39paged_attention_ll4mi_QKV_mfma16_kernelI14__hip_bfloat16hLN4vllm18Fp8KVCacheDataTypeE1ES0_Li16ELi64ELi256ELb0ELi9EEvPKT_PKT0_S8_ifPKiSA_SA_iPKfiiiPfSD_PS3_PT2_iSC_SC_,comdat
.Lfunc_end1158:
	.size	_Z39paged_attention_ll4mi_QKV_mfma16_kernelI14__hip_bfloat16hLN4vllm18Fp8KVCacheDataTypeE1ES0_Li16ELi64ELi256ELb0ELi9EEvPKT_PKT0_S8_ifPKiSA_SA_iPKfiiiPfSD_PS3_PT2_iSC_SC_, .Lfunc_end1158-_Z39paged_attention_ll4mi_QKV_mfma16_kernelI14__hip_bfloat16hLN4vllm18Fp8KVCacheDataTypeE1ES0_Li16ELi64ELi256ELb0ELi9EEvPKT_PKT0_S8_ifPKiSA_SA_iPKfiiiPfSD_PS3_PT2_iSC_SC_
                                        ; -- End function
	.set _Z39paged_attention_ll4mi_QKV_mfma16_kernelI14__hip_bfloat16hLN4vllm18Fp8KVCacheDataTypeE1ES0_Li16ELi64ELi256ELb0ELi9EEvPKT_PKT0_S8_ifPKiSA_SA_iPKfiiiPfSD_PS3_PT2_iSC_SC_.num_vgpr, max(3, .L__assert_fail.num_vgpr)
	.set _Z39paged_attention_ll4mi_QKV_mfma16_kernelI14__hip_bfloat16hLN4vllm18Fp8KVCacheDataTypeE1ES0_Li16ELi64ELi256ELb0ELi9EEvPKT_PKT0_S8_ifPKiSA_SA_iPKfiiiPfSD_PS3_PT2_iSC_SC_.num_agpr, max(0, .L__assert_fail.num_agpr)
	.set _Z39paged_attention_ll4mi_QKV_mfma16_kernelI14__hip_bfloat16hLN4vllm18Fp8KVCacheDataTypeE1ES0_Li16ELi64ELi256ELb0ELi9EEvPKT_PKT0_S8_ifPKiSA_SA_iPKfiiiPfSD_PS3_PT2_iSC_SC_.numbered_sgpr, max(33, .L__assert_fail.numbered_sgpr)
	.set _Z39paged_attention_ll4mi_QKV_mfma16_kernelI14__hip_bfloat16hLN4vllm18Fp8KVCacheDataTypeE1ES0_Li16ELi64ELi256ELb0ELi9EEvPKT_PKT0_S8_ifPKiSA_SA_iPKfiiiPfSD_PS3_PT2_iSC_SC_.num_named_barrier, max(0, .L__assert_fail.num_named_barrier)
	.set _Z39paged_attention_ll4mi_QKV_mfma16_kernelI14__hip_bfloat16hLN4vllm18Fp8KVCacheDataTypeE1ES0_Li16ELi64ELi256ELb0ELi9EEvPKT_PKT0_S8_ifPKiSA_SA_iPKfiiiPfSD_PS3_PT2_iSC_SC_.private_seg_size, 0+max(.L__assert_fail.private_seg_size)
	.set _Z39paged_attention_ll4mi_QKV_mfma16_kernelI14__hip_bfloat16hLN4vllm18Fp8KVCacheDataTypeE1ES0_Li16ELi64ELi256ELb0ELi9EEvPKT_PKT0_S8_ifPKiSA_SA_iPKfiiiPfSD_PS3_PT2_iSC_SC_.uses_vcc, or(1, .L__assert_fail.uses_vcc)
	.set _Z39paged_attention_ll4mi_QKV_mfma16_kernelI14__hip_bfloat16hLN4vllm18Fp8KVCacheDataTypeE1ES0_Li16ELi64ELi256ELb0ELi9EEvPKT_PKT0_S8_ifPKiSA_SA_iPKfiiiPfSD_PS3_PT2_iSC_SC_.uses_flat_scratch, or(0, .L__assert_fail.uses_flat_scratch)
	.set _Z39paged_attention_ll4mi_QKV_mfma16_kernelI14__hip_bfloat16hLN4vllm18Fp8KVCacheDataTypeE1ES0_Li16ELi64ELi256ELb0ELi9EEvPKT_PKT0_S8_ifPKiSA_SA_iPKfiiiPfSD_PS3_PT2_iSC_SC_.has_dyn_sized_stack, or(0, .L__assert_fail.has_dyn_sized_stack)
	.set _Z39paged_attention_ll4mi_QKV_mfma16_kernelI14__hip_bfloat16hLN4vllm18Fp8KVCacheDataTypeE1ES0_Li16ELi64ELi256ELb0ELi9EEvPKT_PKT0_S8_ifPKiSA_SA_iPKfiiiPfSD_PS3_PT2_iSC_SC_.has_recursion, or(0, .L__assert_fail.has_recursion)
	.set _Z39paged_attention_ll4mi_QKV_mfma16_kernelI14__hip_bfloat16hLN4vllm18Fp8KVCacheDataTypeE1ES0_Li16ELi64ELi256ELb0ELi9EEvPKT_PKT0_S8_ifPKiSA_SA_iPKfiiiPfSD_PS3_PT2_iSC_SC_.has_indirect_call, or(0, .L__assert_fail.has_indirect_call)
	.section	.AMDGPU.csdata,"",@progbits
; Kernel info:
; codeLenInByte = 68
; TotalNumSgprs: 36
; NumVgprs: 51
; ScratchSize: 64
; MemoryBound: 0
; FloatMode: 240
; IeeeMode: 1
; LDSByteSize: 0 bytes/workgroup (compile time only)
; SGPRBlocks: 0
; VGPRBlocks: 3
; NumSGPRsForWavesPerEU: 36
; NumVGPRsForWavesPerEU: 51
; NamedBarCnt: 0
; Occupancy: 16
; WaveLimiterHint : 1
; COMPUTE_PGM_RSRC2:SCRATCH_EN: 1
; COMPUTE_PGM_RSRC2:USER_SGPR: 2
; COMPUTE_PGM_RSRC2:TRAP_HANDLER: 0
; COMPUTE_PGM_RSRC2:TGID_X_EN: 1
; COMPUTE_PGM_RSRC2:TGID_Y_EN: 0
; COMPUTE_PGM_RSRC2:TGID_Z_EN: 0
; COMPUTE_PGM_RSRC2:TIDIG_COMP_CNT: 0
	.section	.text._Z39paged_attention_ll4mi_QKV_mfma16_kernelI14__hip_bfloat16hLN4vllm18Fp8KVCacheDataTypeE1ES0_Li16ELi64ELi256ELb0ELi10EEvPKT_PKT0_S8_ifPKiSA_SA_iPKfiiiPfSD_PS3_PT2_iSC_SC_,"axG",@progbits,_Z39paged_attention_ll4mi_QKV_mfma16_kernelI14__hip_bfloat16hLN4vllm18Fp8KVCacheDataTypeE1ES0_Li16ELi64ELi256ELb0ELi10EEvPKT_PKT0_S8_ifPKiSA_SA_iPKfiiiPfSD_PS3_PT2_iSC_SC_,comdat
	.protected	_Z39paged_attention_ll4mi_QKV_mfma16_kernelI14__hip_bfloat16hLN4vllm18Fp8KVCacheDataTypeE1ES0_Li16ELi64ELi256ELb0ELi10EEvPKT_PKT0_S8_ifPKiSA_SA_iPKfiiiPfSD_PS3_PT2_iSC_SC_ ; -- Begin function _Z39paged_attention_ll4mi_QKV_mfma16_kernelI14__hip_bfloat16hLN4vllm18Fp8KVCacheDataTypeE1ES0_Li16ELi64ELi256ELb0ELi10EEvPKT_PKT0_S8_ifPKiSA_SA_iPKfiiiPfSD_PS3_PT2_iSC_SC_
	.globl	_Z39paged_attention_ll4mi_QKV_mfma16_kernelI14__hip_bfloat16hLN4vllm18Fp8KVCacheDataTypeE1ES0_Li16ELi64ELi256ELb0ELi10EEvPKT_PKT0_S8_ifPKiSA_SA_iPKfiiiPfSD_PS3_PT2_iSC_SC_
	.p2align	8
	.type	_Z39paged_attention_ll4mi_QKV_mfma16_kernelI14__hip_bfloat16hLN4vllm18Fp8KVCacheDataTypeE1ES0_Li16ELi64ELi256ELb0ELi10EEvPKT_PKT0_S8_ifPKiSA_SA_iPKfiiiPfSD_PS3_PT2_iSC_SC_,@function
_Z39paged_attention_ll4mi_QKV_mfma16_kernelI14__hip_bfloat16hLN4vllm18Fp8KVCacheDataTypeE1ES0_Li16ELi64ELi256ELb0ELi10EEvPKT_PKT0_S8_ifPKiSA_SA_iPKfiiiPfSD_PS3_PT2_iSC_SC_: ; @_Z39paged_attention_ll4mi_QKV_mfma16_kernelI14__hip_bfloat16hLN4vllm18Fp8KVCacheDataTypeE1ES0_Li16ELi64ELi256ELb0ELi10EEvPKT_PKT0_S8_ifPKiSA_SA_iPKfiiiPfSD_PS3_PT2_iSC_SC_
; %bb.0:
	s_get_pc_i64 s[2:3]
	s_add_nc_u64 s[2:3], s[2:3], __PRETTY_FUNCTION__._Z39paged_attention_ll4mi_QKV_mfma16_kernelI14__hip_bfloat16hLN4vllm18Fp8KVCacheDataTypeE1ES0_Li16ELi64ELi256ELb0ELi10EEvPKT_PKT0_S8_ifPKiSA_SA_iPKfiiiPfSD_PS3_PT2_iSC_SC_@rel64+4
	s_delay_alu instid0(SALU_CYCLE_1)
	v_dual_mov_b32 v0, 0xbb3 :: v_dual_mov_b32 v1, s2
	v_mov_b32_e32 v2, s3
	s_add_nc_u64 s[8:9], s[0:1], 0x90
	s_get_pc_i64 s[0:1]
	s_add_nc_u64 s[0:1], s[0:1], __assert_fail@rel64+4
	s_mov_b32 s32, 0
	s_swap_pc_i64 s[30:31], s[0:1]
	.section	.rodata,"a",@progbits
	.p2align	6, 0x0
	.amdhsa_kernel _Z39paged_attention_ll4mi_QKV_mfma16_kernelI14__hip_bfloat16hLN4vllm18Fp8KVCacheDataTypeE1ES0_Li16ELi64ELi256ELb0ELi10EEvPKT_PKT0_S8_ifPKiSA_SA_iPKfiiiPfSD_PS3_PT2_iSC_SC_
		.amdhsa_group_segment_fixed_size 0
		.amdhsa_private_segment_fixed_size 64
		.amdhsa_kernarg_size 400
		.amdhsa_user_sgpr_count 2
		.amdhsa_user_sgpr_dispatch_ptr 0
		.amdhsa_user_sgpr_queue_ptr 0
		.amdhsa_user_sgpr_kernarg_segment_ptr 1
		.amdhsa_user_sgpr_dispatch_id 0
		.amdhsa_user_sgpr_kernarg_preload_length 0
		.amdhsa_user_sgpr_kernarg_preload_offset 0
		.amdhsa_user_sgpr_private_segment_size 0
		.amdhsa_wavefront_size32 1
		.amdhsa_uses_dynamic_stack 0
		.amdhsa_enable_private_segment 1
		.amdhsa_system_sgpr_workgroup_id_x 1
		.amdhsa_system_sgpr_workgroup_id_y 0
		.amdhsa_system_sgpr_workgroup_id_z 0
		.amdhsa_system_sgpr_workgroup_info 0
		.amdhsa_system_vgpr_workitem_id 0
		.amdhsa_next_free_vgpr 51
		.amdhsa_next_free_sgpr 34
		.amdhsa_named_barrier_count 0
		.amdhsa_reserve_vcc 1
		.amdhsa_float_round_mode_32 0
		.amdhsa_float_round_mode_16_64 0
		.amdhsa_float_denorm_mode_32 3
		.amdhsa_float_denorm_mode_16_64 3
		.amdhsa_fp16_overflow 0
		.amdhsa_memory_ordered 1
		.amdhsa_forward_progress 1
		.amdhsa_inst_pref_size 1
		.amdhsa_round_robin_scheduling 0
		.amdhsa_exception_fp_ieee_invalid_op 0
		.amdhsa_exception_fp_denorm_src 0
		.amdhsa_exception_fp_ieee_div_zero 0
		.amdhsa_exception_fp_ieee_overflow 0
		.amdhsa_exception_fp_ieee_underflow 0
		.amdhsa_exception_fp_ieee_inexact 0
		.amdhsa_exception_int_div_zero 0
	.end_amdhsa_kernel
	.section	.text._Z39paged_attention_ll4mi_QKV_mfma16_kernelI14__hip_bfloat16hLN4vllm18Fp8KVCacheDataTypeE1ES0_Li16ELi64ELi256ELb0ELi10EEvPKT_PKT0_S8_ifPKiSA_SA_iPKfiiiPfSD_PS3_PT2_iSC_SC_,"axG",@progbits,_Z39paged_attention_ll4mi_QKV_mfma16_kernelI14__hip_bfloat16hLN4vllm18Fp8KVCacheDataTypeE1ES0_Li16ELi64ELi256ELb0ELi10EEvPKT_PKT0_S8_ifPKiSA_SA_iPKfiiiPfSD_PS3_PT2_iSC_SC_,comdat
.Lfunc_end1159:
	.size	_Z39paged_attention_ll4mi_QKV_mfma16_kernelI14__hip_bfloat16hLN4vllm18Fp8KVCacheDataTypeE1ES0_Li16ELi64ELi256ELb0ELi10EEvPKT_PKT0_S8_ifPKiSA_SA_iPKfiiiPfSD_PS3_PT2_iSC_SC_, .Lfunc_end1159-_Z39paged_attention_ll4mi_QKV_mfma16_kernelI14__hip_bfloat16hLN4vllm18Fp8KVCacheDataTypeE1ES0_Li16ELi64ELi256ELb0ELi10EEvPKT_PKT0_S8_ifPKiSA_SA_iPKfiiiPfSD_PS3_PT2_iSC_SC_
                                        ; -- End function
	.set _Z39paged_attention_ll4mi_QKV_mfma16_kernelI14__hip_bfloat16hLN4vllm18Fp8KVCacheDataTypeE1ES0_Li16ELi64ELi256ELb0ELi10EEvPKT_PKT0_S8_ifPKiSA_SA_iPKfiiiPfSD_PS3_PT2_iSC_SC_.num_vgpr, max(3, .L__assert_fail.num_vgpr)
	.set _Z39paged_attention_ll4mi_QKV_mfma16_kernelI14__hip_bfloat16hLN4vllm18Fp8KVCacheDataTypeE1ES0_Li16ELi64ELi256ELb0ELi10EEvPKT_PKT0_S8_ifPKiSA_SA_iPKfiiiPfSD_PS3_PT2_iSC_SC_.num_agpr, max(0, .L__assert_fail.num_agpr)
	.set _Z39paged_attention_ll4mi_QKV_mfma16_kernelI14__hip_bfloat16hLN4vllm18Fp8KVCacheDataTypeE1ES0_Li16ELi64ELi256ELb0ELi10EEvPKT_PKT0_S8_ifPKiSA_SA_iPKfiiiPfSD_PS3_PT2_iSC_SC_.numbered_sgpr, max(33, .L__assert_fail.numbered_sgpr)
	.set _Z39paged_attention_ll4mi_QKV_mfma16_kernelI14__hip_bfloat16hLN4vllm18Fp8KVCacheDataTypeE1ES0_Li16ELi64ELi256ELb0ELi10EEvPKT_PKT0_S8_ifPKiSA_SA_iPKfiiiPfSD_PS3_PT2_iSC_SC_.num_named_barrier, max(0, .L__assert_fail.num_named_barrier)
	.set _Z39paged_attention_ll4mi_QKV_mfma16_kernelI14__hip_bfloat16hLN4vllm18Fp8KVCacheDataTypeE1ES0_Li16ELi64ELi256ELb0ELi10EEvPKT_PKT0_S8_ifPKiSA_SA_iPKfiiiPfSD_PS3_PT2_iSC_SC_.private_seg_size, 0+max(.L__assert_fail.private_seg_size)
	.set _Z39paged_attention_ll4mi_QKV_mfma16_kernelI14__hip_bfloat16hLN4vllm18Fp8KVCacheDataTypeE1ES0_Li16ELi64ELi256ELb0ELi10EEvPKT_PKT0_S8_ifPKiSA_SA_iPKfiiiPfSD_PS3_PT2_iSC_SC_.uses_vcc, or(1, .L__assert_fail.uses_vcc)
	.set _Z39paged_attention_ll4mi_QKV_mfma16_kernelI14__hip_bfloat16hLN4vllm18Fp8KVCacheDataTypeE1ES0_Li16ELi64ELi256ELb0ELi10EEvPKT_PKT0_S8_ifPKiSA_SA_iPKfiiiPfSD_PS3_PT2_iSC_SC_.uses_flat_scratch, or(0, .L__assert_fail.uses_flat_scratch)
	.set _Z39paged_attention_ll4mi_QKV_mfma16_kernelI14__hip_bfloat16hLN4vllm18Fp8KVCacheDataTypeE1ES0_Li16ELi64ELi256ELb0ELi10EEvPKT_PKT0_S8_ifPKiSA_SA_iPKfiiiPfSD_PS3_PT2_iSC_SC_.has_dyn_sized_stack, or(0, .L__assert_fail.has_dyn_sized_stack)
	.set _Z39paged_attention_ll4mi_QKV_mfma16_kernelI14__hip_bfloat16hLN4vllm18Fp8KVCacheDataTypeE1ES0_Li16ELi64ELi256ELb0ELi10EEvPKT_PKT0_S8_ifPKiSA_SA_iPKfiiiPfSD_PS3_PT2_iSC_SC_.has_recursion, or(0, .L__assert_fail.has_recursion)
	.set _Z39paged_attention_ll4mi_QKV_mfma16_kernelI14__hip_bfloat16hLN4vllm18Fp8KVCacheDataTypeE1ES0_Li16ELi64ELi256ELb0ELi10EEvPKT_PKT0_S8_ifPKiSA_SA_iPKfiiiPfSD_PS3_PT2_iSC_SC_.has_indirect_call, or(0, .L__assert_fail.has_indirect_call)
	.section	.AMDGPU.csdata,"",@progbits
; Kernel info:
; codeLenInByte = 68
; TotalNumSgprs: 36
; NumVgprs: 51
; ScratchSize: 64
; MemoryBound: 0
; FloatMode: 240
; IeeeMode: 1
; LDSByteSize: 0 bytes/workgroup (compile time only)
; SGPRBlocks: 0
; VGPRBlocks: 3
; NumSGPRsForWavesPerEU: 36
; NumVGPRsForWavesPerEU: 51
; NamedBarCnt: 0
; Occupancy: 16
; WaveLimiterHint : 1
; COMPUTE_PGM_RSRC2:SCRATCH_EN: 1
; COMPUTE_PGM_RSRC2:USER_SGPR: 2
; COMPUTE_PGM_RSRC2:TRAP_HANDLER: 0
; COMPUTE_PGM_RSRC2:TGID_X_EN: 1
; COMPUTE_PGM_RSRC2:TGID_Y_EN: 0
; COMPUTE_PGM_RSRC2:TGID_Z_EN: 0
; COMPUTE_PGM_RSRC2:TIDIG_COMP_CNT: 0
	.section	.text._Z39paged_attention_ll4mi_QKV_mfma16_kernelI14__hip_bfloat16hLN4vllm18Fp8KVCacheDataTypeE1ES0_Li16ELi64ELi256ELb0ELi11EEvPKT_PKT0_S8_ifPKiSA_SA_iPKfiiiPfSD_PS3_PT2_iSC_SC_,"axG",@progbits,_Z39paged_attention_ll4mi_QKV_mfma16_kernelI14__hip_bfloat16hLN4vllm18Fp8KVCacheDataTypeE1ES0_Li16ELi64ELi256ELb0ELi11EEvPKT_PKT0_S8_ifPKiSA_SA_iPKfiiiPfSD_PS3_PT2_iSC_SC_,comdat
	.protected	_Z39paged_attention_ll4mi_QKV_mfma16_kernelI14__hip_bfloat16hLN4vllm18Fp8KVCacheDataTypeE1ES0_Li16ELi64ELi256ELb0ELi11EEvPKT_PKT0_S8_ifPKiSA_SA_iPKfiiiPfSD_PS3_PT2_iSC_SC_ ; -- Begin function _Z39paged_attention_ll4mi_QKV_mfma16_kernelI14__hip_bfloat16hLN4vllm18Fp8KVCacheDataTypeE1ES0_Li16ELi64ELi256ELb0ELi11EEvPKT_PKT0_S8_ifPKiSA_SA_iPKfiiiPfSD_PS3_PT2_iSC_SC_
	.globl	_Z39paged_attention_ll4mi_QKV_mfma16_kernelI14__hip_bfloat16hLN4vllm18Fp8KVCacheDataTypeE1ES0_Li16ELi64ELi256ELb0ELi11EEvPKT_PKT0_S8_ifPKiSA_SA_iPKfiiiPfSD_PS3_PT2_iSC_SC_
	.p2align	8
	.type	_Z39paged_attention_ll4mi_QKV_mfma16_kernelI14__hip_bfloat16hLN4vllm18Fp8KVCacheDataTypeE1ES0_Li16ELi64ELi256ELb0ELi11EEvPKT_PKT0_S8_ifPKiSA_SA_iPKfiiiPfSD_PS3_PT2_iSC_SC_,@function
_Z39paged_attention_ll4mi_QKV_mfma16_kernelI14__hip_bfloat16hLN4vllm18Fp8KVCacheDataTypeE1ES0_Li16ELi64ELi256ELb0ELi11EEvPKT_PKT0_S8_ifPKiSA_SA_iPKfiiiPfSD_PS3_PT2_iSC_SC_: ; @_Z39paged_attention_ll4mi_QKV_mfma16_kernelI14__hip_bfloat16hLN4vllm18Fp8KVCacheDataTypeE1ES0_Li16ELi64ELi256ELb0ELi11EEvPKT_PKT0_S8_ifPKiSA_SA_iPKfiiiPfSD_PS3_PT2_iSC_SC_
; %bb.0:
	s_get_pc_i64 s[2:3]
	s_add_nc_u64 s[2:3], s[2:3], __PRETTY_FUNCTION__._Z39paged_attention_ll4mi_QKV_mfma16_kernelI14__hip_bfloat16hLN4vllm18Fp8KVCacheDataTypeE1ES0_Li16ELi64ELi256ELb0ELi11EEvPKT_PKT0_S8_ifPKiSA_SA_iPKfiiiPfSD_PS3_PT2_iSC_SC_@rel64+4
	s_delay_alu instid0(SALU_CYCLE_1)
	v_dual_mov_b32 v0, 0xbb3 :: v_dual_mov_b32 v1, s2
	v_mov_b32_e32 v2, s3
	s_add_nc_u64 s[8:9], s[0:1], 0x90
	s_get_pc_i64 s[0:1]
	s_add_nc_u64 s[0:1], s[0:1], __assert_fail@rel64+4
	s_mov_b32 s32, 0
	s_swap_pc_i64 s[30:31], s[0:1]
	.section	.rodata,"a",@progbits
	.p2align	6, 0x0
	.amdhsa_kernel _Z39paged_attention_ll4mi_QKV_mfma16_kernelI14__hip_bfloat16hLN4vllm18Fp8KVCacheDataTypeE1ES0_Li16ELi64ELi256ELb0ELi11EEvPKT_PKT0_S8_ifPKiSA_SA_iPKfiiiPfSD_PS3_PT2_iSC_SC_
		.amdhsa_group_segment_fixed_size 0
		.amdhsa_private_segment_fixed_size 64
		.amdhsa_kernarg_size 400
		.amdhsa_user_sgpr_count 2
		.amdhsa_user_sgpr_dispatch_ptr 0
		.amdhsa_user_sgpr_queue_ptr 0
		.amdhsa_user_sgpr_kernarg_segment_ptr 1
		.amdhsa_user_sgpr_dispatch_id 0
		.amdhsa_user_sgpr_kernarg_preload_length 0
		.amdhsa_user_sgpr_kernarg_preload_offset 0
		.amdhsa_user_sgpr_private_segment_size 0
		.amdhsa_wavefront_size32 1
		.amdhsa_uses_dynamic_stack 0
		.amdhsa_enable_private_segment 1
		.amdhsa_system_sgpr_workgroup_id_x 1
		.amdhsa_system_sgpr_workgroup_id_y 0
		.amdhsa_system_sgpr_workgroup_id_z 0
		.amdhsa_system_sgpr_workgroup_info 0
		.amdhsa_system_vgpr_workitem_id 0
		.amdhsa_next_free_vgpr 51
		.amdhsa_next_free_sgpr 34
		.amdhsa_named_barrier_count 0
		.amdhsa_reserve_vcc 1
		.amdhsa_float_round_mode_32 0
		.amdhsa_float_round_mode_16_64 0
		.amdhsa_float_denorm_mode_32 3
		.amdhsa_float_denorm_mode_16_64 3
		.amdhsa_fp16_overflow 0
		.amdhsa_memory_ordered 1
		.amdhsa_forward_progress 1
		.amdhsa_inst_pref_size 1
		.amdhsa_round_robin_scheduling 0
		.amdhsa_exception_fp_ieee_invalid_op 0
		.amdhsa_exception_fp_denorm_src 0
		.amdhsa_exception_fp_ieee_div_zero 0
		.amdhsa_exception_fp_ieee_overflow 0
		.amdhsa_exception_fp_ieee_underflow 0
		.amdhsa_exception_fp_ieee_inexact 0
		.amdhsa_exception_int_div_zero 0
	.end_amdhsa_kernel
	.section	.text._Z39paged_attention_ll4mi_QKV_mfma16_kernelI14__hip_bfloat16hLN4vllm18Fp8KVCacheDataTypeE1ES0_Li16ELi64ELi256ELb0ELi11EEvPKT_PKT0_S8_ifPKiSA_SA_iPKfiiiPfSD_PS3_PT2_iSC_SC_,"axG",@progbits,_Z39paged_attention_ll4mi_QKV_mfma16_kernelI14__hip_bfloat16hLN4vllm18Fp8KVCacheDataTypeE1ES0_Li16ELi64ELi256ELb0ELi11EEvPKT_PKT0_S8_ifPKiSA_SA_iPKfiiiPfSD_PS3_PT2_iSC_SC_,comdat
.Lfunc_end1160:
	.size	_Z39paged_attention_ll4mi_QKV_mfma16_kernelI14__hip_bfloat16hLN4vllm18Fp8KVCacheDataTypeE1ES0_Li16ELi64ELi256ELb0ELi11EEvPKT_PKT0_S8_ifPKiSA_SA_iPKfiiiPfSD_PS3_PT2_iSC_SC_, .Lfunc_end1160-_Z39paged_attention_ll4mi_QKV_mfma16_kernelI14__hip_bfloat16hLN4vllm18Fp8KVCacheDataTypeE1ES0_Li16ELi64ELi256ELb0ELi11EEvPKT_PKT0_S8_ifPKiSA_SA_iPKfiiiPfSD_PS3_PT2_iSC_SC_
                                        ; -- End function
	.set _Z39paged_attention_ll4mi_QKV_mfma16_kernelI14__hip_bfloat16hLN4vllm18Fp8KVCacheDataTypeE1ES0_Li16ELi64ELi256ELb0ELi11EEvPKT_PKT0_S8_ifPKiSA_SA_iPKfiiiPfSD_PS3_PT2_iSC_SC_.num_vgpr, max(3, .L__assert_fail.num_vgpr)
	.set _Z39paged_attention_ll4mi_QKV_mfma16_kernelI14__hip_bfloat16hLN4vllm18Fp8KVCacheDataTypeE1ES0_Li16ELi64ELi256ELb0ELi11EEvPKT_PKT0_S8_ifPKiSA_SA_iPKfiiiPfSD_PS3_PT2_iSC_SC_.num_agpr, max(0, .L__assert_fail.num_agpr)
	.set _Z39paged_attention_ll4mi_QKV_mfma16_kernelI14__hip_bfloat16hLN4vllm18Fp8KVCacheDataTypeE1ES0_Li16ELi64ELi256ELb0ELi11EEvPKT_PKT0_S8_ifPKiSA_SA_iPKfiiiPfSD_PS3_PT2_iSC_SC_.numbered_sgpr, max(33, .L__assert_fail.numbered_sgpr)
	.set _Z39paged_attention_ll4mi_QKV_mfma16_kernelI14__hip_bfloat16hLN4vllm18Fp8KVCacheDataTypeE1ES0_Li16ELi64ELi256ELb0ELi11EEvPKT_PKT0_S8_ifPKiSA_SA_iPKfiiiPfSD_PS3_PT2_iSC_SC_.num_named_barrier, max(0, .L__assert_fail.num_named_barrier)
	.set _Z39paged_attention_ll4mi_QKV_mfma16_kernelI14__hip_bfloat16hLN4vllm18Fp8KVCacheDataTypeE1ES0_Li16ELi64ELi256ELb0ELi11EEvPKT_PKT0_S8_ifPKiSA_SA_iPKfiiiPfSD_PS3_PT2_iSC_SC_.private_seg_size, 0+max(.L__assert_fail.private_seg_size)
	.set _Z39paged_attention_ll4mi_QKV_mfma16_kernelI14__hip_bfloat16hLN4vllm18Fp8KVCacheDataTypeE1ES0_Li16ELi64ELi256ELb0ELi11EEvPKT_PKT0_S8_ifPKiSA_SA_iPKfiiiPfSD_PS3_PT2_iSC_SC_.uses_vcc, or(1, .L__assert_fail.uses_vcc)
	.set _Z39paged_attention_ll4mi_QKV_mfma16_kernelI14__hip_bfloat16hLN4vllm18Fp8KVCacheDataTypeE1ES0_Li16ELi64ELi256ELb0ELi11EEvPKT_PKT0_S8_ifPKiSA_SA_iPKfiiiPfSD_PS3_PT2_iSC_SC_.uses_flat_scratch, or(0, .L__assert_fail.uses_flat_scratch)
	.set _Z39paged_attention_ll4mi_QKV_mfma16_kernelI14__hip_bfloat16hLN4vllm18Fp8KVCacheDataTypeE1ES0_Li16ELi64ELi256ELb0ELi11EEvPKT_PKT0_S8_ifPKiSA_SA_iPKfiiiPfSD_PS3_PT2_iSC_SC_.has_dyn_sized_stack, or(0, .L__assert_fail.has_dyn_sized_stack)
	.set _Z39paged_attention_ll4mi_QKV_mfma16_kernelI14__hip_bfloat16hLN4vllm18Fp8KVCacheDataTypeE1ES0_Li16ELi64ELi256ELb0ELi11EEvPKT_PKT0_S8_ifPKiSA_SA_iPKfiiiPfSD_PS3_PT2_iSC_SC_.has_recursion, or(0, .L__assert_fail.has_recursion)
	.set _Z39paged_attention_ll4mi_QKV_mfma16_kernelI14__hip_bfloat16hLN4vllm18Fp8KVCacheDataTypeE1ES0_Li16ELi64ELi256ELb0ELi11EEvPKT_PKT0_S8_ifPKiSA_SA_iPKfiiiPfSD_PS3_PT2_iSC_SC_.has_indirect_call, or(0, .L__assert_fail.has_indirect_call)
	.section	.AMDGPU.csdata,"",@progbits
; Kernel info:
; codeLenInByte = 68
; TotalNumSgprs: 36
; NumVgprs: 51
; ScratchSize: 64
; MemoryBound: 0
; FloatMode: 240
; IeeeMode: 1
; LDSByteSize: 0 bytes/workgroup (compile time only)
; SGPRBlocks: 0
; VGPRBlocks: 3
; NumSGPRsForWavesPerEU: 36
; NumVGPRsForWavesPerEU: 51
; NamedBarCnt: 0
; Occupancy: 16
; WaveLimiterHint : 1
; COMPUTE_PGM_RSRC2:SCRATCH_EN: 1
; COMPUTE_PGM_RSRC2:USER_SGPR: 2
; COMPUTE_PGM_RSRC2:TRAP_HANDLER: 0
; COMPUTE_PGM_RSRC2:TGID_X_EN: 1
; COMPUTE_PGM_RSRC2:TGID_Y_EN: 0
; COMPUTE_PGM_RSRC2:TGID_Z_EN: 0
; COMPUTE_PGM_RSRC2:TIDIG_COMP_CNT: 0
	.section	.text._Z39paged_attention_ll4mi_QKV_mfma16_kernelI14__hip_bfloat16hLN4vllm18Fp8KVCacheDataTypeE1ES0_Li16ELi64ELi256ELb0ELi12EEvPKT_PKT0_S8_ifPKiSA_SA_iPKfiiiPfSD_PS3_PT2_iSC_SC_,"axG",@progbits,_Z39paged_attention_ll4mi_QKV_mfma16_kernelI14__hip_bfloat16hLN4vllm18Fp8KVCacheDataTypeE1ES0_Li16ELi64ELi256ELb0ELi12EEvPKT_PKT0_S8_ifPKiSA_SA_iPKfiiiPfSD_PS3_PT2_iSC_SC_,comdat
	.protected	_Z39paged_attention_ll4mi_QKV_mfma16_kernelI14__hip_bfloat16hLN4vllm18Fp8KVCacheDataTypeE1ES0_Li16ELi64ELi256ELb0ELi12EEvPKT_PKT0_S8_ifPKiSA_SA_iPKfiiiPfSD_PS3_PT2_iSC_SC_ ; -- Begin function _Z39paged_attention_ll4mi_QKV_mfma16_kernelI14__hip_bfloat16hLN4vllm18Fp8KVCacheDataTypeE1ES0_Li16ELi64ELi256ELb0ELi12EEvPKT_PKT0_S8_ifPKiSA_SA_iPKfiiiPfSD_PS3_PT2_iSC_SC_
	.globl	_Z39paged_attention_ll4mi_QKV_mfma16_kernelI14__hip_bfloat16hLN4vllm18Fp8KVCacheDataTypeE1ES0_Li16ELi64ELi256ELb0ELi12EEvPKT_PKT0_S8_ifPKiSA_SA_iPKfiiiPfSD_PS3_PT2_iSC_SC_
	.p2align	8
	.type	_Z39paged_attention_ll4mi_QKV_mfma16_kernelI14__hip_bfloat16hLN4vllm18Fp8KVCacheDataTypeE1ES0_Li16ELi64ELi256ELb0ELi12EEvPKT_PKT0_S8_ifPKiSA_SA_iPKfiiiPfSD_PS3_PT2_iSC_SC_,@function
_Z39paged_attention_ll4mi_QKV_mfma16_kernelI14__hip_bfloat16hLN4vllm18Fp8KVCacheDataTypeE1ES0_Li16ELi64ELi256ELb0ELi12EEvPKT_PKT0_S8_ifPKiSA_SA_iPKfiiiPfSD_PS3_PT2_iSC_SC_: ; @_Z39paged_attention_ll4mi_QKV_mfma16_kernelI14__hip_bfloat16hLN4vllm18Fp8KVCacheDataTypeE1ES0_Li16ELi64ELi256ELb0ELi12EEvPKT_PKT0_S8_ifPKiSA_SA_iPKfiiiPfSD_PS3_PT2_iSC_SC_
; %bb.0:
	s_get_pc_i64 s[2:3]
	s_add_nc_u64 s[2:3], s[2:3], __PRETTY_FUNCTION__._Z39paged_attention_ll4mi_QKV_mfma16_kernelI14__hip_bfloat16hLN4vllm18Fp8KVCacheDataTypeE1ES0_Li16ELi64ELi256ELb0ELi12EEvPKT_PKT0_S8_ifPKiSA_SA_iPKfiiiPfSD_PS3_PT2_iSC_SC_@rel64+4
	s_delay_alu instid0(SALU_CYCLE_1)
	v_dual_mov_b32 v0, 0xbb3 :: v_dual_mov_b32 v1, s2
	v_mov_b32_e32 v2, s3
	s_add_nc_u64 s[8:9], s[0:1], 0x90
	s_get_pc_i64 s[0:1]
	s_add_nc_u64 s[0:1], s[0:1], __assert_fail@rel64+4
	s_mov_b32 s32, 0
	s_swap_pc_i64 s[30:31], s[0:1]
	.section	.rodata,"a",@progbits
	.p2align	6, 0x0
	.amdhsa_kernel _Z39paged_attention_ll4mi_QKV_mfma16_kernelI14__hip_bfloat16hLN4vllm18Fp8KVCacheDataTypeE1ES0_Li16ELi64ELi256ELb0ELi12EEvPKT_PKT0_S8_ifPKiSA_SA_iPKfiiiPfSD_PS3_PT2_iSC_SC_
		.amdhsa_group_segment_fixed_size 0
		.amdhsa_private_segment_fixed_size 64
		.amdhsa_kernarg_size 400
		.amdhsa_user_sgpr_count 2
		.amdhsa_user_sgpr_dispatch_ptr 0
		.amdhsa_user_sgpr_queue_ptr 0
		.amdhsa_user_sgpr_kernarg_segment_ptr 1
		.amdhsa_user_sgpr_dispatch_id 0
		.amdhsa_user_sgpr_kernarg_preload_length 0
		.amdhsa_user_sgpr_kernarg_preload_offset 0
		.amdhsa_user_sgpr_private_segment_size 0
		.amdhsa_wavefront_size32 1
		.amdhsa_uses_dynamic_stack 0
		.amdhsa_enable_private_segment 1
		.amdhsa_system_sgpr_workgroup_id_x 1
		.amdhsa_system_sgpr_workgroup_id_y 0
		.amdhsa_system_sgpr_workgroup_id_z 0
		.amdhsa_system_sgpr_workgroup_info 0
		.amdhsa_system_vgpr_workitem_id 0
		.amdhsa_next_free_vgpr 51
		.amdhsa_next_free_sgpr 34
		.amdhsa_named_barrier_count 0
		.amdhsa_reserve_vcc 1
		.amdhsa_float_round_mode_32 0
		.amdhsa_float_round_mode_16_64 0
		.amdhsa_float_denorm_mode_32 3
		.amdhsa_float_denorm_mode_16_64 3
		.amdhsa_fp16_overflow 0
		.amdhsa_memory_ordered 1
		.amdhsa_forward_progress 1
		.amdhsa_inst_pref_size 1
		.amdhsa_round_robin_scheduling 0
		.amdhsa_exception_fp_ieee_invalid_op 0
		.amdhsa_exception_fp_denorm_src 0
		.amdhsa_exception_fp_ieee_div_zero 0
		.amdhsa_exception_fp_ieee_overflow 0
		.amdhsa_exception_fp_ieee_underflow 0
		.amdhsa_exception_fp_ieee_inexact 0
		.amdhsa_exception_int_div_zero 0
	.end_amdhsa_kernel
	.section	.text._Z39paged_attention_ll4mi_QKV_mfma16_kernelI14__hip_bfloat16hLN4vllm18Fp8KVCacheDataTypeE1ES0_Li16ELi64ELi256ELb0ELi12EEvPKT_PKT0_S8_ifPKiSA_SA_iPKfiiiPfSD_PS3_PT2_iSC_SC_,"axG",@progbits,_Z39paged_attention_ll4mi_QKV_mfma16_kernelI14__hip_bfloat16hLN4vllm18Fp8KVCacheDataTypeE1ES0_Li16ELi64ELi256ELb0ELi12EEvPKT_PKT0_S8_ifPKiSA_SA_iPKfiiiPfSD_PS3_PT2_iSC_SC_,comdat
.Lfunc_end1161:
	.size	_Z39paged_attention_ll4mi_QKV_mfma16_kernelI14__hip_bfloat16hLN4vllm18Fp8KVCacheDataTypeE1ES0_Li16ELi64ELi256ELb0ELi12EEvPKT_PKT0_S8_ifPKiSA_SA_iPKfiiiPfSD_PS3_PT2_iSC_SC_, .Lfunc_end1161-_Z39paged_attention_ll4mi_QKV_mfma16_kernelI14__hip_bfloat16hLN4vllm18Fp8KVCacheDataTypeE1ES0_Li16ELi64ELi256ELb0ELi12EEvPKT_PKT0_S8_ifPKiSA_SA_iPKfiiiPfSD_PS3_PT2_iSC_SC_
                                        ; -- End function
	.set _Z39paged_attention_ll4mi_QKV_mfma16_kernelI14__hip_bfloat16hLN4vllm18Fp8KVCacheDataTypeE1ES0_Li16ELi64ELi256ELb0ELi12EEvPKT_PKT0_S8_ifPKiSA_SA_iPKfiiiPfSD_PS3_PT2_iSC_SC_.num_vgpr, max(3, .L__assert_fail.num_vgpr)
	.set _Z39paged_attention_ll4mi_QKV_mfma16_kernelI14__hip_bfloat16hLN4vllm18Fp8KVCacheDataTypeE1ES0_Li16ELi64ELi256ELb0ELi12EEvPKT_PKT0_S8_ifPKiSA_SA_iPKfiiiPfSD_PS3_PT2_iSC_SC_.num_agpr, max(0, .L__assert_fail.num_agpr)
	.set _Z39paged_attention_ll4mi_QKV_mfma16_kernelI14__hip_bfloat16hLN4vllm18Fp8KVCacheDataTypeE1ES0_Li16ELi64ELi256ELb0ELi12EEvPKT_PKT0_S8_ifPKiSA_SA_iPKfiiiPfSD_PS3_PT2_iSC_SC_.numbered_sgpr, max(33, .L__assert_fail.numbered_sgpr)
	.set _Z39paged_attention_ll4mi_QKV_mfma16_kernelI14__hip_bfloat16hLN4vllm18Fp8KVCacheDataTypeE1ES0_Li16ELi64ELi256ELb0ELi12EEvPKT_PKT0_S8_ifPKiSA_SA_iPKfiiiPfSD_PS3_PT2_iSC_SC_.num_named_barrier, max(0, .L__assert_fail.num_named_barrier)
	.set _Z39paged_attention_ll4mi_QKV_mfma16_kernelI14__hip_bfloat16hLN4vllm18Fp8KVCacheDataTypeE1ES0_Li16ELi64ELi256ELb0ELi12EEvPKT_PKT0_S8_ifPKiSA_SA_iPKfiiiPfSD_PS3_PT2_iSC_SC_.private_seg_size, 0+max(.L__assert_fail.private_seg_size)
	.set _Z39paged_attention_ll4mi_QKV_mfma16_kernelI14__hip_bfloat16hLN4vllm18Fp8KVCacheDataTypeE1ES0_Li16ELi64ELi256ELb0ELi12EEvPKT_PKT0_S8_ifPKiSA_SA_iPKfiiiPfSD_PS3_PT2_iSC_SC_.uses_vcc, or(1, .L__assert_fail.uses_vcc)
	.set _Z39paged_attention_ll4mi_QKV_mfma16_kernelI14__hip_bfloat16hLN4vllm18Fp8KVCacheDataTypeE1ES0_Li16ELi64ELi256ELb0ELi12EEvPKT_PKT0_S8_ifPKiSA_SA_iPKfiiiPfSD_PS3_PT2_iSC_SC_.uses_flat_scratch, or(0, .L__assert_fail.uses_flat_scratch)
	.set _Z39paged_attention_ll4mi_QKV_mfma16_kernelI14__hip_bfloat16hLN4vllm18Fp8KVCacheDataTypeE1ES0_Li16ELi64ELi256ELb0ELi12EEvPKT_PKT0_S8_ifPKiSA_SA_iPKfiiiPfSD_PS3_PT2_iSC_SC_.has_dyn_sized_stack, or(0, .L__assert_fail.has_dyn_sized_stack)
	.set _Z39paged_attention_ll4mi_QKV_mfma16_kernelI14__hip_bfloat16hLN4vllm18Fp8KVCacheDataTypeE1ES0_Li16ELi64ELi256ELb0ELi12EEvPKT_PKT0_S8_ifPKiSA_SA_iPKfiiiPfSD_PS3_PT2_iSC_SC_.has_recursion, or(0, .L__assert_fail.has_recursion)
	.set _Z39paged_attention_ll4mi_QKV_mfma16_kernelI14__hip_bfloat16hLN4vllm18Fp8KVCacheDataTypeE1ES0_Li16ELi64ELi256ELb0ELi12EEvPKT_PKT0_S8_ifPKiSA_SA_iPKfiiiPfSD_PS3_PT2_iSC_SC_.has_indirect_call, or(0, .L__assert_fail.has_indirect_call)
	.section	.AMDGPU.csdata,"",@progbits
; Kernel info:
; codeLenInByte = 68
; TotalNumSgprs: 36
; NumVgprs: 51
; ScratchSize: 64
; MemoryBound: 0
; FloatMode: 240
; IeeeMode: 1
; LDSByteSize: 0 bytes/workgroup (compile time only)
; SGPRBlocks: 0
; VGPRBlocks: 3
; NumSGPRsForWavesPerEU: 36
; NumVGPRsForWavesPerEU: 51
; NamedBarCnt: 0
; Occupancy: 16
; WaveLimiterHint : 1
; COMPUTE_PGM_RSRC2:SCRATCH_EN: 1
; COMPUTE_PGM_RSRC2:USER_SGPR: 2
; COMPUTE_PGM_RSRC2:TRAP_HANDLER: 0
; COMPUTE_PGM_RSRC2:TGID_X_EN: 1
; COMPUTE_PGM_RSRC2:TGID_Y_EN: 0
; COMPUTE_PGM_RSRC2:TGID_Z_EN: 0
; COMPUTE_PGM_RSRC2:TIDIG_COMP_CNT: 0
	.section	.text._Z39paged_attention_ll4mi_QKV_mfma16_kernelI14__hip_bfloat16hLN4vllm18Fp8KVCacheDataTypeE1ES0_Li16ELi64ELi256ELb0ELi13EEvPKT_PKT0_S8_ifPKiSA_SA_iPKfiiiPfSD_PS3_PT2_iSC_SC_,"axG",@progbits,_Z39paged_attention_ll4mi_QKV_mfma16_kernelI14__hip_bfloat16hLN4vllm18Fp8KVCacheDataTypeE1ES0_Li16ELi64ELi256ELb0ELi13EEvPKT_PKT0_S8_ifPKiSA_SA_iPKfiiiPfSD_PS3_PT2_iSC_SC_,comdat
	.protected	_Z39paged_attention_ll4mi_QKV_mfma16_kernelI14__hip_bfloat16hLN4vllm18Fp8KVCacheDataTypeE1ES0_Li16ELi64ELi256ELb0ELi13EEvPKT_PKT0_S8_ifPKiSA_SA_iPKfiiiPfSD_PS3_PT2_iSC_SC_ ; -- Begin function _Z39paged_attention_ll4mi_QKV_mfma16_kernelI14__hip_bfloat16hLN4vllm18Fp8KVCacheDataTypeE1ES0_Li16ELi64ELi256ELb0ELi13EEvPKT_PKT0_S8_ifPKiSA_SA_iPKfiiiPfSD_PS3_PT2_iSC_SC_
	.globl	_Z39paged_attention_ll4mi_QKV_mfma16_kernelI14__hip_bfloat16hLN4vllm18Fp8KVCacheDataTypeE1ES0_Li16ELi64ELi256ELb0ELi13EEvPKT_PKT0_S8_ifPKiSA_SA_iPKfiiiPfSD_PS3_PT2_iSC_SC_
	.p2align	8
	.type	_Z39paged_attention_ll4mi_QKV_mfma16_kernelI14__hip_bfloat16hLN4vllm18Fp8KVCacheDataTypeE1ES0_Li16ELi64ELi256ELb0ELi13EEvPKT_PKT0_S8_ifPKiSA_SA_iPKfiiiPfSD_PS3_PT2_iSC_SC_,@function
_Z39paged_attention_ll4mi_QKV_mfma16_kernelI14__hip_bfloat16hLN4vllm18Fp8KVCacheDataTypeE1ES0_Li16ELi64ELi256ELb0ELi13EEvPKT_PKT0_S8_ifPKiSA_SA_iPKfiiiPfSD_PS3_PT2_iSC_SC_: ; @_Z39paged_attention_ll4mi_QKV_mfma16_kernelI14__hip_bfloat16hLN4vllm18Fp8KVCacheDataTypeE1ES0_Li16ELi64ELi256ELb0ELi13EEvPKT_PKT0_S8_ifPKiSA_SA_iPKfiiiPfSD_PS3_PT2_iSC_SC_
; %bb.0:
	s_get_pc_i64 s[2:3]
	s_add_nc_u64 s[2:3], s[2:3], __PRETTY_FUNCTION__._Z39paged_attention_ll4mi_QKV_mfma16_kernelI14__hip_bfloat16hLN4vllm18Fp8KVCacheDataTypeE1ES0_Li16ELi64ELi256ELb0ELi13EEvPKT_PKT0_S8_ifPKiSA_SA_iPKfiiiPfSD_PS3_PT2_iSC_SC_@rel64+4
	s_delay_alu instid0(SALU_CYCLE_1)
	v_dual_mov_b32 v0, 0xbb3 :: v_dual_mov_b32 v1, s2
	v_mov_b32_e32 v2, s3
	s_add_nc_u64 s[8:9], s[0:1], 0x90
	s_get_pc_i64 s[0:1]
	s_add_nc_u64 s[0:1], s[0:1], __assert_fail@rel64+4
	s_mov_b32 s32, 0
	s_swap_pc_i64 s[30:31], s[0:1]
	.section	.rodata,"a",@progbits
	.p2align	6, 0x0
	.amdhsa_kernel _Z39paged_attention_ll4mi_QKV_mfma16_kernelI14__hip_bfloat16hLN4vllm18Fp8KVCacheDataTypeE1ES0_Li16ELi64ELi256ELb0ELi13EEvPKT_PKT0_S8_ifPKiSA_SA_iPKfiiiPfSD_PS3_PT2_iSC_SC_
		.amdhsa_group_segment_fixed_size 0
		.amdhsa_private_segment_fixed_size 64
		.amdhsa_kernarg_size 400
		.amdhsa_user_sgpr_count 2
		.amdhsa_user_sgpr_dispatch_ptr 0
		.amdhsa_user_sgpr_queue_ptr 0
		.amdhsa_user_sgpr_kernarg_segment_ptr 1
		.amdhsa_user_sgpr_dispatch_id 0
		.amdhsa_user_sgpr_kernarg_preload_length 0
		.amdhsa_user_sgpr_kernarg_preload_offset 0
		.amdhsa_user_sgpr_private_segment_size 0
		.amdhsa_wavefront_size32 1
		.amdhsa_uses_dynamic_stack 0
		.amdhsa_enable_private_segment 1
		.amdhsa_system_sgpr_workgroup_id_x 1
		.amdhsa_system_sgpr_workgroup_id_y 0
		.amdhsa_system_sgpr_workgroup_id_z 0
		.amdhsa_system_sgpr_workgroup_info 0
		.amdhsa_system_vgpr_workitem_id 0
		.amdhsa_next_free_vgpr 51
		.amdhsa_next_free_sgpr 34
		.amdhsa_named_barrier_count 0
		.amdhsa_reserve_vcc 1
		.amdhsa_float_round_mode_32 0
		.amdhsa_float_round_mode_16_64 0
		.amdhsa_float_denorm_mode_32 3
		.amdhsa_float_denorm_mode_16_64 3
		.amdhsa_fp16_overflow 0
		.amdhsa_memory_ordered 1
		.amdhsa_forward_progress 1
		.amdhsa_inst_pref_size 1
		.amdhsa_round_robin_scheduling 0
		.amdhsa_exception_fp_ieee_invalid_op 0
		.amdhsa_exception_fp_denorm_src 0
		.amdhsa_exception_fp_ieee_div_zero 0
		.amdhsa_exception_fp_ieee_overflow 0
		.amdhsa_exception_fp_ieee_underflow 0
		.amdhsa_exception_fp_ieee_inexact 0
		.amdhsa_exception_int_div_zero 0
	.end_amdhsa_kernel
	.section	.text._Z39paged_attention_ll4mi_QKV_mfma16_kernelI14__hip_bfloat16hLN4vllm18Fp8KVCacheDataTypeE1ES0_Li16ELi64ELi256ELb0ELi13EEvPKT_PKT0_S8_ifPKiSA_SA_iPKfiiiPfSD_PS3_PT2_iSC_SC_,"axG",@progbits,_Z39paged_attention_ll4mi_QKV_mfma16_kernelI14__hip_bfloat16hLN4vllm18Fp8KVCacheDataTypeE1ES0_Li16ELi64ELi256ELb0ELi13EEvPKT_PKT0_S8_ifPKiSA_SA_iPKfiiiPfSD_PS3_PT2_iSC_SC_,comdat
.Lfunc_end1162:
	.size	_Z39paged_attention_ll4mi_QKV_mfma16_kernelI14__hip_bfloat16hLN4vllm18Fp8KVCacheDataTypeE1ES0_Li16ELi64ELi256ELb0ELi13EEvPKT_PKT0_S8_ifPKiSA_SA_iPKfiiiPfSD_PS3_PT2_iSC_SC_, .Lfunc_end1162-_Z39paged_attention_ll4mi_QKV_mfma16_kernelI14__hip_bfloat16hLN4vllm18Fp8KVCacheDataTypeE1ES0_Li16ELi64ELi256ELb0ELi13EEvPKT_PKT0_S8_ifPKiSA_SA_iPKfiiiPfSD_PS3_PT2_iSC_SC_
                                        ; -- End function
	.set _Z39paged_attention_ll4mi_QKV_mfma16_kernelI14__hip_bfloat16hLN4vllm18Fp8KVCacheDataTypeE1ES0_Li16ELi64ELi256ELb0ELi13EEvPKT_PKT0_S8_ifPKiSA_SA_iPKfiiiPfSD_PS3_PT2_iSC_SC_.num_vgpr, max(3, .L__assert_fail.num_vgpr)
	.set _Z39paged_attention_ll4mi_QKV_mfma16_kernelI14__hip_bfloat16hLN4vllm18Fp8KVCacheDataTypeE1ES0_Li16ELi64ELi256ELb0ELi13EEvPKT_PKT0_S8_ifPKiSA_SA_iPKfiiiPfSD_PS3_PT2_iSC_SC_.num_agpr, max(0, .L__assert_fail.num_agpr)
	.set _Z39paged_attention_ll4mi_QKV_mfma16_kernelI14__hip_bfloat16hLN4vllm18Fp8KVCacheDataTypeE1ES0_Li16ELi64ELi256ELb0ELi13EEvPKT_PKT0_S8_ifPKiSA_SA_iPKfiiiPfSD_PS3_PT2_iSC_SC_.numbered_sgpr, max(33, .L__assert_fail.numbered_sgpr)
	.set _Z39paged_attention_ll4mi_QKV_mfma16_kernelI14__hip_bfloat16hLN4vllm18Fp8KVCacheDataTypeE1ES0_Li16ELi64ELi256ELb0ELi13EEvPKT_PKT0_S8_ifPKiSA_SA_iPKfiiiPfSD_PS3_PT2_iSC_SC_.num_named_barrier, max(0, .L__assert_fail.num_named_barrier)
	.set _Z39paged_attention_ll4mi_QKV_mfma16_kernelI14__hip_bfloat16hLN4vllm18Fp8KVCacheDataTypeE1ES0_Li16ELi64ELi256ELb0ELi13EEvPKT_PKT0_S8_ifPKiSA_SA_iPKfiiiPfSD_PS3_PT2_iSC_SC_.private_seg_size, 0+max(.L__assert_fail.private_seg_size)
	.set _Z39paged_attention_ll4mi_QKV_mfma16_kernelI14__hip_bfloat16hLN4vllm18Fp8KVCacheDataTypeE1ES0_Li16ELi64ELi256ELb0ELi13EEvPKT_PKT0_S8_ifPKiSA_SA_iPKfiiiPfSD_PS3_PT2_iSC_SC_.uses_vcc, or(1, .L__assert_fail.uses_vcc)
	.set _Z39paged_attention_ll4mi_QKV_mfma16_kernelI14__hip_bfloat16hLN4vllm18Fp8KVCacheDataTypeE1ES0_Li16ELi64ELi256ELb0ELi13EEvPKT_PKT0_S8_ifPKiSA_SA_iPKfiiiPfSD_PS3_PT2_iSC_SC_.uses_flat_scratch, or(0, .L__assert_fail.uses_flat_scratch)
	.set _Z39paged_attention_ll4mi_QKV_mfma16_kernelI14__hip_bfloat16hLN4vllm18Fp8KVCacheDataTypeE1ES0_Li16ELi64ELi256ELb0ELi13EEvPKT_PKT0_S8_ifPKiSA_SA_iPKfiiiPfSD_PS3_PT2_iSC_SC_.has_dyn_sized_stack, or(0, .L__assert_fail.has_dyn_sized_stack)
	.set _Z39paged_attention_ll4mi_QKV_mfma16_kernelI14__hip_bfloat16hLN4vllm18Fp8KVCacheDataTypeE1ES0_Li16ELi64ELi256ELb0ELi13EEvPKT_PKT0_S8_ifPKiSA_SA_iPKfiiiPfSD_PS3_PT2_iSC_SC_.has_recursion, or(0, .L__assert_fail.has_recursion)
	.set _Z39paged_attention_ll4mi_QKV_mfma16_kernelI14__hip_bfloat16hLN4vllm18Fp8KVCacheDataTypeE1ES0_Li16ELi64ELi256ELb0ELi13EEvPKT_PKT0_S8_ifPKiSA_SA_iPKfiiiPfSD_PS3_PT2_iSC_SC_.has_indirect_call, or(0, .L__assert_fail.has_indirect_call)
	.section	.AMDGPU.csdata,"",@progbits
; Kernel info:
; codeLenInByte = 68
; TotalNumSgprs: 36
; NumVgprs: 51
; ScratchSize: 64
; MemoryBound: 0
; FloatMode: 240
; IeeeMode: 1
; LDSByteSize: 0 bytes/workgroup (compile time only)
; SGPRBlocks: 0
; VGPRBlocks: 3
; NumSGPRsForWavesPerEU: 36
; NumVGPRsForWavesPerEU: 51
; NamedBarCnt: 0
; Occupancy: 16
; WaveLimiterHint : 1
; COMPUTE_PGM_RSRC2:SCRATCH_EN: 1
; COMPUTE_PGM_RSRC2:USER_SGPR: 2
; COMPUTE_PGM_RSRC2:TRAP_HANDLER: 0
; COMPUTE_PGM_RSRC2:TGID_X_EN: 1
; COMPUTE_PGM_RSRC2:TGID_Y_EN: 0
; COMPUTE_PGM_RSRC2:TGID_Z_EN: 0
; COMPUTE_PGM_RSRC2:TIDIG_COMP_CNT: 0
	.section	.text._Z39paged_attention_ll4mi_QKV_mfma16_kernelI14__hip_bfloat16hLN4vllm18Fp8KVCacheDataTypeE1ES0_Li16ELi64ELi256ELb0ELi14EEvPKT_PKT0_S8_ifPKiSA_SA_iPKfiiiPfSD_PS3_PT2_iSC_SC_,"axG",@progbits,_Z39paged_attention_ll4mi_QKV_mfma16_kernelI14__hip_bfloat16hLN4vllm18Fp8KVCacheDataTypeE1ES0_Li16ELi64ELi256ELb0ELi14EEvPKT_PKT0_S8_ifPKiSA_SA_iPKfiiiPfSD_PS3_PT2_iSC_SC_,comdat
	.protected	_Z39paged_attention_ll4mi_QKV_mfma16_kernelI14__hip_bfloat16hLN4vllm18Fp8KVCacheDataTypeE1ES0_Li16ELi64ELi256ELb0ELi14EEvPKT_PKT0_S8_ifPKiSA_SA_iPKfiiiPfSD_PS3_PT2_iSC_SC_ ; -- Begin function _Z39paged_attention_ll4mi_QKV_mfma16_kernelI14__hip_bfloat16hLN4vllm18Fp8KVCacheDataTypeE1ES0_Li16ELi64ELi256ELb0ELi14EEvPKT_PKT0_S8_ifPKiSA_SA_iPKfiiiPfSD_PS3_PT2_iSC_SC_
	.globl	_Z39paged_attention_ll4mi_QKV_mfma16_kernelI14__hip_bfloat16hLN4vllm18Fp8KVCacheDataTypeE1ES0_Li16ELi64ELi256ELb0ELi14EEvPKT_PKT0_S8_ifPKiSA_SA_iPKfiiiPfSD_PS3_PT2_iSC_SC_
	.p2align	8
	.type	_Z39paged_attention_ll4mi_QKV_mfma16_kernelI14__hip_bfloat16hLN4vllm18Fp8KVCacheDataTypeE1ES0_Li16ELi64ELi256ELb0ELi14EEvPKT_PKT0_S8_ifPKiSA_SA_iPKfiiiPfSD_PS3_PT2_iSC_SC_,@function
_Z39paged_attention_ll4mi_QKV_mfma16_kernelI14__hip_bfloat16hLN4vllm18Fp8KVCacheDataTypeE1ES0_Li16ELi64ELi256ELb0ELi14EEvPKT_PKT0_S8_ifPKiSA_SA_iPKfiiiPfSD_PS3_PT2_iSC_SC_: ; @_Z39paged_attention_ll4mi_QKV_mfma16_kernelI14__hip_bfloat16hLN4vllm18Fp8KVCacheDataTypeE1ES0_Li16ELi64ELi256ELb0ELi14EEvPKT_PKT0_S8_ifPKiSA_SA_iPKfiiiPfSD_PS3_PT2_iSC_SC_
; %bb.0:
	s_get_pc_i64 s[2:3]
	s_add_nc_u64 s[2:3], s[2:3], __PRETTY_FUNCTION__._Z39paged_attention_ll4mi_QKV_mfma16_kernelI14__hip_bfloat16hLN4vllm18Fp8KVCacheDataTypeE1ES0_Li16ELi64ELi256ELb0ELi14EEvPKT_PKT0_S8_ifPKiSA_SA_iPKfiiiPfSD_PS3_PT2_iSC_SC_@rel64+4
	s_delay_alu instid0(SALU_CYCLE_1)
	v_dual_mov_b32 v0, 0xbb3 :: v_dual_mov_b32 v1, s2
	v_mov_b32_e32 v2, s3
	s_add_nc_u64 s[8:9], s[0:1], 0x90
	s_get_pc_i64 s[0:1]
	s_add_nc_u64 s[0:1], s[0:1], __assert_fail@rel64+4
	s_mov_b32 s32, 0
	s_swap_pc_i64 s[30:31], s[0:1]
	.section	.rodata,"a",@progbits
	.p2align	6, 0x0
	.amdhsa_kernel _Z39paged_attention_ll4mi_QKV_mfma16_kernelI14__hip_bfloat16hLN4vllm18Fp8KVCacheDataTypeE1ES0_Li16ELi64ELi256ELb0ELi14EEvPKT_PKT0_S8_ifPKiSA_SA_iPKfiiiPfSD_PS3_PT2_iSC_SC_
		.amdhsa_group_segment_fixed_size 0
		.amdhsa_private_segment_fixed_size 64
		.amdhsa_kernarg_size 400
		.amdhsa_user_sgpr_count 2
		.amdhsa_user_sgpr_dispatch_ptr 0
		.amdhsa_user_sgpr_queue_ptr 0
		.amdhsa_user_sgpr_kernarg_segment_ptr 1
		.amdhsa_user_sgpr_dispatch_id 0
		.amdhsa_user_sgpr_kernarg_preload_length 0
		.amdhsa_user_sgpr_kernarg_preload_offset 0
		.amdhsa_user_sgpr_private_segment_size 0
		.amdhsa_wavefront_size32 1
		.amdhsa_uses_dynamic_stack 0
		.amdhsa_enable_private_segment 1
		.amdhsa_system_sgpr_workgroup_id_x 1
		.amdhsa_system_sgpr_workgroup_id_y 0
		.amdhsa_system_sgpr_workgroup_id_z 0
		.amdhsa_system_sgpr_workgroup_info 0
		.amdhsa_system_vgpr_workitem_id 0
		.amdhsa_next_free_vgpr 51
		.amdhsa_next_free_sgpr 34
		.amdhsa_named_barrier_count 0
		.amdhsa_reserve_vcc 1
		.amdhsa_float_round_mode_32 0
		.amdhsa_float_round_mode_16_64 0
		.amdhsa_float_denorm_mode_32 3
		.amdhsa_float_denorm_mode_16_64 3
		.amdhsa_fp16_overflow 0
		.amdhsa_memory_ordered 1
		.amdhsa_forward_progress 1
		.amdhsa_inst_pref_size 1
		.amdhsa_round_robin_scheduling 0
		.amdhsa_exception_fp_ieee_invalid_op 0
		.amdhsa_exception_fp_denorm_src 0
		.amdhsa_exception_fp_ieee_div_zero 0
		.amdhsa_exception_fp_ieee_overflow 0
		.amdhsa_exception_fp_ieee_underflow 0
		.amdhsa_exception_fp_ieee_inexact 0
		.amdhsa_exception_int_div_zero 0
	.end_amdhsa_kernel
	.section	.text._Z39paged_attention_ll4mi_QKV_mfma16_kernelI14__hip_bfloat16hLN4vllm18Fp8KVCacheDataTypeE1ES0_Li16ELi64ELi256ELb0ELi14EEvPKT_PKT0_S8_ifPKiSA_SA_iPKfiiiPfSD_PS3_PT2_iSC_SC_,"axG",@progbits,_Z39paged_attention_ll4mi_QKV_mfma16_kernelI14__hip_bfloat16hLN4vllm18Fp8KVCacheDataTypeE1ES0_Li16ELi64ELi256ELb0ELi14EEvPKT_PKT0_S8_ifPKiSA_SA_iPKfiiiPfSD_PS3_PT2_iSC_SC_,comdat
.Lfunc_end1163:
	.size	_Z39paged_attention_ll4mi_QKV_mfma16_kernelI14__hip_bfloat16hLN4vllm18Fp8KVCacheDataTypeE1ES0_Li16ELi64ELi256ELb0ELi14EEvPKT_PKT0_S8_ifPKiSA_SA_iPKfiiiPfSD_PS3_PT2_iSC_SC_, .Lfunc_end1163-_Z39paged_attention_ll4mi_QKV_mfma16_kernelI14__hip_bfloat16hLN4vllm18Fp8KVCacheDataTypeE1ES0_Li16ELi64ELi256ELb0ELi14EEvPKT_PKT0_S8_ifPKiSA_SA_iPKfiiiPfSD_PS3_PT2_iSC_SC_
                                        ; -- End function
	.set _Z39paged_attention_ll4mi_QKV_mfma16_kernelI14__hip_bfloat16hLN4vllm18Fp8KVCacheDataTypeE1ES0_Li16ELi64ELi256ELb0ELi14EEvPKT_PKT0_S8_ifPKiSA_SA_iPKfiiiPfSD_PS3_PT2_iSC_SC_.num_vgpr, max(3, .L__assert_fail.num_vgpr)
	.set _Z39paged_attention_ll4mi_QKV_mfma16_kernelI14__hip_bfloat16hLN4vllm18Fp8KVCacheDataTypeE1ES0_Li16ELi64ELi256ELb0ELi14EEvPKT_PKT0_S8_ifPKiSA_SA_iPKfiiiPfSD_PS3_PT2_iSC_SC_.num_agpr, max(0, .L__assert_fail.num_agpr)
	.set _Z39paged_attention_ll4mi_QKV_mfma16_kernelI14__hip_bfloat16hLN4vllm18Fp8KVCacheDataTypeE1ES0_Li16ELi64ELi256ELb0ELi14EEvPKT_PKT0_S8_ifPKiSA_SA_iPKfiiiPfSD_PS3_PT2_iSC_SC_.numbered_sgpr, max(33, .L__assert_fail.numbered_sgpr)
	.set _Z39paged_attention_ll4mi_QKV_mfma16_kernelI14__hip_bfloat16hLN4vllm18Fp8KVCacheDataTypeE1ES0_Li16ELi64ELi256ELb0ELi14EEvPKT_PKT0_S8_ifPKiSA_SA_iPKfiiiPfSD_PS3_PT2_iSC_SC_.num_named_barrier, max(0, .L__assert_fail.num_named_barrier)
	.set _Z39paged_attention_ll4mi_QKV_mfma16_kernelI14__hip_bfloat16hLN4vllm18Fp8KVCacheDataTypeE1ES0_Li16ELi64ELi256ELb0ELi14EEvPKT_PKT0_S8_ifPKiSA_SA_iPKfiiiPfSD_PS3_PT2_iSC_SC_.private_seg_size, 0+max(.L__assert_fail.private_seg_size)
	.set _Z39paged_attention_ll4mi_QKV_mfma16_kernelI14__hip_bfloat16hLN4vllm18Fp8KVCacheDataTypeE1ES0_Li16ELi64ELi256ELb0ELi14EEvPKT_PKT0_S8_ifPKiSA_SA_iPKfiiiPfSD_PS3_PT2_iSC_SC_.uses_vcc, or(1, .L__assert_fail.uses_vcc)
	.set _Z39paged_attention_ll4mi_QKV_mfma16_kernelI14__hip_bfloat16hLN4vllm18Fp8KVCacheDataTypeE1ES0_Li16ELi64ELi256ELb0ELi14EEvPKT_PKT0_S8_ifPKiSA_SA_iPKfiiiPfSD_PS3_PT2_iSC_SC_.uses_flat_scratch, or(0, .L__assert_fail.uses_flat_scratch)
	.set _Z39paged_attention_ll4mi_QKV_mfma16_kernelI14__hip_bfloat16hLN4vllm18Fp8KVCacheDataTypeE1ES0_Li16ELi64ELi256ELb0ELi14EEvPKT_PKT0_S8_ifPKiSA_SA_iPKfiiiPfSD_PS3_PT2_iSC_SC_.has_dyn_sized_stack, or(0, .L__assert_fail.has_dyn_sized_stack)
	.set _Z39paged_attention_ll4mi_QKV_mfma16_kernelI14__hip_bfloat16hLN4vllm18Fp8KVCacheDataTypeE1ES0_Li16ELi64ELi256ELb0ELi14EEvPKT_PKT0_S8_ifPKiSA_SA_iPKfiiiPfSD_PS3_PT2_iSC_SC_.has_recursion, or(0, .L__assert_fail.has_recursion)
	.set _Z39paged_attention_ll4mi_QKV_mfma16_kernelI14__hip_bfloat16hLN4vllm18Fp8KVCacheDataTypeE1ES0_Li16ELi64ELi256ELb0ELi14EEvPKT_PKT0_S8_ifPKiSA_SA_iPKfiiiPfSD_PS3_PT2_iSC_SC_.has_indirect_call, or(0, .L__assert_fail.has_indirect_call)
	.section	.AMDGPU.csdata,"",@progbits
; Kernel info:
; codeLenInByte = 68
; TotalNumSgprs: 36
; NumVgprs: 51
; ScratchSize: 64
; MemoryBound: 0
; FloatMode: 240
; IeeeMode: 1
; LDSByteSize: 0 bytes/workgroup (compile time only)
; SGPRBlocks: 0
; VGPRBlocks: 3
; NumSGPRsForWavesPerEU: 36
; NumVGPRsForWavesPerEU: 51
; NamedBarCnt: 0
; Occupancy: 16
; WaveLimiterHint : 1
; COMPUTE_PGM_RSRC2:SCRATCH_EN: 1
; COMPUTE_PGM_RSRC2:USER_SGPR: 2
; COMPUTE_PGM_RSRC2:TRAP_HANDLER: 0
; COMPUTE_PGM_RSRC2:TGID_X_EN: 1
; COMPUTE_PGM_RSRC2:TGID_Y_EN: 0
; COMPUTE_PGM_RSRC2:TGID_Z_EN: 0
; COMPUTE_PGM_RSRC2:TIDIG_COMP_CNT: 0
	.section	.text._Z39paged_attention_ll4mi_QKV_mfma16_kernelI14__hip_bfloat16hLN4vllm18Fp8KVCacheDataTypeE1ES0_Li16ELi64ELi256ELb0ELi15EEvPKT_PKT0_S8_ifPKiSA_SA_iPKfiiiPfSD_PS3_PT2_iSC_SC_,"axG",@progbits,_Z39paged_attention_ll4mi_QKV_mfma16_kernelI14__hip_bfloat16hLN4vllm18Fp8KVCacheDataTypeE1ES0_Li16ELi64ELi256ELb0ELi15EEvPKT_PKT0_S8_ifPKiSA_SA_iPKfiiiPfSD_PS3_PT2_iSC_SC_,comdat
	.protected	_Z39paged_attention_ll4mi_QKV_mfma16_kernelI14__hip_bfloat16hLN4vllm18Fp8KVCacheDataTypeE1ES0_Li16ELi64ELi256ELb0ELi15EEvPKT_PKT0_S8_ifPKiSA_SA_iPKfiiiPfSD_PS3_PT2_iSC_SC_ ; -- Begin function _Z39paged_attention_ll4mi_QKV_mfma16_kernelI14__hip_bfloat16hLN4vllm18Fp8KVCacheDataTypeE1ES0_Li16ELi64ELi256ELb0ELi15EEvPKT_PKT0_S8_ifPKiSA_SA_iPKfiiiPfSD_PS3_PT2_iSC_SC_
	.globl	_Z39paged_attention_ll4mi_QKV_mfma16_kernelI14__hip_bfloat16hLN4vllm18Fp8KVCacheDataTypeE1ES0_Li16ELi64ELi256ELb0ELi15EEvPKT_PKT0_S8_ifPKiSA_SA_iPKfiiiPfSD_PS3_PT2_iSC_SC_
	.p2align	8
	.type	_Z39paged_attention_ll4mi_QKV_mfma16_kernelI14__hip_bfloat16hLN4vllm18Fp8KVCacheDataTypeE1ES0_Li16ELi64ELi256ELb0ELi15EEvPKT_PKT0_S8_ifPKiSA_SA_iPKfiiiPfSD_PS3_PT2_iSC_SC_,@function
_Z39paged_attention_ll4mi_QKV_mfma16_kernelI14__hip_bfloat16hLN4vllm18Fp8KVCacheDataTypeE1ES0_Li16ELi64ELi256ELb0ELi15EEvPKT_PKT0_S8_ifPKiSA_SA_iPKfiiiPfSD_PS3_PT2_iSC_SC_: ; @_Z39paged_attention_ll4mi_QKV_mfma16_kernelI14__hip_bfloat16hLN4vllm18Fp8KVCacheDataTypeE1ES0_Li16ELi64ELi256ELb0ELi15EEvPKT_PKT0_S8_ifPKiSA_SA_iPKfiiiPfSD_PS3_PT2_iSC_SC_
; %bb.0:
	s_get_pc_i64 s[2:3]
	s_add_nc_u64 s[2:3], s[2:3], __PRETTY_FUNCTION__._Z39paged_attention_ll4mi_QKV_mfma16_kernelI14__hip_bfloat16hLN4vllm18Fp8KVCacheDataTypeE1ES0_Li16ELi64ELi256ELb0ELi15EEvPKT_PKT0_S8_ifPKiSA_SA_iPKfiiiPfSD_PS3_PT2_iSC_SC_@rel64+4
	s_delay_alu instid0(SALU_CYCLE_1)
	v_dual_mov_b32 v0, 0xbb3 :: v_dual_mov_b32 v1, s2
	v_mov_b32_e32 v2, s3
	s_add_nc_u64 s[8:9], s[0:1], 0x90
	s_get_pc_i64 s[0:1]
	s_add_nc_u64 s[0:1], s[0:1], __assert_fail@rel64+4
	s_mov_b32 s32, 0
	s_swap_pc_i64 s[30:31], s[0:1]
	.section	.rodata,"a",@progbits
	.p2align	6, 0x0
	.amdhsa_kernel _Z39paged_attention_ll4mi_QKV_mfma16_kernelI14__hip_bfloat16hLN4vllm18Fp8KVCacheDataTypeE1ES0_Li16ELi64ELi256ELb0ELi15EEvPKT_PKT0_S8_ifPKiSA_SA_iPKfiiiPfSD_PS3_PT2_iSC_SC_
		.amdhsa_group_segment_fixed_size 0
		.amdhsa_private_segment_fixed_size 64
		.amdhsa_kernarg_size 400
		.amdhsa_user_sgpr_count 2
		.amdhsa_user_sgpr_dispatch_ptr 0
		.amdhsa_user_sgpr_queue_ptr 0
		.amdhsa_user_sgpr_kernarg_segment_ptr 1
		.amdhsa_user_sgpr_dispatch_id 0
		.amdhsa_user_sgpr_kernarg_preload_length 0
		.amdhsa_user_sgpr_kernarg_preload_offset 0
		.amdhsa_user_sgpr_private_segment_size 0
		.amdhsa_wavefront_size32 1
		.amdhsa_uses_dynamic_stack 0
		.amdhsa_enable_private_segment 1
		.amdhsa_system_sgpr_workgroup_id_x 1
		.amdhsa_system_sgpr_workgroup_id_y 0
		.amdhsa_system_sgpr_workgroup_id_z 0
		.amdhsa_system_sgpr_workgroup_info 0
		.amdhsa_system_vgpr_workitem_id 0
		.amdhsa_next_free_vgpr 51
		.amdhsa_next_free_sgpr 34
		.amdhsa_named_barrier_count 0
		.amdhsa_reserve_vcc 1
		.amdhsa_float_round_mode_32 0
		.amdhsa_float_round_mode_16_64 0
		.amdhsa_float_denorm_mode_32 3
		.amdhsa_float_denorm_mode_16_64 3
		.amdhsa_fp16_overflow 0
		.amdhsa_memory_ordered 1
		.amdhsa_forward_progress 1
		.amdhsa_inst_pref_size 1
		.amdhsa_round_robin_scheduling 0
		.amdhsa_exception_fp_ieee_invalid_op 0
		.amdhsa_exception_fp_denorm_src 0
		.amdhsa_exception_fp_ieee_div_zero 0
		.amdhsa_exception_fp_ieee_overflow 0
		.amdhsa_exception_fp_ieee_underflow 0
		.amdhsa_exception_fp_ieee_inexact 0
		.amdhsa_exception_int_div_zero 0
	.end_amdhsa_kernel
	.section	.text._Z39paged_attention_ll4mi_QKV_mfma16_kernelI14__hip_bfloat16hLN4vllm18Fp8KVCacheDataTypeE1ES0_Li16ELi64ELi256ELb0ELi15EEvPKT_PKT0_S8_ifPKiSA_SA_iPKfiiiPfSD_PS3_PT2_iSC_SC_,"axG",@progbits,_Z39paged_attention_ll4mi_QKV_mfma16_kernelI14__hip_bfloat16hLN4vllm18Fp8KVCacheDataTypeE1ES0_Li16ELi64ELi256ELb0ELi15EEvPKT_PKT0_S8_ifPKiSA_SA_iPKfiiiPfSD_PS3_PT2_iSC_SC_,comdat
.Lfunc_end1164:
	.size	_Z39paged_attention_ll4mi_QKV_mfma16_kernelI14__hip_bfloat16hLN4vllm18Fp8KVCacheDataTypeE1ES0_Li16ELi64ELi256ELb0ELi15EEvPKT_PKT0_S8_ifPKiSA_SA_iPKfiiiPfSD_PS3_PT2_iSC_SC_, .Lfunc_end1164-_Z39paged_attention_ll4mi_QKV_mfma16_kernelI14__hip_bfloat16hLN4vllm18Fp8KVCacheDataTypeE1ES0_Li16ELi64ELi256ELb0ELi15EEvPKT_PKT0_S8_ifPKiSA_SA_iPKfiiiPfSD_PS3_PT2_iSC_SC_
                                        ; -- End function
	.set _Z39paged_attention_ll4mi_QKV_mfma16_kernelI14__hip_bfloat16hLN4vllm18Fp8KVCacheDataTypeE1ES0_Li16ELi64ELi256ELb0ELi15EEvPKT_PKT0_S8_ifPKiSA_SA_iPKfiiiPfSD_PS3_PT2_iSC_SC_.num_vgpr, max(3, .L__assert_fail.num_vgpr)
	.set _Z39paged_attention_ll4mi_QKV_mfma16_kernelI14__hip_bfloat16hLN4vllm18Fp8KVCacheDataTypeE1ES0_Li16ELi64ELi256ELb0ELi15EEvPKT_PKT0_S8_ifPKiSA_SA_iPKfiiiPfSD_PS3_PT2_iSC_SC_.num_agpr, max(0, .L__assert_fail.num_agpr)
	.set _Z39paged_attention_ll4mi_QKV_mfma16_kernelI14__hip_bfloat16hLN4vllm18Fp8KVCacheDataTypeE1ES0_Li16ELi64ELi256ELb0ELi15EEvPKT_PKT0_S8_ifPKiSA_SA_iPKfiiiPfSD_PS3_PT2_iSC_SC_.numbered_sgpr, max(33, .L__assert_fail.numbered_sgpr)
	.set _Z39paged_attention_ll4mi_QKV_mfma16_kernelI14__hip_bfloat16hLN4vllm18Fp8KVCacheDataTypeE1ES0_Li16ELi64ELi256ELb0ELi15EEvPKT_PKT0_S8_ifPKiSA_SA_iPKfiiiPfSD_PS3_PT2_iSC_SC_.num_named_barrier, max(0, .L__assert_fail.num_named_barrier)
	.set _Z39paged_attention_ll4mi_QKV_mfma16_kernelI14__hip_bfloat16hLN4vllm18Fp8KVCacheDataTypeE1ES0_Li16ELi64ELi256ELb0ELi15EEvPKT_PKT0_S8_ifPKiSA_SA_iPKfiiiPfSD_PS3_PT2_iSC_SC_.private_seg_size, 0+max(.L__assert_fail.private_seg_size)
	.set _Z39paged_attention_ll4mi_QKV_mfma16_kernelI14__hip_bfloat16hLN4vllm18Fp8KVCacheDataTypeE1ES0_Li16ELi64ELi256ELb0ELi15EEvPKT_PKT0_S8_ifPKiSA_SA_iPKfiiiPfSD_PS3_PT2_iSC_SC_.uses_vcc, or(1, .L__assert_fail.uses_vcc)
	.set _Z39paged_attention_ll4mi_QKV_mfma16_kernelI14__hip_bfloat16hLN4vllm18Fp8KVCacheDataTypeE1ES0_Li16ELi64ELi256ELb0ELi15EEvPKT_PKT0_S8_ifPKiSA_SA_iPKfiiiPfSD_PS3_PT2_iSC_SC_.uses_flat_scratch, or(0, .L__assert_fail.uses_flat_scratch)
	.set _Z39paged_attention_ll4mi_QKV_mfma16_kernelI14__hip_bfloat16hLN4vllm18Fp8KVCacheDataTypeE1ES0_Li16ELi64ELi256ELb0ELi15EEvPKT_PKT0_S8_ifPKiSA_SA_iPKfiiiPfSD_PS3_PT2_iSC_SC_.has_dyn_sized_stack, or(0, .L__assert_fail.has_dyn_sized_stack)
	.set _Z39paged_attention_ll4mi_QKV_mfma16_kernelI14__hip_bfloat16hLN4vllm18Fp8KVCacheDataTypeE1ES0_Li16ELi64ELi256ELb0ELi15EEvPKT_PKT0_S8_ifPKiSA_SA_iPKfiiiPfSD_PS3_PT2_iSC_SC_.has_recursion, or(0, .L__assert_fail.has_recursion)
	.set _Z39paged_attention_ll4mi_QKV_mfma16_kernelI14__hip_bfloat16hLN4vllm18Fp8KVCacheDataTypeE1ES0_Li16ELi64ELi256ELb0ELi15EEvPKT_PKT0_S8_ifPKiSA_SA_iPKfiiiPfSD_PS3_PT2_iSC_SC_.has_indirect_call, or(0, .L__assert_fail.has_indirect_call)
	.section	.AMDGPU.csdata,"",@progbits
; Kernel info:
; codeLenInByte = 68
; TotalNumSgprs: 36
; NumVgprs: 51
; ScratchSize: 64
; MemoryBound: 0
; FloatMode: 240
; IeeeMode: 1
; LDSByteSize: 0 bytes/workgroup (compile time only)
; SGPRBlocks: 0
; VGPRBlocks: 3
; NumSGPRsForWavesPerEU: 36
; NumVGPRsForWavesPerEU: 51
; NamedBarCnt: 0
; Occupancy: 16
; WaveLimiterHint : 1
; COMPUTE_PGM_RSRC2:SCRATCH_EN: 1
; COMPUTE_PGM_RSRC2:USER_SGPR: 2
; COMPUTE_PGM_RSRC2:TRAP_HANDLER: 0
; COMPUTE_PGM_RSRC2:TGID_X_EN: 1
; COMPUTE_PGM_RSRC2:TGID_Y_EN: 0
; COMPUTE_PGM_RSRC2:TGID_Z_EN: 0
; COMPUTE_PGM_RSRC2:TIDIG_COMP_CNT: 0
	.section	.text._Z39paged_attention_ll4mi_QKV_mfma16_kernelI14__hip_bfloat16hLN4vllm18Fp8KVCacheDataTypeE1ES0_Li16ELi64ELi256ELb0ELi16EEvPKT_PKT0_S8_ifPKiSA_SA_iPKfiiiPfSD_PS3_PT2_iSC_SC_,"axG",@progbits,_Z39paged_attention_ll4mi_QKV_mfma16_kernelI14__hip_bfloat16hLN4vllm18Fp8KVCacheDataTypeE1ES0_Li16ELi64ELi256ELb0ELi16EEvPKT_PKT0_S8_ifPKiSA_SA_iPKfiiiPfSD_PS3_PT2_iSC_SC_,comdat
	.protected	_Z39paged_attention_ll4mi_QKV_mfma16_kernelI14__hip_bfloat16hLN4vllm18Fp8KVCacheDataTypeE1ES0_Li16ELi64ELi256ELb0ELi16EEvPKT_PKT0_S8_ifPKiSA_SA_iPKfiiiPfSD_PS3_PT2_iSC_SC_ ; -- Begin function _Z39paged_attention_ll4mi_QKV_mfma16_kernelI14__hip_bfloat16hLN4vllm18Fp8KVCacheDataTypeE1ES0_Li16ELi64ELi256ELb0ELi16EEvPKT_PKT0_S8_ifPKiSA_SA_iPKfiiiPfSD_PS3_PT2_iSC_SC_
	.globl	_Z39paged_attention_ll4mi_QKV_mfma16_kernelI14__hip_bfloat16hLN4vllm18Fp8KVCacheDataTypeE1ES0_Li16ELi64ELi256ELb0ELi16EEvPKT_PKT0_S8_ifPKiSA_SA_iPKfiiiPfSD_PS3_PT2_iSC_SC_
	.p2align	8
	.type	_Z39paged_attention_ll4mi_QKV_mfma16_kernelI14__hip_bfloat16hLN4vllm18Fp8KVCacheDataTypeE1ES0_Li16ELi64ELi256ELb0ELi16EEvPKT_PKT0_S8_ifPKiSA_SA_iPKfiiiPfSD_PS3_PT2_iSC_SC_,@function
_Z39paged_attention_ll4mi_QKV_mfma16_kernelI14__hip_bfloat16hLN4vllm18Fp8KVCacheDataTypeE1ES0_Li16ELi64ELi256ELb0ELi16EEvPKT_PKT0_S8_ifPKiSA_SA_iPKfiiiPfSD_PS3_PT2_iSC_SC_: ; @_Z39paged_attention_ll4mi_QKV_mfma16_kernelI14__hip_bfloat16hLN4vllm18Fp8KVCacheDataTypeE1ES0_Li16ELi64ELi256ELb0ELi16EEvPKT_PKT0_S8_ifPKiSA_SA_iPKfiiiPfSD_PS3_PT2_iSC_SC_
; %bb.0:
	s_get_pc_i64 s[2:3]
	s_add_nc_u64 s[2:3], s[2:3], __PRETTY_FUNCTION__._Z39paged_attention_ll4mi_QKV_mfma16_kernelI14__hip_bfloat16hLN4vllm18Fp8KVCacheDataTypeE1ES0_Li16ELi64ELi256ELb0ELi16EEvPKT_PKT0_S8_ifPKiSA_SA_iPKfiiiPfSD_PS3_PT2_iSC_SC_@rel64+4
	s_delay_alu instid0(SALU_CYCLE_1)
	v_dual_mov_b32 v0, 0xbb3 :: v_dual_mov_b32 v1, s2
	v_mov_b32_e32 v2, s3
	s_add_nc_u64 s[8:9], s[0:1], 0x90
	s_get_pc_i64 s[0:1]
	s_add_nc_u64 s[0:1], s[0:1], __assert_fail@rel64+4
	s_mov_b32 s32, 0
	s_swap_pc_i64 s[30:31], s[0:1]
	.section	.rodata,"a",@progbits
	.p2align	6, 0x0
	.amdhsa_kernel _Z39paged_attention_ll4mi_QKV_mfma16_kernelI14__hip_bfloat16hLN4vllm18Fp8KVCacheDataTypeE1ES0_Li16ELi64ELi256ELb0ELi16EEvPKT_PKT0_S8_ifPKiSA_SA_iPKfiiiPfSD_PS3_PT2_iSC_SC_
		.amdhsa_group_segment_fixed_size 0
		.amdhsa_private_segment_fixed_size 64
		.amdhsa_kernarg_size 400
		.amdhsa_user_sgpr_count 2
		.amdhsa_user_sgpr_dispatch_ptr 0
		.amdhsa_user_sgpr_queue_ptr 0
		.amdhsa_user_sgpr_kernarg_segment_ptr 1
		.amdhsa_user_sgpr_dispatch_id 0
		.amdhsa_user_sgpr_kernarg_preload_length 0
		.amdhsa_user_sgpr_kernarg_preload_offset 0
		.amdhsa_user_sgpr_private_segment_size 0
		.amdhsa_wavefront_size32 1
		.amdhsa_uses_dynamic_stack 0
		.amdhsa_enable_private_segment 1
		.amdhsa_system_sgpr_workgroup_id_x 1
		.amdhsa_system_sgpr_workgroup_id_y 0
		.amdhsa_system_sgpr_workgroup_id_z 0
		.amdhsa_system_sgpr_workgroup_info 0
		.amdhsa_system_vgpr_workitem_id 0
		.amdhsa_next_free_vgpr 51
		.amdhsa_next_free_sgpr 34
		.amdhsa_named_barrier_count 0
		.amdhsa_reserve_vcc 1
		.amdhsa_float_round_mode_32 0
		.amdhsa_float_round_mode_16_64 0
		.amdhsa_float_denorm_mode_32 3
		.amdhsa_float_denorm_mode_16_64 3
		.amdhsa_fp16_overflow 0
		.amdhsa_memory_ordered 1
		.amdhsa_forward_progress 1
		.amdhsa_inst_pref_size 1
		.amdhsa_round_robin_scheduling 0
		.amdhsa_exception_fp_ieee_invalid_op 0
		.amdhsa_exception_fp_denorm_src 0
		.amdhsa_exception_fp_ieee_div_zero 0
		.amdhsa_exception_fp_ieee_overflow 0
		.amdhsa_exception_fp_ieee_underflow 0
		.amdhsa_exception_fp_ieee_inexact 0
		.amdhsa_exception_int_div_zero 0
	.end_amdhsa_kernel
	.section	.text._Z39paged_attention_ll4mi_QKV_mfma16_kernelI14__hip_bfloat16hLN4vllm18Fp8KVCacheDataTypeE1ES0_Li16ELi64ELi256ELb0ELi16EEvPKT_PKT0_S8_ifPKiSA_SA_iPKfiiiPfSD_PS3_PT2_iSC_SC_,"axG",@progbits,_Z39paged_attention_ll4mi_QKV_mfma16_kernelI14__hip_bfloat16hLN4vllm18Fp8KVCacheDataTypeE1ES0_Li16ELi64ELi256ELb0ELi16EEvPKT_PKT0_S8_ifPKiSA_SA_iPKfiiiPfSD_PS3_PT2_iSC_SC_,comdat
.Lfunc_end1165:
	.size	_Z39paged_attention_ll4mi_QKV_mfma16_kernelI14__hip_bfloat16hLN4vllm18Fp8KVCacheDataTypeE1ES0_Li16ELi64ELi256ELb0ELi16EEvPKT_PKT0_S8_ifPKiSA_SA_iPKfiiiPfSD_PS3_PT2_iSC_SC_, .Lfunc_end1165-_Z39paged_attention_ll4mi_QKV_mfma16_kernelI14__hip_bfloat16hLN4vllm18Fp8KVCacheDataTypeE1ES0_Li16ELi64ELi256ELb0ELi16EEvPKT_PKT0_S8_ifPKiSA_SA_iPKfiiiPfSD_PS3_PT2_iSC_SC_
                                        ; -- End function
	.set _Z39paged_attention_ll4mi_QKV_mfma16_kernelI14__hip_bfloat16hLN4vllm18Fp8KVCacheDataTypeE1ES0_Li16ELi64ELi256ELb0ELi16EEvPKT_PKT0_S8_ifPKiSA_SA_iPKfiiiPfSD_PS3_PT2_iSC_SC_.num_vgpr, max(3, .L__assert_fail.num_vgpr)
	.set _Z39paged_attention_ll4mi_QKV_mfma16_kernelI14__hip_bfloat16hLN4vllm18Fp8KVCacheDataTypeE1ES0_Li16ELi64ELi256ELb0ELi16EEvPKT_PKT0_S8_ifPKiSA_SA_iPKfiiiPfSD_PS3_PT2_iSC_SC_.num_agpr, max(0, .L__assert_fail.num_agpr)
	.set _Z39paged_attention_ll4mi_QKV_mfma16_kernelI14__hip_bfloat16hLN4vllm18Fp8KVCacheDataTypeE1ES0_Li16ELi64ELi256ELb0ELi16EEvPKT_PKT0_S8_ifPKiSA_SA_iPKfiiiPfSD_PS3_PT2_iSC_SC_.numbered_sgpr, max(33, .L__assert_fail.numbered_sgpr)
	.set _Z39paged_attention_ll4mi_QKV_mfma16_kernelI14__hip_bfloat16hLN4vllm18Fp8KVCacheDataTypeE1ES0_Li16ELi64ELi256ELb0ELi16EEvPKT_PKT0_S8_ifPKiSA_SA_iPKfiiiPfSD_PS3_PT2_iSC_SC_.num_named_barrier, max(0, .L__assert_fail.num_named_barrier)
	.set _Z39paged_attention_ll4mi_QKV_mfma16_kernelI14__hip_bfloat16hLN4vllm18Fp8KVCacheDataTypeE1ES0_Li16ELi64ELi256ELb0ELi16EEvPKT_PKT0_S8_ifPKiSA_SA_iPKfiiiPfSD_PS3_PT2_iSC_SC_.private_seg_size, 0+max(.L__assert_fail.private_seg_size)
	.set _Z39paged_attention_ll4mi_QKV_mfma16_kernelI14__hip_bfloat16hLN4vllm18Fp8KVCacheDataTypeE1ES0_Li16ELi64ELi256ELb0ELi16EEvPKT_PKT0_S8_ifPKiSA_SA_iPKfiiiPfSD_PS3_PT2_iSC_SC_.uses_vcc, or(1, .L__assert_fail.uses_vcc)
	.set _Z39paged_attention_ll4mi_QKV_mfma16_kernelI14__hip_bfloat16hLN4vllm18Fp8KVCacheDataTypeE1ES0_Li16ELi64ELi256ELb0ELi16EEvPKT_PKT0_S8_ifPKiSA_SA_iPKfiiiPfSD_PS3_PT2_iSC_SC_.uses_flat_scratch, or(0, .L__assert_fail.uses_flat_scratch)
	.set _Z39paged_attention_ll4mi_QKV_mfma16_kernelI14__hip_bfloat16hLN4vllm18Fp8KVCacheDataTypeE1ES0_Li16ELi64ELi256ELb0ELi16EEvPKT_PKT0_S8_ifPKiSA_SA_iPKfiiiPfSD_PS3_PT2_iSC_SC_.has_dyn_sized_stack, or(0, .L__assert_fail.has_dyn_sized_stack)
	.set _Z39paged_attention_ll4mi_QKV_mfma16_kernelI14__hip_bfloat16hLN4vllm18Fp8KVCacheDataTypeE1ES0_Li16ELi64ELi256ELb0ELi16EEvPKT_PKT0_S8_ifPKiSA_SA_iPKfiiiPfSD_PS3_PT2_iSC_SC_.has_recursion, or(0, .L__assert_fail.has_recursion)
	.set _Z39paged_attention_ll4mi_QKV_mfma16_kernelI14__hip_bfloat16hLN4vllm18Fp8KVCacheDataTypeE1ES0_Li16ELi64ELi256ELb0ELi16EEvPKT_PKT0_S8_ifPKiSA_SA_iPKfiiiPfSD_PS3_PT2_iSC_SC_.has_indirect_call, or(0, .L__assert_fail.has_indirect_call)
	.section	.AMDGPU.csdata,"",@progbits
; Kernel info:
; codeLenInByte = 68
; TotalNumSgprs: 36
; NumVgprs: 51
; ScratchSize: 64
; MemoryBound: 0
; FloatMode: 240
; IeeeMode: 1
; LDSByteSize: 0 bytes/workgroup (compile time only)
; SGPRBlocks: 0
; VGPRBlocks: 3
; NumSGPRsForWavesPerEU: 36
; NumVGPRsForWavesPerEU: 51
; NamedBarCnt: 0
; Occupancy: 16
; WaveLimiterHint : 1
; COMPUTE_PGM_RSRC2:SCRATCH_EN: 1
; COMPUTE_PGM_RSRC2:USER_SGPR: 2
; COMPUTE_PGM_RSRC2:TRAP_HANDLER: 0
; COMPUTE_PGM_RSRC2:TGID_X_EN: 1
; COMPUTE_PGM_RSRC2:TGID_Y_EN: 0
; COMPUTE_PGM_RSRC2:TGID_Z_EN: 0
; COMPUTE_PGM_RSRC2:TIDIG_COMP_CNT: 0
	.section	.text._Z39paged_attention_ll4mi_QKV_mfma16_kernelI14__hip_bfloat16hLN4vllm18Fp8KVCacheDataTypeE1ES0_Li16ELi64ELi256ELb0ELi1EEvPKT_PKT0_S8_ifPKiSA_SA_iPKfiiiPfSD_PS3_PT2_iSC_SC_,"axG",@progbits,_Z39paged_attention_ll4mi_QKV_mfma16_kernelI14__hip_bfloat16hLN4vllm18Fp8KVCacheDataTypeE1ES0_Li16ELi64ELi256ELb0ELi1EEvPKT_PKT0_S8_ifPKiSA_SA_iPKfiiiPfSD_PS3_PT2_iSC_SC_,comdat
	.protected	_Z39paged_attention_ll4mi_QKV_mfma16_kernelI14__hip_bfloat16hLN4vllm18Fp8KVCacheDataTypeE1ES0_Li16ELi64ELi256ELb0ELi1EEvPKT_PKT0_S8_ifPKiSA_SA_iPKfiiiPfSD_PS3_PT2_iSC_SC_ ; -- Begin function _Z39paged_attention_ll4mi_QKV_mfma16_kernelI14__hip_bfloat16hLN4vllm18Fp8KVCacheDataTypeE1ES0_Li16ELi64ELi256ELb0ELi1EEvPKT_PKT0_S8_ifPKiSA_SA_iPKfiiiPfSD_PS3_PT2_iSC_SC_
	.globl	_Z39paged_attention_ll4mi_QKV_mfma16_kernelI14__hip_bfloat16hLN4vllm18Fp8KVCacheDataTypeE1ES0_Li16ELi64ELi256ELb0ELi1EEvPKT_PKT0_S8_ifPKiSA_SA_iPKfiiiPfSD_PS3_PT2_iSC_SC_
	.p2align	8
	.type	_Z39paged_attention_ll4mi_QKV_mfma16_kernelI14__hip_bfloat16hLN4vllm18Fp8KVCacheDataTypeE1ES0_Li16ELi64ELi256ELb0ELi1EEvPKT_PKT0_S8_ifPKiSA_SA_iPKfiiiPfSD_PS3_PT2_iSC_SC_,@function
_Z39paged_attention_ll4mi_QKV_mfma16_kernelI14__hip_bfloat16hLN4vllm18Fp8KVCacheDataTypeE1ES0_Li16ELi64ELi256ELb0ELi1EEvPKT_PKT0_S8_ifPKiSA_SA_iPKfiiiPfSD_PS3_PT2_iSC_SC_: ; @_Z39paged_attention_ll4mi_QKV_mfma16_kernelI14__hip_bfloat16hLN4vllm18Fp8KVCacheDataTypeE1ES0_Li16ELi64ELi256ELb0ELi1EEvPKT_PKT0_S8_ifPKiSA_SA_iPKfiiiPfSD_PS3_PT2_iSC_SC_
; %bb.0:
	s_get_pc_i64 s[2:3]
	s_add_nc_u64 s[2:3], s[2:3], __PRETTY_FUNCTION__._Z39paged_attention_ll4mi_QKV_mfma16_kernelI14__hip_bfloat16hLN4vllm18Fp8KVCacheDataTypeE1ES0_Li16ELi64ELi256ELb0ELi1EEvPKT_PKT0_S8_ifPKiSA_SA_iPKfiiiPfSD_PS3_PT2_iSC_SC_@rel64+4
	s_delay_alu instid0(SALU_CYCLE_1)
	v_dual_mov_b32 v0, 0xbb3 :: v_dual_mov_b32 v1, s2
	v_mov_b32_e32 v2, s3
	s_add_nc_u64 s[8:9], s[0:1], 0x90
	s_get_pc_i64 s[0:1]
	s_add_nc_u64 s[0:1], s[0:1], __assert_fail@rel64+4
	s_mov_b32 s32, 0
	s_swap_pc_i64 s[30:31], s[0:1]
	.section	.rodata,"a",@progbits
	.p2align	6, 0x0
	.amdhsa_kernel _Z39paged_attention_ll4mi_QKV_mfma16_kernelI14__hip_bfloat16hLN4vllm18Fp8KVCacheDataTypeE1ES0_Li16ELi64ELi256ELb0ELi1EEvPKT_PKT0_S8_ifPKiSA_SA_iPKfiiiPfSD_PS3_PT2_iSC_SC_
		.amdhsa_group_segment_fixed_size 0
		.amdhsa_private_segment_fixed_size 64
		.amdhsa_kernarg_size 400
		.amdhsa_user_sgpr_count 2
		.amdhsa_user_sgpr_dispatch_ptr 0
		.amdhsa_user_sgpr_queue_ptr 0
		.amdhsa_user_sgpr_kernarg_segment_ptr 1
		.amdhsa_user_sgpr_dispatch_id 0
		.amdhsa_user_sgpr_kernarg_preload_length 0
		.amdhsa_user_sgpr_kernarg_preload_offset 0
		.amdhsa_user_sgpr_private_segment_size 0
		.amdhsa_wavefront_size32 1
		.amdhsa_uses_dynamic_stack 0
		.amdhsa_enable_private_segment 1
		.amdhsa_system_sgpr_workgroup_id_x 1
		.amdhsa_system_sgpr_workgroup_id_y 0
		.amdhsa_system_sgpr_workgroup_id_z 0
		.amdhsa_system_sgpr_workgroup_info 0
		.amdhsa_system_vgpr_workitem_id 0
		.amdhsa_next_free_vgpr 51
		.amdhsa_next_free_sgpr 34
		.amdhsa_named_barrier_count 0
		.amdhsa_reserve_vcc 1
		.amdhsa_float_round_mode_32 0
		.amdhsa_float_round_mode_16_64 0
		.amdhsa_float_denorm_mode_32 3
		.amdhsa_float_denorm_mode_16_64 3
		.amdhsa_fp16_overflow 0
		.amdhsa_memory_ordered 1
		.amdhsa_forward_progress 1
		.amdhsa_inst_pref_size 1
		.amdhsa_round_robin_scheduling 0
		.amdhsa_exception_fp_ieee_invalid_op 0
		.amdhsa_exception_fp_denorm_src 0
		.amdhsa_exception_fp_ieee_div_zero 0
		.amdhsa_exception_fp_ieee_overflow 0
		.amdhsa_exception_fp_ieee_underflow 0
		.amdhsa_exception_fp_ieee_inexact 0
		.amdhsa_exception_int_div_zero 0
	.end_amdhsa_kernel
	.section	.text._Z39paged_attention_ll4mi_QKV_mfma16_kernelI14__hip_bfloat16hLN4vllm18Fp8KVCacheDataTypeE1ES0_Li16ELi64ELi256ELb0ELi1EEvPKT_PKT0_S8_ifPKiSA_SA_iPKfiiiPfSD_PS3_PT2_iSC_SC_,"axG",@progbits,_Z39paged_attention_ll4mi_QKV_mfma16_kernelI14__hip_bfloat16hLN4vllm18Fp8KVCacheDataTypeE1ES0_Li16ELi64ELi256ELb0ELi1EEvPKT_PKT0_S8_ifPKiSA_SA_iPKfiiiPfSD_PS3_PT2_iSC_SC_,comdat
.Lfunc_end1166:
	.size	_Z39paged_attention_ll4mi_QKV_mfma16_kernelI14__hip_bfloat16hLN4vllm18Fp8KVCacheDataTypeE1ES0_Li16ELi64ELi256ELb0ELi1EEvPKT_PKT0_S8_ifPKiSA_SA_iPKfiiiPfSD_PS3_PT2_iSC_SC_, .Lfunc_end1166-_Z39paged_attention_ll4mi_QKV_mfma16_kernelI14__hip_bfloat16hLN4vllm18Fp8KVCacheDataTypeE1ES0_Li16ELi64ELi256ELb0ELi1EEvPKT_PKT0_S8_ifPKiSA_SA_iPKfiiiPfSD_PS3_PT2_iSC_SC_
                                        ; -- End function
	.set _Z39paged_attention_ll4mi_QKV_mfma16_kernelI14__hip_bfloat16hLN4vllm18Fp8KVCacheDataTypeE1ES0_Li16ELi64ELi256ELb0ELi1EEvPKT_PKT0_S8_ifPKiSA_SA_iPKfiiiPfSD_PS3_PT2_iSC_SC_.num_vgpr, max(3, .L__assert_fail.num_vgpr)
	.set _Z39paged_attention_ll4mi_QKV_mfma16_kernelI14__hip_bfloat16hLN4vllm18Fp8KVCacheDataTypeE1ES0_Li16ELi64ELi256ELb0ELi1EEvPKT_PKT0_S8_ifPKiSA_SA_iPKfiiiPfSD_PS3_PT2_iSC_SC_.num_agpr, max(0, .L__assert_fail.num_agpr)
	.set _Z39paged_attention_ll4mi_QKV_mfma16_kernelI14__hip_bfloat16hLN4vllm18Fp8KVCacheDataTypeE1ES0_Li16ELi64ELi256ELb0ELi1EEvPKT_PKT0_S8_ifPKiSA_SA_iPKfiiiPfSD_PS3_PT2_iSC_SC_.numbered_sgpr, max(33, .L__assert_fail.numbered_sgpr)
	.set _Z39paged_attention_ll4mi_QKV_mfma16_kernelI14__hip_bfloat16hLN4vllm18Fp8KVCacheDataTypeE1ES0_Li16ELi64ELi256ELb0ELi1EEvPKT_PKT0_S8_ifPKiSA_SA_iPKfiiiPfSD_PS3_PT2_iSC_SC_.num_named_barrier, max(0, .L__assert_fail.num_named_barrier)
	.set _Z39paged_attention_ll4mi_QKV_mfma16_kernelI14__hip_bfloat16hLN4vllm18Fp8KVCacheDataTypeE1ES0_Li16ELi64ELi256ELb0ELi1EEvPKT_PKT0_S8_ifPKiSA_SA_iPKfiiiPfSD_PS3_PT2_iSC_SC_.private_seg_size, 0+max(.L__assert_fail.private_seg_size)
	.set _Z39paged_attention_ll4mi_QKV_mfma16_kernelI14__hip_bfloat16hLN4vllm18Fp8KVCacheDataTypeE1ES0_Li16ELi64ELi256ELb0ELi1EEvPKT_PKT0_S8_ifPKiSA_SA_iPKfiiiPfSD_PS3_PT2_iSC_SC_.uses_vcc, or(1, .L__assert_fail.uses_vcc)
	.set _Z39paged_attention_ll4mi_QKV_mfma16_kernelI14__hip_bfloat16hLN4vllm18Fp8KVCacheDataTypeE1ES0_Li16ELi64ELi256ELb0ELi1EEvPKT_PKT0_S8_ifPKiSA_SA_iPKfiiiPfSD_PS3_PT2_iSC_SC_.uses_flat_scratch, or(0, .L__assert_fail.uses_flat_scratch)
	.set _Z39paged_attention_ll4mi_QKV_mfma16_kernelI14__hip_bfloat16hLN4vllm18Fp8KVCacheDataTypeE1ES0_Li16ELi64ELi256ELb0ELi1EEvPKT_PKT0_S8_ifPKiSA_SA_iPKfiiiPfSD_PS3_PT2_iSC_SC_.has_dyn_sized_stack, or(0, .L__assert_fail.has_dyn_sized_stack)
	.set _Z39paged_attention_ll4mi_QKV_mfma16_kernelI14__hip_bfloat16hLN4vllm18Fp8KVCacheDataTypeE1ES0_Li16ELi64ELi256ELb0ELi1EEvPKT_PKT0_S8_ifPKiSA_SA_iPKfiiiPfSD_PS3_PT2_iSC_SC_.has_recursion, or(0, .L__assert_fail.has_recursion)
	.set _Z39paged_attention_ll4mi_QKV_mfma16_kernelI14__hip_bfloat16hLN4vllm18Fp8KVCacheDataTypeE1ES0_Li16ELi64ELi256ELb0ELi1EEvPKT_PKT0_S8_ifPKiSA_SA_iPKfiiiPfSD_PS3_PT2_iSC_SC_.has_indirect_call, or(0, .L__assert_fail.has_indirect_call)
	.section	.AMDGPU.csdata,"",@progbits
; Kernel info:
; codeLenInByte = 68
; TotalNumSgprs: 36
; NumVgprs: 51
; ScratchSize: 64
; MemoryBound: 0
; FloatMode: 240
; IeeeMode: 1
; LDSByteSize: 0 bytes/workgroup (compile time only)
; SGPRBlocks: 0
; VGPRBlocks: 3
; NumSGPRsForWavesPerEU: 36
; NumVGPRsForWavesPerEU: 51
; NamedBarCnt: 0
; Occupancy: 16
; WaveLimiterHint : 1
; COMPUTE_PGM_RSRC2:SCRATCH_EN: 1
; COMPUTE_PGM_RSRC2:USER_SGPR: 2
; COMPUTE_PGM_RSRC2:TRAP_HANDLER: 0
; COMPUTE_PGM_RSRC2:TGID_X_EN: 1
; COMPUTE_PGM_RSRC2:TGID_Y_EN: 0
; COMPUTE_PGM_RSRC2:TGID_Z_EN: 0
; COMPUTE_PGM_RSRC2:TIDIG_COMP_CNT: 0
	.section	.text._Z39paged_attention_ll4mi_QKV_mfma16_kernelI14__hip_bfloat16hLN4vllm18Fp8KVCacheDataTypeE1ES0_Li16ELi64ELi256ELb0ELi2EEvPKT_PKT0_S8_ifPKiSA_SA_iPKfiiiPfSD_PS3_PT2_iSC_SC_,"axG",@progbits,_Z39paged_attention_ll4mi_QKV_mfma16_kernelI14__hip_bfloat16hLN4vllm18Fp8KVCacheDataTypeE1ES0_Li16ELi64ELi256ELb0ELi2EEvPKT_PKT0_S8_ifPKiSA_SA_iPKfiiiPfSD_PS3_PT2_iSC_SC_,comdat
	.protected	_Z39paged_attention_ll4mi_QKV_mfma16_kernelI14__hip_bfloat16hLN4vllm18Fp8KVCacheDataTypeE1ES0_Li16ELi64ELi256ELb0ELi2EEvPKT_PKT0_S8_ifPKiSA_SA_iPKfiiiPfSD_PS3_PT2_iSC_SC_ ; -- Begin function _Z39paged_attention_ll4mi_QKV_mfma16_kernelI14__hip_bfloat16hLN4vllm18Fp8KVCacheDataTypeE1ES0_Li16ELi64ELi256ELb0ELi2EEvPKT_PKT0_S8_ifPKiSA_SA_iPKfiiiPfSD_PS3_PT2_iSC_SC_
	.globl	_Z39paged_attention_ll4mi_QKV_mfma16_kernelI14__hip_bfloat16hLN4vllm18Fp8KVCacheDataTypeE1ES0_Li16ELi64ELi256ELb0ELi2EEvPKT_PKT0_S8_ifPKiSA_SA_iPKfiiiPfSD_PS3_PT2_iSC_SC_
	.p2align	8
	.type	_Z39paged_attention_ll4mi_QKV_mfma16_kernelI14__hip_bfloat16hLN4vllm18Fp8KVCacheDataTypeE1ES0_Li16ELi64ELi256ELb0ELi2EEvPKT_PKT0_S8_ifPKiSA_SA_iPKfiiiPfSD_PS3_PT2_iSC_SC_,@function
_Z39paged_attention_ll4mi_QKV_mfma16_kernelI14__hip_bfloat16hLN4vllm18Fp8KVCacheDataTypeE1ES0_Li16ELi64ELi256ELb0ELi2EEvPKT_PKT0_S8_ifPKiSA_SA_iPKfiiiPfSD_PS3_PT2_iSC_SC_: ; @_Z39paged_attention_ll4mi_QKV_mfma16_kernelI14__hip_bfloat16hLN4vllm18Fp8KVCacheDataTypeE1ES0_Li16ELi64ELi256ELb0ELi2EEvPKT_PKT0_S8_ifPKiSA_SA_iPKfiiiPfSD_PS3_PT2_iSC_SC_
; %bb.0:
	s_get_pc_i64 s[2:3]
	s_add_nc_u64 s[2:3], s[2:3], __PRETTY_FUNCTION__._Z39paged_attention_ll4mi_QKV_mfma16_kernelI14__hip_bfloat16hLN4vllm18Fp8KVCacheDataTypeE1ES0_Li16ELi64ELi256ELb0ELi2EEvPKT_PKT0_S8_ifPKiSA_SA_iPKfiiiPfSD_PS3_PT2_iSC_SC_@rel64+4
	s_delay_alu instid0(SALU_CYCLE_1)
	v_dual_mov_b32 v0, 0xbb3 :: v_dual_mov_b32 v1, s2
	v_mov_b32_e32 v2, s3
	s_add_nc_u64 s[8:9], s[0:1], 0x90
	s_get_pc_i64 s[0:1]
	s_add_nc_u64 s[0:1], s[0:1], __assert_fail@rel64+4
	s_mov_b32 s32, 0
	s_swap_pc_i64 s[30:31], s[0:1]
	.section	.rodata,"a",@progbits
	.p2align	6, 0x0
	.amdhsa_kernel _Z39paged_attention_ll4mi_QKV_mfma16_kernelI14__hip_bfloat16hLN4vllm18Fp8KVCacheDataTypeE1ES0_Li16ELi64ELi256ELb0ELi2EEvPKT_PKT0_S8_ifPKiSA_SA_iPKfiiiPfSD_PS3_PT2_iSC_SC_
		.amdhsa_group_segment_fixed_size 0
		.amdhsa_private_segment_fixed_size 64
		.amdhsa_kernarg_size 400
		.amdhsa_user_sgpr_count 2
		.amdhsa_user_sgpr_dispatch_ptr 0
		.amdhsa_user_sgpr_queue_ptr 0
		.amdhsa_user_sgpr_kernarg_segment_ptr 1
		.amdhsa_user_sgpr_dispatch_id 0
		.amdhsa_user_sgpr_kernarg_preload_length 0
		.amdhsa_user_sgpr_kernarg_preload_offset 0
		.amdhsa_user_sgpr_private_segment_size 0
		.amdhsa_wavefront_size32 1
		.amdhsa_uses_dynamic_stack 0
		.amdhsa_enable_private_segment 1
		.amdhsa_system_sgpr_workgroup_id_x 1
		.amdhsa_system_sgpr_workgroup_id_y 0
		.amdhsa_system_sgpr_workgroup_id_z 0
		.amdhsa_system_sgpr_workgroup_info 0
		.amdhsa_system_vgpr_workitem_id 0
		.amdhsa_next_free_vgpr 51
		.amdhsa_next_free_sgpr 34
		.amdhsa_named_barrier_count 0
		.amdhsa_reserve_vcc 1
		.amdhsa_float_round_mode_32 0
		.amdhsa_float_round_mode_16_64 0
		.amdhsa_float_denorm_mode_32 3
		.amdhsa_float_denorm_mode_16_64 3
		.amdhsa_fp16_overflow 0
		.amdhsa_memory_ordered 1
		.amdhsa_forward_progress 1
		.amdhsa_inst_pref_size 1
		.amdhsa_round_robin_scheduling 0
		.amdhsa_exception_fp_ieee_invalid_op 0
		.amdhsa_exception_fp_denorm_src 0
		.amdhsa_exception_fp_ieee_div_zero 0
		.amdhsa_exception_fp_ieee_overflow 0
		.amdhsa_exception_fp_ieee_underflow 0
		.amdhsa_exception_fp_ieee_inexact 0
		.amdhsa_exception_int_div_zero 0
	.end_amdhsa_kernel
	.section	.text._Z39paged_attention_ll4mi_QKV_mfma16_kernelI14__hip_bfloat16hLN4vllm18Fp8KVCacheDataTypeE1ES0_Li16ELi64ELi256ELb0ELi2EEvPKT_PKT0_S8_ifPKiSA_SA_iPKfiiiPfSD_PS3_PT2_iSC_SC_,"axG",@progbits,_Z39paged_attention_ll4mi_QKV_mfma16_kernelI14__hip_bfloat16hLN4vllm18Fp8KVCacheDataTypeE1ES0_Li16ELi64ELi256ELb0ELi2EEvPKT_PKT0_S8_ifPKiSA_SA_iPKfiiiPfSD_PS3_PT2_iSC_SC_,comdat
.Lfunc_end1167:
	.size	_Z39paged_attention_ll4mi_QKV_mfma16_kernelI14__hip_bfloat16hLN4vllm18Fp8KVCacheDataTypeE1ES0_Li16ELi64ELi256ELb0ELi2EEvPKT_PKT0_S8_ifPKiSA_SA_iPKfiiiPfSD_PS3_PT2_iSC_SC_, .Lfunc_end1167-_Z39paged_attention_ll4mi_QKV_mfma16_kernelI14__hip_bfloat16hLN4vllm18Fp8KVCacheDataTypeE1ES0_Li16ELi64ELi256ELb0ELi2EEvPKT_PKT0_S8_ifPKiSA_SA_iPKfiiiPfSD_PS3_PT2_iSC_SC_
                                        ; -- End function
	.set _Z39paged_attention_ll4mi_QKV_mfma16_kernelI14__hip_bfloat16hLN4vllm18Fp8KVCacheDataTypeE1ES0_Li16ELi64ELi256ELb0ELi2EEvPKT_PKT0_S8_ifPKiSA_SA_iPKfiiiPfSD_PS3_PT2_iSC_SC_.num_vgpr, max(3, .L__assert_fail.num_vgpr)
	.set _Z39paged_attention_ll4mi_QKV_mfma16_kernelI14__hip_bfloat16hLN4vllm18Fp8KVCacheDataTypeE1ES0_Li16ELi64ELi256ELb0ELi2EEvPKT_PKT0_S8_ifPKiSA_SA_iPKfiiiPfSD_PS3_PT2_iSC_SC_.num_agpr, max(0, .L__assert_fail.num_agpr)
	.set _Z39paged_attention_ll4mi_QKV_mfma16_kernelI14__hip_bfloat16hLN4vllm18Fp8KVCacheDataTypeE1ES0_Li16ELi64ELi256ELb0ELi2EEvPKT_PKT0_S8_ifPKiSA_SA_iPKfiiiPfSD_PS3_PT2_iSC_SC_.numbered_sgpr, max(33, .L__assert_fail.numbered_sgpr)
	.set _Z39paged_attention_ll4mi_QKV_mfma16_kernelI14__hip_bfloat16hLN4vllm18Fp8KVCacheDataTypeE1ES0_Li16ELi64ELi256ELb0ELi2EEvPKT_PKT0_S8_ifPKiSA_SA_iPKfiiiPfSD_PS3_PT2_iSC_SC_.num_named_barrier, max(0, .L__assert_fail.num_named_barrier)
	.set _Z39paged_attention_ll4mi_QKV_mfma16_kernelI14__hip_bfloat16hLN4vllm18Fp8KVCacheDataTypeE1ES0_Li16ELi64ELi256ELb0ELi2EEvPKT_PKT0_S8_ifPKiSA_SA_iPKfiiiPfSD_PS3_PT2_iSC_SC_.private_seg_size, 0+max(.L__assert_fail.private_seg_size)
	.set _Z39paged_attention_ll4mi_QKV_mfma16_kernelI14__hip_bfloat16hLN4vllm18Fp8KVCacheDataTypeE1ES0_Li16ELi64ELi256ELb0ELi2EEvPKT_PKT0_S8_ifPKiSA_SA_iPKfiiiPfSD_PS3_PT2_iSC_SC_.uses_vcc, or(1, .L__assert_fail.uses_vcc)
	.set _Z39paged_attention_ll4mi_QKV_mfma16_kernelI14__hip_bfloat16hLN4vllm18Fp8KVCacheDataTypeE1ES0_Li16ELi64ELi256ELb0ELi2EEvPKT_PKT0_S8_ifPKiSA_SA_iPKfiiiPfSD_PS3_PT2_iSC_SC_.uses_flat_scratch, or(0, .L__assert_fail.uses_flat_scratch)
	.set _Z39paged_attention_ll4mi_QKV_mfma16_kernelI14__hip_bfloat16hLN4vllm18Fp8KVCacheDataTypeE1ES0_Li16ELi64ELi256ELb0ELi2EEvPKT_PKT0_S8_ifPKiSA_SA_iPKfiiiPfSD_PS3_PT2_iSC_SC_.has_dyn_sized_stack, or(0, .L__assert_fail.has_dyn_sized_stack)
	.set _Z39paged_attention_ll4mi_QKV_mfma16_kernelI14__hip_bfloat16hLN4vllm18Fp8KVCacheDataTypeE1ES0_Li16ELi64ELi256ELb0ELi2EEvPKT_PKT0_S8_ifPKiSA_SA_iPKfiiiPfSD_PS3_PT2_iSC_SC_.has_recursion, or(0, .L__assert_fail.has_recursion)
	.set _Z39paged_attention_ll4mi_QKV_mfma16_kernelI14__hip_bfloat16hLN4vllm18Fp8KVCacheDataTypeE1ES0_Li16ELi64ELi256ELb0ELi2EEvPKT_PKT0_S8_ifPKiSA_SA_iPKfiiiPfSD_PS3_PT2_iSC_SC_.has_indirect_call, or(0, .L__assert_fail.has_indirect_call)
	.section	.AMDGPU.csdata,"",@progbits
; Kernel info:
; codeLenInByte = 68
; TotalNumSgprs: 36
; NumVgprs: 51
; ScratchSize: 64
; MemoryBound: 0
; FloatMode: 240
; IeeeMode: 1
; LDSByteSize: 0 bytes/workgroup (compile time only)
; SGPRBlocks: 0
; VGPRBlocks: 3
; NumSGPRsForWavesPerEU: 36
; NumVGPRsForWavesPerEU: 51
; NamedBarCnt: 0
; Occupancy: 16
; WaveLimiterHint : 1
; COMPUTE_PGM_RSRC2:SCRATCH_EN: 1
; COMPUTE_PGM_RSRC2:USER_SGPR: 2
; COMPUTE_PGM_RSRC2:TRAP_HANDLER: 0
; COMPUTE_PGM_RSRC2:TGID_X_EN: 1
; COMPUTE_PGM_RSRC2:TGID_Y_EN: 0
; COMPUTE_PGM_RSRC2:TGID_Z_EN: 0
; COMPUTE_PGM_RSRC2:TIDIG_COMP_CNT: 0
	.section	.text._Z39paged_attention_ll4mi_QKV_mfma16_kernelI14__hip_bfloat16hLN4vllm18Fp8KVCacheDataTypeE1ES0_Li16ELi64ELi256ELb0ELi3EEvPKT_PKT0_S8_ifPKiSA_SA_iPKfiiiPfSD_PS3_PT2_iSC_SC_,"axG",@progbits,_Z39paged_attention_ll4mi_QKV_mfma16_kernelI14__hip_bfloat16hLN4vllm18Fp8KVCacheDataTypeE1ES0_Li16ELi64ELi256ELb0ELi3EEvPKT_PKT0_S8_ifPKiSA_SA_iPKfiiiPfSD_PS3_PT2_iSC_SC_,comdat
	.protected	_Z39paged_attention_ll4mi_QKV_mfma16_kernelI14__hip_bfloat16hLN4vllm18Fp8KVCacheDataTypeE1ES0_Li16ELi64ELi256ELb0ELi3EEvPKT_PKT0_S8_ifPKiSA_SA_iPKfiiiPfSD_PS3_PT2_iSC_SC_ ; -- Begin function _Z39paged_attention_ll4mi_QKV_mfma16_kernelI14__hip_bfloat16hLN4vllm18Fp8KVCacheDataTypeE1ES0_Li16ELi64ELi256ELb0ELi3EEvPKT_PKT0_S8_ifPKiSA_SA_iPKfiiiPfSD_PS3_PT2_iSC_SC_
	.globl	_Z39paged_attention_ll4mi_QKV_mfma16_kernelI14__hip_bfloat16hLN4vllm18Fp8KVCacheDataTypeE1ES0_Li16ELi64ELi256ELb0ELi3EEvPKT_PKT0_S8_ifPKiSA_SA_iPKfiiiPfSD_PS3_PT2_iSC_SC_
	.p2align	8
	.type	_Z39paged_attention_ll4mi_QKV_mfma16_kernelI14__hip_bfloat16hLN4vllm18Fp8KVCacheDataTypeE1ES0_Li16ELi64ELi256ELb0ELi3EEvPKT_PKT0_S8_ifPKiSA_SA_iPKfiiiPfSD_PS3_PT2_iSC_SC_,@function
_Z39paged_attention_ll4mi_QKV_mfma16_kernelI14__hip_bfloat16hLN4vllm18Fp8KVCacheDataTypeE1ES0_Li16ELi64ELi256ELb0ELi3EEvPKT_PKT0_S8_ifPKiSA_SA_iPKfiiiPfSD_PS3_PT2_iSC_SC_: ; @_Z39paged_attention_ll4mi_QKV_mfma16_kernelI14__hip_bfloat16hLN4vllm18Fp8KVCacheDataTypeE1ES0_Li16ELi64ELi256ELb0ELi3EEvPKT_PKT0_S8_ifPKiSA_SA_iPKfiiiPfSD_PS3_PT2_iSC_SC_
; %bb.0:
	s_get_pc_i64 s[2:3]
	s_add_nc_u64 s[2:3], s[2:3], __PRETTY_FUNCTION__._Z39paged_attention_ll4mi_QKV_mfma16_kernelI14__hip_bfloat16hLN4vllm18Fp8KVCacheDataTypeE1ES0_Li16ELi64ELi256ELb0ELi3EEvPKT_PKT0_S8_ifPKiSA_SA_iPKfiiiPfSD_PS3_PT2_iSC_SC_@rel64+4
	s_delay_alu instid0(SALU_CYCLE_1)
	v_dual_mov_b32 v0, 0xbb3 :: v_dual_mov_b32 v1, s2
	v_mov_b32_e32 v2, s3
	s_add_nc_u64 s[8:9], s[0:1], 0x90
	s_get_pc_i64 s[0:1]
	s_add_nc_u64 s[0:1], s[0:1], __assert_fail@rel64+4
	s_mov_b32 s32, 0
	s_swap_pc_i64 s[30:31], s[0:1]
	.section	.rodata,"a",@progbits
	.p2align	6, 0x0
	.amdhsa_kernel _Z39paged_attention_ll4mi_QKV_mfma16_kernelI14__hip_bfloat16hLN4vllm18Fp8KVCacheDataTypeE1ES0_Li16ELi64ELi256ELb0ELi3EEvPKT_PKT0_S8_ifPKiSA_SA_iPKfiiiPfSD_PS3_PT2_iSC_SC_
		.amdhsa_group_segment_fixed_size 0
		.amdhsa_private_segment_fixed_size 64
		.amdhsa_kernarg_size 400
		.amdhsa_user_sgpr_count 2
		.amdhsa_user_sgpr_dispatch_ptr 0
		.amdhsa_user_sgpr_queue_ptr 0
		.amdhsa_user_sgpr_kernarg_segment_ptr 1
		.amdhsa_user_sgpr_dispatch_id 0
		.amdhsa_user_sgpr_kernarg_preload_length 0
		.amdhsa_user_sgpr_kernarg_preload_offset 0
		.amdhsa_user_sgpr_private_segment_size 0
		.amdhsa_wavefront_size32 1
		.amdhsa_uses_dynamic_stack 0
		.amdhsa_enable_private_segment 1
		.amdhsa_system_sgpr_workgroup_id_x 1
		.amdhsa_system_sgpr_workgroup_id_y 0
		.amdhsa_system_sgpr_workgroup_id_z 0
		.amdhsa_system_sgpr_workgroup_info 0
		.amdhsa_system_vgpr_workitem_id 0
		.amdhsa_next_free_vgpr 51
		.amdhsa_next_free_sgpr 34
		.amdhsa_named_barrier_count 0
		.amdhsa_reserve_vcc 1
		.amdhsa_float_round_mode_32 0
		.amdhsa_float_round_mode_16_64 0
		.amdhsa_float_denorm_mode_32 3
		.amdhsa_float_denorm_mode_16_64 3
		.amdhsa_fp16_overflow 0
		.amdhsa_memory_ordered 1
		.amdhsa_forward_progress 1
		.amdhsa_inst_pref_size 1
		.amdhsa_round_robin_scheduling 0
		.amdhsa_exception_fp_ieee_invalid_op 0
		.amdhsa_exception_fp_denorm_src 0
		.amdhsa_exception_fp_ieee_div_zero 0
		.amdhsa_exception_fp_ieee_overflow 0
		.amdhsa_exception_fp_ieee_underflow 0
		.amdhsa_exception_fp_ieee_inexact 0
		.amdhsa_exception_int_div_zero 0
	.end_amdhsa_kernel
	.section	.text._Z39paged_attention_ll4mi_QKV_mfma16_kernelI14__hip_bfloat16hLN4vllm18Fp8KVCacheDataTypeE1ES0_Li16ELi64ELi256ELb0ELi3EEvPKT_PKT0_S8_ifPKiSA_SA_iPKfiiiPfSD_PS3_PT2_iSC_SC_,"axG",@progbits,_Z39paged_attention_ll4mi_QKV_mfma16_kernelI14__hip_bfloat16hLN4vllm18Fp8KVCacheDataTypeE1ES0_Li16ELi64ELi256ELb0ELi3EEvPKT_PKT0_S8_ifPKiSA_SA_iPKfiiiPfSD_PS3_PT2_iSC_SC_,comdat
.Lfunc_end1168:
	.size	_Z39paged_attention_ll4mi_QKV_mfma16_kernelI14__hip_bfloat16hLN4vllm18Fp8KVCacheDataTypeE1ES0_Li16ELi64ELi256ELb0ELi3EEvPKT_PKT0_S8_ifPKiSA_SA_iPKfiiiPfSD_PS3_PT2_iSC_SC_, .Lfunc_end1168-_Z39paged_attention_ll4mi_QKV_mfma16_kernelI14__hip_bfloat16hLN4vllm18Fp8KVCacheDataTypeE1ES0_Li16ELi64ELi256ELb0ELi3EEvPKT_PKT0_S8_ifPKiSA_SA_iPKfiiiPfSD_PS3_PT2_iSC_SC_
                                        ; -- End function
	.set _Z39paged_attention_ll4mi_QKV_mfma16_kernelI14__hip_bfloat16hLN4vllm18Fp8KVCacheDataTypeE1ES0_Li16ELi64ELi256ELb0ELi3EEvPKT_PKT0_S8_ifPKiSA_SA_iPKfiiiPfSD_PS3_PT2_iSC_SC_.num_vgpr, max(3, .L__assert_fail.num_vgpr)
	.set _Z39paged_attention_ll4mi_QKV_mfma16_kernelI14__hip_bfloat16hLN4vllm18Fp8KVCacheDataTypeE1ES0_Li16ELi64ELi256ELb0ELi3EEvPKT_PKT0_S8_ifPKiSA_SA_iPKfiiiPfSD_PS3_PT2_iSC_SC_.num_agpr, max(0, .L__assert_fail.num_agpr)
	.set _Z39paged_attention_ll4mi_QKV_mfma16_kernelI14__hip_bfloat16hLN4vllm18Fp8KVCacheDataTypeE1ES0_Li16ELi64ELi256ELb0ELi3EEvPKT_PKT0_S8_ifPKiSA_SA_iPKfiiiPfSD_PS3_PT2_iSC_SC_.numbered_sgpr, max(33, .L__assert_fail.numbered_sgpr)
	.set _Z39paged_attention_ll4mi_QKV_mfma16_kernelI14__hip_bfloat16hLN4vllm18Fp8KVCacheDataTypeE1ES0_Li16ELi64ELi256ELb0ELi3EEvPKT_PKT0_S8_ifPKiSA_SA_iPKfiiiPfSD_PS3_PT2_iSC_SC_.num_named_barrier, max(0, .L__assert_fail.num_named_barrier)
	.set _Z39paged_attention_ll4mi_QKV_mfma16_kernelI14__hip_bfloat16hLN4vllm18Fp8KVCacheDataTypeE1ES0_Li16ELi64ELi256ELb0ELi3EEvPKT_PKT0_S8_ifPKiSA_SA_iPKfiiiPfSD_PS3_PT2_iSC_SC_.private_seg_size, 0+max(.L__assert_fail.private_seg_size)
	.set _Z39paged_attention_ll4mi_QKV_mfma16_kernelI14__hip_bfloat16hLN4vllm18Fp8KVCacheDataTypeE1ES0_Li16ELi64ELi256ELb0ELi3EEvPKT_PKT0_S8_ifPKiSA_SA_iPKfiiiPfSD_PS3_PT2_iSC_SC_.uses_vcc, or(1, .L__assert_fail.uses_vcc)
	.set _Z39paged_attention_ll4mi_QKV_mfma16_kernelI14__hip_bfloat16hLN4vllm18Fp8KVCacheDataTypeE1ES0_Li16ELi64ELi256ELb0ELi3EEvPKT_PKT0_S8_ifPKiSA_SA_iPKfiiiPfSD_PS3_PT2_iSC_SC_.uses_flat_scratch, or(0, .L__assert_fail.uses_flat_scratch)
	.set _Z39paged_attention_ll4mi_QKV_mfma16_kernelI14__hip_bfloat16hLN4vllm18Fp8KVCacheDataTypeE1ES0_Li16ELi64ELi256ELb0ELi3EEvPKT_PKT0_S8_ifPKiSA_SA_iPKfiiiPfSD_PS3_PT2_iSC_SC_.has_dyn_sized_stack, or(0, .L__assert_fail.has_dyn_sized_stack)
	.set _Z39paged_attention_ll4mi_QKV_mfma16_kernelI14__hip_bfloat16hLN4vllm18Fp8KVCacheDataTypeE1ES0_Li16ELi64ELi256ELb0ELi3EEvPKT_PKT0_S8_ifPKiSA_SA_iPKfiiiPfSD_PS3_PT2_iSC_SC_.has_recursion, or(0, .L__assert_fail.has_recursion)
	.set _Z39paged_attention_ll4mi_QKV_mfma16_kernelI14__hip_bfloat16hLN4vllm18Fp8KVCacheDataTypeE1ES0_Li16ELi64ELi256ELb0ELi3EEvPKT_PKT0_S8_ifPKiSA_SA_iPKfiiiPfSD_PS3_PT2_iSC_SC_.has_indirect_call, or(0, .L__assert_fail.has_indirect_call)
	.section	.AMDGPU.csdata,"",@progbits
; Kernel info:
; codeLenInByte = 68
; TotalNumSgprs: 36
; NumVgprs: 51
; ScratchSize: 64
; MemoryBound: 0
; FloatMode: 240
; IeeeMode: 1
; LDSByteSize: 0 bytes/workgroup (compile time only)
; SGPRBlocks: 0
; VGPRBlocks: 3
; NumSGPRsForWavesPerEU: 36
; NumVGPRsForWavesPerEU: 51
; NamedBarCnt: 0
; Occupancy: 16
; WaveLimiterHint : 1
; COMPUTE_PGM_RSRC2:SCRATCH_EN: 1
; COMPUTE_PGM_RSRC2:USER_SGPR: 2
; COMPUTE_PGM_RSRC2:TRAP_HANDLER: 0
; COMPUTE_PGM_RSRC2:TGID_X_EN: 1
; COMPUTE_PGM_RSRC2:TGID_Y_EN: 0
; COMPUTE_PGM_RSRC2:TGID_Z_EN: 0
; COMPUTE_PGM_RSRC2:TIDIG_COMP_CNT: 0
	.section	.text._Z39paged_attention_ll4mi_QKV_mfma16_kernelI14__hip_bfloat16hLN4vllm18Fp8KVCacheDataTypeE1ES0_Li16ELi64ELi256ELb0ELi4EEvPKT_PKT0_S8_ifPKiSA_SA_iPKfiiiPfSD_PS3_PT2_iSC_SC_,"axG",@progbits,_Z39paged_attention_ll4mi_QKV_mfma16_kernelI14__hip_bfloat16hLN4vllm18Fp8KVCacheDataTypeE1ES0_Li16ELi64ELi256ELb0ELi4EEvPKT_PKT0_S8_ifPKiSA_SA_iPKfiiiPfSD_PS3_PT2_iSC_SC_,comdat
	.protected	_Z39paged_attention_ll4mi_QKV_mfma16_kernelI14__hip_bfloat16hLN4vllm18Fp8KVCacheDataTypeE1ES0_Li16ELi64ELi256ELb0ELi4EEvPKT_PKT0_S8_ifPKiSA_SA_iPKfiiiPfSD_PS3_PT2_iSC_SC_ ; -- Begin function _Z39paged_attention_ll4mi_QKV_mfma16_kernelI14__hip_bfloat16hLN4vllm18Fp8KVCacheDataTypeE1ES0_Li16ELi64ELi256ELb0ELi4EEvPKT_PKT0_S8_ifPKiSA_SA_iPKfiiiPfSD_PS3_PT2_iSC_SC_
	.globl	_Z39paged_attention_ll4mi_QKV_mfma16_kernelI14__hip_bfloat16hLN4vllm18Fp8KVCacheDataTypeE1ES0_Li16ELi64ELi256ELb0ELi4EEvPKT_PKT0_S8_ifPKiSA_SA_iPKfiiiPfSD_PS3_PT2_iSC_SC_
	.p2align	8
	.type	_Z39paged_attention_ll4mi_QKV_mfma16_kernelI14__hip_bfloat16hLN4vllm18Fp8KVCacheDataTypeE1ES0_Li16ELi64ELi256ELb0ELi4EEvPKT_PKT0_S8_ifPKiSA_SA_iPKfiiiPfSD_PS3_PT2_iSC_SC_,@function
_Z39paged_attention_ll4mi_QKV_mfma16_kernelI14__hip_bfloat16hLN4vllm18Fp8KVCacheDataTypeE1ES0_Li16ELi64ELi256ELb0ELi4EEvPKT_PKT0_S8_ifPKiSA_SA_iPKfiiiPfSD_PS3_PT2_iSC_SC_: ; @_Z39paged_attention_ll4mi_QKV_mfma16_kernelI14__hip_bfloat16hLN4vllm18Fp8KVCacheDataTypeE1ES0_Li16ELi64ELi256ELb0ELi4EEvPKT_PKT0_S8_ifPKiSA_SA_iPKfiiiPfSD_PS3_PT2_iSC_SC_
; %bb.0:
	s_get_pc_i64 s[2:3]
	s_add_nc_u64 s[2:3], s[2:3], __PRETTY_FUNCTION__._Z39paged_attention_ll4mi_QKV_mfma16_kernelI14__hip_bfloat16hLN4vllm18Fp8KVCacheDataTypeE1ES0_Li16ELi64ELi256ELb0ELi4EEvPKT_PKT0_S8_ifPKiSA_SA_iPKfiiiPfSD_PS3_PT2_iSC_SC_@rel64+4
	s_delay_alu instid0(SALU_CYCLE_1)
	v_dual_mov_b32 v0, 0xbb3 :: v_dual_mov_b32 v1, s2
	v_mov_b32_e32 v2, s3
	s_add_nc_u64 s[8:9], s[0:1], 0x90
	s_get_pc_i64 s[0:1]
	s_add_nc_u64 s[0:1], s[0:1], __assert_fail@rel64+4
	s_mov_b32 s32, 0
	s_swap_pc_i64 s[30:31], s[0:1]
	.section	.rodata,"a",@progbits
	.p2align	6, 0x0
	.amdhsa_kernel _Z39paged_attention_ll4mi_QKV_mfma16_kernelI14__hip_bfloat16hLN4vllm18Fp8KVCacheDataTypeE1ES0_Li16ELi64ELi256ELb0ELi4EEvPKT_PKT0_S8_ifPKiSA_SA_iPKfiiiPfSD_PS3_PT2_iSC_SC_
		.amdhsa_group_segment_fixed_size 0
		.amdhsa_private_segment_fixed_size 64
		.amdhsa_kernarg_size 400
		.amdhsa_user_sgpr_count 2
		.amdhsa_user_sgpr_dispatch_ptr 0
		.amdhsa_user_sgpr_queue_ptr 0
		.amdhsa_user_sgpr_kernarg_segment_ptr 1
		.amdhsa_user_sgpr_dispatch_id 0
		.amdhsa_user_sgpr_kernarg_preload_length 0
		.amdhsa_user_sgpr_kernarg_preload_offset 0
		.amdhsa_user_sgpr_private_segment_size 0
		.amdhsa_wavefront_size32 1
		.amdhsa_uses_dynamic_stack 0
		.amdhsa_enable_private_segment 1
		.amdhsa_system_sgpr_workgroup_id_x 1
		.amdhsa_system_sgpr_workgroup_id_y 0
		.amdhsa_system_sgpr_workgroup_id_z 0
		.amdhsa_system_sgpr_workgroup_info 0
		.amdhsa_system_vgpr_workitem_id 0
		.amdhsa_next_free_vgpr 51
		.amdhsa_next_free_sgpr 34
		.amdhsa_named_barrier_count 0
		.amdhsa_reserve_vcc 1
		.amdhsa_float_round_mode_32 0
		.amdhsa_float_round_mode_16_64 0
		.amdhsa_float_denorm_mode_32 3
		.amdhsa_float_denorm_mode_16_64 3
		.amdhsa_fp16_overflow 0
		.amdhsa_memory_ordered 1
		.amdhsa_forward_progress 1
		.amdhsa_inst_pref_size 1
		.amdhsa_round_robin_scheduling 0
		.amdhsa_exception_fp_ieee_invalid_op 0
		.amdhsa_exception_fp_denorm_src 0
		.amdhsa_exception_fp_ieee_div_zero 0
		.amdhsa_exception_fp_ieee_overflow 0
		.amdhsa_exception_fp_ieee_underflow 0
		.amdhsa_exception_fp_ieee_inexact 0
		.amdhsa_exception_int_div_zero 0
	.end_amdhsa_kernel
	.section	.text._Z39paged_attention_ll4mi_QKV_mfma16_kernelI14__hip_bfloat16hLN4vllm18Fp8KVCacheDataTypeE1ES0_Li16ELi64ELi256ELb0ELi4EEvPKT_PKT0_S8_ifPKiSA_SA_iPKfiiiPfSD_PS3_PT2_iSC_SC_,"axG",@progbits,_Z39paged_attention_ll4mi_QKV_mfma16_kernelI14__hip_bfloat16hLN4vllm18Fp8KVCacheDataTypeE1ES0_Li16ELi64ELi256ELb0ELi4EEvPKT_PKT0_S8_ifPKiSA_SA_iPKfiiiPfSD_PS3_PT2_iSC_SC_,comdat
.Lfunc_end1169:
	.size	_Z39paged_attention_ll4mi_QKV_mfma16_kernelI14__hip_bfloat16hLN4vllm18Fp8KVCacheDataTypeE1ES0_Li16ELi64ELi256ELb0ELi4EEvPKT_PKT0_S8_ifPKiSA_SA_iPKfiiiPfSD_PS3_PT2_iSC_SC_, .Lfunc_end1169-_Z39paged_attention_ll4mi_QKV_mfma16_kernelI14__hip_bfloat16hLN4vllm18Fp8KVCacheDataTypeE1ES0_Li16ELi64ELi256ELb0ELi4EEvPKT_PKT0_S8_ifPKiSA_SA_iPKfiiiPfSD_PS3_PT2_iSC_SC_
                                        ; -- End function
	.set _Z39paged_attention_ll4mi_QKV_mfma16_kernelI14__hip_bfloat16hLN4vllm18Fp8KVCacheDataTypeE1ES0_Li16ELi64ELi256ELb0ELi4EEvPKT_PKT0_S8_ifPKiSA_SA_iPKfiiiPfSD_PS3_PT2_iSC_SC_.num_vgpr, max(3, .L__assert_fail.num_vgpr)
	.set _Z39paged_attention_ll4mi_QKV_mfma16_kernelI14__hip_bfloat16hLN4vllm18Fp8KVCacheDataTypeE1ES0_Li16ELi64ELi256ELb0ELi4EEvPKT_PKT0_S8_ifPKiSA_SA_iPKfiiiPfSD_PS3_PT2_iSC_SC_.num_agpr, max(0, .L__assert_fail.num_agpr)
	.set _Z39paged_attention_ll4mi_QKV_mfma16_kernelI14__hip_bfloat16hLN4vllm18Fp8KVCacheDataTypeE1ES0_Li16ELi64ELi256ELb0ELi4EEvPKT_PKT0_S8_ifPKiSA_SA_iPKfiiiPfSD_PS3_PT2_iSC_SC_.numbered_sgpr, max(33, .L__assert_fail.numbered_sgpr)
	.set _Z39paged_attention_ll4mi_QKV_mfma16_kernelI14__hip_bfloat16hLN4vllm18Fp8KVCacheDataTypeE1ES0_Li16ELi64ELi256ELb0ELi4EEvPKT_PKT0_S8_ifPKiSA_SA_iPKfiiiPfSD_PS3_PT2_iSC_SC_.num_named_barrier, max(0, .L__assert_fail.num_named_barrier)
	.set _Z39paged_attention_ll4mi_QKV_mfma16_kernelI14__hip_bfloat16hLN4vllm18Fp8KVCacheDataTypeE1ES0_Li16ELi64ELi256ELb0ELi4EEvPKT_PKT0_S8_ifPKiSA_SA_iPKfiiiPfSD_PS3_PT2_iSC_SC_.private_seg_size, 0+max(.L__assert_fail.private_seg_size)
	.set _Z39paged_attention_ll4mi_QKV_mfma16_kernelI14__hip_bfloat16hLN4vllm18Fp8KVCacheDataTypeE1ES0_Li16ELi64ELi256ELb0ELi4EEvPKT_PKT0_S8_ifPKiSA_SA_iPKfiiiPfSD_PS3_PT2_iSC_SC_.uses_vcc, or(1, .L__assert_fail.uses_vcc)
	.set _Z39paged_attention_ll4mi_QKV_mfma16_kernelI14__hip_bfloat16hLN4vllm18Fp8KVCacheDataTypeE1ES0_Li16ELi64ELi256ELb0ELi4EEvPKT_PKT0_S8_ifPKiSA_SA_iPKfiiiPfSD_PS3_PT2_iSC_SC_.uses_flat_scratch, or(0, .L__assert_fail.uses_flat_scratch)
	.set _Z39paged_attention_ll4mi_QKV_mfma16_kernelI14__hip_bfloat16hLN4vllm18Fp8KVCacheDataTypeE1ES0_Li16ELi64ELi256ELb0ELi4EEvPKT_PKT0_S8_ifPKiSA_SA_iPKfiiiPfSD_PS3_PT2_iSC_SC_.has_dyn_sized_stack, or(0, .L__assert_fail.has_dyn_sized_stack)
	.set _Z39paged_attention_ll4mi_QKV_mfma16_kernelI14__hip_bfloat16hLN4vllm18Fp8KVCacheDataTypeE1ES0_Li16ELi64ELi256ELb0ELi4EEvPKT_PKT0_S8_ifPKiSA_SA_iPKfiiiPfSD_PS3_PT2_iSC_SC_.has_recursion, or(0, .L__assert_fail.has_recursion)
	.set _Z39paged_attention_ll4mi_QKV_mfma16_kernelI14__hip_bfloat16hLN4vllm18Fp8KVCacheDataTypeE1ES0_Li16ELi64ELi256ELb0ELi4EEvPKT_PKT0_S8_ifPKiSA_SA_iPKfiiiPfSD_PS3_PT2_iSC_SC_.has_indirect_call, or(0, .L__assert_fail.has_indirect_call)
	.section	.AMDGPU.csdata,"",@progbits
; Kernel info:
; codeLenInByte = 68
; TotalNumSgprs: 36
; NumVgprs: 51
; ScratchSize: 64
; MemoryBound: 0
; FloatMode: 240
; IeeeMode: 1
; LDSByteSize: 0 bytes/workgroup (compile time only)
; SGPRBlocks: 0
; VGPRBlocks: 3
; NumSGPRsForWavesPerEU: 36
; NumVGPRsForWavesPerEU: 51
; NamedBarCnt: 0
; Occupancy: 16
; WaveLimiterHint : 1
; COMPUTE_PGM_RSRC2:SCRATCH_EN: 1
; COMPUTE_PGM_RSRC2:USER_SGPR: 2
; COMPUTE_PGM_RSRC2:TRAP_HANDLER: 0
; COMPUTE_PGM_RSRC2:TGID_X_EN: 1
; COMPUTE_PGM_RSRC2:TGID_Y_EN: 0
; COMPUTE_PGM_RSRC2:TGID_Z_EN: 0
; COMPUTE_PGM_RSRC2:TIDIG_COMP_CNT: 0
	.section	.text._Z38paged_attention_ll4mi_QKV_mfma4_kernelI14__hip_bfloat16hLN4vllm18Fp8KVCacheDataTypeE1EhLi32ELi64ELi256ELb1ELi1EEvPKT_PKT0_S8_ifPKiSA_SA_iPKfiiiPfSD_PS3_PT2_iSC_SC_,"axG",@progbits,_Z38paged_attention_ll4mi_QKV_mfma4_kernelI14__hip_bfloat16hLN4vllm18Fp8KVCacheDataTypeE1EhLi32ELi64ELi256ELb1ELi1EEvPKT_PKT0_S8_ifPKiSA_SA_iPKfiiiPfSD_PS3_PT2_iSC_SC_,comdat
	.protected	_Z38paged_attention_ll4mi_QKV_mfma4_kernelI14__hip_bfloat16hLN4vllm18Fp8KVCacheDataTypeE1EhLi32ELi64ELi256ELb1ELi1EEvPKT_PKT0_S8_ifPKiSA_SA_iPKfiiiPfSD_PS3_PT2_iSC_SC_ ; -- Begin function _Z38paged_attention_ll4mi_QKV_mfma4_kernelI14__hip_bfloat16hLN4vllm18Fp8KVCacheDataTypeE1EhLi32ELi64ELi256ELb1ELi1EEvPKT_PKT0_S8_ifPKiSA_SA_iPKfiiiPfSD_PS3_PT2_iSC_SC_
	.globl	_Z38paged_attention_ll4mi_QKV_mfma4_kernelI14__hip_bfloat16hLN4vllm18Fp8KVCacheDataTypeE1EhLi32ELi64ELi256ELb1ELi1EEvPKT_PKT0_S8_ifPKiSA_SA_iPKfiiiPfSD_PS3_PT2_iSC_SC_
	.p2align	8
	.type	_Z38paged_attention_ll4mi_QKV_mfma4_kernelI14__hip_bfloat16hLN4vllm18Fp8KVCacheDataTypeE1EhLi32ELi64ELi256ELb1ELi1EEvPKT_PKT0_S8_ifPKiSA_SA_iPKfiiiPfSD_PS3_PT2_iSC_SC_,@function
_Z38paged_attention_ll4mi_QKV_mfma4_kernelI14__hip_bfloat16hLN4vllm18Fp8KVCacheDataTypeE1EhLi32ELi64ELi256ELb1ELi1EEvPKT_PKT0_S8_ifPKiSA_SA_iPKfiiiPfSD_PS3_PT2_iSC_SC_: ; @_Z38paged_attention_ll4mi_QKV_mfma4_kernelI14__hip_bfloat16hLN4vllm18Fp8KVCacheDataTypeE1EhLi32ELi64ELi256ELb1ELi1EEvPKT_PKT0_S8_ifPKiSA_SA_iPKfiiiPfSD_PS3_PT2_iSC_SC_
; %bb.0:
	s_get_pc_i64 s[2:3]
	s_add_nc_u64 s[2:3], s[2:3], __PRETTY_FUNCTION__._Z38paged_attention_ll4mi_QKV_mfma4_kernelI14__hip_bfloat16hLN4vllm18Fp8KVCacheDataTypeE1EhLi32ELi64ELi256ELb1ELi1EEvPKT_PKT0_S8_ifPKiSA_SA_iPKfiiiPfSD_PS3_PT2_iSC_SC_@rel64+4
	s_delay_alu instid0(SALU_CYCLE_1)
	v_dual_mov_b32 v0, 0xbce :: v_dual_mov_b32 v1, s2
	v_mov_b32_e32 v2, s3
	s_add_nc_u64 s[8:9], s[0:1], 0x90
	s_get_pc_i64 s[0:1]
	s_add_nc_u64 s[0:1], s[0:1], __assert_fail@rel64+4
	s_mov_b32 s32, 0
	s_swap_pc_i64 s[30:31], s[0:1]
	.section	.rodata,"a",@progbits
	.p2align	6, 0x0
	.amdhsa_kernel _Z38paged_attention_ll4mi_QKV_mfma4_kernelI14__hip_bfloat16hLN4vllm18Fp8KVCacheDataTypeE1EhLi32ELi64ELi256ELb1ELi1EEvPKT_PKT0_S8_ifPKiSA_SA_iPKfiiiPfSD_PS3_PT2_iSC_SC_
		.amdhsa_group_segment_fixed_size 0
		.amdhsa_private_segment_fixed_size 64
		.amdhsa_kernarg_size 400
		.amdhsa_user_sgpr_count 2
		.amdhsa_user_sgpr_dispatch_ptr 0
		.amdhsa_user_sgpr_queue_ptr 0
		.amdhsa_user_sgpr_kernarg_segment_ptr 1
		.amdhsa_user_sgpr_dispatch_id 0
		.amdhsa_user_sgpr_kernarg_preload_length 0
		.amdhsa_user_sgpr_kernarg_preload_offset 0
		.amdhsa_user_sgpr_private_segment_size 0
		.amdhsa_wavefront_size32 1
		.amdhsa_uses_dynamic_stack 0
		.amdhsa_enable_private_segment 1
		.amdhsa_system_sgpr_workgroup_id_x 1
		.amdhsa_system_sgpr_workgroup_id_y 0
		.amdhsa_system_sgpr_workgroup_id_z 0
		.amdhsa_system_sgpr_workgroup_info 0
		.amdhsa_system_vgpr_workitem_id 0
		.amdhsa_next_free_vgpr 51
		.amdhsa_next_free_sgpr 34
		.amdhsa_named_barrier_count 0
		.amdhsa_reserve_vcc 1
		.amdhsa_float_round_mode_32 0
		.amdhsa_float_round_mode_16_64 0
		.amdhsa_float_denorm_mode_32 3
		.amdhsa_float_denorm_mode_16_64 3
		.amdhsa_fp16_overflow 0
		.amdhsa_memory_ordered 1
		.amdhsa_forward_progress 1
		.amdhsa_inst_pref_size 1
		.amdhsa_round_robin_scheduling 0
		.amdhsa_exception_fp_ieee_invalid_op 0
		.amdhsa_exception_fp_denorm_src 0
		.amdhsa_exception_fp_ieee_div_zero 0
		.amdhsa_exception_fp_ieee_overflow 0
		.amdhsa_exception_fp_ieee_underflow 0
		.amdhsa_exception_fp_ieee_inexact 0
		.amdhsa_exception_int_div_zero 0
	.end_amdhsa_kernel
	.section	.text._Z38paged_attention_ll4mi_QKV_mfma4_kernelI14__hip_bfloat16hLN4vllm18Fp8KVCacheDataTypeE1EhLi32ELi64ELi256ELb1ELi1EEvPKT_PKT0_S8_ifPKiSA_SA_iPKfiiiPfSD_PS3_PT2_iSC_SC_,"axG",@progbits,_Z38paged_attention_ll4mi_QKV_mfma4_kernelI14__hip_bfloat16hLN4vllm18Fp8KVCacheDataTypeE1EhLi32ELi64ELi256ELb1ELi1EEvPKT_PKT0_S8_ifPKiSA_SA_iPKfiiiPfSD_PS3_PT2_iSC_SC_,comdat
.Lfunc_end1170:
	.size	_Z38paged_attention_ll4mi_QKV_mfma4_kernelI14__hip_bfloat16hLN4vllm18Fp8KVCacheDataTypeE1EhLi32ELi64ELi256ELb1ELi1EEvPKT_PKT0_S8_ifPKiSA_SA_iPKfiiiPfSD_PS3_PT2_iSC_SC_, .Lfunc_end1170-_Z38paged_attention_ll4mi_QKV_mfma4_kernelI14__hip_bfloat16hLN4vllm18Fp8KVCacheDataTypeE1EhLi32ELi64ELi256ELb1ELi1EEvPKT_PKT0_S8_ifPKiSA_SA_iPKfiiiPfSD_PS3_PT2_iSC_SC_
                                        ; -- End function
	.set _Z38paged_attention_ll4mi_QKV_mfma4_kernelI14__hip_bfloat16hLN4vllm18Fp8KVCacheDataTypeE1EhLi32ELi64ELi256ELb1ELi1EEvPKT_PKT0_S8_ifPKiSA_SA_iPKfiiiPfSD_PS3_PT2_iSC_SC_.num_vgpr, max(3, .L__assert_fail.num_vgpr)
	.set _Z38paged_attention_ll4mi_QKV_mfma4_kernelI14__hip_bfloat16hLN4vllm18Fp8KVCacheDataTypeE1EhLi32ELi64ELi256ELb1ELi1EEvPKT_PKT0_S8_ifPKiSA_SA_iPKfiiiPfSD_PS3_PT2_iSC_SC_.num_agpr, max(0, .L__assert_fail.num_agpr)
	.set _Z38paged_attention_ll4mi_QKV_mfma4_kernelI14__hip_bfloat16hLN4vllm18Fp8KVCacheDataTypeE1EhLi32ELi64ELi256ELb1ELi1EEvPKT_PKT0_S8_ifPKiSA_SA_iPKfiiiPfSD_PS3_PT2_iSC_SC_.numbered_sgpr, max(33, .L__assert_fail.numbered_sgpr)
	.set _Z38paged_attention_ll4mi_QKV_mfma4_kernelI14__hip_bfloat16hLN4vllm18Fp8KVCacheDataTypeE1EhLi32ELi64ELi256ELb1ELi1EEvPKT_PKT0_S8_ifPKiSA_SA_iPKfiiiPfSD_PS3_PT2_iSC_SC_.num_named_barrier, max(0, .L__assert_fail.num_named_barrier)
	.set _Z38paged_attention_ll4mi_QKV_mfma4_kernelI14__hip_bfloat16hLN4vllm18Fp8KVCacheDataTypeE1EhLi32ELi64ELi256ELb1ELi1EEvPKT_PKT0_S8_ifPKiSA_SA_iPKfiiiPfSD_PS3_PT2_iSC_SC_.private_seg_size, 0+max(.L__assert_fail.private_seg_size)
	.set _Z38paged_attention_ll4mi_QKV_mfma4_kernelI14__hip_bfloat16hLN4vllm18Fp8KVCacheDataTypeE1EhLi32ELi64ELi256ELb1ELi1EEvPKT_PKT0_S8_ifPKiSA_SA_iPKfiiiPfSD_PS3_PT2_iSC_SC_.uses_vcc, or(1, .L__assert_fail.uses_vcc)
	.set _Z38paged_attention_ll4mi_QKV_mfma4_kernelI14__hip_bfloat16hLN4vllm18Fp8KVCacheDataTypeE1EhLi32ELi64ELi256ELb1ELi1EEvPKT_PKT0_S8_ifPKiSA_SA_iPKfiiiPfSD_PS3_PT2_iSC_SC_.uses_flat_scratch, or(0, .L__assert_fail.uses_flat_scratch)
	.set _Z38paged_attention_ll4mi_QKV_mfma4_kernelI14__hip_bfloat16hLN4vllm18Fp8KVCacheDataTypeE1EhLi32ELi64ELi256ELb1ELi1EEvPKT_PKT0_S8_ifPKiSA_SA_iPKfiiiPfSD_PS3_PT2_iSC_SC_.has_dyn_sized_stack, or(0, .L__assert_fail.has_dyn_sized_stack)
	.set _Z38paged_attention_ll4mi_QKV_mfma4_kernelI14__hip_bfloat16hLN4vllm18Fp8KVCacheDataTypeE1EhLi32ELi64ELi256ELb1ELi1EEvPKT_PKT0_S8_ifPKiSA_SA_iPKfiiiPfSD_PS3_PT2_iSC_SC_.has_recursion, or(0, .L__assert_fail.has_recursion)
	.set _Z38paged_attention_ll4mi_QKV_mfma4_kernelI14__hip_bfloat16hLN4vllm18Fp8KVCacheDataTypeE1EhLi32ELi64ELi256ELb1ELi1EEvPKT_PKT0_S8_ifPKiSA_SA_iPKfiiiPfSD_PS3_PT2_iSC_SC_.has_indirect_call, or(0, .L__assert_fail.has_indirect_call)
	.section	.AMDGPU.csdata,"",@progbits
; Kernel info:
; codeLenInByte = 68
; TotalNumSgprs: 36
; NumVgprs: 51
; ScratchSize: 64
; MemoryBound: 0
; FloatMode: 240
; IeeeMode: 1
; LDSByteSize: 0 bytes/workgroup (compile time only)
; SGPRBlocks: 0
; VGPRBlocks: 3
; NumSGPRsForWavesPerEU: 36
; NumVGPRsForWavesPerEU: 51
; NamedBarCnt: 0
; Occupancy: 16
; WaveLimiterHint : 1
; COMPUTE_PGM_RSRC2:SCRATCH_EN: 1
; COMPUTE_PGM_RSRC2:USER_SGPR: 2
; COMPUTE_PGM_RSRC2:TRAP_HANDLER: 0
; COMPUTE_PGM_RSRC2:TGID_X_EN: 1
; COMPUTE_PGM_RSRC2:TGID_Y_EN: 0
; COMPUTE_PGM_RSRC2:TGID_Z_EN: 0
; COMPUTE_PGM_RSRC2:TIDIG_COMP_CNT: 0
	.section	.text._Z38paged_attention_ll4mi_QKV_mfma4_kernelI14__hip_bfloat16hLN4vllm18Fp8KVCacheDataTypeE1EhLi32ELi64ELi256ELb1ELi2EEvPKT_PKT0_S8_ifPKiSA_SA_iPKfiiiPfSD_PS3_PT2_iSC_SC_,"axG",@progbits,_Z38paged_attention_ll4mi_QKV_mfma4_kernelI14__hip_bfloat16hLN4vllm18Fp8KVCacheDataTypeE1EhLi32ELi64ELi256ELb1ELi2EEvPKT_PKT0_S8_ifPKiSA_SA_iPKfiiiPfSD_PS3_PT2_iSC_SC_,comdat
	.protected	_Z38paged_attention_ll4mi_QKV_mfma4_kernelI14__hip_bfloat16hLN4vllm18Fp8KVCacheDataTypeE1EhLi32ELi64ELi256ELb1ELi2EEvPKT_PKT0_S8_ifPKiSA_SA_iPKfiiiPfSD_PS3_PT2_iSC_SC_ ; -- Begin function _Z38paged_attention_ll4mi_QKV_mfma4_kernelI14__hip_bfloat16hLN4vllm18Fp8KVCacheDataTypeE1EhLi32ELi64ELi256ELb1ELi2EEvPKT_PKT0_S8_ifPKiSA_SA_iPKfiiiPfSD_PS3_PT2_iSC_SC_
	.globl	_Z38paged_attention_ll4mi_QKV_mfma4_kernelI14__hip_bfloat16hLN4vllm18Fp8KVCacheDataTypeE1EhLi32ELi64ELi256ELb1ELi2EEvPKT_PKT0_S8_ifPKiSA_SA_iPKfiiiPfSD_PS3_PT2_iSC_SC_
	.p2align	8
	.type	_Z38paged_attention_ll4mi_QKV_mfma4_kernelI14__hip_bfloat16hLN4vllm18Fp8KVCacheDataTypeE1EhLi32ELi64ELi256ELb1ELi2EEvPKT_PKT0_S8_ifPKiSA_SA_iPKfiiiPfSD_PS3_PT2_iSC_SC_,@function
_Z38paged_attention_ll4mi_QKV_mfma4_kernelI14__hip_bfloat16hLN4vllm18Fp8KVCacheDataTypeE1EhLi32ELi64ELi256ELb1ELi2EEvPKT_PKT0_S8_ifPKiSA_SA_iPKfiiiPfSD_PS3_PT2_iSC_SC_: ; @_Z38paged_attention_ll4mi_QKV_mfma4_kernelI14__hip_bfloat16hLN4vllm18Fp8KVCacheDataTypeE1EhLi32ELi64ELi256ELb1ELi2EEvPKT_PKT0_S8_ifPKiSA_SA_iPKfiiiPfSD_PS3_PT2_iSC_SC_
; %bb.0:
	s_get_pc_i64 s[2:3]
	s_add_nc_u64 s[2:3], s[2:3], __PRETTY_FUNCTION__._Z38paged_attention_ll4mi_QKV_mfma4_kernelI14__hip_bfloat16hLN4vllm18Fp8KVCacheDataTypeE1EhLi32ELi64ELi256ELb1ELi2EEvPKT_PKT0_S8_ifPKiSA_SA_iPKfiiiPfSD_PS3_PT2_iSC_SC_@rel64+4
	s_delay_alu instid0(SALU_CYCLE_1)
	v_dual_mov_b32 v0, 0xbce :: v_dual_mov_b32 v1, s2
	v_mov_b32_e32 v2, s3
	s_add_nc_u64 s[8:9], s[0:1], 0x90
	s_get_pc_i64 s[0:1]
	s_add_nc_u64 s[0:1], s[0:1], __assert_fail@rel64+4
	s_mov_b32 s32, 0
	s_swap_pc_i64 s[30:31], s[0:1]
	.section	.rodata,"a",@progbits
	.p2align	6, 0x0
	.amdhsa_kernel _Z38paged_attention_ll4mi_QKV_mfma4_kernelI14__hip_bfloat16hLN4vllm18Fp8KVCacheDataTypeE1EhLi32ELi64ELi256ELb1ELi2EEvPKT_PKT0_S8_ifPKiSA_SA_iPKfiiiPfSD_PS3_PT2_iSC_SC_
		.amdhsa_group_segment_fixed_size 0
		.amdhsa_private_segment_fixed_size 64
		.amdhsa_kernarg_size 400
		.amdhsa_user_sgpr_count 2
		.amdhsa_user_sgpr_dispatch_ptr 0
		.amdhsa_user_sgpr_queue_ptr 0
		.amdhsa_user_sgpr_kernarg_segment_ptr 1
		.amdhsa_user_sgpr_dispatch_id 0
		.amdhsa_user_sgpr_kernarg_preload_length 0
		.amdhsa_user_sgpr_kernarg_preload_offset 0
		.amdhsa_user_sgpr_private_segment_size 0
		.amdhsa_wavefront_size32 1
		.amdhsa_uses_dynamic_stack 0
		.amdhsa_enable_private_segment 1
		.amdhsa_system_sgpr_workgroup_id_x 1
		.amdhsa_system_sgpr_workgroup_id_y 0
		.amdhsa_system_sgpr_workgroup_id_z 0
		.amdhsa_system_sgpr_workgroup_info 0
		.amdhsa_system_vgpr_workitem_id 0
		.amdhsa_next_free_vgpr 51
		.amdhsa_next_free_sgpr 34
		.amdhsa_named_barrier_count 0
		.amdhsa_reserve_vcc 1
		.amdhsa_float_round_mode_32 0
		.amdhsa_float_round_mode_16_64 0
		.amdhsa_float_denorm_mode_32 3
		.amdhsa_float_denorm_mode_16_64 3
		.amdhsa_fp16_overflow 0
		.amdhsa_memory_ordered 1
		.amdhsa_forward_progress 1
		.amdhsa_inst_pref_size 1
		.amdhsa_round_robin_scheduling 0
		.amdhsa_exception_fp_ieee_invalid_op 0
		.amdhsa_exception_fp_denorm_src 0
		.amdhsa_exception_fp_ieee_div_zero 0
		.amdhsa_exception_fp_ieee_overflow 0
		.amdhsa_exception_fp_ieee_underflow 0
		.amdhsa_exception_fp_ieee_inexact 0
		.amdhsa_exception_int_div_zero 0
	.end_amdhsa_kernel
	.section	.text._Z38paged_attention_ll4mi_QKV_mfma4_kernelI14__hip_bfloat16hLN4vllm18Fp8KVCacheDataTypeE1EhLi32ELi64ELi256ELb1ELi2EEvPKT_PKT0_S8_ifPKiSA_SA_iPKfiiiPfSD_PS3_PT2_iSC_SC_,"axG",@progbits,_Z38paged_attention_ll4mi_QKV_mfma4_kernelI14__hip_bfloat16hLN4vllm18Fp8KVCacheDataTypeE1EhLi32ELi64ELi256ELb1ELi2EEvPKT_PKT0_S8_ifPKiSA_SA_iPKfiiiPfSD_PS3_PT2_iSC_SC_,comdat
.Lfunc_end1171:
	.size	_Z38paged_attention_ll4mi_QKV_mfma4_kernelI14__hip_bfloat16hLN4vllm18Fp8KVCacheDataTypeE1EhLi32ELi64ELi256ELb1ELi2EEvPKT_PKT0_S8_ifPKiSA_SA_iPKfiiiPfSD_PS3_PT2_iSC_SC_, .Lfunc_end1171-_Z38paged_attention_ll4mi_QKV_mfma4_kernelI14__hip_bfloat16hLN4vllm18Fp8KVCacheDataTypeE1EhLi32ELi64ELi256ELb1ELi2EEvPKT_PKT0_S8_ifPKiSA_SA_iPKfiiiPfSD_PS3_PT2_iSC_SC_
                                        ; -- End function
	.set _Z38paged_attention_ll4mi_QKV_mfma4_kernelI14__hip_bfloat16hLN4vllm18Fp8KVCacheDataTypeE1EhLi32ELi64ELi256ELb1ELi2EEvPKT_PKT0_S8_ifPKiSA_SA_iPKfiiiPfSD_PS3_PT2_iSC_SC_.num_vgpr, max(3, .L__assert_fail.num_vgpr)
	.set _Z38paged_attention_ll4mi_QKV_mfma4_kernelI14__hip_bfloat16hLN4vllm18Fp8KVCacheDataTypeE1EhLi32ELi64ELi256ELb1ELi2EEvPKT_PKT0_S8_ifPKiSA_SA_iPKfiiiPfSD_PS3_PT2_iSC_SC_.num_agpr, max(0, .L__assert_fail.num_agpr)
	.set _Z38paged_attention_ll4mi_QKV_mfma4_kernelI14__hip_bfloat16hLN4vllm18Fp8KVCacheDataTypeE1EhLi32ELi64ELi256ELb1ELi2EEvPKT_PKT0_S8_ifPKiSA_SA_iPKfiiiPfSD_PS3_PT2_iSC_SC_.numbered_sgpr, max(33, .L__assert_fail.numbered_sgpr)
	.set _Z38paged_attention_ll4mi_QKV_mfma4_kernelI14__hip_bfloat16hLN4vllm18Fp8KVCacheDataTypeE1EhLi32ELi64ELi256ELb1ELi2EEvPKT_PKT0_S8_ifPKiSA_SA_iPKfiiiPfSD_PS3_PT2_iSC_SC_.num_named_barrier, max(0, .L__assert_fail.num_named_barrier)
	.set _Z38paged_attention_ll4mi_QKV_mfma4_kernelI14__hip_bfloat16hLN4vllm18Fp8KVCacheDataTypeE1EhLi32ELi64ELi256ELb1ELi2EEvPKT_PKT0_S8_ifPKiSA_SA_iPKfiiiPfSD_PS3_PT2_iSC_SC_.private_seg_size, 0+max(.L__assert_fail.private_seg_size)
	.set _Z38paged_attention_ll4mi_QKV_mfma4_kernelI14__hip_bfloat16hLN4vllm18Fp8KVCacheDataTypeE1EhLi32ELi64ELi256ELb1ELi2EEvPKT_PKT0_S8_ifPKiSA_SA_iPKfiiiPfSD_PS3_PT2_iSC_SC_.uses_vcc, or(1, .L__assert_fail.uses_vcc)
	.set _Z38paged_attention_ll4mi_QKV_mfma4_kernelI14__hip_bfloat16hLN4vllm18Fp8KVCacheDataTypeE1EhLi32ELi64ELi256ELb1ELi2EEvPKT_PKT0_S8_ifPKiSA_SA_iPKfiiiPfSD_PS3_PT2_iSC_SC_.uses_flat_scratch, or(0, .L__assert_fail.uses_flat_scratch)
	.set _Z38paged_attention_ll4mi_QKV_mfma4_kernelI14__hip_bfloat16hLN4vllm18Fp8KVCacheDataTypeE1EhLi32ELi64ELi256ELb1ELi2EEvPKT_PKT0_S8_ifPKiSA_SA_iPKfiiiPfSD_PS3_PT2_iSC_SC_.has_dyn_sized_stack, or(0, .L__assert_fail.has_dyn_sized_stack)
	.set _Z38paged_attention_ll4mi_QKV_mfma4_kernelI14__hip_bfloat16hLN4vllm18Fp8KVCacheDataTypeE1EhLi32ELi64ELi256ELb1ELi2EEvPKT_PKT0_S8_ifPKiSA_SA_iPKfiiiPfSD_PS3_PT2_iSC_SC_.has_recursion, or(0, .L__assert_fail.has_recursion)
	.set _Z38paged_attention_ll4mi_QKV_mfma4_kernelI14__hip_bfloat16hLN4vllm18Fp8KVCacheDataTypeE1EhLi32ELi64ELi256ELb1ELi2EEvPKT_PKT0_S8_ifPKiSA_SA_iPKfiiiPfSD_PS3_PT2_iSC_SC_.has_indirect_call, or(0, .L__assert_fail.has_indirect_call)
	.section	.AMDGPU.csdata,"",@progbits
; Kernel info:
; codeLenInByte = 68
; TotalNumSgprs: 36
; NumVgprs: 51
; ScratchSize: 64
; MemoryBound: 0
; FloatMode: 240
; IeeeMode: 1
; LDSByteSize: 0 bytes/workgroup (compile time only)
; SGPRBlocks: 0
; VGPRBlocks: 3
; NumSGPRsForWavesPerEU: 36
; NumVGPRsForWavesPerEU: 51
; NamedBarCnt: 0
; Occupancy: 16
; WaveLimiterHint : 1
; COMPUTE_PGM_RSRC2:SCRATCH_EN: 1
; COMPUTE_PGM_RSRC2:USER_SGPR: 2
; COMPUTE_PGM_RSRC2:TRAP_HANDLER: 0
; COMPUTE_PGM_RSRC2:TGID_X_EN: 1
; COMPUTE_PGM_RSRC2:TGID_Y_EN: 0
; COMPUTE_PGM_RSRC2:TGID_Z_EN: 0
; COMPUTE_PGM_RSRC2:TIDIG_COMP_CNT: 0
	.section	.text._Z38paged_attention_ll4mi_QKV_mfma4_kernelI14__hip_bfloat16hLN4vllm18Fp8KVCacheDataTypeE1EhLi32ELi64ELi256ELb1ELi3EEvPKT_PKT0_S8_ifPKiSA_SA_iPKfiiiPfSD_PS3_PT2_iSC_SC_,"axG",@progbits,_Z38paged_attention_ll4mi_QKV_mfma4_kernelI14__hip_bfloat16hLN4vllm18Fp8KVCacheDataTypeE1EhLi32ELi64ELi256ELb1ELi3EEvPKT_PKT0_S8_ifPKiSA_SA_iPKfiiiPfSD_PS3_PT2_iSC_SC_,comdat
	.protected	_Z38paged_attention_ll4mi_QKV_mfma4_kernelI14__hip_bfloat16hLN4vllm18Fp8KVCacheDataTypeE1EhLi32ELi64ELi256ELb1ELi3EEvPKT_PKT0_S8_ifPKiSA_SA_iPKfiiiPfSD_PS3_PT2_iSC_SC_ ; -- Begin function _Z38paged_attention_ll4mi_QKV_mfma4_kernelI14__hip_bfloat16hLN4vllm18Fp8KVCacheDataTypeE1EhLi32ELi64ELi256ELb1ELi3EEvPKT_PKT0_S8_ifPKiSA_SA_iPKfiiiPfSD_PS3_PT2_iSC_SC_
	.globl	_Z38paged_attention_ll4mi_QKV_mfma4_kernelI14__hip_bfloat16hLN4vllm18Fp8KVCacheDataTypeE1EhLi32ELi64ELi256ELb1ELi3EEvPKT_PKT0_S8_ifPKiSA_SA_iPKfiiiPfSD_PS3_PT2_iSC_SC_
	.p2align	8
	.type	_Z38paged_attention_ll4mi_QKV_mfma4_kernelI14__hip_bfloat16hLN4vllm18Fp8KVCacheDataTypeE1EhLi32ELi64ELi256ELb1ELi3EEvPKT_PKT0_S8_ifPKiSA_SA_iPKfiiiPfSD_PS3_PT2_iSC_SC_,@function
_Z38paged_attention_ll4mi_QKV_mfma4_kernelI14__hip_bfloat16hLN4vllm18Fp8KVCacheDataTypeE1EhLi32ELi64ELi256ELb1ELi3EEvPKT_PKT0_S8_ifPKiSA_SA_iPKfiiiPfSD_PS3_PT2_iSC_SC_: ; @_Z38paged_attention_ll4mi_QKV_mfma4_kernelI14__hip_bfloat16hLN4vllm18Fp8KVCacheDataTypeE1EhLi32ELi64ELi256ELb1ELi3EEvPKT_PKT0_S8_ifPKiSA_SA_iPKfiiiPfSD_PS3_PT2_iSC_SC_
; %bb.0:
	s_get_pc_i64 s[2:3]
	s_add_nc_u64 s[2:3], s[2:3], __PRETTY_FUNCTION__._Z38paged_attention_ll4mi_QKV_mfma4_kernelI14__hip_bfloat16hLN4vllm18Fp8KVCacheDataTypeE1EhLi32ELi64ELi256ELb1ELi3EEvPKT_PKT0_S8_ifPKiSA_SA_iPKfiiiPfSD_PS3_PT2_iSC_SC_@rel64+4
	s_delay_alu instid0(SALU_CYCLE_1)
	v_dual_mov_b32 v0, 0xbce :: v_dual_mov_b32 v1, s2
	v_mov_b32_e32 v2, s3
	s_add_nc_u64 s[8:9], s[0:1], 0x90
	s_get_pc_i64 s[0:1]
	s_add_nc_u64 s[0:1], s[0:1], __assert_fail@rel64+4
	s_mov_b32 s32, 0
	s_swap_pc_i64 s[30:31], s[0:1]
	.section	.rodata,"a",@progbits
	.p2align	6, 0x0
	.amdhsa_kernel _Z38paged_attention_ll4mi_QKV_mfma4_kernelI14__hip_bfloat16hLN4vllm18Fp8KVCacheDataTypeE1EhLi32ELi64ELi256ELb1ELi3EEvPKT_PKT0_S8_ifPKiSA_SA_iPKfiiiPfSD_PS3_PT2_iSC_SC_
		.amdhsa_group_segment_fixed_size 0
		.amdhsa_private_segment_fixed_size 64
		.amdhsa_kernarg_size 400
		.amdhsa_user_sgpr_count 2
		.amdhsa_user_sgpr_dispatch_ptr 0
		.amdhsa_user_sgpr_queue_ptr 0
		.amdhsa_user_sgpr_kernarg_segment_ptr 1
		.amdhsa_user_sgpr_dispatch_id 0
		.amdhsa_user_sgpr_kernarg_preload_length 0
		.amdhsa_user_sgpr_kernarg_preload_offset 0
		.amdhsa_user_sgpr_private_segment_size 0
		.amdhsa_wavefront_size32 1
		.amdhsa_uses_dynamic_stack 0
		.amdhsa_enable_private_segment 1
		.amdhsa_system_sgpr_workgroup_id_x 1
		.amdhsa_system_sgpr_workgroup_id_y 0
		.amdhsa_system_sgpr_workgroup_id_z 0
		.amdhsa_system_sgpr_workgroup_info 0
		.amdhsa_system_vgpr_workitem_id 0
		.amdhsa_next_free_vgpr 51
		.amdhsa_next_free_sgpr 34
		.amdhsa_named_barrier_count 0
		.amdhsa_reserve_vcc 1
		.amdhsa_float_round_mode_32 0
		.amdhsa_float_round_mode_16_64 0
		.amdhsa_float_denorm_mode_32 3
		.amdhsa_float_denorm_mode_16_64 3
		.amdhsa_fp16_overflow 0
		.amdhsa_memory_ordered 1
		.amdhsa_forward_progress 1
		.amdhsa_inst_pref_size 1
		.amdhsa_round_robin_scheduling 0
		.amdhsa_exception_fp_ieee_invalid_op 0
		.amdhsa_exception_fp_denorm_src 0
		.amdhsa_exception_fp_ieee_div_zero 0
		.amdhsa_exception_fp_ieee_overflow 0
		.amdhsa_exception_fp_ieee_underflow 0
		.amdhsa_exception_fp_ieee_inexact 0
		.amdhsa_exception_int_div_zero 0
	.end_amdhsa_kernel
	.section	.text._Z38paged_attention_ll4mi_QKV_mfma4_kernelI14__hip_bfloat16hLN4vllm18Fp8KVCacheDataTypeE1EhLi32ELi64ELi256ELb1ELi3EEvPKT_PKT0_S8_ifPKiSA_SA_iPKfiiiPfSD_PS3_PT2_iSC_SC_,"axG",@progbits,_Z38paged_attention_ll4mi_QKV_mfma4_kernelI14__hip_bfloat16hLN4vllm18Fp8KVCacheDataTypeE1EhLi32ELi64ELi256ELb1ELi3EEvPKT_PKT0_S8_ifPKiSA_SA_iPKfiiiPfSD_PS3_PT2_iSC_SC_,comdat
.Lfunc_end1172:
	.size	_Z38paged_attention_ll4mi_QKV_mfma4_kernelI14__hip_bfloat16hLN4vllm18Fp8KVCacheDataTypeE1EhLi32ELi64ELi256ELb1ELi3EEvPKT_PKT0_S8_ifPKiSA_SA_iPKfiiiPfSD_PS3_PT2_iSC_SC_, .Lfunc_end1172-_Z38paged_attention_ll4mi_QKV_mfma4_kernelI14__hip_bfloat16hLN4vllm18Fp8KVCacheDataTypeE1EhLi32ELi64ELi256ELb1ELi3EEvPKT_PKT0_S8_ifPKiSA_SA_iPKfiiiPfSD_PS3_PT2_iSC_SC_
                                        ; -- End function
	.set _Z38paged_attention_ll4mi_QKV_mfma4_kernelI14__hip_bfloat16hLN4vllm18Fp8KVCacheDataTypeE1EhLi32ELi64ELi256ELb1ELi3EEvPKT_PKT0_S8_ifPKiSA_SA_iPKfiiiPfSD_PS3_PT2_iSC_SC_.num_vgpr, max(3, .L__assert_fail.num_vgpr)
	.set _Z38paged_attention_ll4mi_QKV_mfma4_kernelI14__hip_bfloat16hLN4vllm18Fp8KVCacheDataTypeE1EhLi32ELi64ELi256ELb1ELi3EEvPKT_PKT0_S8_ifPKiSA_SA_iPKfiiiPfSD_PS3_PT2_iSC_SC_.num_agpr, max(0, .L__assert_fail.num_agpr)
	.set _Z38paged_attention_ll4mi_QKV_mfma4_kernelI14__hip_bfloat16hLN4vllm18Fp8KVCacheDataTypeE1EhLi32ELi64ELi256ELb1ELi3EEvPKT_PKT0_S8_ifPKiSA_SA_iPKfiiiPfSD_PS3_PT2_iSC_SC_.numbered_sgpr, max(33, .L__assert_fail.numbered_sgpr)
	.set _Z38paged_attention_ll4mi_QKV_mfma4_kernelI14__hip_bfloat16hLN4vllm18Fp8KVCacheDataTypeE1EhLi32ELi64ELi256ELb1ELi3EEvPKT_PKT0_S8_ifPKiSA_SA_iPKfiiiPfSD_PS3_PT2_iSC_SC_.num_named_barrier, max(0, .L__assert_fail.num_named_barrier)
	.set _Z38paged_attention_ll4mi_QKV_mfma4_kernelI14__hip_bfloat16hLN4vllm18Fp8KVCacheDataTypeE1EhLi32ELi64ELi256ELb1ELi3EEvPKT_PKT0_S8_ifPKiSA_SA_iPKfiiiPfSD_PS3_PT2_iSC_SC_.private_seg_size, 0+max(.L__assert_fail.private_seg_size)
	.set _Z38paged_attention_ll4mi_QKV_mfma4_kernelI14__hip_bfloat16hLN4vllm18Fp8KVCacheDataTypeE1EhLi32ELi64ELi256ELb1ELi3EEvPKT_PKT0_S8_ifPKiSA_SA_iPKfiiiPfSD_PS3_PT2_iSC_SC_.uses_vcc, or(1, .L__assert_fail.uses_vcc)
	.set _Z38paged_attention_ll4mi_QKV_mfma4_kernelI14__hip_bfloat16hLN4vllm18Fp8KVCacheDataTypeE1EhLi32ELi64ELi256ELb1ELi3EEvPKT_PKT0_S8_ifPKiSA_SA_iPKfiiiPfSD_PS3_PT2_iSC_SC_.uses_flat_scratch, or(0, .L__assert_fail.uses_flat_scratch)
	.set _Z38paged_attention_ll4mi_QKV_mfma4_kernelI14__hip_bfloat16hLN4vllm18Fp8KVCacheDataTypeE1EhLi32ELi64ELi256ELb1ELi3EEvPKT_PKT0_S8_ifPKiSA_SA_iPKfiiiPfSD_PS3_PT2_iSC_SC_.has_dyn_sized_stack, or(0, .L__assert_fail.has_dyn_sized_stack)
	.set _Z38paged_attention_ll4mi_QKV_mfma4_kernelI14__hip_bfloat16hLN4vllm18Fp8KVCacheDataTypeE1EhLi32ELi64ELi256ELb1ELi3EEvPKT_PKT0_S8_ifPKiSA_SA_iPKfiiiPfSD_PS3_PT2_iSC_SC_.has_recursion, or(0, .L__assert_fail.has_recursion)
	.set _Z38paged_attention_ll4mi_QKV_mfma4_kernelI14__hip_bfloat16hLN4vllm18Fp8KVCacheDataTypeE1EhLi32ELi64ELi256ELb1ELi3EEvPKT_PKT0_S8_ifPKiSA_SA_iPKfiiiPfSD_PS3_PT2_iSC_SC_.has_indirect_call, or(0, .L__assert_fail.has_indirect_call)
	.section	.AMDGPU.csdata,"",@progbits
; Kernel info:
; codeLenInByte = 68
; TotalNumSgprs: 36
; NumVgprs: 51
; ScratchSize: 64
; MemoryBound: 0
; FloatMode: 240
; IeeeMode: 1
; LDSByteSize: 0 bytes/workgroup (compile time only)
; SGPRBlocks: 0
; VGPRBlocks: 3
; NumSGPRsForWavesPerEU: 36
; NumVGPRsForWavesPerEU: 51
; NamedBarCnt: 0
; Occupancy: 16
; WaveLimiterHint : 1
; COMPUTE_PGM_RSRC2:SCRATCH_EN: 1
; COMPUTE_PGM_RSRC2:USER_SGPR: 2
; COMPUTE_PGM_RSRC2:TRAP_HANDLER: 0
; COMPUTE_PGM_RSRC2:TGID_X_EN: 1
; COMPUTE_PGM_RSRC2:TGID_Y_EN: 0
; COMPUTE_PGM_RSRC2:TGID_Z_EN: 0
; COMPUTE_PGM_RSRC2:TIDIG_COMP_CNT: 0
	.section	.text._Z38paged_attention_ll4mi_QKV_mfma4_kernelI14__hip_bfloat16hLN4vllm18Fp8KVCacheDataTypeE1EhLi32ELi64ELi256ELb1ELi4EEvPKT_PKT0_S8_ifPKiSA_SA_iPKfiiiPfSD_PS3_PT2_iSC_SC_,"axG",@progbits,_Z38paged_attention_ll4mi_QKV_mfma4_kernelI14__hip_bfloat16hLN4vllm18Fp8KVCacheDataTypeE1EhLi32ELi64ELi256ELb1ELi4EEvPKT_PKT0_S8_ifPKiSA_SA_iPKfiiiPfSD_PS3_PT2_iSC_SC_,comdat
	.protected	_Z38paged_attention_ll4mi_QKV_mfma4_kernelI14__hip_bfloat16hLN4vllm18Fp8KVCacheDataTypeE1EhLi32ELi64ELi256ELb1ELi4EEvPKT_PKT0_S8_ifPKiSA_SA_iPKfiiiPfSD_PS3_PT2_iSC_SC_ ; -- Begin function _Z38paged_attention_ll4mi_QKV_mfma4_kernelI14__hip_bfloat16hLN4vllm18Fp8KVCacheDataTypeE1EhLi32ELi64ELi256ELb1ELi4EEvPKT_PKT0_S8_ifPKiSA_SA_iPKfiiiPfSD_PS3_PT2_iSC_SC_
	.globl	_Z38paged_attention_ll4mi_QKV_mfma4_kernelI14__hip_bfloat16hLN4vllm18Fp8KVCacheDataTypeE1EhLi32ELi64ELi256ELb1ELi4EEvPKT_PKT0_S8_ifPKiSA_SA_iPKfiiiPfSD_PS3_PT2_iSC_SC_
	.p2align	8
	.type	_Z38paged_attention_ll4mi_QKV_mfma4_kernelI14__hip_bfloat16hLN4vllm18Fp8KVCacheDataTypeE1EhLi32ELi64ELi256ELb1ELi4EEvPKT_PKT0_S8_ifPKiSA_SA_iPKfiiiPfSD_PS3_PT2_iSC_SC_,@function
_Z38paged_attention_ll4mi_QKV_mfma4_kernelI14__hip_bfloat16hLN4vllm18Fp8KVCacheDataTypeE1EhLi32ELi64ELi256ELb1ELi4EEvPKT_PKT0_S8_ifPKiSA_SA_iPKfiiiPfSD_PS3_PT2_iSC_SC_: ; @_Z38paged_attention_ll4mi_QKV_mfma4_kernelI14__hip_bfloat16hLN4vllm18Fp8KVCacheDataTypeE1EhLi32ELi64ELi256ELb1ELi4EEvPKT_PKT0_S8_ifPKiSA_SA_iPKfiiiPfSD_PS3_PT2_iSC_SC_
; %bb.0:
	s_get_pc_i64 s[2:3]
	s_add_nc_u64 s[2:3], s[2:3], __PRETTY_FUNCTION__._Z38paged_attention_ll4mi_QKV_mfma4_kernelI14__hip_bfloat16hLN4vllm18Fp8KVCacheDataTypeE1EhLi32ELi64ELi256ELb1ELi4EEvPKT_PKT0_S8_ifPKiSA_SA_iPKfiiiPfSD_PS3_PT2_iSC_SC_@rel64+4
	s_delay_alu instid0(SALU_CYCLE_1)
	v_dual_mov_b32 v0, 0xbce :: v_dual_mov_b32 v1, s2
	v_mov_b32_e32 v2, s3
	s_add_nc_u64 s[8:9], s[0:1], 0x90
	s_get_pc_i64 s[0:1]
	s_add_nc_u64 s[0:1], s[0:1], __assert_fail@rel64+4
	s_mov_b32 s32, 0
	s_swap_pc_i64 s[30:31], s[0:1]
	.section	.rodata,"a",@progbits
	.p2align	6, 0x0
	.amdhsa_kernel _Z38paged_attention_ll4mi_QKV_mfma4_kernelI14__hip_bfloat16hLN4vllm18Fp8KVCacheDataTypeE1EhLi32ELi64ELi256ELb1ELi4EEvPKT_PKT0_S8_ifPKiSA_SA_iPKfiiiPfSD_PS3_PT2_iSC_SC_
		.amdhsa_group_segment_fixed_size 0
		.amdhsa_private_segment_fixed_size 64
		.amdhsa_kernarg_size 400
		.amdhsa_user_sgpr_count 2
		.amdhsa_user_sgpr_dispatch_ptr 0
		.amdhsa_user_sgpr_queue_ptr 0
		.amdhsa_user_sgpr_kernarg_segment_ptr 1
		.amdhsa_user_sgpr_dispatch_id 0
		.amdhsa_user_sgpr_kernarg_preload_length 0
		.amdhsa_user_sgpr_kernarg_preload_offset 0
		.amdhsa_user_sgpr_private_segment_size 0
		.amdhsa_wavefront_size32 1
		.amdhsa_uses_dynamic_stack 0
		.amdhsa_enable_private_segment 1
		.amdhsa_system_sgpr_workgroup_id_x 1
		.amdhsa_system_sgpr_workgroup_id_y 0
		.amdhsa_system_sgpr_workgroup_id_z 0
		.amdhsa_system_sgpr_workgroup_info 0
		.amdhsa_system_vgpr_workitem_id 0
		.amdhsa_next_free_vgpr 51
		.amdhsa_next_free_sgpr 34
		.amdhsa_named_barrier_count 0
		.amdhsa_reserve_vcc 1
		.amdhsa_float_round_mode_32 0
		.amdhsa_float_round_mode_16_64 0
		.amdhsa_float_denorm_mode_32 3
		.amdhsa_float_denorm_mode_16_64 3
		.amdhsa_fp16_overflow 0
		.amdhsa_memory_ordered 1
		.amdhsa_forward_progress 1
		.amdhsa_inst_pref_size 1
		.amdhsa_round_robin_scheduling 0
		.amdhsa_exception_fp_ieee_invalid_op 0
		.amdhsa_exception_fp_denorm_src 0
		.amdhsa_exception_fp_ieee_div_zero 0
		.amdhsa_exception_fp_ieee_overflow 0
		.amdhsa_exception_fp_ieee_underflow 0
		.amdhsa_exception_fp_ieee_inexact 0
		.amdhsa_exception_int_div_zero 0
	.end_amdhsa_kernel
	.section	.text._Z38paged_attention_ll4mi_QKV_mfma4_kernelI14__hip_bfloat16hLN4vllm18Fp8KVCacheDataTypeE1EhLi32ELi64ELi256ELb1ELi4EEvPKT_PKT0_S8_ifPKiSA_SA_iPKfiiiPfSD_PS3_PT2_iSC_SC_,"axG",@progbits,_Z38paged_attention_ll4mi_QKV_mfma4_kernelI14__hip_bfloat16hLN4vllm18Fp8KVCacheDataTypeE1EhLi32ELi64ELi256ELb1ELi4EEvPKT_PKT0_S8_ifPKiSA_SA_iPKfiiiPfSD_PS3_PT2_iSC_SC_,comdat
.Lfunc_end1173:
	.size	_Z38paged_attention_ll4mi_QKV_mfma4_kernelI14__hip_bfloat16hLN4vllm18Fp8KVCacheDataTypeE1EhLi32ELi64ELi256ELb1ELi4EEvPKT_PKT0_S8_ifPKiSA_SA_iPKfiiiPfSD_PS3_PT2_iSC_SC_, .Lfunc_end1173-_Z38paged_attention_ll4mi_QKV_mfma4_kernelI14__hip_bfloat16hLN4vllm18Fp8KVCacheDataTypeE1EhLi32ELi64ELi256ELb1ELi4EEvPKT_PKT0_S8_ifPKiSA_SA_iPKfiiiPfSD_PS3_PT2_iSC_SC_
                                        ; -- End function
	.set _Z38paged_attention_ll4mi_QKV_mfma4_kernelI14__hip_bfloat16hLN4vllm18Fp8KVCacheDataTypeE1EhLi32ELi64ELi256ELb1ELi4EEvPKT_PKT0_S8_ifPKiSA_SA_iPKfiiiPfSD_PS3_PT2_iSC_SC_.num_vgpr, max(3, .L__assert_fail.num_vgpr)
	.set _Z38paged_attention_ll4mi_QKV_mfma4_kernelI14__hip_bfloat16hLN4vllm18Fp8KVCacheDataTypeE1EhLi32ELi64ELi256ELb1ELi4EEvPKT_PKT0_S8_ifPKiSA_SA_iPKfiiiPfSD_PS3_PT2_iSC_SC_.num_agpr, max(0, .L__assert_fail.num_agpr)
	.set _Z38paged_attention_ll4mi_QKV_mfma4_kernelI14__hip_bfloat16hLN4vllm18Fp8KVCacheDataTypeE1EhLi32ELi64ELi256ELb1ELi4EEvPKT_PKT0_S8_ifPKiSA_SA_iPKfiiiPfSD_PS3_PT2_iSC_SC_.numbered_sgpr, max(33, .L__assert_fail.numbered_sgpr)
	.set _Z38paged_attention_ll4mi_QKV_mfma4_kernelI14__hip_bfloat16hLN4vllm18Fp8KVCacheDataTypeE1EhLi32ELi64ELi256ELb1ELi4EEvPKT_PKT0_S8_ifPKiSA_SA_iPKfiiiPfSD_PS3_PT2_iSC_SC_.num_named_barrier, max(0, .L__assert_fail.num_named_barrier)
	.set _Z38paged_attention_ll4mi_QKV_mfma4_kernelI14__hip_bfloat16hLN4vllm18Fp8KVCacheDataTypeE1EhLi32ELi64ELi256ELb1ELi4EEvPKT_PKT0_S8_ifPKiSA_SA_iPKfiiiPfSD_PS3_PT2_iSC_SC_.private_seg_size, 0+max(.L__assert_fail.private_seg_size)
	.set _Z38paged_attention_ll4mi_QKV_mfma4_kernelI14__hip_bfloat16hLN4vllm18Fp8KVCacheDataTypeE1EhLi32ELi64ELi256ELb1ELi4EEvPKT_PKT0_S8_ifPKiSA_SA_iPKfiiiPfSD_PS3_PT2_iSC_SC_.uses_vcc, or(1, .L__assert_fail.uses_vcc)
	.set _Z38paged_attention_ll4mi_QKV_mfma4_kernelI14__hip_bfloat16hLN4vllm18Fp8KVCacheDataTypeE1EhLi32ELi64ELi256ELb1ELi4EEvPKT_PKT0_S8_ifPKiSA_SA_iPKfiiiPfSD_PS3_PT2_iSC_SC_.uses_flat_scratch, or(0, .L__assert_fail.uses_flat_scratch)
	.set _Z38paged_attention_ll4mi_QKV_mfma4_kernelI14__hip_bfloat16hLN4vllm18Fp8KVCacheDataTypeE1EhLi32ELi64ELi256ELb1ELi4EEvPKT_PKT0_S8_ifPKiSA_SA_iPKfiiiPfSD_PS3_PT2_iSC_SC_.has_dyn_sized_stack, or(0, .L__assert_fail.has_dyn_sized_stack)
	.set _Z38paged_attention_ll4mi_QKV_mfma4_kernelI14__hip_bfloat16hLN4vllm18Fp8KVCacheDataTypeE1EhLi32ELi64ELi256ELb1ELi4EEvPKT_PKT0_S8_ifPKiSA_SA_iPKfiiiPfSD_PS3_PT2_iSC_SC_.has_recursion, or(0, .L__assert_fail.has_recursion)
	.set _Z38paged_attention_ll4mi_QKV_mfma4_kernelI14__hip_bfloat16hLN4vllm18Fp8KVCacheDataTypeE1EhLi32ELi64ELi256ELb1ELi4EEvPKT_PKT0_S8_ifPKiSA_SA_iPKfiiiPfSD_PS3_PT2_iSC_SC_.has_indirect_call, or(0, .L__assert_fail.has_indirect_call)
	.section	.AMDGPU.csdata,"",@progbits
; Kernel info:
; codeLenInByte = 68
; TotalNumSgprs: 36
; NumVgprs: 51
; ScratchSize: 64
; MemoryBound: 0
; FloatMode: 240
; IeeeMode: 1
; LDSByteSize: 0 bytes/workgroup (compile time only)
; SGPRBlocks: 0
; VGPRBlocks: 3
; NumSGPRsForWavesPerEU: 36
; NumVGPRsForWavesPerEU: 51
; NamedBarCnt: 0
; Occupancy: 16
; WaveLimiterHint : 1
; COMPUTE_PGM_RSRC2:SCRATCH_EN: 1
; COMPUTE_PGM_RSRC2:USER_SGPR: 2
; COMPUTE_PGM_RSRC2:TRAP_HANDLER: 0
; COMPUTE_PGM_RSRC2:TGID_X_EN: 1
; COMPUTE_PGM_RSRC2:TGID_Y_EN: 0
; COMPUTE_PGM_RSRC2:TGID_Z_EN: 0
; COMPUTE_PGM_RSRC2:TIDIG_COMP_CNT: 0
	.section	.text._Z39paged_attention_ll4mi_QKV_mfma16_kernelI14__hip_bfloat16hLN4vllm18Fp8KVCacheDataTypeE1EhLi32ELi64ELi256ELb1ELi5EEvPKT_PKT0_S8_ifPKiSA_SA_iPKfiiiPfSD_PS3_PT2_iSC_SC_,"axG",@progbits,_Z39paged_attention_ll4mi_QKV_mfma16_kernelI14__hip_bfloat16hLN4vllm18Fp8KVCacheDataTypeE1EhLi32ELi64ELi256ELb1ELi5EEvPKT_PKT0_S8_ifPKiSA_SA_iPKfiiiPfSD_PS3_PT2_iSC_SC_,comdat
	.protected	_Z39paged_attention_ll4mi_QKV_mfma16_kernelI14__hip_bfloat16hLN4vllm18Fp8KVCacheDataTypeE1EhLi32ELi64ELi256ELb1ELi5EEvPKT_PKT0_S8_ifPKiSA_SA_iPKfiiiPfSD_PS3_PT2_iSC_SC_ ; -- Begin function _Z39paged_attention_ll4mi_QKV_mfma16_kernelI14__hip_bfloat16hLN4vllm18Fp8KVCacheDataTypeE1EhLi32ELi64ELi256ELb1ELi5EEvPKT_PKT0_S8_ifPKiSA_SA_iPKfiiiPfSD_PS3_PT2_iSC_SC_
	.globl	_Z39paged_attention_ll4mi_QKV_mfma16_kernelI14__hip_bfloat16hLN4vllm18Fp8KVCacheDataTypeE1EhLi32ELi64ELi256ELb1ELi5EEvPKT_PKT0_S8_ifPKiSA_SA_iPKfiiiPfSD_PS3_PT2_iSC_SC_
	.p2align	8
	.type	_Z39paged_attention_ll4mi_QKV_mfma16_kernelI14__hip_bfloat16hLN4vllm18Fp8KVCacheDataTypeE1EhLi32ELi64ELi256ELb1ELi5EEvPKT_PKT0_S8_ifPKiSA_SA_iPKfiiiPfSD_PS3_PT2_iSC_SC_,@function
_Z39paged_attention_ll4mi_QKV_mfma16_kernelI14__hip_bfloat16hLN4vllm18Fp8KVCacheDataTypeE1EhLi32ELi64ELi256ELb1ELi5EEvPKT_PKT0_S8_ifPKiSA_SA_iPKfiiiPfSD_PS3_PT2_iSC_SC_: ; @_Z39paged_attention_ll4mi_QKV_mfma16_kernelI14__hip_bfloat16hLN4vllm18Fp8KVCacheDataTypeE1EhLi32ELi64ELi256ELb1ELi5EEvPKT_PKT0_S8_ifPKiSA_SA_iPKfiiiPfSD_PS3_PT2_iSC_SC_
; %bb.0:
	s_get_pc_i64 s[2:3]
	s_add_nc_u64 s[2:3], s[2:3], __PRETTY_FUNCTION__._Z39paged_attention_ll4mi_QKV_mfma16_kernelI14__hip_bfloat16hLN4vllm18Fp8KVCacheDataTypeE1EhLi32ELi64ELi256ELb1ELi5EEvPKT_PKT0_S8_ifPKiSA_SA_iPKfiiiPfSD_PS3_PT2_iSC_SC_@rel64+4
	s_delay_alu instid0(SALU_CYCLE_1)
	v_dual_mov_b32 v0, 0xbb3 :: v_dual_mov_b32 v1, s2
	v_mov_b32_e32 v2, s3
	s_add_nc_u64 s[8:9], s[0:1], 0x90
	s_get_pc_i64 s[0:1]
	s_add_nc_u64 s[0:1], s[0:1], __assert_fail@rel64+4
	s_mov_b32 s32, 0
	s_swap_pc_i64 s[30:31], s[0:1]
	.section	.rodata,"a",@progbits
	.p2align	6, 0x0
	.amdhsa_kernel _Z39paged_attention_ll4mi_QKV_mfma16_kernelI14__hip_bfloat16hLN4vllm18Fp8KVCacheDataTypeE1EhLi32ELi64ELi256ELb1ELi5EEvPKT_PKT0_S8_ifPKiSA_SA_iPKfiiiPfSD_PS3_PT2_iSC_SC_
		.amdhsa_group_segment_fixed_size 0
		.amdhsa_private_segment_fixed_size 64
		.amdhsa_kernarg_size 400
		.amdhsa_user_sgpr_count 2
		.amdhsa_user_sgpr_dispatch_ptr 0
		.amdhsa_user_sgpr_queue_ptr 0
		.amdhsa_user_sgpr_kernarg_segment_ptr 1
		.amdhsa_user_sgpr_dispatch_id 0
		.amdhsa_user_sgpr_kernarg_preload_length 0
		.amdhsa_user_sgpr_kernarg_preload_offset 0
		.amdhsa_user_sgpr_private_segment_size 0
		.amdhsa_wavefront_size32 1
		.amdhsa_uses_dynamic_stack 0
		.amdhsa_enable_private_segment 1
		.amdhsa_system_sgpr_workgroup_id_x 1
		.amdhsa_system_sgpr_workgroup_id_y 0
		.amdhsa_system_sgpr_workgroup_id_z 0
		.amdhsa_system_sgpr_workgroup_info 0
		.amdhsa_system_vgpr_workitem_id 0
		.amdhsa_next_free_vgpr 51
		.amdhsa_next_free_sgpr 34
		.amdhsa_named_barrier_count 0
		.amdhsa_reserve_vcc 1
		.amdhsa_float_round_mode_32 0
		.amdhsa_float_round_mode_16_64 0
		.amdhsa_float_denorm_mode_32 3
		.amdhsa_float_denorm_mode_16_64 3
		.amdhsa_fp16_overflow 0
		.amdhsa_memory_ordered 1
		.amdhsa_forward_progress 1
		.amdhsa_inst_pref_size 1
		.amdhsa_round_robin_scheduling 0
		.amdhsa_exception_fp_ieee_invalid_op 0
		.amdhsa_exception_fp_denorm_src 0
		.amdhsa_exception_fp_ieee_div_zero 0
		.amdhsa_exception_fp_ieee_overflow 0
		.amdhsa_exception_fp_ieee_underflow 0
		.amdhsa_exception_fp_ieee_inexact 0
		.amdhsa_exception_int_div_zero 0
	.end_amdhsa_kernel
	.section	.text._Z39paged_attention_ll4mi_QKV_mfma16_kernelI14__hip_bfloat16hLN4vllm18Fp8KVCacheDataTypeE1EhLi32ELi64ELi256ELb1ELi5EEvPKT_PKT0_S8_ifPKiSA_SA_iPKfiiiPfSD_PS3_PT2_iSC_SC_,"axG",@progbits,_Z39paged_attention_ll4mi_QKV_mfma16_kernelI14__hip_bfloat16hLN4vllm18Fp8KVCacheDataTypeE1EhLi32ELi64ELi256ELb1ELi5EEvPKT_PKT0_S8_ifPKiSA_SA_iPKfiiiPfSD_PS3_PT2_iSC_SC_,comdat
.Lfunc_end1174:
	.size	_Z39paged_attention_ll4mi_QKV_mfma16_kernelI14__hip_bfloat16hLN4vllm18Fp8KVCacheDataTypeE1EhLi32ELi64ELi256ELb1ELi5EEvPKT_PKT0_S8_ifPKiSA_SA_iPKfiiiPfSD_PS3_PT2_iSC_SC_, .Lfunc_end1174-_Z39paged_attention_ll4mi_QKV_mfma16_kernelI14__hip_bfloat16hLN4vllm18Fp8KVCacheDataTypeE1EhLi32ELi64ELi256ELb1ELi5EEvPKT_PKT0_S8_ifPKiSA_SA_iPKfiiiPfSD_PS3_PT2_iSC_SC_
                                        ; -- End function
	.set _Z39paged_attention_ll4mi_QKV_mfma16_kernelI14__hip_bfloat16hLN4vllm18Fp8KVCacheDataTypeE1EhLi32ELi64ELi256ELb1ELi5EEvPKT_PKT0_S8_ifPKiSA_SA_iPKfiiiPfSD_PS3_PT2_iSC_SC_.num_vgpr, max(3, .L__assert_fail.num_vgpr)
	.set _Z39paged_attention_ll4mi_QKV_mfma16_kernelI14__hip_bfloat16hLN4vllm18Fp8KVCacheDataTypeE1EhLi32ELi64ELi256ELb1ELi5EEvPKT_PKT0_S8_ifPKiSA_SA_iPKfiiiPfSD_PS3_PT2_iSC_SC_.num_agpr, max(0, .L__assert_fail.num_agpr)
	.set _Z39paged_attention_ll4mi_QKV_mfma16_kernelI14__hip_bfloat16hLN4vllm18Fp8KVCacheDataTypeE1EhLi32ELi64ELi256ELb1ELi5EEvPKT_PKT0_S8_ifPKiSA_SA_iPKfiiiPfSD_PS3_PT2_iSC_SC_.numbered_sgpr, max(33, .L__assert_fail.numbered_sgpr)
	.set _Z39paged_attention_ll4mi_QKV_mfma16_kernelI14__hip_bfloat16hLN4vllm18Fp8KVCacheDataTypeE1EhLi32ELi64ELi256ELb1ELi5EEvPKT_PKT0_S8_ifPKiSA_SA_iPKfiiiPfSD_PS3_PT2_iSC_SC_.num_named_barrier, max(0, .L__assert_fail.num_named_barrier)
	.set _Z39paged_attention_ll4mi_QKV_mfma16_kernelI14__hip_bfloat16hLN4vllm18Fp8KVCacheDataTypeE1EhLi32ELi64ELi256ELb1ELi5EEvPKT_PKT0_S8_ifPKiSA_SA_iPKfiiiPfSD_PS3_PT2_iSC_SC_.private_seg_size, 0+max(.L__assert_fail.private_seg_size)
	.set _Z39paged_attention_ll4mi_QKV_mfma16_kernelI14__hip_bfloat16hLN4vllm18Fp8KVCacheDataTypeE1EhLi32ELi64ELi256ELb1ELi5EEvPKT_PKT0_S8_ifPKiSA_SA_iPKfiiiPfSD_PS3_PT2_iSC_SC_.uses_vcc, or(1, .L__assert_fail.uses_vcc)
	.set _Z39paged_attention_ll4mi_QKV_mfma16_kernelI14__hip_bfloat16hLN4vllm18Fp8KVCacheDataTypeE1EhLi32ELi64ELi256ELb1ELi5EEvPKT_PKT0_S8_ifPKiSA_SA_iPKfiiiPfSD_PS3_PT2_iSC_SC_.uses_flat_scratch, or(0, .L__assert_fail.uses_flat_scratch)
	.set _Z39paged_attention_ll4mi_QKV_mfma16_kernelI14__hip_bfloat16hLN4vllm18Fp8KVCacheDataTypeE1EhLi32ELi64ELi256ELb1ELi5EEvPKT_PKT0_S8_ifPKiSA_SA_iPKfiiiPfSD_PS3_PT2_iSC_SC_.has_dyn_sized_stack, or(0, .L__assert_fail.has_dyn_sized_stack)
	.set _Z39paged_attention_ll4mi_QKV_mfma16_kernelI14__hip_bfloat16hLN4vllm18Fp8KVCacheDataTypeE1EhLi32ELi64ELi256ELb1ELi5EEvPKT_PKT0_S8_ifPKiSA_SA_iPKfiiiPfSD_PS3_PT2_iSC_SC_.has_recursion, or(0, .L__assert_fail.has_recursion)
	.set _Z39paged_attention_ll4mi_QKV_mfma16_kernelI14__hip_bfloat16hLN4vllm18Fp8KVCacheDataTypeE1EhLi32ELi64ELi256ELb1ELi5EEvPKT_PKT0_S8_ifPKiSA_SA_iPKfiiiPfSD_PS3_PT2_iSC_SC_.has_indirect_call, or(0, .L__assert_fail.has_indirect_call)
	.section	.AMDGPU.csdata,"",@progbits
; Kernel info:
; codeLenInByte = 68
; TotalNumSgprs: 36
; NumVgprs: 51
; ScratchSize: 64
; MemoryBound: 0
; FloatMode: 240
; IeeeMode: 1
; LDSByteSize: 0 bytes/workgroup (compile time only)
; SGPRBlocks: 0
; VGPRBlocks: 3
; NumSGPRsForWavesPerEU: 36
; NumVGPRsForWavesPerEU: 51
; NamedBarCnt: 0
; Occupancy: 16
; WaveLimiterHint : 1
; COMPUTE_PGM_RSRC2:SCRATCH_EN: 1
; COMPUTE_PGM_RSRC2:USER_SGPR: 2
; COMPUTE_PGM_RSRC2:TRAP_HANDLER: 0
; COMPUTE_PGM_RSRC2:TGID_X_EN: 1
; COMPUTE_PGM_RSRC2:TGID_Y_EN: 0
; COMPUTE_PGM_RSRC2:TGID_Z_EN: 0
; COMPUTE_PGM_RSRC2:TIDIG_COMP_CNT: 0
	.section	.text._Z39paged_attention_ll4mi_QKV_mfma16_kernelI14__hip_bfloat16hLN4vllm18Fp8KVCacheDataTypeE1EhLi32ELi64ELi256ELb1ELi6EEvPKT_PKT0_S8_ifPKiSA_SA_iPKfiiiPfSD_PS3_PT2_iSC_SC_,"axG",@progbits,_Z39paged_attention_ll4mi_QKV_mfma16_kernelI14__hip_bfloat16hLN4vllm18Fp8KVCacheDataTypeE1EhLi32ELi64ELi256ELb1ELi6EEvPKT_PKT0_S8_ifPKiSA_SA_iPKfiiiPfSD_PS3_PT2_iSC_SC_,comdat
	.protected	_Z39paged_attention_ll4mi_QKV_mfma16_kernelI14__hip_bfloat16hLN4vllm18Fp8KVCacheDataTypeE1EhLi32ELi64ELi256ELb1ELi6EEvPKT_PKT0_S8_ifPKiSA_SA_iPKfiiiPfSD_PS3_PT2_iSC_SC_ ; -- Begin function _Z39paged_attention_ll4mi_QKV_mfma16_kernelI14__hip_bfloat16hLN4vllm18Fp8KVCacheDataTypeE1EhLi32ELi64ELi256ELb1ELi6EEvPKT_PKT0_S8_ifPKiSA_SA_iPKfiiiPfSD_PS3_PT2_iSC_SC_
	.globl	_Z39paged_attention_ll4mi_QKV_mfma16_kernelI14__hip_bfloat16hLN4vllm18Fp8KVCacheDataTypeE1EhLi32ELi64ELi256ELb1ELi6EEvPKT_PKT0_S8_ifPKiSA_SA_iPKfiiiPfSD_PS3_PT2_iSC_SC_
	.p2align	8
	.type	_Z39paged_attention_ll4mi_QKV_mfma16_kernelI14__hip_bfloat16hLN4vllm18Fp8KVCacheDataTypeE1EhLi32ELi64ELi256ELb1ELi6EEvPKT_PKT0_S8_ifPKiSA_SA_iPKfiiiPfSD_PS3_PT2_iSC_SC_,@function
_Z39paged_attention_ll4mi_QKV_mfma16_kernelI14__hip_bfloat16hLN4vllm18Fp8KVCacheDataTypeE1EhLi32ELi64ELi256ELb1ELi6EEvPKT_PKT0_S8_ifPKiSA_SA_iPKfiiiPfSD_PS3_PT2_iSC_SC_: ; @_Z39paged_attention_ll4mi_QKV_mfma16_kernelI14__hip_bfloat16hLN4vllm18Fp8KVCacheDataTypeE1EhLi32ELi64ELi256ELb1ELi6EEvPKT_PKT0_S8_ifPKiSA_SA_iPKfiiiPfSD_PS3_PT2_iSC_SC_
; %bb.0:
	s_get_pc_i64 s[2:3]
	s_add_nc_u64 s[2:3], s[2:3], __PRETTY_FUNCTION__._Z39paged_attention_ll4mi_QKV_mfma16_kernelI14__hip_bfloat16hLN4vllm18Fp8KVCacheDataTypeE1EhLi32ELi64ELi256ELb1ELi6EEvPKT_PKT0_S8_ifPKiSA_SA_iPKfiiiPfSD_PS3_PT2_iSC_SC_@rel64+4
	s_delay_alu instid0(SALU_CYCLE_1)
	v_dual_mov_b32 v0, 0xbb3 :: v_dual_mov_b32 v1, s2
	v_mov_b32_e32 v2, s3
	s_add_nc_u64 s[8:9], s[0:1], 0x90
	s_get_pc_i64 s[0:1]
	s_add_nc_u64 s[0:1], s[0:1], __assert_fail@rel64+4
	s_mov_b32 s32, 0
	s_swap_pc_i64 s[30:31], s[0:1]
	.section	.rodata,"a",@progbits
	.p2align	6, 0x0
	.amdhsa_kernel _Z39paged_attention_ll4mi_QKV_mfma16_kernelI14__hip_bfloat16hLN4vllm18Fp8KVCacheDataTypeE1EhLi32ELi64ELi256ELb1ELi6EEvPKT_PKT0_S8_ifPKiSA_SA_iPKfiiiPfSD_PS3_PT2_iSC_SC_
		.amdhsa_group_segment_fixed_size 0
		.amdhsa_private_segment_fixed_size 64
		.amdhsa_kernarg_size 400
		.amdhsa_user_sgpr_count 2
		.amdhsa_user_sgpr_dispatch_ptr 0
		.amdhsa_user_sgpr_queue_ptr 0
		.amdhsa_user_sgpr_kernarg_segment_ptr 1
		.amdhsa_user_sgpr_dispatch_id 0
		.amdhsa_user_sgpr_kernarg_preload_length 0
		.amdhsa_user_sgpr_kernarg_preload_offset 0
		.amdhsa_user_sgpr_private_segment_size 0
		.amdhsa_wavefront_size32 1
		.amdhsa_uses_dynamic_stack 0
		.amdhsa_enable_private_segment 1
		.amdhsa_system_sgpr_workgroup_id_x 1
		.amdhsa_system_sgpr_workgroup_id_y 0
		.amdhsa_system_sgpr_workgroup_id_z 0
		.amdhsa_system_sgpr_workgroup_info 0
		.amdhsa_system_vgpr_workitem_id 0
		.amdhsa_next_free_vgpr 51
		.amdhsa_next_free_sgpr 34
		.amdhsa_named_barrier_count 0
		.amdhsa_reserve_vcc 1
		.amdhsa_float_round_mode_32 0
		.amdhsa_float_round_mode_16_64 0
		.amdhsa_float_denorm_mode_32 3
		.amdhsa_float_denorm_mode_16_64 3
		.amdhsa_fp16_overflow 0
		.amdhsa_memory_ordered 1
		.amdhsa_forward_progress 1
		.amdhsa_inst_pref_size 1
		.amdhsa_round_robin_scheduling 0
		.amdhsa_exception_fp_ieee_invalid_op 0
		.amdhsa_exception_fp_denorm_src 0
		.amdhsa_exception_fp_ieee_div_zero 0
		.amdhsa_exception_fp_ieee_overflow 0
		.amdhsa_exception_fp_ieee_underflow 0
		.amdhsa_exception_fp_ieee_inexact 0
		.amdhsa_exception_int_div_zero 0
	.end_amdhsa_kernel
	.section	.text._Z39paged_attention_ll4mi_QKV_mfma16_kernelI14__hip_bfloat16hLN4vllm18Fp8KVCacheDataTypeE1EhLi32ELi64ELi256ELb1ELi6EEvPKT_PKT0_S8_ifPKiSA_SA_iPKfiiiPfSD_PS3_PT2_iSC_SC_,"axG",@progbits,_Z39paged_attention_ll4mi_QKV_mfma16_kernelI14__hip_bfloat16hLN4vllm18Fp8KVCacheDataTypeE1EhLi32ELi64ELi256ELb1ELi6EEvPKT_PKT0_S8_ifPKiSA_SA_iPKfiiiPfSD_PS3_PT2_iSC_SC_,comdat
.Lfunc_end1175:
	.size	_Z39paged_attention_ll4mi_QKV_mfma16_kernelI14__hip_bfloat16hLN4vllm18Fp8KVCacheDataTypeE1EhLi32ELi64ELi256ELb1ELi6EEvPKT_PKT0_S8_ifPKiSA_SA_iPKfiiiPfSD_PS3_PT2_iSC_SC_, .Lfunc_end1175-_Z39paged_attention_ll4mi_QKV_mfma16_kernelI14__hip_bfloat16hLN4vllm18Fp8KVCacheDataTypeE1EhLi32ELi64ELi256ELb1ELi6EEvPKT_PKT0_S8_ifPKiSA_SA_iPKfiiiPfSD_PS3_PT2_iSC_SC_
                                        ; -- End function
	.set _Z39paged_attention_ll4mi_QKV_mfma16_kernelI14__hip_bfloat16hLN4vllm18Fp8KVCacheDataTypeE1EhLi32ELi64ELi256ELb1ELi6EEvPKT_PKT0_S8_ifPKiSA_SA_iPKfiiiPfSD_PS3_PT2_iSC_SC_.num_vgpr, max(3, .L__assert_fail.num_vgpr)
	.set _Z39paged_attention_ll4mi_QKV_mfma16_kernelI14__hip_bfloat16hLN4vllm18Fp8KVCacheDataTypeE1EhLi32ELi64ELi256ELb1ELi6EEvPKT_PKT0_S8_ifPKiSA_SA_iPKfiiiPfSD_PS3_PT2_iSC_SC_.num_agpr, max(0, .L__assert_fail.num_agpr)
	.set _Z39paged_attention_ll4mi_QKV_mfma16_kernelI14__hip_bfloat16hLN4vllm18Fp8KVCacheDataTypeE1EhLi32ELi64ELi256ELb1ELi6EEvPKT_PKT0_S8_ifPKiSA_SA_iPKfiiiPfSD_PS3_PT2_iSC_SC_.numbered_sgpr, max(33, .L__assert_fail.numbered_sgpr)
	.set _Z39paged_attention_ll4mi_QKV_mfma16_kernelI14__hip_bfloat16hLN4vllm18Fp8KVCacheDataTypeE1EhLi32ELi64ELi256ELb1ELi6EEvPKT_PKT0_S8_ifPKiSA_SA_iPKfiiiPfSD_PS3_PT2_iSC_SC_.num_named_barrier, max(0, .L__assert_fail.num_named_barrier)
	.set _Z39paged_attention_ll4mi_QKV_mfma16_kernelI14__hip_bfloat16hLN4vllm18Fp8KVCacheDataTypeE1EhLi32ELi64ELi256ELb1ELi6EEvPKT_PKT0_S8_ifPKiSA_SA_iPKfiiiPfSD_PS3_PT2_iSC_SC_.private_seg_size, 0+max(.L__assert_fail.private_seg_size)
	.set _Z39paged_attention_ll4mi_QKV_mfma16_kernelI14__hip_bfloat16hLN4vllm18Fp8KVCacheDataTypeE1EhLi32ELi64ELi256ELb1ELi6EEvPKT_PKT0_S8_ifPKiSA_SA_iPKfiiiPfSD_PS3_PT2_iSC_SC_.uses_vcc, or(1, .L__assert_fail.uses_vcc)
	.set _Z39paged_attention_ll4mi_QKV_mfma16_kernelI14__hip_bfloat16hLN4vllm18Fp8KVCacheDataTypeE1EhLi32ELi64ELi256ELb1ELi6EEvPKT_PKT0_S8_ifPKiSA_SA_iPKfiiiPfSD_PS3_PT2_iSC_SC_.uses_flat_scratch, or(0, .L__assert_fail.uses_flat_scratch)
	.set _Z39paged_attention_ll4mi_QKV_mfma16_kernelI14__hip_bfloat16hLN4vllm18Fp8KVCacheDataTypeE1EhLi32ELi64ELi256ELb1ELi6EEvPKT_PKT0_S8_ifPKiSA_SA_iPKfiiiPfSD_PS3_PT2_iSC_SC_.has_dyn_sized_stack, or(0, .L__assert_fail.has_dyn_sized_stack)
	.set _Z39paged_attention_ll4mi_QKV_mfma16_kernelI14__hip_bfloat16hLN4vllm18Fp8KVCacheDataTypeE1EhLi32ELi64ELi256ELb1ELi6EEvPKT_PKT0_S8_ifPKiSA_SA_iPKfiiiPfSD_PS3_PT2_iSC_SC_.has_recursion, or(0, .L__assert_fail.has_recursion)
	.set _Z39paged_attention_ll4mi_QKV_mfma16_kernelI14__hip_bfloat16hLN4vllm18Fp8KVCacheDataTypeE1EhLi32ELi64ELi256ELb1ELi6EEvPKT_PKT0_S8_ifPKiSA_SA_iPKfiiiPfSD_PS3_PT2_iSC_SC_.has_indirect_call, or(0, .L__assert_fail.has_indirect_call)
	.section	.AMDGPU.csdata,"",@progbits
; Kernel info:
; codeLenInByte = 68
; TotalNumSgprs: 36
; NumVgprs: 51
; ScratchSize: 64
; MemoryBound: 0
; FloatMode: 240
; IeeeMode: 1
; LDSByteSize: 0 bytes/workgroup (compile time only)
; SGPRBlocks: 0
; VGPRBlocks: 3
; NumSGPRsForWavesPerEU: 36
; NumVGPRsForWavesPerEU: 51
; NamedBarCnt: 0
; Occupancy: 16
; WaveLimiterHint : 1
; COMPUTE_PGM_RSRC2:SCRATCH_EN: 1
; COMPUTE_PGM_RSRC2:USER_SGPR: 2
; COMPUTE_PGM_RSRC2:TRAP_HANDLER: 0
; COMPUTE_PGM_RSRC2:TGID_X_EN: 1
; COMPUTE_PGM_RSRC2:TGID_Y_EN: 0
; COMPUTE_PGM_RSRC2:TGID_Z_EN: 0
; COMPUTE_PGM_RSRC2:TIDIG_COMP_CNT: 0
	.section	.text._Z39paged_attention_ll4mi_QKV_mfma16_kernelI14__hip_bfloat16hLN4vllm18Fp8KVCacheDataTypeE1EhLi32ELi64ELi256ELb1ELi7EEvPKT_PKT0_S8_ifPKiSA_SA_iPKfiiiPfSD_PS3_PT2_iSC_SC_,"axG",@progbits,_Z39paged_attention_ll4mi_QKV_mfma16_kernelI14__hip_bfloat16hLN4vllm18Fp8KVCacheDataTypeE1EhLi32ELi64ELi256ELb1ELi7EEvPKT_PKT0_S8_ifPKiSA_SA_iPKfiiiPfSD_PS3_PT2_iSC_SC_,comdat
	.protected	_Z39paged_attention_ll4mi_QKV_mfma16_kernelI14__hip_bfloat16hLN4vllm18Fp8KVCacheDataTypeE1EhLi32ELi64ELi256ELb1ELi7EEvPKT_PKT0_S8_ifPKiSA_SA_iPKfiiiPfSD_PS3_PT2_iSC_SC_ ; -- Begin function _Z39paged_attention_ll4mi_QKV_mfma16_kernelI14__hip_bfloat16hLN4vllm18Fp8KVCacheDataTypeE1EhLi32ELi64ELi256ELb1ELi7EEvPKT_PKT0_S8_ifPKiSA_SA_iPKfiiiPfSD_PS3_PT2_iSC_SC_
	.globl	_Z39paged_attention_ll4mi_QKV_mfma16_kernelI14__hip_bfloat16hLN4vllm18Fp8KVCacheDataTypeE1EhLi32ELi64ELi256ELb1ELi7EEvPKT_PKT0_S8_ifPKiSA_SA_iPKfiiiPfSD_PS3_PT2_iSC_SC_
	.p2align	8
	.type	_Z39paged_attention_ll4mi_QKV_mfma16_kernelI14__hip_bfloat16hLN4vllm18Fp8KVCacheDataTypeE1EhLi32ELi64ELi256ELb1ELi7EEvPKT_PKT0_S8_ifPKiSA_SA_iPKfiiiPfSD_PS3_PT2_iSC_SC_,@function
_Z39paged_attention_ll4mi_QKV_mfma16_kernelI14__hip_bfloat16hLN4vllm18Fp8KVCacheDataTypeE1EhLi32ELi64ELi256ELb1ELi7EEvPKT_PKT0_S8_ifPKiSA_SA_iPKfiiiPfSD_PS3_PT2_iSC_SC_: ; @_Z39paged_attention_ll4mi_QKV_mfma16_kernelI14__hip_bfloat16hLN4vllm18Fp8KVCacheDataTypeE1EhLi32ELi64ELi256ELb1ELi7EEvPKT_PKT0_S8_ifPKiSA_SA_iPKfiiiPfSD_PS3_PT2_iSC_SC_
; %bb.0:
	s_get_pc_i64 s[2:3]
	s_add_nc_u64 s[2:3], s[2:3], __PRETTY_FUNCTION__._Z39paged_attention_ll4mi_QKV_mfma16_kernelI14__hip_bfloat16hLN4vllm18Fp8KVCacheDataTypeE1EhLi32ELi64ELi256ELb1ELi7EEvPKT_PKT0_S8_ifPKiSA_SA_iPKfiiiPfSD_PS3_PT2_iSC_SC_@rel64+4
	s_delay_alu instid0(SALU_CYCLE_1)
	v_dual_mov_b32 v0, 0xbb3 :: v_dual_mov_b32 v1, s2
	v_mov_b32_e32 v2, s3
	s_add_nc_u64 s[8:9], s[0:1], 0x90
	s_get_pc_i64 s[0:1]
	s_add_nc_u64 s[0:1], s[0:1], __assert_fail@rel64+4
	s_mov_b32 s32, 0
	s_swap_pc_i64 s[30:31], s[0:1]
	.section	.rodata,"a",@progbits
	.p2align	6, 0x0
	.amdhsa_kernel _Z39paged_attention_ll4mi_QKV_mfma16_kernelI14__hip_bfloat16hLN4vllm18Fp8KVCacheDataTypeE1EhLi32ELi64ELi256ELb1ELi7EEvPKT_PKT0_S8_ifPKiSA_SA_iPKfiiiPfSD_PS3_PT2_iSC_SC_
		.amdhsa_group_segment_fixed_size 0
		.amdhsa_private_segment_fixed_size 64
		.amdhsa_kernarg_size 400
		.amdhsa_user_sgpr_count 2
		.amdhsa_user_sgpr_dispatch_ptr 0
		.amdhsa_user_sgpr_queue_ptr 0
		.amdhsa_user_sgpr_kernarg_segment_ptr 1
		.amdhsa_user_sgpr_dispatch_id 0
		.amdhsa_user_sgpr_kernarg_preload_length 0
		.amdhsa_user_sgpr_kernarg_preload_offset 0
		.amdhsa_user_sgpr_private_segment_size 0
		.amdhsa_wavefront_size32 1
		.amdhsa_uses_dynamic_stack 0
		.amdhsa_enable_private_segment 1
		.amdhsa_system_sgpr_workgroup_id_x 1
		.amdhsa_system_sgpr_workgroup_id_y 0
		.amdhsa_system_sgpr_workgroup_id_z 0
		.amdhsa_system_sgpr_workgroup_info 0
		.amdhsa_system_vgpr_workitem_id 0
		.amdhsa_next_free_vgpr 51
		.amdhsa_next_free_sgpr 34
		.amdhsa_named_barrier_count 0
		.amdhsa_reserve_vcc 1
		.amdhsa_float_round_mode_32 0
		.amdhsa_float_round_mode_16_64 0
		.amdhsa_float_denorm_mode_32 3
		.amdhsa_float_denorm_mode_16_64 3
		.amdhsa_fp16_overflow 0
		.amdhsa_memory_ordered 1
		.amdhsa_forward_progress 1
		.amdhsa_inst_pref_size 1
		.amdhsa_round_robin_scheduling 0
		.amdhsa_exception_fp_ieee_invalid_op 0
		.amdhsa_exception_fp_denorm_src 0
		.amdhsa_exception_fp_ieee_div_zero 0
		.amdhsa_exception_fp_ieee_overflow 0
		.amdhsa_exception_fp_ieee_underflow 0
		.amdhsa_exception_fp_ieee_inexact 0
		.amdhsa_exception_int_div_zero 0
	.end_amdhsa_kernel
	.section	.text._Z39paged_attention_ll4mi_QKV_mfma16_kernelI14__hip_bfloat16hLN4vllm18Fp8KVCacheDataTypeE1EhLi32ELi64ELi256ELb1ELi7EEvPKT_PKT0_S8_ifPKiSA_SA_iPKfiiiPfSD_PS3_PT2_iSC_SC_,"axG",@progbits,_Z39paged_attention_ll4mi_QKV_mfma16_kernelI14__hip_bfloat16hLN4vllm18Fp8KVCacheDataTypeE1EhLi32ELi64ELi256ELb1ELi7EEvPKT_PKT0_S8_ifPKiSA_SA_iPKfiiiPfSD_PS3_PT2_iSC_SC_,comdat
.Lfunc_end1176:
	.size	_Z39paged_attention_ll4mi_QKV_mfma16_kernelI14__hip_bfloat16hLN4vllm18Fp8KVCacheDataTypeE1EhLi32ELi64ELi256ELb1ELi7EEvPKT_PKT0_S8_ifPKiSA_SA_iPKfiiiPfSD_PS3_PT2_iSC_SC_, .Lfunc_end1176-_Z39paged_attention_ll4mi_QKV_mfma16_kernelI14__hip_bfloat16hLN4vllm18Fp8KVCacheDataTypeE1EhLi32ELi64ELi256ELb1ELi7EEvPKT_PKT0_S8_ifPKiSA_SA_iPKfiiiPfSD_PS3_PT2_iSC_SC_
                                        ; -- End function
	.set _Z39paged_attention_ll4mi_QKV_mfma16_kernelI14__hip_bfloat16hLN4vllm18Fp8KVCacheDataTypeE1EhLi32ELi64ELi256ELb1ELi7EEvPKT_PKT0_S8_ifPKiSA_SA_iPKfiiiPfSD_PS3_PT2_iSC_SC_.num_vgpr, max(3, .L__assert_fail.num_vgpr)
	.set _Z39paged_attention_ll4mi_QKV_mfma16_kernelI14__hip_bfloat16hLN4vllm18Fp8KVCacheDataTypeE1EhLi32ELi64ELi256ELb1ELi7EEvPKT_PKT0_S8_ifPKiSA_SA_iPKfiiiPfSD_PS3_PT2_iSC_SC_.num_agpr, max(0, .L__assert_fail.num_agpr)
	.set _Z39paged_attention_ll4mi_QKV_mfma16_kernelI14__hip_bfloat16hLN4vllm18Fp8KVCacheDataTypeE1EhLi32ELi64ELi256ELb1ELi7EEvPKT_PKT0_S8_ifPKiSA_SA_iPKfiiiPfSD_PS3_PT2_iSC_SC_.numbered_sgpr, max(33, .L__assert_fail.numbered_sgpr)
	.set _Z39paged_attention_ll4mi_QKV_mfma16_kernelI14__hip_bfloat16hLN4vllm18Fp8KVCacheDataTypeE1EhLi32ELi64ELi256ELb1ELi7EEvPKT_PKT0_S8_ifPKiSA_SA_iPKfiiiPfSD_PS3_PT2_iSC_SC_.num_named_barrier, max(0, .L__assert_fail.num_named_barrier)
	.set _Z39paged_attention_ll4mi_QKV_mfma16_kernelI14__hip_bfloat16hLN4vllm18Fp8KVCacheDataTypeE1EhLi32ELi64ELi256ELb1ELi7EEvPKT_PKT0_S8_ifPKiSA_SA_iPKfiiiPfSD_PS3_PT2_iSC_SC_.private_seg_size, 0+max(.L__assert_fail.private_seg_size)
	.set _Z39paged_attention_ll4mi_QKV_mfma16_kernelI14__hip_bfloat16hLN4vllm18Fp8KVCacheDataTypeE1EhLi32ELi64ELi256ELb1ELi7EEvPKT_PKT0_S8_ifPKiSA_SA_iPKfiiiPfSD_PS3_PT2_iSC_SC_.uses_vcc, or(1, .L__assert_fail.uses_vcc)
	.set _Z39paged_attention_ll4mi_QKV_mfma16_kernelI14__hip_bfloat16hLN4vllm18Fp8KVCacheDataTypeE1EhLi32ELi64ELi256ELb1ELi7EEvPKT_PKT0_S8_ifPKiSA_SA_iPKfiiiPfSD_PS3_PT2_iSC_SC_.uses_flat_scratch, or(0, .L__assert_fail.uses_flat_scratch)
	.set _Z39paged_attention_ll4mi_QKV_mfma16_kernelI14__hip_bfloat16hLN4vllm18Fp8KVCacheDataTypeE1EhLi32ELi64ELi256ELb1ELi7EEvPKT_PKT0_S8_ifPKiSA_SA_iPKfiiiPfSD_PS3_PT2_iSC_SC_.has_dyn_sized_stack, or(0, .L__assert_fail.has_dyn_sized_stack)
	.set _Z39paged_attention_ll4mi_QKV_mfma16_kernelI14__hip_bfloat16hLN4vllm18Fp8KVCacheDataTypeE1EhLi32ELi64ELi256ELb1ELi7EEvPKT_PKT0_S8_ifPKiSA_SA_iPKfiiiPfSD_PS3_PT2_iSC_SC_.has_recursion, or(0, .L__assert_fail.has_recursion)
	.set _Z39paged_attention_ll4mi_QKV_mfma16_kernelI14__hip_bfloat16hLN4vllm18Fp8KVCacheDataTypeE1EhLi32ELi64ELi256ELb1ELi7EEvPKT_PKT0_S8_ifPKiSA_SA_iPKfiiiPfSD_PS3_PT2_iSC_SC_.has_indirect_call, or(0, .L__assert_fail.has_indirect_call)
	.section	.AMDGPU.csdata,"",@progbits
; Kernel info:
; codeLenInByte = 68
; TotalNumSgprs: 36
; NumVgprs: 51
; ScratchSize: 64
; MemoryBound: 0
; FloatMode: 240
; IeeeMode: 1
; LDSByteSize: 0 bytes/workgroup (compile time only)
; SGPRBlocks: 0
; VGPRBlocks: 3
; NumSGPRsForWavesPerEU: 36
; NumVGPRsForWavesPerEU: 51
; NamedBarCnt: 0
; Occupancy: 16
; WaveLimiterHint : 1
; COMPUTE_PGM_RSRC2:SCRATCH_EN: 1
; COMPUTE_PGM_RSRC2:USER_SGPR: 2
; COMPUTE_PGM_RSRC2:TRAP_HANDLER: 0
; COMPUTE_PGM_RSRC2:TGID_X_EN: 1
; COMPUTE_PGM_RSRC2:TGID_Y_EN: 0
; COMPUTE_PGM_RSRC2:TGID_Z_EN: 0
; COMPUTE_PGM_RSRC2:TIDIG_COMP_CNT: 0
	.section	.text._Z39paged_attention_ll4mi_QKV_mfma16_kernelI14__hip_bfloat16hLN4vllm18Fp8KVCacheDataTypeE1EhLi32ELi64ELi256ELb1ELi8EEvPKT_PKT0_S8_ifPKiSA_SA_iPKfiiiPfSD_PS3_PT2_iSC_SC_,"axG",@progbits,_Z39paged_attention_ll4mi_QKV_mfma16_kernelI14__hip_bfloat16hLN4vllm18Fp8KVCacheDataTypeE1EhLi32ELi64ELi256ELb1ELi8EEvPKT_PKT0_S8_ifPKiSA_SA_iPKfiiiPfSD_PS3_PT2_iSC_SC_,comdat
	.protected	_Z39paged_attention_ll4mi_QKV_mfma16_kernelI14__hip_bfloat16hLN4vllm18Fp8KVCacheDataTypeE1EhLi32ELi64ELi256ELb1ELi8EEvPKT_PKT0_S8_ifPKiSA_SA_iPKfiiiPfSD_PS3_PT2_iSC_SC_ ; -- Begin function _Z39paged_attention_ll4mi_QKV_mfma16_kernelI14__hip_bfloat16hLN4vllm18Fp8KVCacheDataTypeE1EhLi32ELi64ELi256ELb1ELi8EEvPKT_PKT0_S8_ifPKiSA_SA_iPKfiiiPfSD_PS3_PT2_iSC_SC_
	.globl	_Z39paged_attention_ll4mi_QKV_mfma16_kernelI14__hip_bfloat16hLN4vllm18Fp8KVCacheDataTypeE1EhLi32ELi64ELi256ELb1ELi8EEvPKT_PKT0_S8_ifPKiSA_SA_iPKfiiiPfSD_PS3_PT2_iSC_SC_
	.p2align	8
	.type	_Z39paged_attention_ll4mi_QKV_mfma16_kernelI14__hip_bfloat16hLN4vllm18Fp8KVCacheDataTypeE1EhLi32ELi64ELi256ELb1ELi8EEvPKT_PKT0_S8_ifPKiSA_SA_iPKfiiiPfSD_PS3_PT2_iSC_SC_,@function
_Z39paged_attention_ll4mi_QKV_mfma16_kernelI14__hip_bfloat16hLN4vllm18Fp8KVCacheDataTypeE1EhLi32ELi64ELi256ELb1ELi8EEvPKT_PKT0_S8_ifPKiSA_SA_iPKfiiiPfSD_PS3_PT2_iSC_SC_: ; @_Z39paged_attention_ll4mi_QKV_mfma16_kernelI14__hip_bfloat16hLN4vllm18Fp8KVCacheDataTypeE1EhLi32ELi64ELi256ELb1ELi8EEvPKT_PKT0_S8_ifPKiSA_SA_iPKfiiiPfSD_PS3_PT2_iSC_SC_
; %bb.0:
	s_get_pc_i64 s[2:3]
	s_add_nc_u64 s[2:3], s[2:3], __PRETTY_FUNCTION__._Z39paged_attention_ll4mi_QKV_mfma16_kernelI14__hip_bfloat16hLN4vllm18Fp8KVCacheDataTypeE1EhLi32ELi64ELi256ELb1ELi8EEvPKT_PKT0_S8_ifPKiSA_SA_iPKfiiiPfSD_PS3_PT2_iSC_SC_@rel64+4
	s_delay_alu instid0(SALU_CYCLE_1)
	v_dual_mov_b32 v0, 0xbb3 :: v_dual_mov_b32 v1, s2
	v_mov_b32_e32 v2, s3
	s_add_nc_u64 s[8:9], s[0:1], 0x90
	s_get_pc_i64 s[0:1]
	s_add_nc_u64 s[0:1], s[0:1], __assert_fail@rel64+4
	s_mov_b32 s32, 0
	s_swap_pc_i64 s[30:31], s[0:1]
	.section	.rodata,"a",@progbits
	.p2align	6, 0x0
	.amdhsa_kernel _Z39paged_attention_ll4mi_QKV_mfma16_kernelI14__hip_bfloat16hLN4vllm18Fp8KVCacheDataTypeE1EhLi32ELi64ELi256ELb1ELi8EEvPKT_PKT0_S8_ifPKiSA_SA_iPKfiiiPfSD_PS3_PT2_iSC_SC_
		.amdhsa_group_segment_fixed_size 0
		.amdhsa_private_segment_fixed_size 64
		.amdhsa_kernarg_size 400
		.amdhsa_user_sgpr_count 2
		.amdhsa_user_sgpr_dispatch_ptr 0
		.amdhsa_user_sgpr_queue_ptr 0
		.amdhsa_user_sgpr_kernarg_segment_ptr 1
		.amdhsa_user_sgpr_dispatch_id 0
		.amdhsa_user_sgpr_kernarg_preload_length 0
		.amdhsa_user_sgpr_kernarg_preload_offset 0
		.amdhsa_user_sgpr_private_segment_size 0
		.amdhsa_wavefront_size32 1
		.amdhsa_uses_dynamic_stack 0
		.amdhsa_enable_private_segment 1
		.amdhsa_system_sgpr_workgroup_id_x 1
		.amdhsa_system_sgpr_workgroup_id_y 0
		.amdhsa_system_sgpr_workgroup_id_z 0
		.amdhsa_system_sgpr_workgroup_info 0
		.amdhsa_system_vgpr_workitem_id 0
		.amdhsa_next_free_vgpr 51
		.amdhsa_next_free_sgpr 34
		.amdhsa_named_barrier_count 0
		.amdhsa_reserve_vcc 1
		.amdhsa_float_round_mode_32 0
		.amdhsa_float_round_mode_16_64 0
		.amdhsa_float_denorm_mode_32 3
		.amdhsa_float_denorm_mode_16_64 3
		.amdhsa_fp16_overflow 0
		.amdhsa_memory_ordered 1
		.amdhsa_forward_progress 1
		.amdhsa_inst_pref_size 1
		.amdhsa_round_robin_scheduling 0
		.amdhsa_exception_fp_ieee_invalid_op 0
		.amdhsa_exception_fp_denorm_src 0
		.amdhsa_exception_fp_ieee_div_zero 0
		.amdhsa_exception_fp_ieee_overflow 0
		.amdhsa_exception_fp_ieee_underflow 0
		.amdhsa_exception_fp_ieee_inexact 0
		.amdhsa_exception_int_div_zero 0
	.end_amdhsa_kernel
	.section	.text._Z39paged_attention_ll4mi_QKV_mfma16_kernelI14__hip_bfloat16hLN4vllm18Fp8KVCacheDataTypeE1EhLi32ELi64ELi256ELb1ELi8EEvPKT_PKT0_S8_ifPKiSA_SA_iPKfiiiPfSD_PS3_PT2_iSC_SC_,"axG",@progbits,_Z39paged_attention_ll4mi_QKV_mfma16_kernelI14__hip_bfloat16hLN4vllm18Fp8KVCacheDataTypeE1EhLi32ELi64ELi256ELb1ELi8EEvPKT_PKT0_S8_ifPKiSA_SA_iPKfiiiPfSD_PS3_PT2_iSC_SC_,comdat
.Lfunc_end1177:
	.size	_Z39paged_attention_ll4mi_QKV_mfma16_kernelI14__hip_bfloat16hLN4vllm18Fp8KVCacheDataTypeE1EhLi32ELi64ELi256ELb1ELi8EEvPKT_PKT0_S8_ifPKiSA_SA_iPKfiiiPfSD_PS3_PT2_iSC_SC_, .Lfunc_end1177-_Z39paged_attention_ll4mi_QKV_mfma16_kernelI14__hip_bfloat16hLN4vllm18Fp8KVCacheDataTypeE1EhLi32ELi64ELi256ELb1ELi8EEvPKT_PKT0_S8_ifPKiSA_SA_iPKfiiiPfSD_PS3_PT2_iSC_SC_
                                        ; -- End function
	.set _Z39paged_attention_ll4mi_QKV_mfma16_kernelI14__hip_bfloat16hLN4vllm18Fp8KVCacheDataTypeE1EhLi32ELi64ELi256ELb1ELi8EEvPKT_PKT0_S8_ifPKiSA_SA_iPKfiiiPfSD_PS3_PT2_iSC_SC_.num_vgpr, max(3, .L__assert_fail.num_vgpr)
	.set _Z39paged_attention_ll4mi_QKV_mfma16_kernelI14__hip_bfloat16hLN4vllm18Fp8KVCacheDataTypeE1EhLi32ELi64ELi256ELb1ELi8EEvPKT_PKT0_S8_ifPKiSA_SA_iPKfiiiPfSD_PS3_PT2_iSC_SC_.num_agpr, max(0, .L__assert_fail.num_agpr)
	.set _Z39paged_attention_ll4mi_QKV_mfma16_kernelI14__hip_bfloat16hLN4vllm18Fp8KVCacheDataTypeE1EhLi32ELi64ELi256ELb1ELi8EEvPKT_PKT0_S8_ifPKiSA_SA_iPKfiiiPfSD_PS3_PT2_iSC_SC_.numbered_sgpr, max(33, .L__assert_fail.numbered_sgpr)
	.set _Z39paged_attention_ll4mi_QKV_mfma16_kernelI14__hip_bfloat16hLN4vllm18Fp8KVCacheDataTypeE1EhLi32ELi64ELi256ELb1ELi8EEvPKT_PKT0_S8_ifPKiSA_SA_iPKfiiiPfSD_PS3_PT2_iSC_SC_.num_named_barrier, max(0, .L__assert_fail.num_named_barrier)
	.set _Z39paged_attention_ll4mi_QKV_mfma16_kernelI14__hip_bfloat16hLN4vllm18Fp8KVCacheDataTypeE1EhLi32ELi64ELi256ELb1ELi8EEvPKT_PKT0_S8_ifPKiSA_SA_iPKfiiiPfSD_PS3_PT2_iSC_SC_.private_seg_size, 0+max(.L__assert_fail.private_seg_size)
	.set _Z39paged_attention_ll4mi_QKV_mfma16_kernelI14__hip_bfloat16hLN4vllm18Fp8KVCacheDataTypeE1EhLi32ELi64ELi256ELb1ELi8EEvPKT_PKT0_S8_ifPKiSA_SA_iPKfiiiPfSD_PS3_PT2_iSC_SC_.uses_vcc, or(1, .L__assert_fail.uses_vcc)
	.set _Z39paged_attention_ll4mi_QKV_mfma16_kernelI14__hip_bfloat16hLN4vllm18Fp8KVCacheDataTypeE1EhLi32ELi64ELi256ELb1ELi8EEvPKT_PKT0_S8_ifPKiSA_SA_iPKfiiiPfSD_PS3_PT2_iSC_SC_.uses_flat_scratch, or(0, .L__assert_fail.uses_flat_scratch)
	.set _Z39paged_attention_ll4mi_QKV_mfma16_kernelI14__hip_bfloat16hLN4vllm18Fp8KVCacheDataTypeE1EhLi32ELi64ELi256ELb1ELi8EEvPKT_PKT0_S8_ifPKiSA_SA_iPKfiiiPfSD_PS3_PT2_iSC_SC_.has_dyn_sized_stack, or(0, .L__assert_fail.has_dyn_sized_stack)
	.set _Z39paged_attention_ll4mi_QKV_mfma16_kernelI14__hip_bfloat16hLN4vllm18Fp8KVCacheDataTypeE1EhLi32ELi64ELi256ELb1ELi8EEvPKT_PKT0_S8_ifPKiSA_SA_iPKfiiiPfSD_PS3_PT2_iSC_SC_.has_recursion, or(0, .L__assert_fail.has_recursion)
	.set _Z39paged_attention_ll4mi_QKV_mfma16_kernelI14__hip_bfloat16hLN4vllm18Fp8KVCacheDataTypeE1EhLi32ELi64ELi256ELb1ELi8EEvPKT_PKT0_S8_ifPKiSA_SA_iPKfiiiPfSD_PS3_PT2_iSC_SC_.has_indirect_call, or(0, .L__assert_fail.has_indirect_call)
	.section	.AMDGPU.csdata,"",@progbits
; Kernel info:
; codeLenInByte = 68
; TotalNumSgprs: 36
; NumVgprs: 51
; ScratchSize: 64
; MemoryBound: 0
; FloatMode: 240
; IeeeMode: 1
; LDSByteSize: 0 bytes/workgroup (compile time only)
; SGPRBlocks: 0
; VGPRBlocks: 3
; NumSGPRsForWavesPerEU: 36
; NumVGPRsForWavesPerEU: 51
; NamedBarCnt: 0
; Occupancy: 16
; WaveLimiterHint : 1
; COMPUTE_PGM_RSRC2:SCRATCH_EN: 1
; COMPUTE_PGM_RSRC2:USER_SGPR: 2
; COMPUTE_PGM_RSRC2:TRAP_HANDLER: 0
; COMPUTE_PGM_RSRC2:TGID_X_EN: 1
; COMPUTE_PGM_RSRC2:TGID_Y_EN: 0
; COMPUTE_PGM_RSRC2:TGID_Z_EN: 0
; COMPUTE_PGM_RSRC2:TIDIG_COMP_CNT: 0
	.section	.text._Z39paged_attention_ll4mi_QKV_mfma16_kernelI14__hip_bfloat16hLN4vllm18Fp8KVCacheDataTypeE1EhLi32ELi64ELi256ELb1ELi9EEvPKT_PKT0_S8_ifPKiSA_SA_iPKfiiiPfSD_PS3_PT2_iSC_SC_,"axG",@progbits,_Z39paged_attention_ll4mi_QKV_mfma16_kernelI14__hip_bfloat16hLN4vllm18Fp8KVCacheDataTypeE1EhLi32ELi64ELi256ELb1ELi9EEvPKT_PKT0_S8_ifPKiSA_SA_iPKfiiiPfSD_PS3_PT2_iSC_SC_,comdat
	.protected	_Z39paged_attention_ll4mi_QKV_mfma16_kernelI14__hip_bfloat16hLN4vllm18Fp8KVCacheDataTypeE1EhLi32ELi64ELi256ELb1ELi9EEvPKT_PKT0_S8_ifPKiSA_SA_iPKfiiiPfSD_PS3_PT2_iSC_SC_ ; -- Begin function _Z39paged_attention_ll4mi_QKV_mfma16_kernelI14__hip_bfloat16hLN4vllm18Fp8KVCacheDataTypeE1EhLi32ELi64ELi256ELb1ELi9EEvPKT_PKT0_S8_ifPKiSA_SA_iPKfiiiPfSD_PS3_PT2_iSC_SC_
	.globl	_Z39paged_attention_ll4mi_QKV_mfma16_kernelI14__hip_bfloat16hLN4vllm18Fp8KVCacheDataTypeE1EhLi32ELi64ELi256ELb1ELi9EEvPKT_PKT0_S8_ifPKiSA_SA_iPKfiiiPfSD_PS3_PT2_iSC_SC_
	.p2align	8
	.type	_Z39paged_attention_ll4mi_QKV_mfma16_kernelI14__hip_bfloat16hLN4vllm18Fp8KVCacheDataTypeE1EhLi32ELi64ELi256ELb1ELi9EEvPKT_PKT0_S8_ifPKiSA_SA_iPKfiiiPfSD_PS3_PT2_iSC_SC_,@function
_Z39paged_attention_ll4mi_QKV_mfma16_kernelI14__hip_bfloat16hLN4vllm18Fp8KVCacheDataTypeE1EhLi32ELi64ELi256ELb1ELi9EEvPKT_PKT0_S8_ifPKiSA_SA_iPKfiiiPfSD_PS3_PT2_iSC_SC_: ; @_Z39paged_attention_ll4mi_QKV_mfma16_kernelI14__hip_bfloat16hLN4vllm18Fp8KVCacheDataTypeE1EhLi32ELi64ELi256ELb1ELi9EEvPKT_PKT0_S8_ifPKiSA_SA_iPKfiiiPfSD_PS3_PT2_iSC_SC_
; %bb.0:
	s_get_pc_i64 s[2:3]
	s_add_nc_u64 s[2:3], s[2:3], __PRETTY_FUNCTION__._Z39paged_attention_ll4mi_QKV_mfma16_kernelI14__hip_bfloat16hLN4vllm18Fp8KVCacheDataTypeE1EhLi32ELi64ELi256ELb1ELi9EEvPKT_PKT0_S8_ifPKiSA_SA_iPKfiiiPfSD_PS3_PT2_iSC_SC_@rel64+4
	s_delay_alu instid0(SALU_CYCLE_1)
	v_dual_mov_b32 v0, 0xbb3 :: v_dual_mov_b32 v1, s2
	v_mov_b32_e32 v2, s3
	s_add_nc_u64 s[8:9], s[0:1], 0x90
	s_get_pc_i64 s[0:1]
	s_add_nc_u64 s[0:1], s[0:1], __assert_fail@rel64+4
	s_mov_b32 s32, 0
	s_swap_pc_i64 s[30:31], s[0:1]
	.section	.rodata,"a",@progbits
	.p2align	6, 0x0
	.amdhsa_kernel _Z39paged_attention_ll4mi_QKV_mfma16_kernelI14__hip_bfloat16hLN4vllm18Fp8KVCacheDataTypeE1EhLi32ELi64ELi256ELb1ELi9EEvPKT_PKT0_S8_ifPKiSA_SA_iPKfiiiPfSD_PS3_PT2_iSC_SC_
		.amdhsa_group_segment_fixed_size 0
		.amdhsa_private_segment_fixed_size 64
		.amdhsa_kernarg_size 400
		.amdhsa_user_sgpr_count 2
		.amdhsa_user_sgpr_dispatch_ptr 0
		.amdhsa_user_sgpr_queue_ptr 0
		.amdhsa_user_sgpr_kernarg_segment_ptr 1
		.amdhsa_user_sgpr_dispatch_id 0
		.amdhsa_user_sgpr_kernarg_preload_length 0
		.amdhsa_user_sgpr_kernarg_preload_offset 0
		.amdhsa_user_sgpr_private_segment_size 0
		.amdhsa_wavefront_size32 1
		.amdhsa_uses_dynamic_stack 0
		.amdhsa_enable_private_segment 1
		.amdhsa_system_sgpr_workgroup_id_x 1
		.amdhsa_system_sgpr_workgroup_id_y 0
		.amdhsa_system_sgpr_workgroup_id_z 0
		.amdhsa_system_sgpr_workgroup_info 0
		.amdhsa_system_vgpr_workitem_id 0
		.amdhsa_next_free_vgpr 51
		.amdhsa_next_free_sgpr 34
		.amdhsa_named_barrier_count 0
		.amdhsa_reserve_vcc 1
		.amdhsa_float_round_mode_32 0
		.amdhsa_float_round_mode_16_64 0
		.amdhsa_float_denorm_mode_32 3
		.amdhsa_float_denorm_mode_16_64 3
		.amdhsa_fp16_overflow 0
		.amdhsa_memory_ordered 1
		.amdhsa_forward_progress 1
		.amdhsa_inst_pref_size 1
		.amdhsa_round_robin_scheduling 0
		.amdhsa_exception_fp_ieee_invalid_op 0
		.amdhsa_exception_fp_denorm_src 0
		.amdhsa_exception_fp_ieee_div_zero 0
		.amdhsa_exception_fp_ieee_overflow 0
		.amdhsa_exception_fp_ieee_underflow 0
		.amdhsa_exception_fp_ieee_inexact 0
		.amdhsa_exception_int_div_zero 0
	.end_amdhsa_kernel
	.section	.text._Z39paged_attention_ll4mi_QKV_mfma16_kernelI14__hip_bfloat16hLN4vllm18Fp8KVCacheDataTypeE1EhLi32ELi64ELi256ELb1ELi9EEvPKT_PKT0_S8_ifPKiSA_SA_iPKfiiiPfSD_PS3_PT2_iSC_SC_,"axG",@progbits,_Z39paged_attention_ll4mi_QKV_mfma16_kernelI14__hip_bfloat16hLN4vllm18Fp8KVCacheDataTypeE1EhLi32ELi64ELi256ELb1ELi9EEvPKT_PKT0_S8_ifPKiSA_SA_iPKfiiiPfSD_PS3_PT2_iSC_SC_,comdat
.Lfunc_end1178:
	.size	_Z39paged_attention_ll4mi_QKV_mfma16_kernelI14__hip_bfloat16hLN4vllm18Fp8KVCacheDataTypeE1EhLi32ELi64ELi256ELb1ELi9EEvPKT_PKT0_S8_ifPKiSA_SA_iPKfiiiPfSD_PS3_PT2_iSC_SC_, .Lfunc_end1178-_Z39paged_attention_ll4mi_QKV_mfma16_kernelI14__hip_bfloat16hLN4vllm18Fp8KVCacheDataTypeE1EhLi32ELi64ELi256ELb1ELi9EEvPKT_PKT0_S8_ifPKiSA_SA_iPKfiiiPfSD_PS3_PT2_iSC_SC_
                                        ; -- End function
	.set _Z39paged_attention_ll4mi_QKV_mfma16_kernelI14__hip_bfloat16hLN4vllm18Fp8KVCacheDataTypeE1EhLi32ELi64ELi256ELb1ELi9EEvPKT_PKT0_S8_ifPKiSA_SA_iPKfiiiPfSD_PS3_PT2_iSC_SC_.num_vgpr, max(3, .L__assert_fail.num_vgpr)
	.set _Z39paged_attention_ll4mi_QKV_mfma16_kernelI14__hip_bfloat16hLN4vllm18Fp8KVCacheDataTypeE1EhLi32ELi64ELi256ELb1ELi9EEvPKT_PKT0_S8_ifPKiSA_SA_iPKfiiiPfSD_PS3_PT2_iSC_SC_.num_agpr, max(0, .L__assert_fail.num_agpr)
	.set _Z39paged_attention_ll4mi_QKV_mfma16_kernelI14__hip_bfloat16hLN4vllm18Fp8KVCacheDataTypeE1EhLi32ELi64ELi256ELb1ELi9EEvPKT_PKT0_S8_ifPKiSA_SA_iPKfiiiPfSD_PS3_PT2_iSC_SC_.numbered_sgpr, max(33, .L__assert_fail.numbered_sgpr)
	.set _Z39paged_attention_ll4mi_QKV_mfma16_kernelI14__hip_bfloat16hLN4vllm18Fp8KVCacheDataTypeE1EhLi32ELi64ELi256ELb1ELi9EEvPKT_PKT0_S8_ifPKiSA_SA_iPKfiiiPfSD_PS3_PT2_iSC_SC_.num_named_barrier, max(0, .L__assert_fail.num_named_barrier)
	.set _Z39paged_attention_ll4mi_QKV_mfma16_kernelI14__hip_bfloat16hLN4vllm18Fp8KVCacheDataTypeE1EhLi32ELi64ELi256ELb1ELi9EEvPKT_PKT0_S8_ifPKiSA_SA_iPKfiiiPfSD_PS3_PT2_iSC_SC_.private_seg_size, 0+max(.L__assert_fail.private_seg_size)
	.set _Z39paged_attention_ll4mi_QKV_mfma16_kernelI14__hip_bfloat16hLN4vllm18Fp8KVCacheDataTypeE1EhLi32ELi64ELi256ELb1ELi9EEvPKT_PKT0_S8_ifPKiSA_SA_iPKfiiiPfSD_PS3_PT2_iSC_SC_.uses_vcc, or(1, .L__assert_fail.uses_vcc)
	.set _Z39paged_attention_ll4mi_QKV_mfma16_kernelI14__hip_bfloat16hLN4vllm18Fp8KVCacheDataTypeE1EhLi32ELi64ELi256ELb1ELi9EEvPKT_PKT0_S8_ifPKiSA_SA_iPKfiiiPfSD_PS3_PT2_iSC_SC_.uses_flat_scratch, or(0, .L__assert_fail.uses_flat_scratch)
	.set _Z39paged_attention_ll4mi_QKV_mfma16_kernelI14__hip_bfloat16hLN4vllm18Fp8KVCacheDataTypeE1EhLi32ELi64ELi256ELb1ELi9EEvPKT_PKT0_S8_ifPKiSA_SA_iPKfiiiPfSD_PS3_PT2_iSC_SC_.has_dyn_sized_stack, or(0, .L__assert_fail.has_dyn_sized_stack)
	.set _Z39paged_attention_ll4mi_QKV_mfma16_kernelI14__hip_bfloat16hLN4vllm18Fp8KVCacheDataTypeE1EhLi32ELi64ELi256ELb1ELi9EEvPKT_PKT0_S8_ifPKiSA_SA_iPKfiiiPfSD_PS3_PT2_iSC_SC_.has_recursion, or(0, .L__assert_fail.has_recursion)
	.set _Z39paged_attention_ll4mi_QKV_mfma16_kernelI14__hip_bfloat16hLN4vllm18Fp8KVCacheDataTypeE1EhLi32ELi64ELi256ELb1ELi9EEvPKT_PKT0_S8_ifPKiSA_SA_iPKfiiiPfSD_PS3_PT2_iSC_SC_.has_indirect_call, or(0, .L__assert_fail.has_indirect_call)
	.section	.AMDGPU.csdata,"",@progbits
; Kernel info:
; codeLenInByte = 68
; TotalNumSgprs: 36
; NumVgprs: 51
; ScratchSize: 64
; MemoryBound: 0
; FloatMode: 240
; IeeeMode: 1
; LDSByteSize: 0 bytes/workgroup (compile time only)
; SGPRBlocks: 0
; VGPRBlocks: 3
; NumSGPRsForWavesPerEU: 36
; NumVGPRsForWavesPerEU: 51
; NamedBarCnt: 0
; Occupancy: 16
; WaveLimiterHint : 1
; COMPUTE_PGM_RSRC2:SCRATCH_EN: 1
; COMPUTE_PGM_RSRC2:USER_SGPR: 2
; COMPUTE_PGM_RSRC2:TRAP_HANDLER: 0
; COMPUTE_PGM_RSRC2:TGID_X_EN: 1
; COMPUTE_PGM_RSRC2:TGID_Y_EN: 0
; COMPUTE_PGM_RSRC2:TGID_Z_EN: 0
; COMPUTE_PGM_RSRC2:TIDIG_COMP_CNT: 0
	.section	.text._Z39paged_attention_ll4mi_QKV_mfma16_kernelI14__hip_bfloat16hLN4vllm18Fp8KVCacheDataTypeE1EhLi32ELi64ELi256ELb1ELi10EEvPKT_PKT0_S8_ifPKiSA_SA_iPKfiiiPfSD_PS3_PT2_iSC_SC_,"axG",@progbits,_Z39paged_attention_ll4mi_QKV_mfma16_kernelI14__hip_bfloat16hLN4vllm18Fp8KVCacheDataTypeE1EhLi32ELi64ELi256ELb1ELi10EEvPKT_PKT0_S8_ifPKiSA_SA_iPKfiiiPfSD_PS3_PT2_iSC_SC_,comdat
	.protected	_Z39paged_attention_ll4mi_QKV_mfma16_kernelI14__hip_bfloat16hLN4vllm18Fp8KVCacheDataTypeE1EhLi32ELi64ELi256ELb1ELi10EEvPKT_PKT0_S8_ifPKiSA_SA_iPKfiiiPfSD_PS3_PT2_iSC_SC_ ; -- Begin function _Z39paged_attention_ll4mi_QKV_mfma16_kernelI14__hip_bfloat16hLN4vllm18Fp8KVCacheDataTypeE1EhLi32ELi64ELi256ELb1ELi10EEvPKT_PKT0_S8_ifPKiSA_SA_iPKfiiiPfSD_PS3_PT2_iSC_SC_
	.globl	_Z39paged_attention_ll4mi_QKV_mfma16_kernelI14__hip_bfloat16hLN4vllm18Fp8KVCacheDataTypeE1EhLi32ELi64ELi256ELb1ELi10EEvPKT_PKT0_S8_ifPKiSA_SA_iPKfiiiPfSD_PS3_PT2_iSC_SC_
	.p2align	8
	.type	_Z39paged_attention_ll4mi_QKV_mfma16_kernelI14__hip_bfloat16hLN4vllm18Fp8KVCacheDataTypeE1EhLi32ELi64ELi256ELb1ELi10EEvPKT_PKT0_S8_ifPKiSA_SA_iPKfiiiPfSD_PS3_PT2_iSC_SC_,@function
_Z39paged_attention_ll4mi_QKV_mfma16_kernelI14__hip_bfloat16hLN4vllm18Fp8KVCacheDataTypeE1EhLi32ELi64ELi256ELb1ELi10EEvPKT_PKT0_S8_ifPKiSA_SA_iPKfiiiPfSD_PS3_PT2_iSC_SC_: ; @_Z39paged_attention_ll4mi_QKV_mfma16_kernelI14__hip_bfloat16hLN4vllm18Fp8KVCacheDataTypeE1EhLi32ELi64ELi256ELb1ELi10EEvPKT_PKT0_S8_ifPKiSA_SA_iPKfiiiPfSD_PS3_PT2_iSC_SC_
; %bb.0:
	s_get_pc_i64 s[2:3]
	s_add_nc_u64 s[2:3], s[2:3], __PRETTY_FUNCTION__._Z39paged_attention_ll4mi_QKV_mfma16_kernelI14__hip_bfloat16hLN4vllm18Fp8KVCacheDataTypeE1EhLi32ELi64ELi256ELb1ELi10EEvPKT_PKT0_S8_ifPKiSA_SA_iPKfiiiPfSD_PS3_PT2_iSC_SC_@rel64+4
	s_delay_alu instid0(SALU_CYCLE_1)
	v_dual_mov_b32 v0, 0xbb3 :: v_dual_mov_b32 v1, s2
	v_mov_b32_e32 v2, s3
	s_add_nc_u64 s[8:9], s[0:1], 0x90
	s_get_pc_i64 s[0:1]
	s_add_nc_u64 s[0:1], s[0:1], __assert_fail@rel64+4
	s_mov_b32 s32, 0
	s_swap_pc_i64 s[30:31], s[0:1]
	.section	.rodata,"a",@progbits
	.p2align	6, 0x0
	.amdhsa_kernel _Z39paged_attention_ll4mi_QKV_mfma16_kernelI14__hip_bfloat16hLN4vllm18Fp8KVCacheDataTypeE1EhLi32ELi64ELi256ELb1ELi10EEvPKT_PKT0_S8_ifPKiSA_SA_iPKfiiiPfSD_PS3_PT2_iSC_SC_
		.amdhsa_group_segment_fixed_size 0
		.amdhsa_private_segment_fixed_size 64
		.amdhsa_kernarg_size 400
		.amdhsa_user_sgpr_count 2
		.amdhsa_user_sgpr_dispatch_ptr 0
		.amdhsa_user_sgpr_queue_ptr 0
		.amdhsa_user_sgpr_kernarg_segment_ptr 1
		.amdhsa_user_sgpr_dispatch_id 0
		.amdhsa_user_sgpr_kernarg_preload_length 0
		.amdhsa_user_sgpr_kernarg_preload_offset 0
		.amdhsa_user_sgpr_private_segment_size 0
		.amdhsa_wavefront_size32 1
		.amdhsa_uses_dynamic_stack 0
		.amdhsa_enable_private_segment 1
		.amdhsa_system_sgpr_workgroup_id_x 1
		.amdhsa_system_sgpr_workgroup_id_y 0
		.amdhsa_system_sgpr_workgroup_id_z 0
		.amdhsa_system_sgpr_workgroup_info 0
		.amdhsa_system_vgpr_workitem_id 0
		.amdhsa_next_free_vgpr 51
		.amdhsa_next_free_sgpr 34
		.amdhsa_named_barrier_count 0
		.amdhsa_reserve_vcc 1
		.amdhsa_float_round_mode_32 0
		.amdhsa_float_round_mode_16_64 0
		.amdhsa_float_denorm_mode_32 3
		.amdhsa_float_denorm_mode_16_64 3
		.amdhsa_fp16_overflow 0
		.amdhsa_memory_ordered 1
		.amdhsa_forward_progress 1
		.amdhsa_inst_pref_size 1
		.amdhsa_round_robin_scheduling 0
		.amdhsa_exception_fp_ieee_invalid_op 0
		.amdhsa_exception_fp_denorm_src 0
		.amdhsa_exception_fp_ieee_div_zero 0
		.amdhsa_exception_fp_ieee_overflow 0
		.amdhsa_exception_fp_ieee_underflow 0
		.amdhsa_exception_fp_ieee_inexact 0
		.amdhsa_exception_int_div_zero 0
	.end_amdhsa_kernel
	.section	.text._Z39paged_attention_ll4mi_QKV_mfma16_kernelI14__hip_bfloat16hLN4vllm18Fp8KVCacheDataTypeE1EhLi32ELi64ELi256ELb1ELi10EEvPKT_PKT0_S8_ifPKiSA_SA_iPKfiiiPfSD_PS3_PT2_iSC_SC_,"axG",@progbits,_Z39paged_attention_ll4mi_QKV_mfma16_kernelI14__hip_bfloat16hLN4vllm18Fp8KVCacheDataTypeE1EhLi32ELi64ELi256ELb1ELi10EEvPKT_PKT0_S8_ifPKiSA_SA_iPKfiiiPfSD_PS3_PT2_iSC_SC_,comdat
.Lfunc_end1179:
	.size	_Z39paged_attention_ll4mi_QKV_mfma16_kernelI14__hip_bfloat16hLN4vllm18Fp8KVCacheDataTypeE1EhLi32ELi64ELi256ELb1ELi10EEvPKT_PKT0_S8_ifPKiSA_SA_iPKfiiiPfSD_PS3_PT2_iSC_SC_, .Lfunc_end1179-_Z39paged_attention_ll4mi_QKV_mfma16_kernelI14__hip_bfloat16hLN4vllm18Fp8KVCacheDataTypeE1EhLi32ELi64ELi256ELb1ELi10EEvPKT_PKT0_S8_ifPKiSA_SA_iPKfiiiPfSD_PS3_PT2_iSC_SC_
                                        ; -- End function
	.set _Z39paged_attention_ll4mi_QKV_mfma16_kernelI14__hip_bfloat16hLN4vllm18Fp8KVCacheDataTypeE1EhLi32ELi64ELi256ELb1ELi10EEvPKT_PKT0_S8_ifPKiSA_SA_iPKfiiiPfSD_PS3_PT2_iSC_SC_.num_vgpr, max(3, .L__assert_fail.num_vgpr)
	.set _Z39paged_attention_ll4mi_QKV_mfma16_kernelI14__hip_bfloat16hLN4vllm18Fp8KVCacheDataTypeE1EhLi32ELi64ELi256ELb1ELi10EEvPKT_PKT0_S8_ifPKiSA_SA_iPKfiiiPfSD_PS3_PT2_iSC_SC_.num_agpr, max(0, .L__assert_fail.num_agpr)
	.set _Z39paged_attention_ll4mi_QKV_mfma16_kernelI14__hip_bfloat16hLN4vllm18Fp8KVCacheDataTypeE1EhLi32ELi64ELi256ELb1ELi10EEvPKT_PKT0_S8_ifPKiSA_SA_iPKfiiiPfSD_PS3_PT2_iSC_SC_.numbered_sgpr, max(33, .L__assert_fail.numbered_sgpr)
	.set _Z39paged_attention_ll4mi_QKV_mfma16_kernelI14__hip_bfloat16hLN4vllm18Fp8KVCacheDataTypeE1EhLi32ELi64ELi256ELb1ELi10EEvPKT_PKT0_S8_ifPKiSA_SA_iPKfiiiPfSD_PS3_PT2_iSC_SC_.num_named_barrier, max(0, .L__assert_fail.num_named_barrier)
	.set _Z39paged_attention_ll4mi_QKV_mfma16_kernelI14__hip_bfloat16hLN4vllm18Fp8KVCacheDataTypeE1EhLi32ELi64ELi256ELb1ELi10EEvPKT_PKT0_S8_ifPKiSA_SA_iPKfiiiPfSD_PS3_PT2_iSC_SC_.private_seg_size, 0+max(.L__assert_fail.private_seg_size)
	.set _Z39paged_attention_ll4mi_QKV_mfma16_kernelI14__hip_bfloat16hLN4vllm18Fp8KVCacheDataTypeE1EhLi32ELi64ELi256ELb1ELi10EEvPKT_PKT0_S8_ifPKiSA_SA_iPKfiiiPfSD_PS3_PT2_iSC_SC_.uses_vcc, or(1, .L__assert_fail.uses_vcc)
	.set _Z39paged_attention_ll4mi_QKV_mfma16_kernelI14__hip_bfloat16hLN4vllm18Fp8KVCacheDataTypeE1EhLi32ELi64ELi256ELb1ELi10EEvPKT_PKT0_S8_ifPKiSA_SA_iPKfiiiPfSD_PS3_PT2_iSC_SC_.uses_flat_scratch, or(0, .L__assert_fail.uses_flat_scratch)
	.set _Z39paged_attention_ll4mi_QKV_mfma16_kernelI14__hip_bfloat16hLN4vllm18Fp8KVCacheDataTypeE1EhLi32ELi64ELi256ELb1ELi10EEvPKT_PKT0_S8_ifPKiSA_SA_iPKfiiiPfSD_PS3_PT2_iSC_SC_.has_dyn_sized_stack, or(0, .L__assert_fail.has_dyn_sized_stack)
	.set _Z39paged_attention_ll4mi_QKV_mfma16_kernelI14__hip_bfloat16hLN4vllm18Fp8KVCacheDataTypeE1EhLi32ELi64ELi256ELb1ELi10EEvPKT_PKT0_S8_ifPKiSA_SA_iPKfiiiPfSD_PS3_PT2_iSC_SC_.has_recursion, or(0, .L__assert_fail.has_recursion)
	.set _Z39paged_attention_ll4mi_QKV_mfma16_kernelI14__hip_bfloat16hLN4vllm18Fp8KVCacheDataTypeE1EhLi32ELi64ELi256ELb1ELi10EEvPKT_PKT0_S8_ifPKiSA_SA_iPKfiiiPfSD_PS3_PT2_iSC_SC_.has_indirect_call, or(0, .L__assert_fail.has_indirect_call)
	.section	.AMDGPU.csdata,"",@progbits
; Kernel info:
; codeLenInByte = 68
; TotalNumSgprs: 36
; NumVgprs: 51
; ScratchSize: 64
; MemoryBound: 0
; FloatMode: 240
; IeeeMode: 1
; LDSByteSize: 0 bytes/workgroup (compile time only)
; SGPRBlocks: 0
; VGPRBlocks: 3
; NumSGPRsForWavesPerEU: 36
; NumVGPRsForWavesPerEU: 51
; NamedBarCnt: 0
; Occupancy: 16
; WaveLimiterHint : 1
; COMPUTE_PGM_RSRC2:SCRATCH_EN: 1
; COMPUTE_PGM_RSRC2:USER_SGPR: 2
; COMPUTE_PGM_RSRC2:TRAP_HANDLER: 0
; COMPUTE_PGM_RSRC2:TGID_X_EN: 1
; COMPUTE_PGM_RSRC2:TGID_Y_EN: 0
; COMPUTE_PGM_RSRC2:TGID_Z_EN: 0
; COMPUTE_PGM_RSRC2:TIDIG_COMP_CNT: 0
	.section	.text._Z39paged_attention_ll4mi_QKV_mfma16_kernelI14__hip_bfloat16hLN4vllm18Fp8KVCacheDataTypeE1EhLi32ELi64ELi256ELb1ELi11EEvPKT_PKT0_S8_ifPKiSA_SA_iPKfiiiPfSD_PS3_PT2_iSC_SC_,"axG",@progbits,_Z39paged_attention_ll4mi_QKV_mfma16_kernelI14__hip_bfloat16hLN4vllm18Fp8KVCacheDataTypeE1EhLi32ELi64ELi256ELb1ELi11EEvPKT_PKT0_S8_ifPKiSA_SA_iPKfiiiPfSD_PS3_PT2_iSC_SC_,comdat
	.protected	_Z39paged_attention_ll4mi_QKV_mfma16_kernelI14__hip_bfloat16hLN4vllm18Fp8KVCacheDataTypeE1EhLi32ELi64ELi256ELb1ELi11EEvPKT_PKT0_S8_ifPKiSA_SA_iPKfiiiPfSD_PS3_PT2_iSC_SC_ ; -- Begin function _Z39paged_attention_ll4mi_QKV_mfma16_kernelI14__hip_bfloat16hLN4vllm18Fp8KVCacheDataTypeE1EhLi32ELi64ELi256ELb1ELi11EEvPKT_PKT0_S8_ifPKiSA_SA_iPKfiiiPfSD_PS3_PT2_iSC_SC_
	.globl	_Z39paged_attention_ll4mi_QKV_mfma16_kernelI14__hip_bfloat16hLN4vllm18Fp8KVCacheDataTypeE1EhLi32ELi64ELi256ELb1ELi11EEvPKT_PKT0_S8_ifPKiSA_SA_iPKfiiiPfSD_PS3_PT2_iSC_SC_
	.p2align	8
	.type	_Z39paged_attention_ll4mi_QKV_mfma16_kernelI14__hip_bfloat16hLN4vllm18Fp8KVCacheDataTypeE1EhLi32ELi64ELi256ELb1ELi11EEvPKT_PKT0_S8_ifPKiSA_SA_iPKfiiiPfSD_PS3_PT2_iSC_SC_,@function
_Z39paged_attention_ll4mi_QKV_mfma16_kernelI14__hip_bfloat16hLN4vllm18Fp8KVCacheDataTypeE1EhLi32ELi64ELi256ELb1ELi11EEvPKT_PKT0_S8_ifPKiSA_SA_iPKfiiiPfSD_PS3_PT2_iSC_SC_: ; @_Z39paged_attention_ll4mi_QKV_mfma16_kernelI14__hip_bfloat16hLN4vllm18Fp8KVCacheDataTypeE1EhLi32ELi64ELi256ELb1ELi11EEvPKT_PKT0_S8_ifPKiSA_SA_iPKfiiiPfSD_PS3_PT2_iSC_SC_
; %bb.0:
	s_get_pc_i64 s[2:3]
	s_add_nc_u64 s[2:3], s[2:3], __PRETTY_FUNCTION__._Z39paged_attention_ll4mi_QKV_mfma16_kernelI14__hip_bfloat16hLN4vllm18Fp8KVCacheDataTypeE1EhLi32ELi64ELi256ELb1ELi11EEvPKT_PKT0_S8_ifPKiSA_SA_iPKfiiiPfSD_PS3_PT2_iSC_SC_@rel64+4
	s_delay_alu instid0(SALU_CYCLE_1)
	v_dual_mov_b32 v0, 0xbb3 :: v_dual_mov_b32 v1, s2
	v_mov_b32_e32 v2, s3
	s_add_nc_u64 s[8:9], s[0:1], 0x90
	s_get_pc_i64 s[0:1]
	s_add_nc_u64 s[0:1], s[0:1], __assert_fail@rel64+4
	s_mov_b32 s32, 0
	s_swap_pc_i64 s[30:31], s[0:1]
	.section	.rodata,"a",@progbits
	.p2align	6, 0x0
	.amdhsa_kernel _Z39paged_attention_ll4mi_QKV_mfma16_kernelI14__hip_bfloat16hLN4vllm18Fp8KVCacheDataTypeE1EhLi32ELi64ELi256ELb1ELi11EEvPKT_PKT0_S8_ifPKiSA_SA_iPKfiiiPfSD_PS3_PT2_iSC_SC_
		.amdhsa_group_segment_fixed_size 0
		.amdhsa_private_segment_fixed_size 64
		.amdhsa_kernarg_size 400
		.amdhsa_user_sgpr_count 2
		.amdhsa_user_sgpr_dispatch_ptr 0
		.amdhsa_user_sgpr_queue_ptr 0
		.amdhsa_user_sgpr_kernarg_segment_ptr 1
		.amdhsa_user_sgpr_dispatch_id 0
		.amdhsa_user_sgpr_kernarg_preload_length 0
		.amdhsa_user_sgpr_kernarg_preload_offset 0
		.amdhsa_user_sgpr_private_segment_size 0
		.amdhsa_wavefront_size32 1
		.amdhsa_uses_dynamic_stack 0
		.amdhsa_enable_private_segment 1
		.amdhsa_system_sgpr_workgroup_id_x 1
		.amdhsa_system_sgpr_workgroup_id_y 0
		.amdhsa_system_sgpr_workgroup_id_z 0
		.amdhsa_system_sgpr_workgroup_info 0
		.amdhsa_system_vgpr_workitem_id 0
		.amdhsa_next_free_vgpr 51
		.amdhsa_next_free_sgpr 34
		.amdhsa_named_barrier_count 0
		.amdhsa_reserve_vcc 1
		.amdhsa_float_round_mode_32 0
		.amdhsa_float_round_mode_16_64 0
		.amdhsa_float_denorm_mode_32 3
		.amdhsa_float_denorm_mode_16_64 3
		.amdhsa_fp16_overflow 0
		.amdhsa_memory_ordered 1
		.amdhsa_forward_progress 1
		.amdhsa_inst_pref_size 1
		.amdhsa_round_robin_scheduling 0
		.amdhsa_exception_fp_ieee_invalid_op 0
		.amdhsa_exception_fp_denorm_src 0
		.amdhsa_exception_fp_ieee_div_zero 0
		.amdhsa_exception_fp_ieee_overflow 0
		.amdhsa_exception_fp_ieee_underflow 0
		.amdhsa_exception_fp_ieee_inexact 0
		.amdhsa_exception_int_div_zero 0
	.end_amdhsa_kernel
	.section	.text._Z39paged_attention_ll4mi_QKV_mfma16_kernelI14__hip_bfloat16hLN4vllm18Fp8KVCacheDataTypeE1EhLi32ELi64ELi256ELb1ELi11EEvPKT_PKT0_S8_ifPKiSA_SA_iPKfiiiPfSD_PS3_PT2_iSC_SC_,"axG",@progbits,_Z39paged_attention_ll4mi_QKV_mfma16_kernelI14__hip_bfloat16hLN4vllm18Fp8KVCacheDataTypeE1EhLi32ELi64ELi256ELb1ELi11EEvPKT_PKT0_S8_ifPKiSA_SA_iPKfiiiPfSD_PS3_PT2_iSC_SC_,comdat
.Lfunc_end1180:
	.size	_Z39paged_attention_ll4mi_QKV_mfma16_kernelI14__hip_bfloat16hLN4vllm18Fp8KVCacheDataTypeE1EhLi32ELi64ELi256ELb1ELi11EEvPKT_PKT0_S8_ifPKiSA_SA_iPKfiiiPfSD_PS3_PT2_iSC_SC_, .Lfunc_end1180-_Z39paged_attention_ll4mi_QKV_mfma16_kernelI14__hip_bfloat16hLN4vllm18Fp8KVCacheDataTypeE1EhLi32ELi64ELi256ELb1ELi11EEvPKT_PKT0_S8_ifPKiSA_SA_iPKfiiiPfSD_PS3_PT2_iSC_SC_
                                        ; -- End function
	.set _Z39paged_attention_ll4mi_QKV_mfma16_kernelI14__hip_bfloat16hLN4vllm18Fp8KVCacheDataTypeE1EhLi32ELi64ELi256ELb1ELi11EEvPKT_PKT0_S8_ifPKiSA_SA_iPKfiiiPfSD_PS3_PT2_iSC_SC_.num_vgpr, max(3, .L__assert_fail.num_vgpr)
	.set _Z39paged_attention_ll4mi_QKV_mfma16_kernelI14__hip_bfloat16hLN4vllm18Fp8KVCacheDataTypeE1EhLi32ELi64ELi256ELb1ELi11EEvPKT_PKT0_S8_ifPKiSA_SA_iPKfiiiPfSD_PS3_PT2_iSC_SC_.num_agpr, max(0, .L__assert_fail.num_agpr)
	.set _Z39paged_attention_ll4mi_QKV_mfma16_kernelI14__hip_bfloat16hLN4vllm18Fp8KVCacheDataTypeE1EhLi32ELi64ELi256ELb1ELi11EEvPKT_PKT0_S8_ifPKiSA_SA_iPKfiiiPfSD_PS3_PT2_iSC_SC_.numbered_sgpr, max(33, .L__assert_fail.numbered_sgpr)
	.set _Z39paged_attention_ll4mi_QKV_mfma16_kernelI14__hip_bfloat16hLN4vllm18Fp8KVCacheDataTypeE1EhLi32ELi64ELi256ELb1ELi11EEvPKT_PKT0_S8_ifPKiSA_SA_iPKfiiiPfSD_PS3_PT2_iSC_SC_.num_named_barrier, max(0, .L__assert_fail.num_named_barrier)
	.set _Z39paged_attention_ll4mi_QKV_mfma16_kernelI14__hip_bfloat16hLN4vllm18Fp8KVCacheDataTypeE1EhLi32ELi64ELi256ELb1ELi11EEvPKT_PKT0_S8_ifPKiSA_SA_iPKfiiiPfSD_PS3_PT2_iSC_SC_.private_seg_size, 0+max(.L__assert_fail.private_seg_size)
	.set _Z39paged_attention_ll4mi_QKV_mfma16_kernelI14__hip_bfloat16hLN4vllm18Fp8KVCacheDataTypeE1EhLi32ELi64ELi256ELb1ELi11EEvPKT_PKT0_S8_ifPKiSA_SA_iPKfiiiPfSD_PS3_PT2_iSC_SC_.uses_vcc, or(1, .L__assert_fail.uses_vcc)
	.set _Z39paged_attention_ll4mi_QKV_mfma16_kernelI14__hip_bfloat16hLN4vllm18Fp8KVCacheDataTypeE1EhLi32ELi64ELi256ELb1ELi11EEvPKT_PKT0_S8_ifPKiSA_SA_iPKfiiiPfSD_PS3_PT2_iSC_SC_.uses_flat_scratch, or(0, .L__assert_fail.uses_flat_scratch)
	.set _Z39paged_attention_ll4mi_QKV_mfma16_kernelI14__hip_bfloat16hLN4vllm18Fp8KVCacheDataTypeE1EhLi32ELi64ELi256ELb1ELi11EEvPKT_PKT0_S8_ifPKiSA_SA_iPKfiiiPfSD_PS3_PT2_iSC_SC_.has_dyn_sized_stack, or(0, .L__assert_fail.has_dyn_sized_stack)
	.set _Z39paged_attention_ll4mi_QKV_mfma16_kernelI14__hip_bfloat16hLN4vllm18Fp8KVCacheDataTypeE1EhLi32ELi64ELi256ELb1ELi11EEvPKT_PKT0_S8_ifPKiSA_SA_iPKfiiiPfSD_PS3_PT2_iSC_SC_.has_recursion, or(0, .L__assert_fail.has_recursion)
	.set _Z39paged_attention_ll4mi_QKV_mfma16_kernelI14__hip_bfloat16hLN4vllm18Fp8KVCacheDataTypeE1EhLi32ELi64ELi256ELb1ELi11EEvPKT_PKT0_S8_ifPKiSA_SA_iPKfiiiPfSD_PS3_PT2_iSC_SC_.has_indirect_call, or(0, .L__assert_fail.has_indirect_call)
	.section	.AMDGPU.csdata,"",@progbits
; Kernel info:
; codeLenInByte = 68
; TotalNumSgprs: 36
; NumVgprs: 51
; ScratchSize: 64
; MemoryBound: 0
; FloatMode: 240
; IeeeMode: 1
; LDSByteSize: 0 bytes/workgroup (compile time only)
; SGPRBlocks: 0
; VGPRBlocks: 3
; NumSGPRsForWavesPerEU: 36
; NumVGPRsForWavesPerEU: 51
; NamedBarCnt: 0
; Occupancy: 16
; WaveLimiterHint : 1
; COMPUTE_PGM_RSRC2:SCRATCH_EN: 1
; COMPUTE_PGM_RSRC2:USER_SGPR: 2
; COMPUTE_PGM_RSRC2:TRAP_HANDLER: 0
; COMPUTE_PGM_RSRC2:TGID_X_EN: 1
; COMPUTE_PGM_RSRC2:TGID_Y_EN: 0
; COMPUTE_PGM_RSRC2:TGID_Z_EN: 0
; COMPUTE_PGM_RSRC2:TIDIG_COMP_CNT: 0
	.section	.text._Z39paged_attention_ll4mi_QKV_mfma16_kernelI14__hip_bfloat16hLN4vllm18Fp8KVCacheDataTypeE1EhLi32ELi64ELi256ELb1ELi12EEvPKT_PKT0_S8_ifPKiSA_SA_iPKfiiiPfSD_PS3_PT2_iSC_SC_,"axG",@progbits,_Z39paged_attention_ll4mi_QKV_mfma16_kernelI14__hip_bfloat16hLN4vllm18Fp8KVCacheDataTypeE1EhLi32ELi64ELi256ELb1ELi12EEvPKT_PKT0_S8_ifPKiSA_SA_iPKfiiiPfSD_PS3_PT2_iSC_SC_,comdat
	.protected	_Z39paged_attention_ll4mi_QKV_mfma16_kernelI14__hip_bfloat16hLN4vllm18Fp8KVCacheDataTypeE1EhLi32ELi64ELi256ELb1ELi12EEvPKT_PKT0_S8_ifPKiSA_SA_iPKfiiiPfSD_PS3_PT2_iSC_SC_ ; -- Begin function _Z39paged_attention_ll4mi_QKV_mfma16_kernelI14__hip_bfloat16hLN4vllm18Fp8KVCacheDataTypeE1EhLi32ELi64ELi256ELb1ELi12EEvPKT_PKT0_S8_ifPKiSA_SA_iPKfiiiPfSD_PS3_PT2_iSC_SC_
	.globl	_Z39paged_attention_ll4mi_QKV_mfma16_kernelI14__hip_bfloat16hLN4vllm18Fp8KVCacheDataTypeE1EhLi32ELi64ELi256ELb1ELi12EEvPKT_PKT0_S8_ifPKiSA_SA_iPKfiiiPfSD_PS3_PT2_iSC_SC_
	.p2align	8
	.type	_Z39paged_attention_ll4mi_QKV_mfma16_kernelI14__hip_bfloat16hLN4vllm18Fp8KVCacheDataTypeE1EhLi32ELi64ELi256ELb1ELi12EEvPKT_PKT0_S8_ifPKiSA_SA_iPKfiiiPfSD_PS3_PT2_iSC_SC_,@function
_Z39paged_attention_ll4mi_QKV_mfma16_kernelI14__hip_bfloat16hLN4vllm18Fp8KVCacheDataTypeE1EhLi32ELi64ELi256ELb1ELi12EEvPKT_PKT0_S8_ifPKiSA_SA_iPKfiiiPfSD_PS3_PT2_iSC_SC_: ; @_Z39paged_attention_ll4mi_QKV_mfma16_kernelI14__hip_bfloat16hLN4vllm18Fp8KVCacheDataTypeE1EhLi32ELi64ELi256ELb1ELi12EEvPKT_PKT0_S8_ifPKiSA_SA_iPKfiiiPfSD_PS3_PT2_iSC_SC_
; %bb.0:
	s_get_pc_i64 s[2:3]
	s_add_nc_u64 s[2:3], s[2:3], __PRETTY_FUNCTION__._Z39paged_attention_ll4mi_QKV_mfma16_kernelI14__hip_bfloat16hLN4vllm18Fp8KVCacheDataTypeE1EhLi32ELi64ELi256ELb1ELi12EEvPKT_PKT0_S8_ifPKiSA_SA_iPKfiiiPfSD_PS3_PT2_iSC_SC_@rel64+4
	s_delay_alu instid0(SALU_CYCLE_1)
	v_dual_mov_b32 v0, 0xbb3 :: v_dual_mov_b32 v1, s2
	v_mov_b32_e32 v2, s3
	s_add_nc_u64 s[8:9], s[0:1], 0x90
	s_get_pc_i64 s[0:1]
	s_add_nc_u64 s[0:1], s[0:1], __assert_fail@rel64+4
	s_mov_b32 s32, 0
	s_swap_pc_i64 s[30:31], s[0:1]
	.section	.rodata,"a",@progbits
	.p2align	6, 0x0
	.amdhsa_kernel _Z39paged_attention_ll4mi_QKV_mfma16_kernelI14__hip_bfloat16hLN4vllm18Fp8KVCacheDataTypeE1EhLi32ELi64ELi256ELb1ELi12EEvPKT_PKT0_S8_ifPKiSA_SA_iPKfiiiPfSD_PS3_PT2_iSC_SC_
		.amdhsa_group_segment_fixed_size 0
		.amdhsa_private_segment_fixed_size 64
		.amdhsa_kernarg_size 400
		.amdhsa_user_sgpr_count 2
		.amdhsa_user_sgpr_dispatch_ptr 0
		.amdhsa_user_sgpr_queue_ptr 0
		.amdhsa_user_sgpr_kernarg_segment_ptr 1
		.amdhsa_user_sgpr_dispatch_id 0
		.amdhsa_user_sgpr_kernarg_preload_length 0
		.amdhsa_user_sgpr_kernarg_preload_offset 0
		.amdhsa_user_sgpr_private_segment_size 0
		.amdhsa_wavefront_size32 1
		.amdhsa_uses_dynamic_stack 0
		.amdhsa_enable_private_segment 1
		.amdhsa_system_sgpr_workgroup_id_x 1
		.amdhsa_system_sgpr_workgroup_id_y 0
		.amdhsa_system_sgpr_workgroup_id_z 0
		.amdhsa_system_sgpr_workgroup_info 0
		.amdhsa_system_vgpr_workitem_id 0
		.amdhsa_next_free_vgpr 51
		.amdhsa_next_free_sgpr 34
		.amdhsa_named_barrier_count 0
		.amdhsa_reserve_vcc 1
		.amdhsa_float_round_mode_32 0
		.amdhsa_float_round_mode_16_64 0
		.amdhsa_float_denorm_mode_32 3
		.amdhsa_float_denorm_mode_16_64 3
		.amdhsa_fp16_overflow 0
		.amdhsa_memory_ordered 1
		.amdhsa_forward_progress 1
		.amdhsa_inst_pref_size 1
		.amdhsa_round_robin_scheduling 0
		.amdhsa_exception_fp_ieee_invalid_op 0
		.amdhsa_exception_fp_denorm_src 0
		.amdhsa_exception_fp_ieee_div_zero 0
		.amdhsa_exception_fp_ieee_overflow 0
		.amdhsa_exception_fp_ieee_underflow 0
		.amdhsa_exception_fp_ieee_inexact 0
		.amdhsa_exception_int_div_zero 0
	.end_amdhsa_kernel
	.section	.text._Z39paged_attention_ll4mi_QKV_mfma16_kernelI14__hip_bfloat16hLN4vllm18Fp8KVCacheDataTypeE1EhLi32ELi64ELi256ELb1ELi12EEvPKT_PKT0_S8_ifPKiSA_SA_iPKfiiiPfSD_PS3_PT2_iSC_SC_,"axG",@progbits,_Z39paged_attention_ll4mi_QKV_mfma16_kernelI14__hip_bfloat16hLN4vllm18Fp8KVCacheDataTypeE1EhLi32ELi64ELi256ELb1ELi12EEvPKT_PKT0_S8_ifPKiSA_SA_iPKfiiiPfSD_PS3_PT2_iSC_SC_,comdat
.Lfunc_end1181:
	.size	_Z39paged_attention_ll4mi_QKV_mfma16_kernelI14__hip_bfloat16hLN4vllm18Fp8KVCacheDataTypeE1EhLi32ELi64ELi256ELb1ELi12EEvPKT_PKT0_S8_ifPKiSA_SA_iPKfiiiPfSD_PS3_PT2_iSC_SC_, .Lfunc_end1181-_Z39paged_attention_ll4mi_QKV_mfma16_kernelI14__hip_bfloat16hLN4vllm18Fp8KVCacheDataTypeE1EhLi32ELi64ELi256ELb1ELi12EEvPKT_PKT0_S8_ifPKiSA_SA_iPKfiiiPfSD_PS3_PT2_iSC_SC_
                                        ; -- End function
	.set _Z39paged_attention_ll4mi_QKV_mfma16_kernelI14__hip_bfloat16hLN4vllm18Fp8KVCacheDataTypeE1EhLi32ELi64ELi256ELb1ELi12EEvPKT_PKT0_S8_ifPKiSA_SA_iPKfiiiPfSD_PS3_PT2_iSC_SC_.num_vgpr, max(3, .L__assert_fail.num_vgpr)
	.set _Z39paged_attention_ll4mi_QKV_mfma16_kernelI14__hip_bfloat16hLN4vllm18Fp8KVCacheDataTypeE1EhLi32ELi64ELi256ELb1ELi12EEvPKT_PKT0_S8_ifPKiSA_SA_iPKfiiiPfSD_PS3_PT2_iSC_SC_.num_agpr, max(0, .L__assert_fail.num_agpr)
	.set _Z39paged_attention_ll4mi_QKV_mfma16_kernelI14__hip_bfloat16hLN4vllm18Fp8KVCacheDataTypeE1EhLi32ELi64ELi256ELb1ELi12EEvPKT_PKT0_S8_ifPKiSA_SA_iPKfiiiPfSD_PS3_PT2_iSC_SC_.numbered_sgpr, max(33, .L__assert_fail.numbered_sgpr)
	.set _Z39paged_attention_ll4mi_QKV_mfma16_kernelI14__hip_bfloat16hLN4vllm18Fp8KVCacheDataTypeE1EhLi32ELi64ELi256ELb1ELi12EEvPKT_PKT0_S8_ifPKiSA_SA_iPKfiiiPfSD_PS3_PT2_iSC_SC_.num_named_barrier, max(0, .L__assert_fail.num_named_barrier)
	.set _Z39paged_attention_ll4mi_QKV_mfma16_kernelI14__hip_bfloat16hLN4vllm18Fp8KVCacheDataTypeE1EhLi32ELi64ELi256ELb1ELi12EEvPKT_PKT0_S8_ifPKiSA_SA_iPKfiiiPfSD_PS3_PT2_iSC_SC_.private_seg_size, 0+max(.L__assert_fail.private_seg_size)
	.set _Z39paged_attention_ll4mi_QKV_mfma16_kernelI14__hip_bfloat16hLN4vllm18Fp8KVCacheDataTypeE1EhLi32ELi64ELi256ELb1ELi12EEvPKT_PKT0_S8_ifPKiSA_SA_iPKfiiiPfSD_PS3_PT2_iSC_SC_.uses_vcc, or(1, .L__assert_fail.uses_vcc)
	.set _Z39paged_attention_ll4mi_QKV_mfma16_kernelI14__hip_bfloat16hLN4vllm18Fp8KVCacheDataTypeE1EhLi32ELi64ELi256ELb1ELi12EEvPKT_PKT0_S8_ifPKiSA_SA_iPKfiiiPfSD_PS3_PT2_iSC_SC_.uses_flat_scratch, or(0, .L__assert_fail.uses_flat_scratch)
	.set _Z39paged_attention_ll4mi_QKV_mfma16_kernelI14__hip_bfloat16hLN4vllm18Fp8KVCacheDataTypeE1EhLi32ELi64ELi256ELb1ELi12EEvPKT_PKT0_S8_ifPKiSA_SA_iPKfiiiPfSD_PS3_PT2_iSC_SC_.has_dyn_sized_stack, or(0, .L__assert_fail.has_dyn_sized_stack)
	.set _Z39paged_attention_ll4mi_QKV_mfma16_kernelI14__hip_bfloat16hLN4vllm18Fp8KVCacheDataTypeE1EhLi32ELi64ELi256ELb1ELi12EEvPKT_PKT0_S8_ifPKiSA_SA_iPKfiiiPfSD_PS3_PT2_iSC_SC_.has_recursion, or(0, .L__assert_fail.has_recursion)
	.set _Z39paged_attention_ll4mi_QKV_mfma16_kernelI14__hip_bfloat16hLN4vllm18Fp8KVCacheDataTypeE1EhLi32ELi64ELi256ELb1ELi12EEvPKT_PKT0_S8_ifPKiSA_SA_iPKfiiiPfSD_PS3_PT2_iSC_SC_.has_indirect_call, or(0, .L__assert_fail.has_indirect_call)
	.section	.AMDGPU.csdata,"",@progbits
; Kernel info:
; codeLenInByte = 68
; TotalNumSgprs: 36
; NumVgprs: 51
; ScratchSize: 64
; MemoryBound: 0
; FloatMode: 240
; IeeeMode: 1
; LDSByteSize: 0 bytes/workgroup (compile time only)
; SGPRBlocks: 0
; VGPRBlocks: 3
; NumSGPRsForWavesPerEU: 36
; NumVGPRsForWavesPerEU: 51
; NamedBarCnt: 0
; Occupancy: 16
; WaveLimiterHint : 1
; COMPUTE_PGM_RSRC2:SCRATCH_EN: 1
; COMPUTE_PGM_RSRC2:USER_SGPR: 2
; COMPUTE_PGM_RSRC2:TRAP_HANDLER: 0
; COMPUTE_PGM_RSRC2:TGID_X_EN: 1
; COMPUTE_PGM_RSRC2:TGID_Y_EN: 0
; COMPUTE_PGM_RSRC2:TGID_Z_EN: 0
; COMPUTE_PGM_RSRC2:TIDIG_COMP_CNT: 0
	.section	.text._Z39paged_attention_ll4mi_QKV_mfma16_kernelI14__hip_bfloat16hLN4vllm18Fp8KVCacheDataTypeE1EhLi32ELi64ELi256ELb1ELi13EEvPKT_PKT0_S8_ifPKiSA_SA_iPKfiiiPfSD_PS3_PT2_iSC_SC_,"axG",@progbits,_Z39paged_attention_ll4mi_QKV_mfma16_kernelI14__hip_bfloat16hLN4vllm18Fp8KVCacheDataTypeE1EhLi32ELi64ELi256ELb1ELi13EEvPKT_PKT0_S8_ifPKiSA_SA_iPKfiiiPfSD_PS3_PT2_iSC_SC_,comdat
	.protected	_Z39paged_attention_ll4mi_QKV_mfma16_kernelI14__hip_bfloat16hLN4vllm18Fp8KVCacheDataTypeE1EhLi32ELi64ELi256ELb1ELi13EEvPKT_PKT0_S8_ifPKiSA_SA_iPKfiiiPfSD_PS3_PT2_iSC_SC_ ; -- Begin function _Z39paged_attention_ll4mi_QKV_mfma16_kernelI14__hip_bfloat16hLN4vllm18Fp8KVCacheDataTypeE1EhLi32ELi64ELi256ELb1ELi13EEvPKT_PKT0_S8_ifPKiSA_SA_iPKfiiiPfSD_PS3_PT2_iSC_SC_
	.globl	_Z39paged_attention_ll4mi_QKV_mfma16_kernelI14__hip_bfloat16hLN4vllm18Fp8KVCacheDataTypeE1EhLi32ELi64ELi256ELb1ELi13EEvPKT_PKT0_S8_ifPKiSA_SA_iPKfiiiPfSD_PS3_PT2_iSC_SC_
	.p2align	8
	.type	_Z39paged_attention_ll4mi_QKV_mfma16_kernelI14__hip_bfloat16hLN4vllm18Fp8KVCacheDataTypeE1EhLi32ELi64ELi256ELb1ELi13EEvPKT_PKT0_S8_ifPKiSA_SA_iPKfiiiPfSD_PS3_PT2_iSC_SC_,@function
_Z39paged_attention_ll4mi_QKV_mfma16_kernelI14__hip_bfloat16hLN4vllm18Fp8KVCacheDataTypeE1EhLi32ELi64ELi256ELb1ELi13EEvPKT_PKT0_S8_ifPKiSA_SA_iPKfiiiPfSD_PS3_PT2_iSC_SC_: ; @_Z39paged_attention_ll4mi_QKV_mfma16_kernelI14__hip_bfloat16hLN4vllm18Fp8KVCacheDataTypeE1EhLi32ELi64ELi256ELb1ELi13EEvPKT_PKT0_S8_ifPKiSA_SA_iPKfiiiPfSD_PS3_PT2_iSC_SC_
; %bb.0:
	s_get_pc_i64 s[2:3]
	s_add_nc_u64 s[2:3], s[2:3], __PRETTY_FUNCTION__._Z39paged_attention_ll4mi_QKV_mfma16_kernelI14__hip_bfloat16hLN4vllm18Fp8KVCacheDataTypeE1EhLi32ELi64ELi256ELb1ELi13EEvPKT_PKT0_S8_ifPKiSA_SA_iPKfiiiPfSD_PS3_PT2_iSC_SC_@rel64+4
	s_delay_alu instid0(SALU_CYCLE_1)
	v_dual_mov_b32 v0, 0xbb3 :: v_dual_mov_b32 v1, s2
	v_mov_b32_e32 v2, s3
	s_add_nc_u64 s[8:9], s[0:1], 0x90
	s_get_pc_i64 s[0:1]
	s_add_nc_u64 s[0:1], s[0:1], __assert_fail@rel64+4
	s_mov_b32 s32, 0
	s_swap_pc_i64 s[30:31], s[0:1]
	.section	.rodata,"a",@progbits
	.p2align	6, 0x0
	.amdhsa_kernel _Z39paged_attention_ll4mi_QKV_mfma16_kernelI14__hip_bfloat16hLN4vllm18Fp8KVCacheDataTypeE1EhLi32ELi64ELi256ELb1ELi13EEvPKT_PKT0_S8_ifPKiSA_SA_iPKfiiiPfSD_PS3_PT2_iSC_SC_
		.amdhsa_group_segment_fixed_size 0
		.amdhsa_private_segment_fixed_size 64
		.amdhsa_kernarg_size 400
		.amdhsa_user_sgpr_count 2
		.amdhsa_user_sgpr_dispatch_ptr 0
		.amdhsa_user_sgpr_queue_ptr 0
		.amdhsa_user_sgpr_kernarg_segment_ptr 1
		.amdhsa_user_sgpr_dispatch_id 0
		.amdhsa_user_sgpr_kernarg_preload_length 0
		.amdhsa_user_sgpr_kernarg_preload_offset 0
		.amdhsa_user_sgpr_private_segment_size 0
		.amdhsa_wavefront_size32 1
		.amdhsa_uses_dynamic_stack 0
		.amdhsa_enable_private_segment 1
		.amdhsa_system_sgpr_workgroup_id_x 1
		.amdhsa_system_sgpr_workgroup_id_y 0
		.amdhsa_system_sgpr_workgroup_id_z 0
		.amdhsa_system_sgpr_workgroup_info 0
		.amdhsa_system_vgpr_workitem_id 0
		.amdhsa_next_free_vgpr 51
		.amdhsa_next_free_sgpr 34
		.amdhsa_named_barrier_count 0
		.amdhsa_reserve_vcc 1
		.amdhsa_float_round_mode_32 0
		.amdhsa_float_round_mode_16_64 0
		.amdhsa_float_denorm_mode_32 3
		.amdhsa_float_denorm_mode_16_64 3
		.amdhsa_fp16_overflow 0
		.amdhsa_memory_ordered 1
		.amdhsa_forward_progress 1
		.amdhsa_inst_pref_size 1
		.amdhsa_round_robin_scheduling 0
		.amdhsa_exception_fp_ieee_invalid_op 0
		.amdhsa_exception_fp_denorm_src 0
		.amdhsa_exception_fp_ieee_div_zero 0
		.amdhsa_exception_fp_ieee_overflow 0
		.amdhsa_exception_fp_ieee_underflow 0
		.amdhsa_exception_fp_ieee_inexact 0
		.amdhsa_exception_int_div_zero 0
	.end_amdhsa_kernel
	.section	.text._Z39paged_attention_ll4mi_QKV_mfma16_kernelI14__hip_bfloat16hLN4vllm18Fp8KVCacheDataTypeE1EhLi32ELi64ELi256ELb1ELi13EEvPKT_PKT0_S8_ifPKiSA_SA_iPKfiiiPfSD_PS3_PT2_iSC_SC_,"axG",@progbits,_Z39paged_attention_ll4mi_QKV_mfma16_kernelI14__hip_bfloat16hLN4vllm18Fp8KVCacheDataTypeE1EhLi32ELi64ELi256ELb1ELi13EEvPKT_PKT0_S8_ifPKiSA_SA_iPKfiiiPfSD_PS3_PT2_iSC_SC_,comdat
.Lfunc_end1182:
	.size	_Z39paged_attention_ll4mi_QKV_mfma16_kernelI14__hip_bfloat16hLN4vllm18Fp8KVCacheDataTypeE1EhLi32ELi64ELi256ELb1ELi13EEvPKT_PKT0_S8_ifPKiSA_SA_iPKfiiiPfSD_PS3_PT2_iSC_SC_, .Lfunc_end1182-_Z39paged_attention_ll4mi_QKV_mfma16_kernelI14__hip_bfloat16hLN4vllm18Fp8KVCacheDataTypeE1EhLi32ELi64ELi256ELb1ELi13EEvPKT_PKT0_S8_ifPKiSA_SA_iPKfiiiPfSD_PS3_PT2_iSC_SC_
                                        ; -- End function
	.set _Z39paged_attention_ll4mi_QKV_mfma16_kernelI14__hip_bfloat16hLN4vllm18Fp8KVCacheDataTypeE1EhLi32ELi64ELi256ELb1ELi13EEvPKT_PKT0_S8_ifPKiSA_SA_iPKfiiiPfSD_PS3_PT2_iSC_SC_.num_vgpr, max(3, .L__assert_fail.num_vgpr)
	.set _Z39paged_attention_ll4mi_QKV_mfma16_kernelI14__hip_bfloat16hLN4vllm18Fp8KVCacheDataTypeE1EhLi32ELi64ELi256ELb1ELi13EEvPKT_PKT0_S8_ifPKiSA_SA_iPKfiiiPfSD_PS3_PT2_iSC_SC_.num_agpr, max(0, .L__assert_fail.num_agpr)
	.set _Z39paged_attention_ll4mi_QKV_mfma16_kernelI14__hip_bfloat16hLN4vllm18Fp8KVCacheDataTypeE1EhLi32ELi64ELi256ELb1ELi13EEvPKT_PKT0_S8_ifPKiSA_SA_iPKfiiiPfSD_PS3_PT2_iSC_SC_.numbered_sgpr, max(33, .L__assert_fail.numbered_sgpr)
	.set _Z39paged_attention_ll4mi_QKV_mfma16_kernelI14__hip_bfloat16hLN4vllm18Fp8KVCacheDataTypeE1EhLi32ELi64ELi256ELb1ELi13EEvPKT_PKT0_S8_ifPKiSA_SA_iPKfiiiPfSD_PS3_PT2_iSC_SC_.num_named_barrier, max(0, .L__assert_fail.num_named_barrier)
	.set _Z39paged_attention_ll4mi_QKV_mfma16_kernelI14__hip_bfloat16hLN4vllm18Fp8KVCacheDataTypeE1EhLi32ELi64ELi256ELb1ELi13EEvPKT_PKT0_S8_ifPKiSA_SA_iPKfiiiPfSD_PS3_PT2_iSC_SC_.private_seg_size, 0+max(.L__assert_fail.private_seg_size)
	.set _Z39paged_attention_ll4mi_QKV_mfma16_kernelI14__hip_bfloat16hLN4vllm18Fp8KVCacheDataTypeE1EhLi32ELi64ELi256ELb1ELi13EEvPKT_PKT0_S8_ifPKiSA_SA_iPKfiiiPfSD_PS3_PT2_iSC_SC_.uses_vcc, or(1, .L__assert_fail.uses_vcc)
	.set _Z39paged_attention_ll4mi_QKV_mfma16_kernelI14__hip_bfloat16hLN4vllm18Fp8KVCacheDataTypeE1EhLi32ELi64ELi256ELb1ELi13EEvPKT_PKT0_S8_ifPKiSA_SA_iPKfiiiPfSD_PS3_PT2_iSC_SC_.uses_flat_scratch, or(0, .L__assert_fail.uses_flat_scratch)
	.set _Z39paged_attention_ll4mi_QKV_mfma16_kernelI14__hip_bfloat16hLN4vllm18Fp8KVCacheDataTypeE1EhLi32ELi64ELi256ELb1ELi13EEvPKT_PKT0_S8_ifPKiSA_SA_iPKfiiiPfSD_PS3_PT2_iSC_SC_.has_dyn_sized_stack, or(0, .L__assert_fail.has_dyn_sized_stack)
	.set _Z39paged_attention_ll4mi_QKV_mfma16_kernelI14__hip_bfloat16hLN4vllm18Fp8KVCacheDataTypeE1EhLi32ELi64ELi256ELb1ELi13EEvPKT_PKT0_S8_ifPKiSA_SA_iPKfiiiPfSD_PS3_PT2_iSC_SC_.has_recursion, or(0, .L__assert_fail.has_recursion)
	.set _Z39paged_attention_ll4mi_QKV_mfma16_kernelI14__hip_bfloat16hLN4vllm18Fp8KVCacheDataTypeE1EhLi32ELi64ELi256ELb1ELi13EEvPKT_PKT0_S8_ifPKiSA_SA_iPKfiiiPfSD_PS3_PT2_iSC_SC_.has_indirect_call, or(0, .L__assert_fail.has_indirect_call)
	.section	.AMDGPU.csdata,"",@progbits
; Kernel info:
; codeLenInByte = 68
; TotalNumSgprs: 36
; NumVgprs: 51
; ScratchSize: 64
; MemoryBound: 0
; FloatMode: 240
; IeeeMode: 1
; LDSByteSize: 0 bytes/workgroup (compile time only)
; SGPRBlocks: 0
; VGPRBlocks: 3
; NumSGPRsForWavesPerEU: 36
; NumVGPRsForWavesPerEU: 51
; NamedBarCnt: 0
; Occupancy: 16
; WaveLimiterHint : 1
; COMPUTE_PGM_RSRC2:SCRATCH_EN: 1
; COMPUTE_PGM_RSRC2:USER_SGPR: 2
; COMPUTE_PGM_RSRC2:TRAP_HANDLER: 0
; COMPUTE_PGM_RSRC2:TGID_X_EN: 1
; COMPUTE_PGM_RSRC2:TGID_Y_EN: 0
; COMPUTE_PGM_RSRC2:TGID_Z_EN: 0
; COMPUTE_PGM_RSRC2:TIDIG_COMP_CNT: 0
	.section	.text._Z39paged_attention_ll4mi_QKV_mfma16_kernelI14__hip_bfloat16hLN4vllm18Fp8KVCacheDataTypeE1EhLi32ELi64ELi256ELb1ELi14EEvPKT_PKT0_S8_ifPKiSA_SA_iPKfiiiPfSD_PS3_PT2_iSC_SC_,"axG",@progbits,_Z39paged_attention_ll4mi_QKV_mfma16_kernelI14__hip_bfloat16hLN4vllm18Fp8KVCacheDataTypeE1EhLi32ELi64ELi256ELb1ELi14EEvPKT_PKT0_S8_ifPKiSA_SA_iPKfiiiPfSD_PS3_PT2_iSC_SC_,comdat
	.protected	_Z39paged_attention_ll4mi_QKV_mfma16_kernelI14__hip_bfloat16hLN4vllm18Fp8KVCacheDataTypeE1EhLi32ELi64ELi256ELb1ELi14EEvPKT_PKT0_S8_ifPKiSA_SA_iPKfiiiPfSD_PS3_PT2_iSC_SC_ ; -- Begin function _Z39paged_attention_ll4mi_QKV_mfma16_kernelI14__hip_bfloat16hLN4vllm18Fp8KVCacheDataTypeE1EhLi32ELi64ELi256ELb1ELi14EEvPKT_PKT0_S8_ifPKiSA_SA_iPKfiiiPfSD_PS3_PT2_iSC_SC_
	.globl	_Z39paged_attention_ll4mi_QKV_mfma16_kernelI14__hip_bfloat16hLN4vllm18Fp8KVCacheDataTypeE1EhLi32ELi64ELi256ELb1ELi14EEvPKT_PKT0_S8_ifPKiSA_SA_iPKfiiiPfSD_PS3_PT2_iSC_SC_
	.p2align	8
	.type	_Z39paged_attention_ll4mi_QKV_mfma16_kernelI14__hip_bfloat16hLN4vllm18Fp8KVCacheDataTypeE1EhLi32ELi64ELi256ELb1ELi14EEvPKT_PKT0_S8_ifPKiSA_SA_iPKfiiiPfSD_PS3_PT2_iSC_SC_,@function
_Z39paged_attention_ll4mi_QKV_mfma16_kernelI14__hip_bfloat16hLN4vllm18Fp8KVCacheDataTypeE1EhLi32ELi64ELi256ELb1ELi14EEvPKT_PKT0_S8_ifPKiSA_SA_iPKfiiiPfSD_PS3_PT2_iSC_SC_: ; @_Z39paged_attention_ll4mi_QKV_mfma16_kernelI14__hip_bfloat16hLN4vllm18Fp8KVCacheDataTypeE1EhLi32ELi64ELi256ELb1ELi14EEvPKT_PKT0_S8_ifPKiSA_SA_iPKfiiiPfSD_PS3_PT2_iSC_SC_
; %bb.0:
	s_get_pc_i64 s[2:3]
	s_add_nc_u64 s[2:3], s[2:3], __PRETTY_FUNCTION__._Z39paged_attention_ll4mi_QKV_mfma16_kernelI14__hip_bfloat16hLN4vllm18Fp8KVCacheDataTypeE1EhLi32ELi64ELi256ELb1ELi14EEvPKT_PKT0_S8_ifPKiSA_SA_iPKfiiiPfSD_PS3_PT2_iSC_SC_@rel64+4
	s_delay_alu instid0(SALU_CYCLE_1)
	v_dual_mov_b32 v0, 0xbb3 :: v_dual_mov_b32 v1, s2
	v_mov_b32_e32 v2, s3
	s_add_nc_u64 s[8:9], s[0:1], 0x90
	s_get_pc_i64 s[0:1]
	s_add_nc_u64 s[0:1], s[0:1], __assert_fail@rel64+4
	s_mov_b32 s32, 0
	s_swap_pc_i64 s[30:31], s[0:1]
	.section	.rodata,"a",@progbits
	.p2align	6, 0x0
	.amdhsa_kernel _Z39paged_attention_ll4mi_QKV_mfma16_kernelI14__hip_bfloat16hLN4vllm18Fp8KVCacheDataTypeE1EhLi32ELi64ELi256ELb1ELi14EEvPKT_PKT0_S8_ifPKiSA_SA_iPKfiiiPfSD_PS3_PT2_iSC_SC_
		.amdhsa_group_segment_fixed_size 0
		.amdhsa_private_segment_fixed_size 64
		.amdhsa_kernarg_size 400
		.amdhsa_user_sgpr_count 2
		.amdhsa_user_sgpr_dispatch_ptr 0
		.amdhsa_user_sgpr_queue_ptr 0
		.amdhsa_user_sgpr_kernarg_segment_ptr 1
		.amdhsa_user_sgpr_dispatch_id 0
		.amdhsa_user_sgpr_kernarg_preload_length 0
		.amdhsa_user_sgpr_kernarg_preload_offset 0
		.amdhsa_user_sgpr_private_segment_size 0
		.amdhsa_wavefront_size32 1
		.amdhsa_uses_dynamic_stack 0
		.amdhsa_enable_private_segment 1
		.amdhsa_system_sgpr_workgroup_id_x 1
		.amdhsa_system_sgpr_workgroup_id_y 0
		.amdhsa_system_sgpr_workgroup_id_z 0
		.amdhsa_system_sgpr_workgroup_info 0
		.amdhsa_system_vgpr_workitem_id 0
		.amdhsa_next_free_vgpr 51
		.amdhsa_next_free_sgpr 34
		.amdhsa_named_barrier_count 0
		.amdhsa_reserve_vcc 1
		.amdhsa_float_round_mode_32 0
		.amdhsa_float_round_mode_16_64 0
		.amdhsa_float_denorm_mode_32 3
		.amdhsa_float_denorm_mode_16_64 3
		.amdhsa_fp16_overflow 0
		.amdhsa_memory_ordered 1
		.amdhsa_forward_progress 1
		.amdhsa_inst_pref_size 1
		.amdhsa_round_robin_scheduling 0
		.amdhsa_exception_fp_ieee_invalid_op 0
		.amdhsa_exception_fp_denorm_src 0
		.amdhsa_exception_fp_ieee_div_zero 0
		.amdhsa_exception_fp_ieee_overflow 0
		.amdhsa_exception_fp_ieee_underflow 0
		.amdhsa_exception_fp_ieee_inexact 0
		.amdhsa_exception_int_div_zero 0
	.end_amdhsa_kernel
	.section	.text._Z39paged_attention_ll4mi_QKV_mfma16_kernelI14__hip_bfloat16hLN4vllm18Fp8KVCacheDataTypeE1EhLi32ELi64ELi256ELb1ELi14EEvPKT_PKT0_S8_ifPKiSA_SA_iPKfiiiPfSD_PS3_PT2_iSC_SC_,"axG",@progbits,_Z39paged_attention_ll4mi_QKV_mfma16_kernelI14__hip_bfloat16hLN4vllm18Fp8KVCacheDataTypeE1EhLi32ELi64ELi256ELb1ELi14EEvPKT_PKT0_S8_ifPKiSA_SA_iPKfiiiPfSD_PS3_PT2_iSC_SC_,comdat
.Lfunc_end1183:
	.size	_Z39paged_attention_ll4mi_QKV_mfma16_kernelI14__hip_bfloat16hLN4vllm18Fp8KVCacheDataTypeE1EhLi32ELi64ELi256ELb1ELi14EEvPKT_PKT0_S8_ifPKiSA_SA_iPKfiiiPfSD_PS3_PT2_iSC_SC_, .Lfunc_end1183-_Z39paged_attention_ll4mi_QKV_mfma16_kernelI14__hip_bfloat16hLN4vllm18Fp8KVCacheDataTypeE1EhLi32ELi64ELi256ELb1ELi14EEvPKT_PKT0_S8_ifPKiSA_SA_iPKfiiiPfSD_PS3_PT2_iSC_SC_
                                        ; -- End function
	.set _Z39paged_attention_ll4mi_QKV_mfma16_kernelI14__hip_bfloat16hLN4vllm18Fp8KVCacheDataTypeE1EhLi32ELi64ELi256ELb1ELi14EEvPKT_PKT0_S8_ifPKiSA_SA_iPKfiiiPfSD_PS3_PT2_iSC_SC_.num_vgpr, max(3, .L__assert_fail.num_vgpr)
	.set _Z39paged_attention_ll4mi_QKV_mfma16_kernelI14__hip_bfloat16hLN4vllm18Fp8KVCacheDataTypeE1EhLi32ELi64ELi256ELb1ELi14EEvPKT_PKT0_S8_ifPKiSA_SA_iPKfiiiPfSD_PS3_PT2_iSC_SC_.num_agpr, max(0, .L__assert_fail.num_agpr)
	.set _Z39paged_attention_ll4mi_QKV_mfma16_kernelI14__hip_bfloat16hLN4vllm18Fp8KVCacheDataTypeE1EhLi32ELi64ELi256ELb1ELi14EEvPKT_PKT0_S8_ifPKiSA_SA_iPKfiiiPfSD_PS3_PT2_iSC_SC_.numbered_sgpr, max(33, .L__assert_fail.numbered_sgpr)
	.set _Z39paged_attention_ll4mi_QKV_mfma16_kernelI14__hip_bfloat16hLN4vllm18Fp8KVCacheDataTypeE1EhLi32ELi64ELi256ELb1ELi14EEvPKT_PKT0_S8_ifPKiSA_SA_iPKfiiiPfSD_PS3_PT2_iSC_SC_.num_named_barrier, max(0, .L__assert_fail.num_named_barrier)
	.set _Z39paged_attention_ll4mi_QKV_mfma16_kernelI14__hip_bfloat16hLN4vllm18Fp8KVCacheDataTypeE1EhLi32ELi64ELi256ELb1ELi14EEvPKT_PKT0_S8_ifPKiSA_SA_iPKfiiiPfSD_PS3_PT2_iSC_SC_.private_seg_size, 0+max(.L__assert_fail.private_seg_size)
	.set _Z39paged_attention_ll4mi_QKV_mfma16_kernelI14__hip_bfloat16hLN4vllm18Fp8KVCacheDataTypeE1EhLi32ELi64ELi256ELb1ELi14EEvPKT_PKT0_S8_ifPKiSA_SA_iPKfiiiPfSD_PS3_PT2_iSC_SC_.uses_vcc, or(1, .L__assert_fail.uses_vcc)
	.set _Z39paged_attention_ll4mi_QKV_mfma16_kernelI14__hip_bfloat16hLN4vllm18Fp8KVCacheDataTypeE1EhLi32ELi64ELi256ELb1ELi14EEvPKT_PKT0_S8_ifPKiSA_SA_iPKfiiiPfSD_PS3_PT2_iSC_SC_.uses_flat_scratch, or(0, .L__assert_fail.uses_flat_scratch)
	.set _Z39paged_attention_ll4mi_QKV_mfma16_kernelI14__hip_bfloat16hLN4vllm18Fp8KVCacheDataTypeE1EhLi32ELi64ELi256ELb1ELi14EEvPKT_PKT0_S8_ifPKiSA_SA_iPKfiiiPfSD_PS3_PT2_iSC_SC_.has_dyn_sized_stack, or(0, .L__assert_fail.has_dyn_sized_stack)
	.set _Z39paged_attention_ll4mi_QKV_mfma16_kernelI14__hip_bfloat16hLN4vllm18Fp8KVCacheDataTypeE1EhLi32ELi64ELi256ELb1ELi14EEvPKT_PKT0_S8_ifPKiSA_SA_iPKfiiiPfSD_PS3_PT2_iSC_SC_.has_recursion, or(0, .L__assert_fail.has_recursion)
	.set _Z39paged_attention_ll4mi_QKV_mfma16_kernelI14__hip_bfloat16hLN4vllm18Fp8KVCacheDataTypeE1EhLi32ELi64ELi256ELb1ELi14EEvPKT_PKT0_S8_ifPKiSA_SA_iPKfiiiPfSD_PS3_PT2_iSC_SC_.has_indirect_call, or(0, .L__assert_fail.has_indirect_call)
	.section	.AMDGPU.csdata,"",@progbits
; Kernel info:
; codeLenInByte = 68
; TotalNumSgprs: 36
; NumVgprs: 51
; ScratchSize: 64
; MemoryBound: 0
; FloatMode: 240
; IeeeMode: 1
; LDSByteSize: 0 bytes/workgroup (compile time only)
; SGPRBlocks: 0
; VGPRBlocks: 3
; NumSGPRsForWavesPerEU: 36
; NumVGPRsForWavesPerEU: 51
; NamedBarCnt: 0
; Occupancy: 16
; WaveLimiterHint : 1
; COMPUTE_PGM_RSRC2:SCRATCH_EN: 1
; COMPUTE_PGM_RSRC2:USER_SGPR: 2
; COMPUTE_PGM_RSRC2:TRAP_HANDLER: 0
; COMPUTE_PGM_RSRC2:TGID_X_EN: 1
; COMPUTE_PGM_RSRC2:TGID_Y_EN: 0
; COMPUTE_PGM_RSRC2:TGID_Z_EN: 0
; COMPUTE_PGM_RSRC2:TIDIG_COMP_CNT: 0
	.section	.text._Z39paged_attention_ll4mi_QKV_mfma16_kernelI14__hip_bfloat16hLN4vllm18Fp8KVCacheDataTypeE1EhLi32ELi64ELi256ELb1ELi15EEvPKT_PKT0_S8_ifPKiSA_SA_iPKfiiiPfSD_PS3_PT2_iSC_SC_,"axG",@progbits,_Z39paged_attention_ll4mi_QKV_mfma16_kernelI14__hip_bfloat16hLN4vllm18Fp8KVCacheDataTypeE1EhLi32ELi64ELi256ELb1ELi15EEvPKT_PKT0_S8_ifPKiSA_SA_iPKfiiiPfSD_PS3_PT2_iSC_SC_,comdat
	.protected	_Z39paged_attention_ll4mi_QKV_mfma16_kernelI14__hip_bfloat16hLN4vllm18Fp8KVCacheDataTypeE1EhLi32ELi64ELi256ELb1ELi15EEvPKT_PKT0_S8_ifPKiSA_SA_iPKfiiiPfSD_PS3_PT2_iSC_SC_ ; -- Begin function _Z39paged_attention_ll4mi_QKV_mfma16_kernelI14__hip_bfloat16hLN4vllm18Fp8KVCacheDataTypeE1EhLi32ELi64ELi256ELb1ELi15EEvPKT_PKT0_S8_ifPKiSA_SA_iPKfiiiPfSD_PS3_PT2_iSC_SC_
	.globl	_Z39paged_attention_ll4mi_QKV_mfma16_kernelI14__hip_bfloat16hLN4vllm18Fp8KVCacheDataTypeE1EhLi32ELi64ELi256ELb1ELi15EEvPKT_PKT0_S8_ifPKiSA_SA_iPKfiiiPfSD_PS3_PT2_iSC_SC_
	.p2align	8
	.type	_Z39paged_attention_ll4mi_QKV_mfma16_kernelI14__hip_bfloat16hLN4vllm18Fp8KVCacheDataTypeE1EhLi32ELi64ELi256ELb1ELi15EEvPKT_PKT0_S8_ifPKiSA_SA_iPKfiiiPfSD_PS3_PT2_iSC_SC_,@function
_Z39paged_attention_ll4mi_QKV_mfma16_kernelI14__hip_bfloat16hLN4vllm18Fp8KVCacheDataTypeE1EhLi32ELi64ELi256ELb1ELi15EEvPKT_PKT0_S8_ifPKiSA_SA_iPKfiiiPfSD_PS3_PT2_iSC_SC_: ; @_Z39paged_attention_ll4mi_QKV_mfma16_kernelI14__hip_bfloat16hLN4vllm18Fp8KVCacheDataTypeE1EhLi32ELi64ELi256ELb1ELi15EEvPKT_PKT0_S8_ifPKiSA_SA_iPKfiiiPfSD_PS3_PT2_iSC_SC_
; %bb.0:
	s_get_pc_i64 s[2:3]
	s_add_nc_u64 s[2:3], s[2:3], __PRETTY_FUNCTION__._Z39paged_attention_ll4mi_QKV_mfma16_kernelI14__hip_bfloat16hLN4vllm18Fp8KVCacheDataTypeE1EhLi32ELi64ELi256ELb1ELi15EEvPKT_PKT0_S8_ifPKiSA_SA_iPKfiiiPfSD_PS3_PT2_iSC_SC_@rel64+4
	s_delay_alu instid0(SALU_CYCLE_1)
	v_dual_mov_b32 v0, 0xbb3 :: v_dual_mov_b32 v1, s2
	v_mov_b32_e32 v2, s3
	s_add_nc_u64 s[8:9], s[0:1], 0x90
	s_get_pc_i64 s[0:1]
	s_add_nc_u64 s[0:1], s[0:1], __assert_fail@rel64+4
	s_mov_b32 s32, 0
	s_swap_pc_i64 s[30:31], s[0:1]
	.section	.rodata,"a",@progbits
	.p2align	6, 0x0
	.amdhsa_kernel _Z39paged_attention_ll4mi_QKV_mfma16_kernelI14__hip_bfloat16hLN4vllm18Fp8KVCacheDataTypeE1EhLi32ELi64ELi256ELb1ELi15EEvPKT_PKT0_S8_ifPKiSA_SA_iPKfiiiPfSD_PS3_PT2_iSC_SC_
		.amdhsa_group_segment_fixed_size 0
		.amdhsa_private_segment_fixed_size 64
		.amdhsa_kernarg_size 400
		.amdhsa_user_sgpr_count 2
		.amdhsa_user_sgpr_dispatch_ptr 0
		.amdhsa_user_sgpr_queue_ptr 0
		.amdhsa_user_sgpr_kernarg_segment_ptr 1
		.amdhsa_user_sgpr_dispatch_id 0
		.amdhsa_user_sgpr_kernarg_preload_length 0
		.amdhsa_user_sgpr_kernarg_preload_offset 0
		.amdhsa_user_sgpr_private_segment_size 0
		.amdhsa_wavefront_size32 1
		.amdhsa_uses_dynamic_stack 0
		.amdhsa_enable_private_segment 1
		.amdhsa_system_sgpr_workgroup_id_x 1
		.amdhsa_system_sgpr_workgroup_id_y 0
		.amdhsa_system_sgpr_workgroup_id_z 0
		.amdhsa_system_sgpr_workgroup_info 0
		.amdhsa_system_vgpr_workitem_id 0
		.amdhsa_next_free_vgpr 51
		.amdhsa_next_free_sgpr 34
		.amdhsa_named_barrier_count 0
		.amdhsa_reserve_vcc 1
		.amdhsa_float_round_mode_32 0
		.amdhsa_float_round_mode_16_64 0
		.amdhsa_float_denorm_mode_32 3
		.amdhsa_float_denorm_mode_16_64 3
		.amdhsa_fp16_overflow 0
		.amdhsa_memory_ordered 1
		.amdhsa_forward_progress 1
		.amdhsa_inst_pref_size 1
		.amdhsa_round_robin_scheduling 0
		.amdhsa_exception_fp_ieee_invalid_op 0
		.amdhsa_exception_fp_denorm_src 0
		.amdhsa_exception_fp_ieee_div_zero 0
		.amdhsa_exception_fp_ieee_overflow 0
		.amdhsa_exception_fp_ieee_underflow 0
		.amdhsa_exception_fp_ieee_inexact 0
		.amdhsa_exception_int_div_zero 0
	.end_amdhsa_kernel
	.section	.text._Z39paged_attention_ll4mi_QKV_mfma16_kernelI14__hip_bfloat16hLN4vllm18Fp8KVCacheDataTypeE1EhLi32ELi64ELi256ELb1ELi15EEvPKT_PKT0_S8_ifPKiSA_SA_iPKfiiiPfSD_PS3_PT2_iSC_SC_,"axG",@progbits,_Z39paged_attention_ll4mi_QKV_mfma16_kernelI14__hip_bfloat16hLN4vllm18Fp8KVCacheDataTypeE1EhLi32ELi64ELi256ELb1ELi15EEvPKT_PKT0_S8_ifPKiSA_SA_iPKfiiiPfSD_PS3_PT2_iSC_SC_,comdat
.Lfunc_end1184:
	.size	_Z39paged_attention_ll4mi_QKV_mfma16_kernelI14__hip_bfloat16hLN4vllm18Fp8KVCacheDataTypeE1EhLi32ELi64ELi256ELb1ELi15EEvPKT_PKT0_S8_ifPKiSA_SA_iPKfiiiPfSD_PS3_PT2_iSC_SC_, .Lfunc_end1184-_Z39paged_attention_ll4mi_QKV_mfma16_kernelI14__hip_bfloat16hLN4vllm18Fp8KVCacheDataTypeE1EhLi32ELi64ELi256ELb1ELi15EEvPKT_PKT0_S8_ifPKiSA_SA_iPKfiiiPfSD_PS3_PT2_iSC_SC_
                                        ; -- End function
	.set _Z39paged_attention_ll4mi_QKV_mfma16_kernelI14__hip_bfloat16hLN4vllm18Fp8KVCacheDataTypeE1EhLi32ELi64ELi256ELb1ELi15EEvPKT_PKT0_S8_ifPKiSA_SA_iPKfiiiPfSD_PS3_PT2_iSC_SC_.num_vgpr, max(3, .L__assert_fail.num_vgpr)
	.set _Z39paged_attention_ll4mi_QKV_mfma16_kernelI14__hip_bfloat16hLN4vllm18Fp8KVCacheDataTypeE1EhLi32ELi64ELi256ELb1ELi15EEvPKT_PKT0_S8_ifPKiSA_SA_iPKfiiiPfSD_PS3_PT2_iSC_SC_.num_agpr, max(0, .L__assert_fail.num_agpr)
	.set _Z39paged_attention_ll4mi_QKV_mfma16_kernelI14__hip_bfloat16hLN4vllm18Fp8KVCacheDataTypeE1EhLi32ELi64ELi256ELb1ELi15EEvPKT_PKT0_S8_ifPKiSA_SA_iPKfiiiPfSD_PS3_PT2_iSC_SC_.numbered_sgpr, max(33, .L__assert_fail.numbered_sgpr)
	.set _Z39paged_attention_ll4mi_QKV_mfma16_kernelI14__hip_bfloat16hLN4vllm18Fp8KVCacheDataTypeE1EhLi32ELi64ELi256ELb1ELi15EEvPKT_PKT0_S8_ifPKiSA_SA_iPKfiiiPfSD_PS3_PT2_iSC_SC_.num_named_barrier, max(0, .L__assert_fail.num_named_barrier)
	.set _Z39paged_attention_ll4mi_QKV_mfma16_kernelI14__hip_bfloat16hLN4vllm18Fp8KVCacheDataTypeE1EhLi32ELi64ELi256ELb1ELi15EEvPKT_PKT0_S8_ifPKiSA_SA_iPKfiiiPfSD_PS3_PT2_iSC_SC_.private_seg_size, 0+max(.L__assert_fail.private_seg_size)
	.set _Z39paged_attention_ll4mi_QKV_mfma16_kernelI14__hip_bfloat16hLN4vllm18Fp8KVCacheDataTypeE1EhLi32ELi64ELi256ELb1ELi15EEvPKT_PKT0_S8_ifPKiSA_SA_iPKfiiiPfSD_PS3_PT2_iSC_SC_.uses_vcc, or(1, .L__assert_fail.uses_vcc)
	.set _Z39paged_attention_ll4mi_QKV_mfma16_kernelI14__hip_bfloat16hLN4vllm18Fp8KVCacheDataTypeE1EhLi32ELi64ELi256ELb1ELi15EEvPKT_PKT0_S8_ifPKiSA_SA_iPKfiiiPfSD_PS3_PT2_iSC_SC_.uses_flat_scratch, or(0, .L__assert_fail.uses_flat_scratch)
	.set _Z39paged_attention_ll4mi_QKV_mfma16_kernelI14__hip_bfloat16hLN4vllm18Fp8KVCacheDataTypeE1EhLi32ELi64ELi256ELb1ELi15EEvPKT_PKT0_S8_ifPKiSA_SA_iPKfiiiPfSD_PS3_PT2_iSC_SC_.has_dyn_sized_stack, or(0, .L__assert_fail.has_dyn_sized_stack)
	.set _Z39paged_attention_ll4mi_QKV_mfma16_kernelI14__hip_bfloat16hLN4vllm18Fp8KVCacheDataTypeE1EhLi32ELi64ELi256ELb1ELi15EEvPKT_PKT0_S8_ifPKiSA_SA_iPKfiiiPfSD_PS3_PT2_iSC_SC_.has_recursion, or(0, .L__assert_fail.has_recursion)
	.set _Z39paged_attention_ll4mi_QKV_mfma16_kernelI14__hip_bfloat16hLN4vllm18Fp8KVCacheDataTypeE1EhLi32ELi64ELi256ELb1ELi15EEvPKT_PKT0_S8_ifPKiSA_SA_iPKfiiiPfSD_PS3_PT2_iSC_SC_.has_indirect_call, or(0, .L__assert_fail.has_indirect_call)
	.section	.AMDGPU.csdata,"",@progbits
; Kernel info:
; codeLenInByte = 68
; TotalNumSgprs: 36
; NumVgprs: 51
; ScratchSize: 64
; MemoryBound: 0
; FloatMode: 240
; IeeeMode: 1
; LDSByteSize: 0 bytes/workgroup (compile time only)
; SGPRBlocks: 0
; VGPRBlocks: 3
; NumSGPRsForWavesPerEU: 36
; NumVGPRsForWavesPerEU: 51
; NamedBarCnt: 0
; Occupancy: 16
; WaveLimiterHint : 1
; COMPUTE_PGM_RSRC2:SCRATCH_EN: 1
; COMPUTE_PGM_RSRC2:USER_SGPR: 2
; COMPUTE_PGM_RSRC2:TRAP_HANDLER: 0
; COMPUTE_PGM_RSRC2:TGID_X_EN: 1
; COMPUTE_PGM_RSRC2:TGID_Y_EN: 0
; COMPUTE_PGM_RSRC2:TGID_Z_EN: 0
; COMPUTE_PGM_RSRC2:TIDIG_COMP_CNT: 0
	.section	.text._Z39paged_attention_ll4mi_QKV_mfma16_kernelI14__hip_bfloat16hLN4vllm18Fp8KVCacheDataTypeE1EhLi32ELi64ELi256ELb1ELi16EEvPKT_PKT0_S8_ifPKiSA_SA_iPKfiiiPfSD_PS3_PT2_iSC_SC_,"axG",@progbits,_Z39paged_attention_ll4mi_QKV_mfma16_kernelI14__hip_bfloat16hLN4vllm18Fp8KVCacheDataTypeE1EhLi32ELi64ELi256ELb1ELi16EEvPKT_PKT0_S8_ifPKiSA_SA_iPKfiiiPfSD_PS3_PT2_iSC_SC_,comdat
	.protected	_Z39paged_attention_ll4mi_QKV_mfma16_kernelI14__hip_bfloat16hLN4vllm18Fp8KVCacheDataTypeE1EhLi32ELi64ELi256ELb1ELi16EEvPKT_PKT0_S8_ifPKiSA_SA_iPKfiiiPfSD_PS3_PT2_iSC_SC_ ; -- Begin function _Z39paged_attention_ll4mi_QKV_mfma16_kernelI14__hip_bfloat16hLN4vllm18Fp8KVCacheDataTypeE1EhLi32ELi64ELi256ELb1ELi16EEvPKT_PKT0_S8_ifPKiSA_SA_iPKfiiiPfSD_PS3_PT2_iSC_SC_
	.globl	_Z39paged_attention_ll4mi_QKV_mfma16_kernelI14__hip_bfloat16hLN4vllm18Fp8KVCacheDataTypeE1EhLi32ELi64ELi256ELb1ELi16EEvPKT_PKT0_S8_ifPKiSA_SA_iPKfiiiPfSD_PS3_PT2_iSC_SC_
	.p2align	8
	.type	_Z39paged_attention_ll4mi_QKV_mfma16_kernelI14__hip_bfloat16hLN4vllm18Fp8KVCacheDataTypeE1EhLi32ELi64ELi256ELb1ELi16EEvPKT_PKT0_S8_ifPKiSA_SA_iPKfiiiPfSD_PS3_PT2_iSC_SC_,@function
_Z39paged_attention_ll4mi_QKV_mfma16_kernelI14__hip_bfloat16hLN4vllm18Fp8KVCacheDataTypeE1EhLi32ELi64ELi256ELb1ELi16EEvPKT_PKT0_S8_ifPKiSA_SA_iPKfiiiPfSD_PS3_PT2_iSC_SC_: ; @_Z39paged_attention_ll4mi_QKV_mfma16_kernelI14__hip_bfloat16hLN4vllm18Fp8KVCacheDataTypeE1EhLi32ELi64ELi256ELb1ELi16EEvPKT_PKT0_S8_ifPKiSA_SA_iPKfiiiPfSD_PS3_PT2_iSC_SC_
; %bb.0:
	s_get_pc_i64 s[2:3]
	s_add_nc_u64 s[2:3], s[2:3], __PRETTY_FUNCTION__._Z39paged_attention_ll4mi_QKV_mfma16_kernelI14__hip_bfloat16hLN4vllm18Fp8KVCacheDataTypeE1EhLi32ELi64ELi256ELb1ELi16EEvPKT_PKT0_S8_ifPKiSA_SA_iPKfiiiPfSD_PS3_PT2_iSC_SC_@rel64+4
	s_delay_alu instid0(SALU_CYCLE_1)
	v_dual_mov_b32 v0, 0xbb3 :: v_dual_mov_b32 v1, s2
	v_mov_b32_e32 v2, s3
	s_add_nc_u64 s[8:9], s[0:1], 0x90
	s_get_pc_i64 s[0:1]
	s_add_nc_u64 s[0:1], s[0:1], __assert_fail@rel64+4
	s_mov_b32 s32, 0
	s_swap_pc_i64 s[30:31], s[0:1]
	.section	.rodata,"a",@progbits
	.p2align	6, 0x0
	.amdhsa_kernel _Z39paged_attention_ll4mi_QKV_mfma16_kernelI14__hip_bfloat16hLN4vllm18Fp8KVCacheDataTypeE1EhLi32ELi64ELi256ELb1ELi16EEvPKT_PKT0_S8_ifPKiSA_SA_iPKfiiiPfSD_PS3_PT2_iSC_SC_
		.amdhsa_group_segment_fixed_size 0
		.amdhsa_private_segment_fixed_size 64
		.amdhsa_kernarg_size 400
		.amdhsa_user_sgpr_count 2
		.amdhsa_user_sgpr_dispatch_ptr 0
		.amdhsa_user_sgpr_queue_ptr 0
		.amdhsa_user_sgpr_kernarg_segment_ptr 1
		.amdhsa_user_sgpr_dispatch_id 0
		.amdhsa_user_sgpr_kernarg_preload_length 0
		.amdhsa_user_sgpr_kernarg_preload_offset 0
		.amdhsa_user_sgpr_private_segment_size 0
		.amdhsa_wavefront_size32 1
		.amdhsa_uses_dynamic_stack 0
		.amdhsa_enable_private_segment 1
		.amdhsa_system_sgpr_workgroup_id_x 1
		.amdhsa_system_sgpr_workgroup_id_y 0
		.amdhsa_system_sgpr_workgroup_id_z 0
		.amdhsa_system_sgpr_workgroup_info 0
		.amdhsa_system_vgpr_workitem_id 0
		.amdhsa_next_free_vgpr 51
		.amdhsa_next_free_sgpr 34
		.amdhsa_named_barrier_count 0
		.amdhsa_reserve_vcc 1
		.amdhsa_float_round_mode_32 0
		.amdhsa_float_round_mode_16_64 0
		.amdhsa_float_denorm_mode_32 3
		.amdhsa_float_denorm_mode_16_64 3
		.amdhsa_fp16_overflow 0
		.amdhsa_memory_ordered 1
		.amdhsa_forward_progress 1
		.amdhsa_inst_pref_size 1
		.amdhsa_round_robin_scheduling 0
		.amdhsa_exception_fp_ieee_invalid_op 0
		.amdhsa_exception_fp_denorm_src 0
		.amdhsa_exception_fp_ieee_div_zero 0
		.amdhsa_exception_fp_ieee_overflow 0
		.amdhsa_exception_fp_ieee_underflow 0
		.amdhsa_exception_fp_ieee_inexact 0
		.amdhsa_exception_int_div_zero 0
	.end_amdhsa_kernel
	.section	.text._Z39paged_attention_ll4mi_QKV_mfma16_kernelI14__hip_bfloat16hLN4vllm18Fp8KVCacheDataTypeE1EhLi32ELi64ELi256ELb1ELi16EEvPKT_PKT0_S8_ifPKiSA_SA_iPKfiiiPfSD_PS3_PT2_iSC_SC_,"axG",@progbits,_Z39paged_attention_ll4mi_QKV_mfma16_kernelI14__hip_bfloat16hLN4vllm18Fp8KVCacheDataTypeE1EhLi32ELi64ELi256ELb1ELi16EEvPKT_PKT0_S8_ifPKiSA_SA_iPKfiiiPfSD_PS3_PT2_iSC_SC_,comdat
.Lfunc_end1185:
	.size	_Z39paged_attention_ll4mi_QKV_mfma16_kernelI14__hip_bfloat16hLN4vllm18Fp8KVCacheDataTypeE1EhLi32ELi64ELi256ELb1ELi16EEvPKT_PKT0_S8_ifPKiSA_SA_iPKfiiiPfSD_PS3_PT2_iSC_SC_, .Lfunc_end1185-_Z39paged_attention_ll4mi_QKV_mfma16_kernelI14__hip_bfloat16hLN4vllm18Fp8KVCacheDataTypeE1EhLi32ELi64ELi256ELb1ELi16EEvPKT_PKT0_S8_ifPKiSA_SA_iPKfiiiPfSD_PS3_PT2_iSC_SC_
                                        ; -- End function
	.set _Z39paged_attention_ll4mi_QKV_mfma16_kernelI14__hip_bfloat16hLN4vllm18Fp8KVCacheDataTypeE1EhLi32ELi64ELi256ELb1ELi16EEvPKT_PKT0_S8_ifPKiSA_SA_iPKfiiiPfSD_PS3_PT2_iSC_SC_.num_vgpr, max(3, .L__assert_fail.num_vgpr)
	.set _Z39paged_attention_ll4mi_QKV_mfma16_kernelI14__hip_bfloat16hLN4vllm18Fp8KVCacheDataTypeE1EhLi32ELi64ELi256ELb1ELi16EEvPKT_PKT0_S8_ifPKiSA_SA_iPKfiiiPfSD_PS3_PT2_iSC_SC_.num_agpr, max(0, .L__assert_fail.num_agpr)
	.set _Z39paged_attention_ll4mi_QKV_mfma16_kernelI14__hip_bfloat16hLN4vllm18Fp8KVCacheDataTypeE1EhLi32ELi64ELi256ELb1ELi16EEvPKT_PKT0_S8_ifPKiSA_SA_iPKfiiiPfSD_PS3_PT2_iSC_SC_.numbered_sgpr, max(33, .L__assert_fail.numbered_sgpr)
	.set _Z39paged_attention_ll4mi_QKV_mfma16_kernelI14__hip_bfloat16hLN4vllm18Fp8KVCacheDataTypeE1EhLi32ELi64ELi256ELb1ELi16EEvPKT_PKT0_S8_ifPKiSA_SA_iPKfiiiPfSD_PS3_PT2_iSC_SC_.num_named_barrier, max(0, .L__assert_fail.num_named_barrier)
	.set _Z39paged_attention_ll4mi_QKV_mfma16_kernelI14__hip_bfloat16hLN4vllm18Fp8KVCacheDataTypeE1EhLi32ELi64ELi256ELb1ELi16EEvPKT_PKT0_S8_ifPKiSA_SA_iPKfiiiPfSD_PS3_PT2_iSC_SC_.private_seg_size, 0+max(.L__assert_fail.private_seg_size)
	.set _Z39paged_attention_ll4mi_QKV_mfma16_kernelI14__hip_bfloat16hLN4vllm18Fp8KVCacheDataTypeE1EhLi32ELi64ELi256ELb1ELi16EEvPKT_PKT0_S8_ifPKiSA_SA_iPKfiiiPfSD_PS3_PT2_iSC_SC_.uses_vcc, or(1, .L__assert_fail.uses_vcc)
	.set _Z39paged_attention_ll4mi_QKV_mfma16_kernelI14__hip_bfloat16hLN4vllm18Fp8KVCacheDataTypeE1EhLi32ELi64ELi256ELb1ELi16EEvPKT_PKT0_S8_ifPKiSA_SA_iPKfiiiPfSD_PS3_PT2_iSC_SC_.uses_flat_scratch, or(0, .L__assert_fail.uses_flat_scratch)
	.set _Z39paged_attention_ll4mi_QKV_mfma16_kernelI14__hip_bfloat16hLN4vllm18Fp8KVCacheDataTypeE1EhLi32ELi64ELi256ELb1ELi16EEvPKT_PKT0_S8_ifPKiSA_SA_iPKfiiiPfSD_PS3_PT2_iSC_SC_.has_dyn_sized_stack, or(0, .L__assert_fail.has_dyn_sized_stack)
	.set _Z39paged_attention_ll4mi_QKV_mfma16_kernelI14__hip_bfloat16hLN4vllm18Fp8KVCacheDataTypeE1EhLi32ELi64ELi256ELb1ELi16EEvPKT_PKT0_S8_ifPKiSA_SA_iPKfiiiPfSD_PS3_PT2_iSC_SC_.has_recursion, or(0, .L__assert_fail.has_recursion)
	.set _Z39paged_attention_ll4mi_QKV_mfma16_kernelI14__hip_bfloat16hLN4vllm18Fp8KVCacheDataTypeE1EhLi32ELi64ELi256ELb1ELi16EEvPKT_PKT0_S8_ifPKiSA_SA_iPKfiiiPfSD_PS3_PT2_iSC_SC_.has_indirect_call, or(0, .L__assert_fail.has_indirect_call)
	.section	.AMDGPU.csdata,"",@progbits
; Kernel info:
; codeLenInByte = 68
; TotalNumSgprs: 36
; NumVgprs: 51
; ScratchSize: 64
; MemoryBound: 0
; FloatMode: 240
; IeeeMode: 1
; LDSByteSize: 0 bytes/workgroup (compile time only)
; SGPRBlocks: 0
; VGPRBlocks: 3
; NumSGPRsForWavesPerEU: 36
; NumVGPRsForWavesPerEU: 51
; NamedBarCnt: 0
; Occupancy: 16
; WaveLimiterHint : 1
; COMPUTE_PGM_RSRC2:SCRATCH_EN: 1
; COMPUTE_PGM_RSRC2:USER_SGPR: 2
; COMPUTE_PGM_RSRC2:TRAP_HANDLER: 0
; COMPUTE_PGM_RSRC2:TGID_X_EN: 1
; COMPUTE_PGM_RSRC2:TGID_Y_EN: 0
; COMPUTE_PGM_RSRC2:TGID_Z_EN: 0
; COMPUTE_PGM_RSRC2:TIDIG_COMP_CNT: 0
	.section	.text._Z39paged_attention_ll4mi_QKV_mfma16_kernelI14__hip_bfloat16hLN4vllm18Fp8KVCacheDataTypeE1EhLi32ELi64ELi256ELb1ELi1EEvPKT_PKT0_S8_ifPKiSA_SA_iPKfiiiPfSD_PS3_PT2_iSC_SC_,"axG",@progbits,_Z39paged_attention_ll4mi_QKV_mfma16_kernelI14__hip_bfloat16hLN4vllm18Fp8KVCacheDataTypeE1EhLi32ELi64ELi256ELb1ELi1EEvPKT_PKT0_S8_ifPKiSA_SA_iPKfiiiPfSD_PS3_PT2_iSC_SC_,comdat
	.protected	_Z39paged_attention_ll4mi_QKV_mfma16_kernelI14__hip_bfloat16hLN4vllm18Fp8KVCacheDataTypeE1EhLi32ELi64ELi256ELb1ELi1EEvPKT_PKT0_S8_ifPKiSA_SA_iPKfiiiPfSD_PS3_PT2_iSC_SC_ ; -- Begin function _Z39paged_attention_ll4mi_QKV_mfma16_kernelI14__hip_bfloat16hLN4vllm18Fp8KVCacheDataTypeE1EhLi32ELi64ELi256ELb1ELi1EEvPKT_PKT0_S8_ifPKiSA_SA_iPKfiiiPfSD_PS3_PT2_iSC_SC_
	.globl	_Z39paged_attention_ll4mi_QKV_mfma16_kernelI14__hip_bfloat16hLN4vllm18Fp8KVCacheDataTypeE1EhLi32ELi64ELi256ELb1ELi1EEvPKT_PKT0_S8_ifPKiSA_SA_iPKfiiiPfSD_PS3_PT2_iSC_SC_
	.p2align	8
	.type	_Z39paged_attention_ll4mi_QKV_mfma16_kernelI14__hip_bfloat16hLN4vllm18Fp8KVCacheDataTypeE1EhLi32ELi64ELi256ELb1ELi1EEvPKT_PKT0_S8_ifPKiSA_SA_iPKfiiiPfSD_PS3_PT2_iSC_SC_,@function
_Z39paged_attention_ll4mi_QKV_mfma16_kernelI14__hip_bfloat16hLN4vllm18Fp8KVCacheDataTypeE1EhLi32ELi64ELi256ELb1ELi1EEvPKT_PKT0_S8_ifPKiSA_SA_iPKfiiiPfSD_PS3_PT2_iSC_SC_: ; @_Z39paged_attention_ll4mi_QKV_mfma16_kernelI14__hip_bfloat16hLN4vllm18Fp8KVCacheDataTypeE1EhLi32ELi64ELi256ELb1ELi1EEvPKT_PKT0_S8_ifPKiSA_SA_iPKfiiiPfSD_PS3_PT2_iSC_SC_
; %bb.0:
	s_get_pc_i64 s[2:3]
	s_add_nc_u64 s[2:3], s[2:3], __PRETTY_FUNCTION__._Z39paged_attention_ll4mi_QKV_mfma16_kernelI14__hip_bfloat16hLN4vllm18Fp8KVCacheDataTypeE1EhLi32ELi64ELi256ELb1ELi1EEvPKT_PKT0_S8_ifPKiSA_SA_iPKfiiiPfSD_PS3_PT2_iSC_SC_@rel64+4
	s_delay_alu instid0(SALU_CYCLE_1)
	v_dual_mov_b32 v0, 0xbb3 :: v_dual_mov_b32 v1, s2
	v_mov_b32_e32 v2, s3
	s_add_nc_u64 s[8:9], s[0:1], 0x90
	s_get_pc_i64 s[0:1]
	s_add_nc_u64 s[0:1], s[0:1], __assert_fail@rel64+4
	s_mov_b32 s32, 0
	s_swap_pc_i64 s[30:31], s[0:1]
	.section	.rodata,"a",@progbits
	.p2align	6, 0x0
	.amdhsa_kernel _Z39paged_attention_ll4mi_QKV_mfma16_kernelI14__hip_bfloat16hLN4vllm18Fp8KVCacheDataTypeE1EhLi32ELi64ELi256ELb1ELi1EEvPKT_PKT0_S8_ifPKiSA_SA_iPKfiiiPfSD_PS3_PT2_iSC_SC_
		.amdhsa_group_segment_fixed_size 0
		.amdhsa_private_segment_fixed_size 64
		.amdhsa_kernarg_size 400
		.amdhsa_user_sgpr_count 2
		.amdhsa_user_sgpr_dispatch_ptr 0
		.amdhsa_user_sgpr_queue_ptr 0
		.amdhsa_user_sgpr_kernarg_segment_ptr 1
		.amdhsa_user_sgpr_dispatch_id 0
		.amdhsa_user_sgpr_kernarg_preload_length 0
		.amdhsa_user_sgpr_kernarg_preload_offset 0
		.amdhsa_user_sgpr_private_segment_size 0
		.amdhsa_wavefront_size32 1
		.amdhsa_uses_dynamic_stack 0
		.amdhsa_enable_private_segment 1
		.amdhsa_system_sgpr_workgroup_id_x 1
		.amdhsa_system_sgpr_workgroup_id_y 0
		.amdhsa_system_sgpr_workgroup_id_z 0
		.amdhsa_system_sgpr_workgroup_info 0
		.amdhsa_system_vgpr_workitem_id 0
		.amdhsa_next_free_vgpr 51
		.amdhsa_next_free_sgpr 34
		.amdhsa_named_barrier_count 0
		.amdhsa_reserve_vcc 1
		.amdhsa_float_round_mode_32 0
		.amdhsa_float_round_mode_16_64 0
		.amdhsa_float_denorm_mode_32 3
		.amdhsa_float_denorm_mode_16_64 3
		.amdhsa_fp16_overflow 0
		.amdhsa_memory_ordered 1
		.amdhsa_forward_progress 1
		.amdhsa_inst_pref_size 1
		.amdhsa_round_robin_scheduling 0
		.amdhsa_exception_fp_ieee_invalid_op 0
		.amdhsa_exception_fp_denorm_src 0
		.amdhsa_exception_fp_ieee_div_zero 0
		.amdhsa_exception_fp_ieee_overflow 0
		.amdhsa_exception_fp_ieee_underflow 0
		.amdhsa_exception_fp_ieee_inexact 0
		.amdhsa_exception_int_div_zero 0
	.end_amdhsa_kernel
	.section	.text._Z39paged_attention_ll4mi_QKV_mfma16_kernelI14__hip_bfloat16hLN4vllm18Fp8KVCacheDataTypeE1EhLi32ELi64ELi256ELb1ELi1EEvPKT_PKT0_S8_ifPKiSA_SA_iPKfiiiPfSD_PS3_PT2_iSC_SC_,"axG",@progbits,_Z39paged_attention_ll4mi_QKV_mfma16_kernelI14__hip_bfloat16hLN4vllm18Fp8KVCacheDataTypeE1EhLi32ELi64ELi256ELb1ELi1EEvPKT_PKT0_S8_ifPKiSA_SA_iPKfiiiPfSD_PS3_PT2_iSC_SC_,comdat
.Lfunc_end1186:
	.size	_Z39paged_attention_ll4mi_QKV_mfma16_kernelI14__hip_bfloat16hLN4vllm18Fp8KVCacheDataTypeE1EhLi32ELi64ELi256ELb1ELi1EEvPKT_PKT0_S8_ifPKiSA_SA_iPKfiiiPfSD_PS3_PT2_iSC_SC_, .Lfunc_end1186-_Z39paged_attention_ll4mi_QKV_mfma16_kernelI14__hip_bfloat16hLN4vllm18Fp8KVCacheDataTypeE1EhLi32ELi64ELi256ELb1ELi1EEvPKT_PKT0_S8_ifPKiSA_SA_iPKfiiiPfSD_PS3_PT2_iSC_SC_
                                        ; -- End function
	.set _Z39paged_attention_ll4mi_QKV_mfma16_kernelI14__hip_bfloat16hLN4vllm18Fp8KVCacheDataTypeE1EhLi32ELi64ELi256ELb1ELi1EEvPKT_PKT0_S8_ifPKiSA_SA_iPKfiiiPfSD_PS3_PT2_iSC_SC_.num_vgpr, max(3, .L__assert_fail.num_vgpr)
	.set _Z39paged_attention_ll4mi_QKV_mfma16_kernelI14__hip_bfloat16hLN4vllm18Fp8KVCacheDataTypeE1EhLi32ELi64ELi256ELb1ELi1EEvPKT_PKT0_S8_ifPKiSA_SA_iPKfiiiPfSD_PS3_PT2_iSC_SC_.num_agpr, max(0, .L__assert_fail.num_agpr)
	.set _Z39paged_attention_ll4mi_QKV_mfma16_kernelI14__hip_bfloat16hLN4vllm18Fp8KVCacheDataTypeE1EhLi32ELi64ELi256ELb1ELi1EEvPKT_PKT0_S8_ifPKiSA_SA_iPKfiiiPfSD_PS3_PT2_iSC_SC_.numbered_sgpr, max(33, .L__assert_fail.numbered_sgpr)
	.set _Z39paged_attention_ll4mi_QKV_mfma16_kernelI14__hip_bfloat16hLN4vllm18Fp8KVCacheDataTypeE1EhLi32ELi64ELi256ELb1ELi1EEvPKT_PKT0_S8_ifPKiSA_SA_iPKfiiiPfSD_PS3_PT2_iSC_SC_.num_named_barrier, max(0, .L__assert_fail.num_named_barrier)
	.set _Z39paged_attention_ll4mi_QKV_mfma16_kernelI14__hip_bfloat16hLN4vllm18Fp8KVCacheDataTypeE1EhLi32ELi64ELi256ELb1ELi1EEvPKT_PKT0_S8_ifPKiSA_SA_iPKfiiiPfSD_PS3_PT2_iSC_SC_.private_seg_size, 0+max(.L__assert_fail.private_seg_size)
	.set _Z39paged_attention_ll4mi_QKV_mfma16_kernelI14__hip_bfloat16hLN4vllm18Fp8KVCacheDataTypeE1EhLi32ELi64ELi256ELb1ELi1EEvPKT_PKT0_S8_ifPKiSA_SA_iPKfiiiPfSD_PS3_PT2_iSC_SC_.uses_vcc, or(1, .L__assert_fail.uses_vcc)
	.set _Z39paged_attention_ll4mi_QKV_mfma16_kernelI14__hip_bfloat16hLN4vllm18Fp8KVCacheDataTypeE1EhLi32ELi64ELi256ELb1ELi1EEvPKT_PKT0_S8_ifPKiSA_SA_iPKfiiiPfSD_PS3_PT2_iSC_SC_.uses_flat_scratch, or(0, .L__assert_fail.uses_flat_scratch)
	.set _Z39paged_attention_ll4mi_QKV_mfma16_kernelI14__hip_bfloat16hLN4vllm18Fp8KVCacheDataTypeE1EhLi32ELi64ELi256ELb1ELi1EEvPKT_PKT0_S8_ifPKiSA_SA_iPKfiiiPfSD_PS3_PT2_iSC_SC_.has_dyn_sized_stack, or(0, .L__assert_fail.has_dyn_sized_stack)
	.set _Z39paged_attention_ll4mi_QKV_mfma16_kernelI14__hip_bfloat16hLN4vllm18Fp8KVCacheDataTypeE1EhLi32ELi64ELi256ELb1ELi1EEvPKT_PKT0_S8_ifPKiSA_SA_iPKfiiiPfSD_PS3_PT2_iSC_SC_.has_recursion, or(0, .L__assert_fail.has_recursion)
	.set _Z39paged_attention_ll4mi_QKV_mfma16_kernelI14__hip_bfloat16hLN4vllm18Fp8KVCacheDataTypeE1EhLi32ELi64ELi256ELb1ELi1EEvPKT_PKT0_S8_ifPKiSA_SA_iPKfiiiPfSD_PS3_PT2_iSC_SC_.has_indirect_call, or(0, .L__assert_fail.has_indirect_call)
	.section	.AMDGPU.csdata,"",@progbits
; Kernel info:
; codeLenInByte = 68
; TotalNumSgprs: 36
; NumVgprs: 51
; ScratchSize: 64
; MemoryBound: 0
; FloatMode: 240
; IeeeMode: 1
; LDSByteSize: 0 bytes/workgroup (compile time only)
; SGPRBlocks: 0
; VGPRBlocks: 3
; NumSGPRsForWavesPerEU: 36
; NumVGPRsForWavesPerEU: 51
; NamedBarCnt: 0
; Occupancy: 16
; WaveLimiterHint : 1
; COMPUTE_PGM_RSRC2:SCRATCH_EN: 1
; COMPUTE_PGM_RSRC2:USER_SGPR: 2
; COMPUTE_PGM_RSRC2:TRAP_HANDLER: 0
; COMPUTE_PGM_RSRC2:TGID_X_EN: 1
; COMPUTE_PGM_RSRC2:TGID_Y_EN: 0
; COMPUTE_PGM_RSRC2:TGID_Z_EN: 0
; COMPUTE_PGM_RSRC2:TIDIG_COMP_CNT: 0
	.section	.text._Z39paged_attention_ll4mi_QKV_mfma16_kernelI14__hip_bfloat16hLN4vllm18Fp8KVCacheDataTypeE1EhLi32ELi64ELi256ELb1ELi2EEvPKT_PKT0_S8_ifPKiSA_SA_iPKfiiiPfSD_PS3_PT2_iSC_SC_,"axG",@progbits,_Z39paged_attention_ll4mi_QKV_mfma16_kernelI14__hip_bfloat16hLN4vllm18Fp8KVCacheDataTypeE1EhLi32ELi64ELi256ELb1ELi2EEvPKT_PKT0_S8_ifPKiSA_SA_iPKfiiiPfSD_PS3_PT2_iSC_SC_,comdat
	.protected	_Z39paged_attention_ll4mi_QKV_mfma16_kernelI14__hip_bfloat16hLN4vllm18Fp8KVCacheDataTypeE1EhLi32ELi64ELi256ELb1ELi2EEvPKT_PKT0_S8_ifPKiSA_SA_iPKfiiiPfSD_PS3_PT2_iSC_SC_ ; -- Begin function _Z39paged_attention_ll4mi_QKV_mfma16_kernelI14__hip_bfloat16hLN4vllm18Fp8KVCacheDataTypeE1EhLi32ELi64ELi256ELb1ELi2EEvPKT_PKT0_S8_ifPKiSA_SA_iPKfiiiPfSD_PS3_PT2_iSC_SC_
	.globl	_Z39paged_attention_ll4mi_QKV_mfma16_kernelI14__hip_bfloat16hLN4vllm18Fp8KVCacheDataTypeE1EhLi32ELi64ELi256ELb1ELi2EEvPKT_PKT0_S8_ifPKiSA_SA_iPKfiiiPfSD_PS3_PT2_iSC_SC_
	.p2align	8
	.type	_Z39paged_attention_ll4mi_QKV_mfma16_kernelI14__hip_bfloat16hLN4vllm18Fp8KVCacheDataTypeE1EhLi32ELi64ELi256ELb1ELi2EEvPKT_PKT0_S8_ifPKiSA_SA_iPKfiiiPfSD_PS3_PT2_iSC_SC_,@function
_Z39paged_attention_ll4mi_QKV_mfma16_kernelI14__hip_bfloat16hLN4vllm18Fp8KVCacheDataTypeE1EhLi32ELi64ELi256ELb1ELi2EEvPKT_PKT0_S8_ifPKiSA_SA_iPKfiiiPfSD_PS3_PT2_iSC_SC_: ; @_Z39paged_attention_ll4mi_QKV_mfma16_kernelI14__hip_bfloat16hLN4vllm18Fp8KVCacheDataTypeE1EhLi32ELi64ELi256ELb1ELi2EEvPKT_PKT0_S8_ifPKiSA_SA_iPKfiiiPfSD_PS3_PT2_iSC_SC_
; %bb.0:
	s_get_pc_i64 s[2:3]
	s_add_nc_u64 s[2:3], s[2:3], __PRETTY_FUNCTION__._Z39paged_attention_ll4mi_QKV_mfma16_kernelI14__hip_bfloat16hLN4vllm18Fp8KVCacheDataTypeE1EhLi32ELi64ELi256ELb1ELi2EEvPKT_PKT0_S8_ifPKiSA_SA_iPKfiiiPfSD_PS3_PT2_iSC_SC_@rel64+4
	s_delay_alu instid0(SALU_CYCLE_1)
	v_dual_mov_b32 v0, 0xbb3 :: v_dual_mov_b32 v1, s2
	v_mov_b32_e32 v2, s3
	s_add_nc_u64 s[8:9], s[0:1], 0x90
	s_get_pc_i64 s[0:1]
	s_add_nc_u64 s[0:1], s[0:1], __assert_fail@rel64+4
	s_mov_b32 s32, 0
	s_swap_pc_i64 s[30:31], s[0:1]
	.section	.rodata,"a",@progbits
	.p2align	6, 0x0
	.amdhsa_kernel _Z39paged_attention_ll4mi_QKV_mfma16_kernelI14__hip_bfloat16hLN4vllm18Fp8KVCacheDataTypeE1EhLi32ELi64ELi256ELb1ELi2EEvPKT_PKT0_S8_ifPKiSA_SA_iPKfiiiPfSD_PS3_PT2_iSC_SC_
		.amdhsa_group_segment_fixed_size 0
		.amdhsa_private_segment_fixed_size 64
		.amdhsa_kernarg_size 400
		.amdhsa_user_sgpr_count 2
		.amdhsa_user_sgpr_dispatch_ptr 0
		.amdhsa_user_sgpr_queue_ptr 0
		.amdhsa_user_sgpr_kernarg_segment_ptr 1
		.amdhsa_user_sgpr_dispatch_id 0
		.amdhsa_user_sgpr_kernarg_preload_length 0
		.amdhsa_user_sgpr_kernarg_preload_offset 0
		.amdhsa_user_sgpr_private_segment_size 0
		.amdhsa_wavefront_size32 1
		.amdhsa_uses_dynamic_stack 0
		.amdhsa_enable_private_segment 1
		.amdhsa_system_sgpr_workgroup_id_x 1
		.amdhsa_system_sgpr_workgroup_id_y 0
		.amdhsa_system_sgpr_workgroup_id_z 0
		.amdhsa_system_sgpr_workgroup_info 0
		.amdhsa_system_vgpr_workitem_id 0
		.amdhsa_next_free_vgpr 51
		.amdhsa_next_free_sgpr 34
		.amdhsa_named_barrier_count 0
		.amdhsa_reserve_vcc 1
		.amdhsa_float_round_mode_32 0
		.amdhsa_float_round_mode_16_64 0
		.amdhsa_float_denorm_mode_32 3
		.amdhsa_float_denorm_mode_16_64 3
		.amdhsa_fp16_overflow 0
		.amdhsa_memory_ordered 1
		.amdhsa_forward_progress 1
		.amdhsa_inst_pref_size 1
		.amdhsa_round_robin_scheduling 0
		.amdhsa_exception_fp_ieee_invalid_op 0
		.amdhsa_exception_fp_denorm_src 0
		.amdhsa_exception_fp_ieee_div_zero 0
		.amdhsa_exception_fp_ieee_overflow 0
		.amdhsa_exception_fp_ieee_underflow 0
		.amdhsa_exception_fp_ieee_inexact 0
		.amdhsa_exception_int_div_zero 0
	.end_amdhsa_kernel
	.section	.text._Z39paged_attention_ll4mi_QKV_mfma16_kernelI14__hip_bfloat16hLN4vllm18Fp8KVCacheDataTypeE1EhLi32ELi64ELi256ELb1ELi2EEvPKT_PKT0_S8_ifPKiSA_SA_iPKfiiiPfSD_PS3_PT2_iSC_SC_,"axG",@progbits,_Z39paged_attention_ll4mi_QKV_mfma16_kernelI14__hip_bfloat16hLN4vllm18Fp8KVCacheDataTypeE1EhLi32ELi64ELi256ELb1ELi2EEvPKT_PKT0_S8_ifPKiSA_SA_iPKfiiiPfSD_PS3_PT2_iSC_SC_,comdat
.Lfunc_end1187:
	.size	_Z39paged_attention_ll4mi_QKV_mfma16_kernelI14__hip_bfloat16hLN4vllm18Fp8KVCacheDataTypeE1EhLi32ELi64ELi256ELb1ELi2EEvPKT_PKT0_S8_ifPKiSA_SA_iPKfiiiPfSD_PS3_PT2_iSC_SC_, .Lfunc_end1187-_Z39paged_attention_ll4mi_QKV_mfma16_kernelI14__hip_bfloat16hLN4vllm18Fp8KVCacheDataTypeE1EhLi32ELi64ELi256ELb1ELi2EEvPKT_PKT0_S8_ifPKiSA_SA_iPKfiiiPfSD_PS3_PT2_iSC_SC_
                                        ; -- End function
	.set _Z39paged_attention_ll4mi_QKV_mfma16_kernelI14__hip_bfloat16hLN4vllm18Fp8KVCacheDataTypeE1EhLi32ELi64ELi256ELb1ELi2EEvPKT_PKT0_S8_ifPKiSA_SA_iPKfiiiPfSD_PS3_PT2_iSC_SC_.num_vgpr, max(3, .L__assert_fail.num_vgpr)
	.set _Z39paged_attention_ll4mi_QKV_mfma16_kernelI14__hip_bfloat16hLN4vllm18Fp8KVCacheDataTypeE1EhLi32ELi64ELi256ELb1ELi2EEvPKT_PKT0_S8_ifPKiSA_SA_iPKfiiiPfSD_PS3_PT2_iSC_SC_.num_agpr, max(0, .L__assert_fail.num_agpr)
	.set _Z39paged_attention_ll4mi_QKV_mfma16_kernelI14__hip_bfloat16hLN4vllm18Fp8KVCacheDataTypeE1EhLi32ELi64ELi256ELb1ELi2EEvPKT_PKT0_S8_ifPKiSA_SA_iPKfiiiPfSD_PS3_PT2_iSC_SC_.numbered_sgpr, max(33, .L__assert_fail.numbered_sgpr)
	.set _Z39paged_attention_ll4mi_QKV_mfma16_kernelI14__hip_bfloat16hLN4vllm18Fp8KVCacheDataTypeE1EhLi32ELi64ELi256ELb1ELi2EEvPKT_PKT0_S8_ifPKiSA_SA_iPKfiiiPfSD_PS3_PT2_iSC_SC_.num_named_barrier, max(0, .L__assert_fail.num_named_barrier)
	.set _Z39paged_attention_ll4mi_QKV_mfma16_kernelI14__hip_bfloat16hLN4vllm18Fp8KVCacheDataTypeE1EhLi32ELi64ELi256ELb1ELi2EEvPKT_PKT0_S8_ifPKiSA_SA_iPKfiiiPfSD_PS3_PT2_iSC_SC_.private_seg_size, 0+max(.L__assert_fail.private_seg_size)
	.set _Z39paged_attention_ll4mi_QKV_mfma16_kernelI14__hip_bfloat16hLN4vllm18Fp8KVCacheDataTypeE1EhLi32ELi64ELi256ELb1ELi2EEvPKT_PKT0_S8_ifPKiSA_SA_iPKfiiiPfSD_PS3_PT2_iSC_SC_.uses_vcc, or(1, .L__assert_fail.uses_vcc)
	.set _Z39paged_attention_ll4mi_QKV_mfma16_kernelI14__hip_bfloat16hLN4vllm18Fp8KVCacheDataTypeE1EhLi32ELi64ELi256ELb1ELi2EEvPKT_PKT0_S8_ifPKiSA_SA_iPKfiiiPfSD_PS3_PT2_iSC_SC_.uses_flat_scratch, or(0, .L__assert_fail.uses_flat_scratch)
	.set _Z39paged_attention_ll4mi_QKV_mfma16_kernelI14__hip_bfloat16hLN4vllm18Fp8KVCacheDataTypeE1EhLi32ELi64ELi256ELb1ELi2EEvPKT_PKT0_S8_ifPKiSA_SA_iPKfiiiPfSD_PS3_PT2_iSC_SC_.has_dyn_sized_stack, or(0, .L__assert_fail.has_dyn_sized_stack)
	.set _Z39paged_attention_ll4mi_QKV_mfma16_kernelI14__hip_bfloat16hLN4vllm18Fp8KVCacheDataTypeE1EhLi32ELi64ELi256ELb1ELi2EEvPKT_PKT0_S8_ifPKiSA_SA_iPKfiiiPfSD_PS3_PT2_iSC_SC_.has_recursion, or(0, .L__assert_fail.has_recursion)
	.set _Z39paged_attention_ll4mi_QKV_mfma16_kernelI14__hip_bfloat16hLN4vllm18Fp8KVCacheDataTypeE1EhLi32ELi64ELi256ELb1ELi2EEvPKT_PKT0_S8_ifPKiSA_SA_iPKfiiiPfSD_PS3_PT2_iSC_SC_.has_indirect_call, or(0, .L__assert_fail.has_indirect_call)
	.section	.AMDGPU.csdata,"",@progbits
; Kernel info:
; codeLenInByte = 68
; TotalNumSgprs: 36
; NumVgprs: 51
; ScratchSize: 64
; MemoryBound: 0
; FloatMode: 240
; IeeeMode: 1
; LDSByteSize: 0 bytes/workgroup (compile time only)
; SGPRBlocks: 0
; VGPRBlocks: 3
; NumSGPRsForWavesPerEU: 36
; NumVGPRsForWavesPerEU: 51
; NamedBarCnt: 0
; Occupancy: 16
; WaveLimiterHint : 1
; COMPUTE_PGM_RSRC2:SCRATCH_EN: 1
; COMPUTE_PGM_RSRC2:USER_SGPR: 2
; COMPUTE_PGM_RSRC2:TRAP_HANDLER: 0
; COMPUTE_PGM_RSRC2:TGID_X_EN: 1
; COMPUTE_PGM_RSRC2:TGID_Y_EN: 0
; COMPUTE_PGM_RSRC2:TGID_Z_EN: 0
; COMPUTE_PGM_RSRC2:TIDIG_COMP_CNT: 0
	.section	.text._Z39paged_attention_ll4mi_QKV_mfma16_kernelI14__hip_bfloat16hLN4vllm18Fp8KVCacheDataTypeE1EhLi32ELi64ELi256ELb1ELi3EEvPKT_PKT0_S8_ifPKiSA_SA_iPKfiiiPfSD_PS3_PT2_iSC_SC_,"axG",@progbits,_Z39paged_attention_ll4mi_QKV_mfma16_kernelI14__hip_bfloat16hLN4vllm18Fp8KVCacheDataTypeE1EhLi32ELi64ELi256ELb1ELi3EEvPKT_PKT0_S8_ifPKiSA_SA_iPKfiiiPfSD_PS3_PT2_iSC_SC_,comdat
	.protected	_Z39paged_attention_ll4mi_QKV_mfma16_kernelI14__hip_bfloat16hLN4vllm18Fp8KVCacheDataTypeE1EhLi32ELi64ELi256ELb1ELi3EEvPKT_PKT0_S8_ifPKiSA_SA_iPKfiiiPfSD_PS3_PT2_iSC_SC_ ; -- Begin function _Z39paged_attention_ll4mi_QKV_mfma16_kernelI14__hip_bfloat16hLN4vllm18Fp8KVCacheDataTypeE1EhLi32ELi64ELi256ELb1ELi3EEvPKT_PKT0_S8_ifPKiSA_SA_iPKfiiiPfSD_PS3_PT2_iSC_SC_
	.globl	_Z39paged_attention_ll4mi_QKV_mfma16_kernelI14__hip_bfloat16hLN4vllm18Fp8KVCacheDataTypeE1EhLi32ELi64ELi256ELb1ELi3EEvPKT_PKT0_S8_ifPKiSA_SA_iPKfiiiPfSD_PS3_PT2_iSC_SC_
	.p2align	8
	.type	_Z39paged_attention_ll4mi_QKV_mfma16_kernelI14__hip_bfloat16hLN4vllm18Fp8KVCacheDataTypeE1EhLi32ELi64ELi256ELb1ELi3EEvPKT_PKT0_S8_ifPKiSA_SA_iPKfiiiPfSD_PS3_PT2_iSC_SC_,@function
_Z39paged_attention_ll4mi_QKV_mfma16_kernelI14__hip_bfloat16hLN4vllm18Fp8KVCacheDataTypeE1EhLi32ELi64ELi256ELb1ELi3EEvPKT_PKT0_S8_ifPKiSA_SA_iPKfiiiPfSD_PS3_PT2_iSC_SC_: ; @_Z39paged_attention_ll4mi_QKV_mfma16_kernelI14__hip_bfloat16hLN4vllm18Fp8KVCacheDataTypeE1EhLi32ELi64ELi256ELb1ELi3EEvPKT_PKT0_S8_ifPKiSA_SA_iPKfiiiPfSD_PS3_PT2_iSC_SC_
; %bb.0:
	s_get_pc_i64 s[2:3]
	s_add_nc_u64 s[2:3], s[2:3], __PRETTY_FUNCTION__._Z39paged_attention_ll4mi_QKV_mfma16_kernelI14__hip_bfloat16hLN4vllm18Fp8KVCacheDataTypeE1EhLi32ELi64ELi256ELb1ELi3EEvPKT_PKT0_S8_ifPKiSA_SA_iPKfiiiPfSD_PS3_PT2_iSC_SC_@rel64+4
	s_delay_alu instid0(SALU_CYCLE_1)
	v_dual_mov_b32 v0, 0xbb3 :: v_dual_mov_b32 v1, s2
	v_mov_b32_e32 v2, s3
	s_add_nc_u64 s[8:9], s[0:1], 0x90
	s_get_pc_i64 s[0:1]
	s_add_nc_u64 s[0:1], s[0:1], __assert_fail@rel64+4
	s_mov_b32 s32, 0
	s_swap_pc_i64 s[30:31], s[0:1]
	.section	.rodata,"a",@progbits
	.p2align	6, 0x0
	.amdhsa_kernel _Z39paged_attention_ll4mi_QKV_mfma16_kernelI14__hip_bfloat16hLN4vllm18Fp8KVCacheDataTypeE1EhLi32ELi64ELi256ELb1ELi3EEvPKT_PKT0_S8_ifPKiSA_SA_iPKfiiiPfSD_PS3_PT2_iSC_SC_
		.amdhsa_group_segment_fixed_size 0
		.amdhsa_private_segment_fixed_size 64
		.amdhsa_kernarg_size 400
		.amdhsa_user_sgpr_count 2
		.amdhsa_user_sgpr_dispatch_ptr 0
		.amdhsa_user_sgpr_queue_ptr 0
		.amdhsa_user_sgpr_kernarg_segment_ptr 1
		.amdhsa_user_sgpr_dispatch_id 0
		.amdhsa_user_sgpr_kernarg_preload_length 0
		.amdhsa_user_sgpr_kernarg_preload_offset 0
		.amdhsa_user_sgpr_private_segment_size 0
		.amdhsa_wavefront_size32 1
		.amdhsa_uses_dynamic_stack 0
		.amdhsa_enable_private_segment 1
		.amdhsa_system_sgpr_workgroup_id_x 1
		.amdhsa_system_sgpr_workgroup_id_y 0
		.amdhsa_system_sgpr_workgroup_id_z 0
		.amdhsa_system_sgpr_workgroup_info 0
		.amdhsa_system_vgpr_workitem_id 0
		.amdhsa_next_free_vgpr 51
		.amdhsa_next_free_sgpr 34
		.amdhsa_named_barrier_count 0
		.amdhsa_reserve_vcc 1
		.amdhsa_float_round_mode_32 0
		.amdhsa_float_round_mode_16_64 0
		.amdhsa_float_denorm_mode_32 3
		.amdhsa_float_denorm_mode_16_64 3
		.amdhsa_fp16_overflow 0
		.amdhsa_memory_ordered 1
		.amdhsa_forward_progress 1
		.amdhsa_inst_pref_size 1
		.amdhsa_round_robin_scheduling 0
		.amdhsa_exception_fp_ieee_invalid_op 0
		.amdhsa_exception_fp_denorm_src 0
		.amdhsa_exception_fp_ieee_div_zero 0
		.amdhsa_exception_fp_ieee_overflow 0
		.amdhsa_exception_fp_ieee_underflow 0
		.amdhsa_exception_fp_ieee_inexact 0
		.amdhsa_exception_int_div_zero 0
	.end_amdhsa_kernel
	.section	.text._Z39paged_attention_ll4mi_QKV_mfma16_kernelI14__hip_bfloat16hLN4vllm18Fp8KVCacheDataTypeE1EhLi32ELi64ELi256ELb1ELi3EEvPKT_PKT0_S8_ifPKiSA_SA_iPKfiiiPfSD_PS3_PT2_iSC_SC_,"axG",@progbits,_Z39paged_attention_ll4mi_QKV_mfma16_kernelI14__hip_bfloat16hLN4vllm18Fp8KVCacheDataTypeE1EhLi32ELi64ELi256ELb1ELi3EEvPKT_PKT0_S8_ifPKiSA_SA_iPKfiiiPfSD_PS3_PT2_iSC_SC_,comdat
.Lfunc_end1188:
	.size	_Z39paged_attention_ll4mi_QKV_mfma16_kernelI14__hip_bfloat16hLN4vllm18Fp8KVCacheDataTypeE1EhLi32ELi64ELi256ELb1ELi3EEvPKT_PKT0_S8_ifPKiSA_SA_iPKfiiiPfSD_PS3_PT2_iSC_SC_, .Lfunc_end1188-_Z39paged_attention_ll4mi_QKV_mfma16_kernelI14__hip_bfloat16hLN4vllm18Fp8KVCacheDataTypeE1EhLi32ELi64ELi256ELb1ELi3EEvPKT_PKT0_S8_ifPKiSA_SA_iPKfiiiPfSD_PS3_PT2_iSC_SC_
                                        ; -- End function
	.set _Z39paged_attention_ll4mi_QKV_mfma16_kernelI14__hip_bfloat16hLN4vllm18Fp8KVCacheDataTypeE1EhLi32ELi64ELi256ELb1ELi3EEvPKT_PKT0_S8_ifPKiSA_SA_iPKfiiiPfSD_PS3_PT2_iSC_SC_.num_vgpr, max(3, .L__assert_fail.num_vgpr)
	.set _Z39paged_attention_ll4mi_QKV_mfma16_kernelI14__hip_bfloat16hLN4vllm18Fp8KVCacheDataTypeE1EhLi32ELi64ELi256ELb1ELi3EEvPKT_PKT0_S8_ifPKiSA_SA_iPKfiiiPfSD_PS3_PT2_iSC_SC_.num_agpr, max(0, .L__assert_fail.num_agpr)
	.set _Z39paged_attention_ll4mi_QKV_mfma16_kernelI14__hip_bfloat16hLN4vllm18Fp8KVCacheDataTypeE1EhLi32ELi64ELi256ELb1ELi3EEvPKT_PKT0_S8_ifPKiSA_SA_iPKfiiiPfSD_PS3_PT2_iSC_SC_.numbered_sgpr, max(33, .L__assert_fail.numbered_sgpr)
	.set _Z39paged_attention_ll4mi_QKV_mfma16_kernelI14__hip_bfloat16hLN4vllm18Fp8KVCacheDataTypeE1EhLi32ELi64ELi256ELb1ELi3EEvPKT_PKT0_S8_ifPKiSA_SA_iPKfiiiPfSD_PS3_PT2_iSC_SC_.num_named_barrier, max(0, .L__assert_fail.num_named_barrier)
	.set _Z39paged_attention_ll4mi_QKV_mfma16_kernelI14__hip_bfloat16hLN4vllm18Fp8KVCacheDataTypeE1EhLi32ELi64ELi256ELb1ELi3EEvPKT_PKT0_S8_ifPKiSA_SA_iPKfiiiPfSD_PS3_PT2_iSC_SC_.private_seg_size, 0+max(.L__assert_fail.private_seg_size)
	.set _Z39paged_attention_ll4mi_QKV_mfma16_kernelI14__hip_bfloat16hLN4vllm18Fp8KVCacheDataTypeE1EhLi32ELi64ELi256ELb1ELi3EEvPKT_PKT0_S8_ifPKiSA_SA_iPKfiiiPfSD_PS3_PT2_iSC_SC_.uses_vcc, or(1, .L__assert_fail.uses_vcc)
	.set _Z39paged_attention_ll4mi_QKV_mfma16_kernelI14__hip_bfloat16hLN4vllm18Fp8KVCacheDataTypeE1EhLi32ELi64ELi256ELb1ELi3EEvPKT_PKT0_S8_ifPKiSA_SA_iPKfiiiPfSD_PS3_PT2_iSC_SC_.uses_flat_scratch, or(0, .L__assert_fail.uses_flat_scratch)
	.set _Z39paged_attention_ll4mi_QKV_mfma16_kernelI14__hip_bfloat16hLN4vllm18Fp8KVCacheDataTypeE1EhLi32ELi64ELi256ELb1ELi3EEvPKT_PKT0_S8_ifPKiSA_SA_iPKfiiiPfSD_PS3_PT2_iSC_SC_.has_dyn_sized_stack, or(0, .L__assert_fail.has_dyn_sized_stack)
	.set _Z39paged_attention_ll4mi_QKV_mfma16_kernelI14__hip_bfloat16hLN4vllm18Fp8KVCacheDataTypeE1EhLi32ELi64ELi256ELb1ELi3EEvPKT_PKT0_S8_ifPKiSA_SA_iPKfiiiPfSD_PS3_PT2_iSC_SC_.has_recursion, or(0, .L__assert_fail.has_recursion)
	.set _Z39paged_attention_ll4mi_QKV_mfma16_kernelI14__hip_bfloat16hLN4vllm18Fp8KVCacheDataTypeE1EhLi32ELi64ELi256ELb1ELi3EEvPKT_PKT0_S8_ifPKiSA_SA_iPKfiiiPfSD_PS3_PT2_iSC_SC_.has_indirect_call, or(0, .L__assert_fail.has_indirect_call)
	.section	.AMDGPU.csdata,"",@progbits
; Kernel info:
; codeLenInByte = 68
; TotalNumSgprs: 36
; NumVgprs: 51
; ScratchSize: 64
; MemoryBound: 0
; FloatMode: 240
; IeeeMode: 1
; LDSByteSize: 0 bytes/workgroup (compile time only)
; SGPRBlocks: 0
; VGPRBlocks: 3
; NumSGPRsForWavesPerEU: 36
; NumVGPRsForWavesPerEU: 51
; NamedBarCnt: 0
; Occupancy: 16
; WaveLimiterHint : 1
; COMPUTE_PGM_RSRC2:SCRATCH_EN: 1
; COMPUTE_PGM_RSRC2:USER_SGPR: 2
; COMPUTE_PGM_RSRC2:TRAP_HANDLER: 0
; COMPUTE_PGM_RSRC2:TGID_X_EN: 1
; COMPUTE_PGM_RSRC2:TGID_Y_EN: 0
; COMPUTE_PGM_RSRC2:TGID_Z_EN: 0
; COMPUTE_PGM_RSRC2:TIDIG_COMP_CNT: 0
	.section	.text._Z39paged_attention_ll4mi_QKV_mfma16_kernelI14__hip_bfloat16hLN4vllm18Fp8KVCacheDataTypeE1EhLi32ELi64ELi256ELb1ELi4EEvPKT_PKT0_S8_ifPKiSA_SA_iPKfiiiPfSD_PS3_PT2_iSC_SC_,"axG",@progbits,_Z39paged_attention_ll4mi_QKV_mfma16_kernelI14__hip_bfloat16hLN4vllm18Fp8KVCacheDataTypeE1EhLi32ELi64ELi256ELb1ELi4EEvPKT_PKT0_S8_ifPKiSA_SA_iPKfiiiPfSD_PS3_PT2_iSC_SC_,comdat
	.protected	_Z39paged_attention_ll4mi_QKV_mfma16_kernelI14__hip_bfloat16hLN4vllm18Fp8KVCacheDataTypeE1EhLi32ELi64ELi256ELb1ELi4EEvPKT_PKT0_S8_ifPKiSA_SA_iPKfiiiPfSD_PS3_PT2_iSC_SC_ ; -- Begin function _Z39paged_attention_ll4mi_QKV_mfma16_kernelI14__hip_bfloat16hLN4vllm18Fp8KVCacheDataTypeE1EhLi32ELi64ELi256ELb1ELi4EEvPKT_PKT0_S8_ifPKiSA_SA_iPKfiiiPfSD_PS3_PT2_iSC_SC_
	.globl	_Z39paged_attention_ll4mi_QKV_mfma16_kernelI14__hip_bfloat16hLN4vllm18Fp8KVCacheDataTypeE1EhLi32ELi64ELi256ELb1ELi4EEvPKT_PKT0_S8_ifPKiSA_SA_iPKfiiiPfSD_PS3_PT2_iSC_SC_
	.p2align	8
	.type	_Z39paged_attention_ll4mi_QKV_mfma16_kernelI14__hip_bfloat16hLN4vllm18Fp8KVCacheDataTypeE1EhLi32ELi64ELi256ELb1ELi4EEvPKT_PKT0_S8_ifPKiSA_SA_iPKfiiiPfSD_PS3_PT2_iSC_SC_,@function
_Z39paged_attention_ll4mi_QKV_mfma16_kernelI14__hip_bfloat16hLN4vllm18Fp8KVCacheDataTypeE1EhLi32ELi64ELi256ELb1ELi4EEvPKT_PKT0_S8_ifPKiSA_SA_iPKfiiiPfSD_PS3_PT2_iSC_SC_: ; @_Z39paged_attention_ll4mi_QKV_mfma16_kernelI14__hip_bfloat16hLN4vllm18Fp8KVCacheDataTypeE1EhLi32ELi64ELi256ELb1ELi4EEvPKT_PKT0_S8_ifPKiSA_SA_iPKfiiiPfSD_PS3_PT2_iSC_SC_
; %bb.0:
	s_get_pc_i64 s[2:3]
	s_add_nc_u64 s[2:3], s[2:3], __PRETTY_FUNCTION__._Z39paged_attention_ll4mi_QKV_mfma16_kernelI14__hip_bfloat16hLN4vllm18Fp8KVCacheDataTypeE1EhLi32ELi64ELi256ELb1ELi4EEvPKT_PKT0_S8_ifPKiSA_SA_iPKfiiiPfSD_PS3_PT2_iSC_SC_@rel64+4
	s_delay_alu instid0(SALU_CYCLE_1)
	v_dual_mov_b32 v0, 0xbb3 :: v_dual_mov_b32 v1, s2
	v_mov_b32_e32 v2, s3
	s_add_nc_u64 s[8:9], s[0:1], 0x90
	s_get_pc_i64 s[0:1]
	s_add_nc_u64 s[0:1], s[0:1], __assert_fail@rel64+4
	s_mov_b32 s32, 0
	s_swap_pc_i64 s[30:31], s[0:1]
	.section	.rodata,"a",@progbits
	.p2align	6, 0x0
	.amdhsa_kernel _Z39paged_attention_ll4mi_QKV_mfma16_kernelI14__hip_bfloat16hLN4vllm18Fp8KVCacheDataTypeE1EhLi32ELi64ELi256ELb1ELi4EEvPKT_PKT0_S8_ifPKiSA_SA_iPKfiiiPfSD_PS3_PT2_iSC_SC_
		.amdhsa_group_segment_fixed_size 0
		.amdhsa_private_segment_fixed_size 64
		.amdhsa_kernarg_size 400
		.amdhsa_user_sgpr_count 2
		.amdhsa_user_sgpr_dispatch_ptr 0
		.amdhsa_user_sgpr_queue_ptr 0
		.amdhsa_user_sgpr_kernarg_segment_ptr 1
		.amdhsa_user_sgpr_dispatch_id 0
		.amdhsa_user_sgpr_kernarg_preload_length 0
		.amdhsa_user_sgpr_kernarg_preload_offset 0
		.amdhsa_user_sgpr_private_segment_size 0
		.amdhsa_wavefront_size32 1
		.amdhsa_uses_dynamic_stack 0
		.amdhsa_enable_private_segment 1
		.amdhsa_system_sgpr_workgroup_id_x 1
		.amdhsa_system_sgpr_workgroup_id_y 0
		.amdhsa_system_sgpr_workgroup_id_z 0
		.amdhsa_system_sgpr_workgroup_info 0
		.amdhsa_system_vgpr_workitem_id 0
		.amdhsa_next_free_vgpr 51
		.amdhsa_next_free_sgpr 34
		.amdhsa_named_barrier_count 0
		.amdhsa_reserve_vcc 1
		.amdhsa_float_round_mode_32 0
		.amdhsa_float_round_mode_16_64 0
		.amdhsa_float_denorm_mode_32 3
		.amdhsa_float_denorm_mode_16_64 3
		.amdhsa_fp16_overflow 0
		.amdhsa_memory_ordered 1
		.amdhsa_forward_progress 1
		.amdhsa_inst_pref_size 1
		.amdhsa_round_robin_scheduling 0
		.amdhsa_exception_fp_ieee_invalid_op 0
		.amdhsa_exception_fp_denorm_src 0
		.amdhsa_exception_fp_ieee_div_zero 0
		.amdhsa_exception_fp_ieee_overflow 0
		.amdhsa_exception_fp_ieee_underflow 0
		.amdhsa_exception_fp_ieee_inexact 0
		.amdhsa_exception_int_div_zero 0
	.end_amdhsa_kernel
	.section	.text._Z39paged_attention_ll4mi_QKV_mfma16_kernelI14__hip_bfloat16hLN4vllm18Fp8KVCacheDataTypeE1EhLi32ELi64ELi256ELb1ELi4EEvPKT_PKT0_S8_ifPKiSA_SA_iPKfiiiPfSD_PS3_PT2_iSC_SC_,"axG",@progbits,_Z39paged_attention_ll4mi_QKV_mfma16_kernelI14__hip_bfloat16hLN4vllm18Fp8KVCacheDataTypeE1EhLi32ELi64ELi256ELb1ELi4EEvPKT_PKT0_S8_ifPKiSA_SA_iPKfiiiPfSD_PS3_PT2_iSC_SC_,comdat
.Lfunc_end1189:
	.size	_Z39paged_attention_ll4mi_QKV_mfma16_kernelI14__hip_bfloat16hLN4vllm18Fp8KVCacheDataTypeE1EhLi32ELi64ELi256ELb1ELi4EEvPKT_PKT0_S8_ifPKiSA_SA_iPKfiiiPfSD_PS3_PT2_iSC_SC_, .Lfunc_end1189-_Z39paged_attention_ll4mi_QKV_mfma16_kernelI14__hip_bfloat16hLN4vllm18Fp8KVCacheDataTypeE1EhLi32ELi64ELi256ELb1ELi4EEvPKT_PKT0_S8_ifPKiSA_SA_iPKfiiiPfSD_PS3_PT2_iSC_SC_
                                        ; -- End function
	.set _Z39paged_attention_ll4mi_QKV_mfma16_kernelI14__hip_bfloat16hLN4vllm18Fp8KVCacheDataTypeE1EhLi32ELi64ELi256ELb1ELi4EEvPKT_PKT0_S8_ifPKiSA_SA_iPKfiiiPfSD_PS3_PT2_iSC_SC_.num_vgpr, max(3, .L__assert_fail.num_vgpr)
	.set _Z39paged_attention_ll4mi_QKV_mfma16_kernelI14__hip_bfloat16hLN4vllm18Fp8KVCacheDataTypeE1EhLi32ELi64ELi256ELb1ELi4EEvPKT_PKT0_S8_ifPKiSA_SA_iPKfiiiPfSD_PS3_PT2_iSC_SC_.num_agpr, max(0, .L__assert_fail.num_agpr)
	.set _Z39paged_attention_ll4mi_QKV_mfma16_kernelI14__hip_bfloat16hLN4vllm18Fp8KVCacheDataTypeE1EhLi32ELi64ELi256ELb1ELi4EEvPKT_PKT0_S8_ifPKiSA_SA_iPKfiiiPfSD_PS3_PT2_iSC_SC_.numbered_sgpr, max(33, .L__assert_fail.numbered_sgpr)
	.set _Z39paged_attention_ll4mi_QKV_mfma16_kernelI14__hip_bfloat16hLN4vllm18Fp8KVCacheDataTypeE1EhLi32ELi64ELi256ELb1ELi4EEvPKT_PKT0_S8_ifPKiSA_SA_iPKfiiiPfSD_PS3_PT2_iSC_SC_.num_named_barrier, max(0, .L__assert_fail.num_named_barrier)
	.set _Z39paged_attention_ll4mi_QKV_mfma16_kernelI14__hip_bfloat16hLN4vllm18Fp8KVCacheDataTypeE1EhLi32ELi64ELi256ELb1ELi4EEvPKT_PKT0_S8_ifPKiSA_SA_iPKfiiiPfSD_PS3_PT2_iSC_SC_.private_seg_size, 0+max(.L__assert_fail.private_seg_size)
	.set _Z39paged_attention_ll4mi_QKV_mfma16_kernelI14__hip_bfloat16hLN4vllm18Fp8KVCacheDataTypeE1EhLi32ELi64ELi256ELb1ELi4EEvPKT_PKT0_S8_ifPKiSA_SA_iPKfiiiPfSD_PS3_PT2_iSC_SC_.uses_vcc, or(1, .L__assert_fail.uses_vcc)
	.set _Z39paged_attention_ll4mi_QKV_mfma16_kernelI14__hip_bfloat16hLN4vllm18Fp8KVCacheDataTypeE1EhLi32ELi64ELi256ELb1ELi4EEvPKT_PKT0_S8_ifPKiSA_SA_iPKfiiiPfSD_PS3_PT2_iSC_SC_.uses_flat_scratch, or(0, .L__assert_fail.uses_flat_scratch)
	.set _Z39paged_attention_ll4mi_QKV_mfma16_kernelI14__hip_bfloat16hLN4vllm18Fp8KVCacheDataTypeE1EhLi32ELi64ELi256ELb1ELi4EEvPKT_PKT0_S8_ifPKiSA_SA_iPKfiiiPfSD_PS3_PT2_iSC_SC_.has_dyn_sized_stack, or(0, .L__assert_fail.has_dyn_sized_stack)
	.set _Z39paged_attention_ll4mi_QKV_mfma16_kernelI14__hip_bfloat16hLN4vllm18Fp8KVCacheDataTypeE1EhLi32ELi64ELi256ELb1ELi4EEvPKT_PKT0_S8_ifPKiSA_SA_iPKfiiiPfSD_PS3_PT2_iSC_SC_.has_recursion, or(0, .L__assert_fail.has_recursion)
	.set _Z39paged_attention_ll4mi_QKV_mfma16_kernelI14__hip_bfloat16hLN4vllm18Fp8KVCacheDataTypeE1EhLi32ELi64ELi256ELb1ELi4EEvPKT_PKT0_S8_ifPKiSA_SA_iPKfiiiPfSD_PS3_PT2_iSC_SC_.has_indirect_call, or(0, .L__assert_fail.has_indirect_call)
	.section	.AMDGPU.csdata,"",@progbits
; Kernel info:
; codeLenInByte = 68
; TotalNumSgprs: 36
; NumVgprs: 51
; ScratchSize: 64
; MemoryBound: 0
; FloatMode: 240
; IeeeMode: 1
; LDSByteSize: 0 bytes/workgroup (compile time only)
; SGPRBlocks: 0
; VGPRBlocks: 3
; NumSGPRsForWavesPerEU: 36
; NumVGPRsForWavesPerEU: 51
; NamedBarCnt: 0
; Occupancy: 16
; WaveLimiterHint : 1
; COMPUTE_PGM_RSRC2:SCRATCH_EN: 1
; COMPUTE_PGM_RSRC2:USER_SGPR: 2
; COMPUTE_PGM_RSRC2:TRAP_HANDLER: 0
; COMPUTE_PGM_RSRC2:TGID_X_EN: 1
; COMPUTE_PGM_RSRC2:TGID_Y_EN: 0
; COMPUTE_PGM_RSRC2:TGID_Z_EN: 0
; COMPUTE_PGM_RSRC2:TIDIG_COMP_CNT: 0
	.section	.text._Z38paged_attention_ll4mi_QKV_mfma4_kernelI14__hip_bfloat16hLN4vllm18Fp8KVCacheDataTypeE1EhLi32ELi64ELi256ELb0ELi1EEvPKT_PKT0_S8_ifPKiSA_SA_iPKfiiiPfSD_PS3_PT2_iSC_SC_,"axG",@progbits,_Z38paged_attention_ll4mi_QKV_mfma4_kernelI14__hip_bfloat16hLN4vllm18Fp8KVCacheDataTypeE1EhLi32ELi64ELi256ELb0ELi1EEvPKT_PKT0_S8_ifPKiSA_SA_iPKfiiiPfSD_PS3_PT2_iSC_SC_,comdat
	.protected	_Z38paged_attention_ll4mi_QKV_mfma4_kernelI14__hip_bfloat16hLN4vllm18Fp8KVCacheDataTypeE1EhLi32ELi64ELi256ELb0ELi1EEvPKT_PKT0_S8_ifPKiSA_SA_iPKfiiiPfSD_PS3_PT2_iSC_SC_ ; -- Begin function _Z38paged_attention_ll4mi_QKV_mfma4_kernelI14__hip_bfloat16hLN4vllm18Fp8KVCacheDataTypeE1EhLi32ELi64ELi256ELb0ELi1EEvPKT_PKT0_S8_ifPKiSA_SA_iPKfiiiPfSD_PS3_PT2_iSC_SC_
	.globl	_Z38paged_attention_ll4mi_QKV_mfma4_kernelI14__hip_bfloat16hLN4vllm18Fp8KVCacheDataTypeE1EhLi32ELi64ELi256ELb0ELi1EEvPKT_PKT0_S8_ifPKiSA_SA_iPKfiiiPfSD_PS3_PT2_iSC_SC_
	.p2align	8
	.type	_Z38paged_attention_ll4mi_QKV_mfma4_kernelI14__hip_bfloat16hLN4vllm18Fp8KVCacheDataTypeE1EhLi32ELi64ELi256ELb0ELi1EEvPKT_PKT0_S8_ifPKiSA_SA_iPKfiiiPfSD_PS3_PT2_iSC_SC_,@function
_Z38paged_attention_ll4mi_QKV_mfma4_kernelI14__hip_bfloat16hLN4vllm18Fp8KVCacheDataTypeE1EhLi32ELi64ELi256ELb0ELi1EEvPKT_PKT0_S8_ifPKiSA_SA_iPKfiiiPfSD_PS3_PT2_iSC_SC_: ; @_Z38paged_attention_ll4mi_QKV_mfma4_kernelI14__hip_bfloat16hLN4vllm18Fp8KVCacheDataTypeE1EhLi32ELi64ELi256ELb0ELi1EEvPKT_PKT0_S8_ifPKiSA_SA_iPKfiiiPfSD_PS3_PT2_iSC_SC_
; %bb.0:
	s_get_pc_i64 s[2:3]
	s_add_nc_u64 s[2:3], s[2:3], __PRETTY_FUNCTION__._Z38paged_attention_ll4mi_QKV_mfma4_kernelI14__hip_bfloat16hLN4vllm18Fp8KVCacheDataTypeE1EhLi32ELi64ELi256ELb0ELi1EEvPKT_PKT0_S8_ifPKiSA_SA_iPKfiiiPfSD_PS3_PT2_iSC_SC_@rel64+4
	s_delay_alu instid0(SALU_CYCLE_1)
	v_dual_mov_b32 v0, 0xbce :: v_dual_mov_b32 v1, s2
	v_mov_b32_e32 v2, s3
	s_add_nc_u64 s[8:9], s[0:1], 0x90
	s_get_pc_i64 s[0:1]
	s_add_nc_u64 s[0:1], s[0:1], __assert_fail@rel64+4
	s_mov_b32 s32, 0
	s_swap_pc_i64 s[30:31], s[0:1]
	.section	.rodata,"a",@progbits
	.p2align	6, 0x0
	.amdhsa_kernel _Z38paged_attention_ll4mi_QKV_mfma4_kernelI14__hip_bfloat16hLN4vllm18Fp8KVCacheDataTypeE1EhLi32ELi64ELi256ELb0ELi1EEvPKT_PKT0_S8_ifPKiSA_SA_iPKfiiiPfSD_PS3_PT2_iSC_SC_
		.amdhsa_group_segment_fixed_size 0
		.amdhsa_private_segment_fixed_size 64
		.amdhsa_kernarg_size 400
		.amdhsa_user_sgpr_count 2
		.amdhsa_user_sgpr_dispatch_ptr 0
		.amdhsa_user_sgpr_queue_ptr 0
		.amdhsa_user_sgpr_kernarg_segment_ptr 1
		.amdhsa_user_sgpr_dispatch_id 0
		.amdhsa_user_sgpr_kernarg_preload_length 0
		.amdhsa_user_sgpr_kernarg_preload_offset 0
		.amdhsa_user_sgpr_private_segment_size 0
		.amdhsa_wavefront_size32 1
		.amdhsa_uses_dynamic_stack 0
		.amdhsa_enable_private_segment 1
		.amdhsa_system_sgpr_workgroup_id_x 1
		.amdhsa_system_sgpr_workgroup_id_y 0
		.amdhsa_system_sgpr_workgroup_id_z 0
		.amdhsa_system_sgpr_workgroup_info 0
		.amdhsa_system_vgpr_workitem_id 0
		.amdhsa_next_free_vgpr 51
		.amdhsa_next_free_sgpr 34
		.amdhsa_named_barrier_count 0
		.amdhsa_reserve_vcc 1
		.amdhsa_float_round_mode_32 0
		.amdhsa_float_round_mode_16_64 0
		.amdhsa_float_denorm_mode_32 3
		.amdhsa_float_denorm_mode_16_64 3
		.amdhsa_fp16_overflow 0
		.amdhsa_memory_ordered 1
		.amdhsa_forward_progress 1
		.amdhsa_inst_pref_size 1
		.amdhsa_round_robin_scheduling 0
		.amdhsa_exception_fp_ieee_invalid_op 0
		.amdhsa_exception_fp_denorm_src 0
		.amdhsa_exception_fp_ieee_div_zero 0
		.amdhsa_exception_fp_ieee_overflow 0
		.amdhsa_exception_fp_ieee_underflow 0
		.amdhsa_exception_fp_ieee_inexact 0
		.amdhsa_exception_int_div_zero 0
	.end_amdhsa_kernel
	.section	.text._Z38paged_attention_ll4mi_QKV_mfma4_kernelI14__hip_bfloat16hLN4vllm18Fp8KVCacheDataTypeE1EhLi32ELi64ELi256ELb0ELi1EEvPKT_PKT0_S8_ifPKiSA_SA_iPKfiiiPfSD_PS3_PT2_iSC_SC_,"axG",@progbits,_Z38paged_attention_ll4mi_QKV_mfma4_kernelI14__hip_bfloat16hLN4vllm18Fp8KVCacheDataTypeE1EhLi32ELi64ELi256ELb0ELi1EEvPKT_PKT0_S8_ifPKiSA_SA_iPKfiiiPfSD_PS3_PT2_iSC_SC_,comdat
.Lfunc_end1190:
	.size	_Z38paged_attention_ll4mi_QKV_mfma4_kernelI14__hip_bfloat16hLN4vllm18Fp8KVCacheDataTypeE1EhLi32ELi64ELi256ELb0ELi1EEvPKT_PKT0_S8_ifPKiSA_SA_iPKfiiiPfSD_PS3_PT2_iSC_SC_, .Lfunc_end1190-_Z38paged_attention_ll4mi_QKV_mfma4_kernelI14__hip_bfloat16hLN4vllm18Fp8KVCacheDataTypeE1EhLi32ELi64ELi256ELb0ELi1EEvPKT_PKT0_S8_ifPKiSA_SA_iPKfiiiPfSD_PS3_PT2_iSC_SC_
                                        ; -- End function
	.set _Z38paged_attention_ll4mi_QKV_mfma4_kernelI14__hip_bfloat16hLN4vllm18Fp8KVCacheDataTypeE1EhLi32ELi64ELi256ELb0ELi1EEvPKT_PKT0_S8_ifPKiSA_SA_iPKfiiiPfSD_PS3_PT2_iSC_SC_.num_vgpr, max(3, .L__assert_fail.num_vgpr)
	.set _Z38paged_attention_ll4mi_QKV_mfma4_kernelI14__hip_bfloat16hLN4vllm18Fp8KVCacheDataTypeE1EhLi32ELi64ELi256ELb0ELi1EEvPKT_PKT0_S8_ifPKiSA_SA_iPKfiiiPfSD_PS3_PT2_iSC_SC_.num_agpr, max(0, .L__assert_fail.num_agpr)
	.set _Z38paged_attention_ll4mi_QKV_mfma4_kernelI14__hip_bfloat16hLN4vllm18Fp8KVCacheDataTypeE1EhLi32ELi64ELi256ELb0ELi1EEvPKT_PKT0_S8_ifPKiSA_SA_iPKfiiiPfSD_PS3_PT2_iSC_SC_.numbered_sgpr, max(33, .L__assert_fail.numbered_sgpr)
	.set _Z38paged_attention_ll4mi_QKV_mfma4_kernelI14__hip_bfloat16hLN4vllm18Fp8KVCacheDataTypeE1EhLi32ELi64ELi256ELb0ELi1EEvPKT_PKT0_S8_ifPKiSA_SA_iPKfiiiPfSD_PS3_PT2_iSC_SC_.num_named_barrier, max(0, .L__assert_fail.num_named_barrier)
	.set _Z38paged_attention_ll4mi_QKV_mfma4_kernelI14__hip_bfloat16hLN4vllm18Fp8KVCacheDataTypeE1EhLi32ELi64ELi256ELb0ELi1EEvPKT_PKT0_S8_ifPKiSA_SA_iPKfiiiPfSD_PS3_PT2_iSC_SC_.private_seg_size, 0+max(.L__assert_fail.private_seg_size)
	.set _Z38paged_attention_ll4mi_QKV_mfma4_kernelI14__hip_bfloat16hLN4vllm18Fp8KVCacheDataTypeE1EhLi32ELi64ELi256ELb0ELi1EEvPKT_PKT0_S8_ifPKiSA_SA_iPKfiiiPfSD_PS3_PT2_iSC_SC_.uses_vcc, or(1, .L__assert_fail.uses_vcc)
	.set _Z38paged_attention_ll4mi_QKV_mfma4_kernelI14__hip_bfloat16hLN4vllm18Fp8KVCacheDataTypeE1EhLi32ELi64ELi256ELb0ELi1EEvPKT_PKT0_S8_ifPKiSA_SA_iPKfiiiPfSD_PS3_PT2_iSC_SC_.uses_flat_scratch, or(0, .L__assert_fail.uses_flat_scratch)
	.set _Z38paged_attention_ll4mi_QKV_mfma4_kernelI14__hip_bfloat16hLN4vllm18Fp8KVCacheDataTypeE1EhLi32ELi64ELi256ELb0ELi1EEvPKT_PKT0_S8_ifPKiSA_SA_iPKfiiiPfSD_PS3_PT2_iSC_SC_.has_dyn_sized_stack, or(0, .L__assert_fail.has_dyn_sized_stack)
	.set _Z38paged_attention_ll4mi_QKV_mfma4_kernelI14__hip_bfloat16hLN4vllm18Fp8KVCacheDataTypeE1EhLi32ELi64ELi256ELb0ELi1EEvPKT_PKT0_S8_ifPKiSA_SA_iPKfiiiPfSD_PS3_PT2_iSC_SC_.has_recursion, or(0, .L__assert_fail.has_recursion)
	.set _Z38paged_attention_ll4mi_QKV_mfma4_kernelI14__hip_bfloat16hLN4vllm18Fp8KVCacheDataTypeE1EhLi32ELi64ELi256ELb0ELi1EEvPKT_PKT0_S8_ifPKiSA_SA_iPKfiiiPfSD_PS3_PT2_iSC_SC_.has_indirect_call, or(0, .L__assert_fail.has_indirect_call)
	.section	.AMDGPU.csdata,"",@progbits
; Kernel info:
; codeLenInByte = 68
; TotalNumSgprs: 36
; NumVgprs: 51
; ScratchSize: 64
; MemoryBound: 0
; FloatMode: 240
; IeeeMode: 1
; LDSByteSize: 0 bytes/workgroup (compile time only)
; SGPRBlocks: 0
; VGPRBlocks: 3
; NumSGPRsForWavesPerEU: 36
; NumVGPRsForWavesPerEU: 51
; NamedBarCnt: 0
; Occupancy: 16
; WaveLimiterHint : 1
; COMPUTE_PGM_RSRC2:SCRATCH_EN: 1
; COMPUTE_PGM_RSRC2:USER_SGPR: 2
; COMPUTE_PGM_RSRC2:TRAP_HANDLER: 0
; COMPUTE_PGM_RSRC2:TGID_X_EN: 1
; COMPUTE_PGM_RSRC2:TGID_Y_EN: 0
; COMPUTE_PGM_RSRC2:TGID_Z_EN: 0
; COMPUTE_PGM_RSRC2:TIDIG_COMP_CNT: 0
	.section	.text._Z38paged_attention_ll4mi_QKV_mfma4_kernelI14__hip_bfloat16hLN4vllm18Fp8KVCacheDataTypeE1EhLi32ELi64ELi256ELb0ELi2EEvPKT_PKT0_S8_ifPKiSA_SA_iPKfiiiPfSD_PS3_PT2_iSC_SC_,"axG",@progbits,_Z38paged_attention_ll4mi_QKV_mfma4_kernelI14__hip_bfloat16hLN4vllm18Fp8KVCacheDataTypeE1EhLi32ELi64ELi256ELb0ELi2EEvPKT_PKT0_S8_ifPKiSA_SA_iPKfiiiPfSD_PS3_PT2_iSC_SC_,comdat
	.protected	_Z38paged_attention_ll4mi_QKV_mfma4_kernelI14__hip_bfloat16hLN4vllm18Fp8KVCacheDataTypeE1EhLi32ELi64ELi256ELb0ELi2EEvPKT_PKT0_S8_ifPKiSA_SA_iPKfiiiPfSD_PS3_PT2_iSC_SC_ ; -- Begin function _Z38paged_attention_ll4mi_QKV_mfma4_kernelI14__hip_bfloat16hLN4vllm18Fp8KVCacheDataTypeE1EhLi32ELi64ELi256ELb0ELi2EEvPKT_PKT0_S8_ifPKiSA_SA_iPKfiiiPfSD_PS3_PT2_iSC_SC_
	.globl	_Z38paged_attention_ll4mi_QKV_mfma4_kernelI14__hip_bfloat16hLN4vllm18Fp8KVCacheDataTypeE1EhLi32ELi64ELi256ELb0ELi2EEvPKT_PKT0_S8_ifPKiSA_SA_iPKfiiiPfSD_PS3_PT2_iSC_SC_
	.p2align	8
	.type	_Z38paged_attention_ll4mi_QKV_mfma4_kernelI14__hip_bfloat16hLN4vllm18Fp8KVCacheDataTypeE1EhLi32ELi64ELi256ELb0ELi2EEvPKT_PKT0_S8_ifPKiSA_SA_iPKfiiiPfSD_PS3_PT2_iSC_SC_,@function
_Z38paged_attention_ll4mi_QKV_mfma4_kernelI14__hip_bfloat16hLN4vllm18Fp8KVCacheDataTypeE1EhLi32ELi64ELi256ELb0ELi2EEvPKT_PKT0_S8_ifPKiSA_SA_iPKfiiiPfSD_PS3_PT2_iSC_SC_: ; @_Z38paged_attention_ll4mi_QKV_mfma4_kernelI14__hip_bfloat16hLN4vllm18Fp8KVCacheDataTypeE1EhLi32ELi64ELi256ELb0ELi2EEvPKT_PKT0_S8_ifPKiSA_SA_iPKfiiiPfSD_PS3_PT2_iSC_SC_
; %bb.0:
	s_get_pc_i64 s[2:3]
	s_add_nc_u64 s[2:3], s[2:3], __PRETTY_FUNCTION__._Z38paged_attention_ll4mi_QKV_mfma4_kernelI14__hip_bfloat16hLN4vllm18Fp8KVCacheDataTypeE1EhLi32ELi64ELi256ELb0ELi2EEvPKT_PKT0_S8_ifPKiSA_SA_iPKfiiiPfSD_PS3_PT2_iSC_SC_@rel64+4
	s_delay_alu instid0(SALU_CYCLE_1)
	v_dual_mov_b32 v0, 0xbce :: v_dual_mov_b32 v1, s2
	v_mov_b32_e32 v2, s3
	s_add_nc_u64 s[8:9], s[0:1], 0x90
	s_get_pc_i64 s[0:1]
	s_add_nc_u64 s[0:1], s[0:1], __assert_fail@rel64+4
	s_mov_b32 s32, 0
	s_swap_pc_i64 s[30:31], s[0:1]
	.section	.rodata,"a",@progbits
	.p2align	6, 0x0
	.amdhsa_kernel _Z38paged_attention_ll4mi_QKV_mfma4_kernelI14__hip_bfloat16hLN4vllm18Fp8KVCacheDataTypeE1EhLi32ELi64ELi256ELb0ELi2EEvPKT_PKT0_S8_ifPKiSA_SA_iPKfiiiPfSD_PS3_PT2_iSC_SC_
		.amdhsa_group_segment_fixed_size 0
		.amdhsa_private_segment_fixed_size 64
		.amdhsa_kernarg_size 400
		.amdhsa_user_sgpr_count 2
		.amdhsa_user_sgpr_dispatch_ptr 0
		.amdhsa_user_sgpr_queue_ptr 0
		.amdhsa_user_sgpr_kernarg_segment_ptr 1
		.amdhsa_user_sgpr_dispatch_id 0
		.amdhsa_user_sgpr_kernarg_preload_length 0
		.amdhsa_user_sgpr_kernarg_preload_offset 0
		.amdhsa_user_sgpr_private_segment_size 0
		.amdhsa_wavefront_size32 1
		.amdhsa_uses_dynamic_stack 0
		.amdhsa_enable_private_segment 1
		.amdhsa_system_sgpr_workgroup_id_x 1
		.amdhsa_system_sgpr_workgroup_id_y 0
		.amdhsa_system_sgpr_workgroup_id_z 0
		.amdhsa_system_sgpr_workgroup_info 0
		.amdhsa_system_vgpr_workitem_id 0
		.amdhsa_next_free_vgpr 51
		.amdhsa_next_free_sgpr 34
		.amdhsa_named_barrier_count 0
		.amdhsa_reserve_vcc 1
		.amdhsa_float_round_mode_32 0
		.amdhsa_float_round_mode_16_64 0
		.amdhsa_float_denorm_mode_32 3
		.amdhsa_float_denorm_mode_16_64 3
		.amdhsa_fp16_overflow 0
		.amdhsa_memory_ordered 1
		.amdhsa_forward_progress 1
		.amdhsa_inst_pref_size 1
		.amdhsa_round_robin_scheduling 0
		.amdhsa_exception_fp_ieee_invalid_op 0
		.amdhsa_exception_fp_denorm_src 0
		.amdhsa_exception_fp_ieee_div_zero 0
		.amdhsa_exception_fp_ieee_overflow 0
		.amdhsa_exception_fp_ieee_underflow 0
		.amdhsa_exception_fp_ieee_inexact 0
		.amdhsa_exception_int_div_zero 0
	.end_amdhsa_kernel
	.section	.text._Z38paged_attention_ll4mi_QKV_mfma4_kernelI14__hip_bfloat16hLN4vllm18Fp8KVCacheDataTypeE1EhLi32ELi64ELi256ELb0ELi2EEvPKT_PKT0_S8_ifPKiSA_SA_iPKfiiiPfSD_PS3_PT2_iSC_SC_,"axG",@progbits,_Z38paged_attention_ll4mi_QKV_mfma4_kernelI14__hip_bfloat16hLN4vllm18Fp8KVCacheDataTypeE1EhLi32ELi64ELi256ELb0ELi2EEvPKT_PKT0_S8_ifPKiSA_SA_iPKfiiiPfSD_PS3_PT2_iSC_SC_,comdat
.Lfunc_end1191:
	.size	_Z38paged_attention_ll4mi_QKV_mfma4_kernelI14__hip_bfloat16hLN4vllm18Fp8KVCacheDataTypeE1EhLi32ELi64ELi256ELb0ELi2EEvPKT_PKT0_S8_ifPKiSA_SA_iPKfiiiPfSD_PS3_PT2_iSC_SC_, .Lfunc_end1191-_Z38paged_attention_ll4mi_QKV_mfma4_kernelI14__hip_bfloat16hLN4vllm18Fp8KVCacheDataTypeE1EhLi32ELi64ELi256ELb0ELi2EEvPKT_PKT0_S8_ifPKiSA_SA_iPKfiiiPfSD_PS3_PT2_iSC_SC_
                                        ; -- End function
	.set _Z38paged_attention_ll4mi_QKV_mfma4_kernelI14__hip_bfloat16hLN4vllm18Fp8KVCacheDataTypeE1EhLi32ELi64ELi256ELb0ELi2EEvPKT_PKT0_S8_ifPKiSA_SA_iPKfiiiPfSD_PS3_PT2_iSC_SC_.num_vgpr, max(3, .L__assert_fail.num_vgpr)
	.set _Z38paged_attention_ll4mi_QKV_mfma4_kernelI14__hip_bfloat16hLN4vllm18Fp8KVCacheDataTypeE1EhLi32ELi64ELi256ELb0ELi2EEvPKT_PKT0_S8_ifPKiSA_SA_iPKfiiiPfSD_PS3_PT2_iSC_SC_.num_agpr, max(0, .L__assert_fail.num_agpr)
	.set _Z38paged_attention_ll4mi_QKV_mfma4_kernelI14__hip_bfloat16hLN4vllm18Fp8KVCacheDataTypeE1EhLi32ELi64ELi256ELb0ELi2EEvPKT_PKT0_S8_ifPKiSA_SA_iPKfiiiPfSD_PS3_PT2_iSC_SC_.numbered_sgpr, max(33, .L__assert_fail.numbered_sgpr)
	.set _Z38paged_attention_ll4mi_QKV_mfma4_kernelI14__hip_bfloat16hLN4vllm18Fp8KVCacheDataTypeE1EhLi32ELi64ELi256ELb0ELi2EEvPKT_PKT0_S8_ifPKiSA_SA_iPKfiiiPfSD_PS3_PT2_iSC_SC_.num_named_barrier, max(0, .L__assert_fail.num_named_barrier)
	.set _Z38paged_attention_ll4mi_QKV_mfma4_kernelI14__hip_bfloat16hLN4vllm18Fp8KVCacheDataTypeE1EhLi32ELi64ELi256ELb0ELi2EEvPKT_PKT0_S8_ifPKiSA_SA_iPKfiiiPfSD_PS3_PT2_iSC_SC_.private_seg_size, 0+max(.L__assert_fail.private_seg_size)
	.set _Z38paged_attention_ll4mi_QKV_mfma4_kernelI14__hip_bfloat16hLN4vllm18Fp8KVCacheDataTypeE1EhLi32ELi64ELi256ELb0ELi2EEvPKT_PKT0_S8_ifPKiSA_SA_iPKfiiiPfSD_PS3_PT2_iSC_SC_.uses_vcc, or(1, .L__assert_fail.uses_vcc)
	.set _Z38paged_attention_ll4mi_QKV_mfma4_kernelI14__hip_bfloat16hLN4vllm18Fp8KVCacheDataTypeE1EhLi32ELi64ELi256ELb0ELi2EEvPKT_PKT0_S8_ifPKiSA_SA_iPKfiiiPfSD_PS3_PT2_iSC_SC_.uses_flat_scratch, or(0, .L__assert_fail.uses_flat_scratch)
	.set _Z38paged_attention_ll4mi_QKV_mfma4_kernelI14__hip_bfloat16hLN4vllm18Fp8KVCacheDataTypeE1EhLi32ELi64ELi256ELb0ELi2EEvPKT_PKT0_S8_ifPKiSA_SA_iPKfiiiPfSD_PS3_PT2_iSC_SC_.has_dyn_sized_stack, or(0, .L__assert_fail.has_dyn_sized_stack)
	.set _Z38paged_attention_ll4mi_QKV_mfma4_kernelI14__hip_bfloat16hLN4vllm18Fp8KVCacheDataTypeE1EhLi32ELi64ELi256ELb0ELi2EEvPKT_PKT0_S8_ifPKiSA_SA_iPKfiiiPfSD_PS3_PT2_iSC_SC_.has_recursion, or(0, .L__assert_fail.has_recursion)
	.set _Z38paged_attention_ll4mi_QKV_mfma4_kernelI14__hip_bfloat16hLN4vllm18Fp8KVCacheDataTypeE1EhLi32ELi64ELi256ELb0ELi2EEvPKT_PKT0_S8_ifPKiSA_SA_iPKfiiiPfSD_PS3_PT2_iSC_SC_.has_indirect_call, or(0, .L__assert_fail.has_indirect_call)
	.section	.AMDGPU.csdata,"",@progbits
; Kernel info:
; codeLenInByte = 68
; TotalNumSgprs: 36
; NumVgprs: 51
; ScratchSize: 64
; MemoryBound: 0
; FloatMode: 240
; IeeeMode: 1
; LDSByteSize: 0 bytes/workgroup (compile time only)
; SGPRBlocks: 0
; VGPRBlocks: 3
; NumSGPRsForWavesPerEU: 36
; NumVGPRsForWavesPerEU: 51
; NamedBarCnt: 0
; Occupancy: 16
; WaveLimiterHint : 1
; COMPUTE_PGM_RSRC2:SCRATCH_EN: 1
; COMPUTE_PGM_RSRC2:USER_SGPR: 2
; COMPUTE_PGM_RSRC2:TRAP_HANDLER: 0
; COMPUTE_PGM_RSRC2:TGID_X_EN: 1
; COMPUTE_PGM_RSRC2:TGID_Y_EN: 0
; COMPUTE_PGM_RSRC2:TGID_Z_EN: 0
; COMPUTE_PGM_RSRC2:TIDIG_COMP_CNT: 0
	.section	.text._Z38paged_attention_ll4mi_QKV_mfma4_kernelI14__hip_bfloat16hLN4vllm18Fp8KVCacheDataTypeE1EhLi32ELi64ELi256ELb0ELi3EEvPKT_PKT0_S8_ifPKiSA_SA_iPKfiiiPfSD_PS3_PT2_iSC_SC_,"axG",@progbits,_Z38paged_attention_ll4mi_QKV_mfma4_kernelI14__hip_bfloat16hLN4vllm18Fp8KVCacheDataTypeE1EhLi32ELi64ELi256ELb0ELi3EEvPKT_PKT0_S8_ifPKiSA_SA_iPKfiiiPfSD_PS3_PT2_iSC_SC_,comdat
	.protected	_Z38paged_attention_ll4mi_QKV_mfma4_kernelI14__hip_bfloat16hLN4vllm18Fp8KVCacheDataTypeE1EhLi32ELi64ELi256ELb0ELi3EEvPKT_PKT0_S8_ifPKiSA_SA_iPKfiiiPfSD_PS3_PT2_iSC_SC_ ; -- Begin function _Z38paged_attention_ll4mi_QKV_mfma4_kernelI14__hip_bfloat16hLN4vllm18Fp8KVCacheDataTypeE1EhLi32ELi64ELi256ELb0ELi3EEvPKT_PKT0_S8_ifPKiSA_SA_iPKfiiiPfSD_PS3_PT2_iSC_SC_
	.globl	_Z38paged_attention_ll4mi_QKV_mfma4_kernelI14__hip_bfloat16hLN4vllm18Fp8KVCacheDataTypeE1EhLi32ELi64ELi256ELb0ELi3EEvPKT_PKT0_S8_ifPKiSA_SA_iPKfiiiPfSD_PS3_PT2_iSC_SC_
	.p2align	8
	.type	_Z38paged_attention_ll4mi_QKV_mfma4_kernelI14__hip_bfloat16hLN4vllm18Fp8KVCacheDataTypeE1EhLi32ELi64ELi256ELb0ELi3EEvPKT_PKT0_S8_ifPKiSA_SA_iPKfiiiPfSD_PS3_PT2_iSC_SC_,@function
_Z38paged_attention_ll4mi_QKV_mfma4_kernelI14__hip_bfloat16hLN4vllm18Fp8KVCacheDataTypeE1EhLi32ELi64ELi256ELb0ELi3EEvPKT_PKT0_S8_ifPKiSA_SA_iPKfiiiPfSD_PS3_PT2_iSC_SC_: ; @_Z38paged_attention_ll4mi_QKV_mfma4_kernelI14__hip_bfloat16hLN4vllm18Fp8KVCacheDataTypeE1EhLi32ELi64ELi256ELb0ELi3EEvPKT_PKT0_S8_ifPKiSA_SA_iPKfiiiPfSD_PS3_PT2_iSC_SC_
; %bb.0:
	s_get_pc_i64 s[2:3]
	s_add_nc_u64 s[2:3], s[2:3], __PRETTY_FUNCTION__._Z38paged_attention_ll4mi_QKV_mfma4_kernelI14__hip_bfloat16hLN4vllm18Fp8KVCacheDataTypeE1EhLi32ELi64ELi256ELb0ELi3EEvPKT_PKT0_S8_ifPKiSA_SA_iPKfiiiPfSD_PS3_PT2_iSC_SC_@rel64+4
	s_delay_alu instid0(SALU_CYCLE_1)
	v_dual_mov_b32 v0, 0xbce :: v_dual_mov_b32 v1, s2
	v_mov_b32_e32 v2, s3
	s_add_nc_u64 s[8:9], s[0:1], 0x90
	s_get_pc_i64 s[0:1]
	s_add_nc_u64 s[0:1], s[0:1], __assert_fail@rel64+4
	s_mov_b32 s32, 0
	s_swap_pc_i64 s[30:31], s[0:1]
	.section	.rodata,"a",@progbits
	.p2align	6, 0x0
	.amdhsa_kernel _Z38paged_attention_ll4mi_QKV_mfma4_kernelI14__hip_bfloat16hLN4vllm18Fp8KVCacheDataTypeE1EhLi32ELi64ELi256ELb0ELi3EEvPKT_PKT0_S8_ifPKiSA_SA_iPKfiiiPfSD_PS3_PT2_iSC_SC_
		.amdhsa_group_segment_fixed_size 0
		.amdhsa_private_segment_fixed_size 64
		.amdhsa_kernarg_size 400
		.amdhsa_user_sgpr_count 2
		.amdhsa_user_sgpr_dispatch_ptr 0
		.amdhsa_user_sgpr_queue_ptr 0
		.amdhsa_user_sgpr_kernarg_segment_ptr 1
		.amdhsa_user_sgpr_dispatch_id 0
		.amdhsa_user_sgpr_kernarg_preload_length 0
		.amdhsa_user_sgpr_kernarg_preload_offset 0
		.amdhsa_user_sgpr_private_segment_size 0
		.amdhsa_wavefront_size32 1
		.amdhsa_uses_dynamic_stack 0
		.amdhsa_enable_private_segment 1
		.amdhsa_system_sgpr_workgroup_id_x 1
		.amdhsa_system_sgpr_workgroup_id_y 0
		.amdhsa_system_sgpr_workgroup_id_z 0
		.amdhsa_system_sgpr_workgroup_info 0
		.amdhsa_system_vgpr_workitem_id 0
		.amdhsa_next_free_vgpr 51
		.amdhsa_next_free_sgpr 34
		.amdhsa_named_barrier_count 0
		.amdhsa_reserve_vcc 1
		.amdhsa_float_round_mode_32 0
		.amdhsa_float_round_mode_16_64 0
		.amdhsa_float_denorm_mode_32 3
		.amdhsa_float_denorm_mode_16_64 3
		.amdhsa_fp16_overflow 0
		.amdhsa_memory_ordered 1
		.amdhsa_forward_progress 1
		.amdhsa_inst_pref_size 1
		.amdhsa_round_robin_scheduling 0
		.amdhsa_exception_fp_ieee_invalid_op 0
		.amdhsa_exception_fp_denorm_src 0
		.amdhsa_exception_fp_ieee_div_zero 0
		.amdhsa_exception_fp_ieee_overflow 0
		.amdhsa_exception_fp_ieee_underflow 0
		.amdhsa_exception_fp_ieee_inexact 0
		.amdhsa_exception_int_div_zero 0
	.end_amdhsa_kernel
	.section	.text._Z38paged_attention_ll4mi_QKV_mfma4_kernelI14__hip_bfloat16hLN4vllm18Fp8KVCacheDataTypeE1EhLi32ELi64ELi256ELb0ELi3EEvPKT_PKT0_S8_ifPKiSA_SA_iPKfiiiPfSD_PS3_PT2_iSC_SC_,"axG",@progbits,_Z38paged_attention_ll4mi_QKV_mfma4_kernelI14__hip_bfloat16hLN4vllm18Fp8KVCacheDataTypeE1EhLi32ELi64ELi256ELb0ELi3EEvPKT_PKT0_S8_ifPKiSA_SA_iPKfiiiPfSD_PS3_PT2_iSC_SC_,comdat
.Lfunc_end1192:
	.size	_Z38paged_attention_ll4mi_QKV_mfma4_kernelI14__hip_bfloat16hLN4vllm18Fp8KVCacheDataTypeE1EhLi32ELi64ELi256ELb0ELi3EEvPKT_PKT0_S8_ifPKiSA_SA_iPKfiiiPfSD_PS3_PT2_iSC_SC_, .Lfunc_end1192-_Z38paged_attention_ll4mi_QKV_mfma4_kernelI14__hip_bfloat16hLN4vllm18Fp8KVCacheDataTypeE1EhLi32ELi64ELi256ELb0ELi3EEvPKT_PKT0_S8_ifPKiSA_SA_iPKfiiiPfSD_PS3_PT2_iSC_SC_
                                        ; -- End function
	.set _Z38paged_attention_ll4mi_QKV_mfma4_kernelI14__hip_bfloat16hLN4vllm18Fp8KVCacheDataTypeE1EhLi32ELi64ELi256ELb0ELi3EEvPKT_PKT0_S8_ifPKiSA_SA_iPKfiiiPfSD_PS3_PT2_iSC_SC_.num_vgpr, max(3, .L__assert_fail.num_vgpr)
	.set _Z38paged_attention_ll4mi_QKV_mfma4_kernelI14__hip_bfloat16hLN4vllm18Fp8KVCacheDataTypeE1EhLi32ELi64ELi256ELb0ELi3EEvPKT_PKT0_S8_ifPKiSA_SA_iPKfiiiPfSD_PS3_PT2_iSC_SC_.num_agpr, max(0, .L__assert_fail.num_agpr)
	.set _Z38paged_attention_ll4mi_QKV_mfma4_kernelI14__hip_bfloat16hLN4vllm18Fp8KVCacheDataTypeE1EhLi32ELi64ELi256ELb0ELi3EEvPKT_PKT0_S8_ifPKiSA_SA_iPKfiiiPfSD_PS3_PT2_iSC_SC_.numbered_sgpr, max(33, .L__assert_fail.numbered_sgpr)
	.set _Z38paged_attention_ll4mi_QKV_mfma4_kernelI14__hip_bfloat16hLN4vllm18Fp8KVCacheDataTypeE1EhLi32ELi64ELi256ELb0ELi3EEvPKT_PKT0_S8_ifPKiSA_SA_iPKfiiiPfSD_PS3_PT2_iSC_SC_.num_named_barrier, max(0, .L__assert_fail.num_named_barrier)
	.set _Z38paged_attention_ll4mi_QKV_mfma4_kernelI14__hip_bfloat16hLN4vllm18Fp8KVCacheDataTypeE1EhLi32ELi64ELi256ELb0ELi3EEvPKT_PKT0_S8_ifPKiSA_SA_iPKfiiiPfSD_PS3_PT2_iSC_SC_.private_seg_size, 0+max(.L__assert_fail.private_seg_size)
	.set _Z38paged_attention_ll4mi_QKV_mfma4_kernelI14__hip_bfloat16hLN4vllm18Fp8KVCacheDataTypeE1EhLi32ELi64ELi256ELb0ELi3EEvPKT_PKT0_S8_ifPKiSA_SA_iPKfiiiPfSD_PS3_PT2_iSC_SC_.uses_vcc, or(1, .L__assert_fail.uses_vcc)
	.set _Z38paged_attention_ll4mi_QKV_mfma4_kernelI14__hip_bfloat16hLN4vllm18Fp8KVCacheDataTypeE1EhLi32ELi64ELi256ELb0ELi3EEvPKT_PKT0_S8_ifPKiSA_SA_iPKfiiiPfSD_PS3_PT2_iSC_SC_.uses_flat_scratch, or(0, .L__assert_fail.uses_flat_scratch)
	.set _Z38paged_attention_ll4mi_QKV_mfma4_kernelI14__hip_bfloat16hLN4vllm18Fp8KVCacheDataTypeE1EhLi32ELi64ELi256ELb0ELi3EEvPKT_PKT0_S8_ifPKiSA_SA_iPKfiiiPfSD_PS3_PT2_iSC_SC_.has_dyn_sized_stack, or(0, .L__assert_fail.has_dyn_sized_stack)
	.set _Z38paged_attention_ll4mi_QKV_mfma4_kernelI14__hip_bfloat16hLN4vllm18Fp8KVCacheDataTypeE1EhLi32ELi64ELi256ELb0ELi3EEvPKT_PKT0_S8_ifPKiSA_SA_iPKfiiiPfSD_PS3_PT2_iSC_SC_.has_recursion, or(0, .L__assert_fail.has_recursion)
	.set _Z38paged_attention_ll4mi_QKV_mfma4_kernelI14__hip_bfloat16hLN4vllm18Fp8KVCacheDataTypeE1EhLi32ELi64ELi256ELb0ELi3EEvPKT_PKT0_S8_ifPKiSA_SA_iPKfiiiPfSD_PS3_PT2_iSC_SC_.has_indirect_call, or(0, .L__assert_fail.has_indirect_call)
	.section	.AMDGPU.csdata,"",@progbits
; Kernel info:
; codeLenInByte = 68
; TotalNumSgprs: 36
; NumVgprs: 51
; ScratchSize: 64
; MemoryBound: 0
; FloatMode: 240
; IeeeMode: 1
; LDSByteSize: 0 bytes/workgroup (compile time only)
; SGPRBlocks: 0
; VGPRBlocks: 3
; NumSGPRsForWavesPerEU: 36
; NumVGPRsForWavesPerEU: 51
; NamedBarCnt: 0
; Occupancy: 16
; WaveLimiterHint : 1
; COMPUTE_PGM_RSRC2:SCRATCH_EN: 1
; COMPUTE_PGM_RSRC2:USER_SGPR: 2
; COMPUTE_PGM_RSRC2:TRAP_HANDLER: 0
; COMPUTE_PGM_RSRC2:TGID_X_EN: 1
; COMPUTE_PGM_RSRC2:TGID_Y_EN: 0
; COMPUTE_PGM_RSRC2:TGID_Z_EN: 0
; COMPUTE_PGM_RSRC2:TIDIG_COMP_CNT: 0
	.section	.text._Z38paged_attention_ll4mi_QKV_mfma4_kernelI14__hip_bfloat16hLN4vllm18Fp8KVCacheDataTypeE1EhLi32ELi64ELi256ELb0ELi4EEvPKT_PKT0_S8_ifPKiSA_SA_iPKfiiiPfSD_PS3_PT2_iSC_SC_,"axG",@progbits,_Z38paged_attention_ll4mi_QKV_mfma4_kernelI14__hip_bfloat16hLN4vllm18Fp8KVCacheDataTypeE1EhLi32ELi64ELi256ELb0ELi4EEvPKT_PKT0_S8_ifPKiSA_SA_iPKfiiiPfSD_PS3_PT2_iSC_SC_,comdat
	.protected	_Z38paged_attention_ll4mi_QKV_mfma4_kernelI14__hip_bfloat16hLN4vllm18Fp8KVCacheDataTypeE1EhLi32ELi64ELi256ELb0ELi4EEvPKT_PKT0_S8_ifPKiSA_SA_iPKfiiiPfSD_PS3_PT2_iSC_SC_ ; -- Begin function _Z38paged_attention_ll4mi_QKV_mfma4_kernelI14__hip_bfloat16hLN4vllm18Fp8KVCacheDataTypeE1EhLi32ELi64ELi256ELb0ELi4EEvPKT_PKT0_S8_ifPKiSA_SA_iPKfiiiPfSD_PS3_PT2_iSC_SC_
	.globl	_Z38paged_attention_ll4mi_QKV_mfma4_kernelI14__hip_bfloat16hLN4vllm18Fp8KVCacheDataTypeE1EhLi32ELi64ELi256ELb0ELi4EEvPKT_PKT0_S8_ifPKiSA_SA_iPKfiiiPfSD_PS3_PT2_iSC_SC_
	.p2align	8
	.type	_Z38paged_attention_ll4mi_QKV_mfma4_kernelI14__hip_bfloat16hLN4vllm18Fp8KVCacheDataTypeE1EhLi32ELi64ELi256ELb0ELi4EEvPKT_PKT0_S8_ifPKiSA_SA_iPKfiiiPfSD_PS3_PT2_iSC_SC_,@function
_Z38paged_attention_ll4mi_QKV_mfma4_kernelI14__hip_bfloat16hLN4vllm18Fp8KVCacheDataTypeE1EhLi32ELi64ELi256ELb0ELi4EEvPKT_PKT0_S8_ifPKiSA_SA_iPKfiiiPfSD_PS3_PT2_iSC_SC_: ; @_Z38paged_attention_ll4mi_QKV_mfma4_kernelI14__hip_bfloat16hLN4vllm18Fp8KVCacheDataTypeE1EhLi32ELi64ELi256ELb0ELi4EEvPKT_PKT0_S8_ifPKiSA_SA_iPKfiiiPfSD_PS3_PT2_iSC_SC_
; %bb.0:
	s_get_pc_i64 s[2:3]
	s_add_nc_u64 s[2:3], s[2:3], __PRETTY_FUNCTION__._Z38paged_attention_ll4mi_QKV_mfma4_kernelI14__hip_bfloat16hLN4vllm18Fp8KVCacheDataTypeE1EhLi32ELi64ELi256ELb0ELi4EEvPKT_PKT0_S8_ifPKiSA_SA_iPKfiiiPfSD_PS3_PT2_iSC_SC_@rel64+4
	s_delay_alu instid0(SALU_CYCLE_1)
	v_dual_mov_b32 v0, 0xbce :: v_dual_mov_b32 v1, s2
	v_mov_b32_e32 v2, s3
	s_add_nc_u64 s[8:9], s[0:1], 0x90
	s_get_pc_i64 s[0:1]
	s_add_nc_u64 s[0:1], s[0:1], __assert_fail@rel64+4
	s_mov_b32 s32, 0
	s_swap_pc_i64 s[30:31], s[0:1]
	.section	.rodata,"a",@progbits
	.p2align	6, 0x0
	.amdhsa_kernel _Z38paged_attention_ll4mi_QKV_mfma4_kernelI14__hip_bfloat16hLN4vllm18Fp8KVCacheDataTypeE1EhLi32ELi64ELi256ELb0ELi4EEvPKT_PKT0_S8_ifPKiSA_SA_iPKfiiiPfSD_PS3_PT2_iSC_SC_
		.amdhsa_group_segment_fixed_size 0
		.amdhsa_private_segment_fixed_size 64
		.amdhsa_kernarg_size 400
		.amdhsa_user_sgpr_count 2
		.amdhsa_user_sgpr_dispatch_ptr 0
		.amdhsa_user_sgpr_queue_ptr 0
		.amdhsa_user_sgpr_kernarg_segment_ptr 1
		.amdhsa_user_sgpr_dispatch_id 0
		.amdhsa_user_sgpr_kernarg_preload_length 0
		.amdhsa_user_sgpr_kernarg_preload_offset 0
		.amdhsa_user_sgpr_private_segment_size 0
		.amdhsa_wavefront_size32 1
		.amdhsa_uses_dynamic_stack 0
		.amdhsa_enable_private_segment 1
		.amdhsa_system_sgpr_workgroup_id_x 1
		.amdhsa_system_sgpr_workgroup_id_y 0
		.amdhsa_system_sgpr_workgroup_id_z 0
		.amdhsa_system_sgpr_workgroup_info 0
		.amdhsa_system_vgpr_workitem_id 0
		.amdhsa_next_free_vgpr 51
		.amdhsa_next_free_sgpr 34
		.amdhsa_named_barrier_count 0
		.amdhsa_reserve_vcc 1
		.amdhsa_float_round_mode_32 0
		.amdhsa_float_round_mode_16_64 0
		.amdhsa_float_denorm_mode_32 3
		.amdhsa_float_denorm_mode_16_64 3
		.amdhsa_fp16_overflow 0
		.amdhsa_memory_ordered 1
		.amdhsa_forward_progress 1
		.amdhsa_inst_pref_size 1
		.amdhsa_round_robin_scheduling 0
		.amdhsa_exception_fp_ieee_invalid_op 0
		.amdhsa_exception_fp_denorm_src 0
		.amdhsa_exception_fp_ieee_div_zero 0
		.amdhsa_exception_fp_ieee_overflow 0
		.amdhsa_exception_fp_ieee_underflow 0
		.amdhsa_exception_fp_ieee_inexact 0
		.amdhsa_exception_int_div_zero 0
	.end_amdhsa_kernel
	.section	.text._Z38paged_attention_ll4mi_QKV_mfma4_kernelI14__hip_bfloat16hLN4vllm18Fp8KVCacheDataTypeE1EhLi32ELi64ELi256ELb0ELi4EEvPKT_PKT0_S8_ifPKiSA_SA_iPKfiiiPfSD_PS3_PT2_iSC_SC_,"axG",@progbits,_Z38paged_attention_ll4mi_QKV_mfma4_kernelI14__hip_bfloat16hLN4vllm18Fp8KVCacheDataTypeE1EhLi32ELi64ELi256ELb0ELi4EEvPKT_PKT0_S8_ifPKiSA_SA_iPKfiiiPfSD_PS3_PT2_iSC_SC_,comdat
.Lfunc_end1193:
	.size	_Z38paged_attention_ll4mi_QKV_mfma4_kernelI14__hip_bfloat16hLN4vllm18Fp8KVCacheDataTypeE1EhLi32ELi64ELi256ELb0ELi4EEvPKT_PKT0_S8_ifPKiSA_SA_iPKfiiiPfSD_PS3_PT2_iSC_SC_, .Lfunc_end1193-_Z38paged_attention_ll4mi_QKV_mfma4_kernelI14__hip_bfloat16hLN4vllm18Fp8KVCacheDataTypeE1EhLi32ELi64ELi256ELb0ELi4EEvPKT_PKT0_S8_ifPKiSA_SA_iPKfiiiPfSD_PS3_PT2_iSC_SC_
                                        ; -- End function
	.set _Z38paged_attention_ll4mi_QKV_mfma4_kernelI14__hip_bfloat16hLN4vllm18Fp8KVCacheDataTypeE1EhLi32ELi64ELi256ELb0ELi4EEvPKT_PKT0_S8_ifPKiSA_SA_iPKfiiiPfSD_PS3_PT2_iSC_SC_.num_vgpr, max(3, .L__assert_fail.num_vgpr)
	.set _Z38paged_attention_ll4mi_QKV_mfma4_kernelI14__hip_bfloat16hLN4vllm18Fp8KVCacheDataTypeE1EhLi32ELi64ELi256ELb0ELi4EEvPKT_PKT0_S8_ifPKiSA_SA_iPKfiiiPfSD_PS3_PT2_iSC_SC_.num_agpr, max(0, .L__assert_fail.num_agpr)
	.set _Z38paged_attention_ll4mi_QKV_mfma4_kernelI14__hip_bfloat16hLN4vllm18Fp8KVCacheDataTypeE1EhLi32ELi64ELi256ELb0ELi4EEvPKT_PKT0_S8_ifPKiSA_SA_iPKfiiiPfSD_PS3_PT2_iSC_SC_.numbered_sgpr, max(33, .L__assert_fail.numbered_sgpr)
	.set _Z38paged_attention_ll4mi_QKV_mfma4_kernelI14__hip_bfloat16hLN4vllm18Fp8KVCacheDataTypeE1EhLi32ELi64ELi256ELb0ELi4EEvPKT_PKT0_S8_ifPKiSA_SA_iPKfiiiPfSD_PS3_PT2_iSC_SC_.num_named_barrier, max(0, .L__assert_fail.num_named_barrier)
	.set _Z38paged_attention_ll4mi_QKV_mfma4_kernelI14__hip_bfloat16hLN4vllm18Fp8KVCacheDataTypeE1EhLi32ELi64ELi256ELb0ELi4EEvPKT_PKT0_S8_ifPKiSA_SA_iPKfiiiPfSD_PS3_PT2_iSC_SC_.private_seg_size, 0+max(.L__assert_fail.private_seg_size)
	.set _Z38paged_attention_ll4mi_QKV_mfma4_kernelI14__hip_bfloat16hLN4vllm18Fp8KVCacheDataTypeE1EhLi32ELi64ELi256ELb0ELi4EEvPKT_PKT0_S8_ifPKiSA_SA_iPKfiiiPfSD_PS3_PT2_iSC_SC_.uses_vcc, or(1, .L__assert_fail.uses_vcc)
	.set _Z38paged_attention_ll4mi_QKV_mfma4_kernelI14__hip_bfloat16hLN4vllm18Fp8KVCacheDataTypeE1EhLi32ELi64ELi256ELb0ELi4EEvPKT_PKT0_S8_ifPKiSA_SA_iPKfiiiPfSD_PS3_PT2_iSC_SC_.uses_flat_scratch, or(0, .L__assert_fail.uses_flat_scratch)
	.set _Z38paged_attention_ll4mi_QKV_mfma4_kernelI14__hip_bfloat16hLN4vllm18Fp8KVCacheDataTypeE1EhLi32ELi64ELi256ELb0ELi4EEvPKT_PKT0_S8_ifPKiSA_SA_iPKfiiiPfSD_PS3_PT2_iSC_SC_.has_dyn_sized_stack, or(0, .L__assert_fail.has_dyn_sized_stack)
	.set _Z38paged_attention_ll4mi_QKV_mfma4_kernelI14__hip_bfloat16hLN4vllm18Fp8KVCacheDataTypeE1EhLi32ELi64ELi256ELb0ELi4EEvPKT_PKT0_S8_ifPKiSA_SA_iPKfiiiPfSD_PS3_PT2_iSC_SC_.has_recursion, or(0, .L__assert_fail.has_recursion)
	.set _Z38paged_attention_ll4mi_QKV_mfma4_kernelI14__hip_bfloat16hLN4vllm18Fp8KVCacheDataTypeE1EhLi32ELi64ELi256ELb0ELi4EEvPKT_PKT0_S8_ifPKiSA_SA_iPKfiiiPfSD_PS3_PT2_iSC_SC_.has_indirect_call, or(0, .L__assert_fail.has_indirect_call)
	.section	.AMDGPU.csdata,"",@progbits
; Kernel info:
; codeLenInByte = 68
; TotalNumSgprs: 36
; NumVgprs: 51
; ScratchSize: 64
; MemoryBound: 0
; FloatMode: 240
; IeeeMode: 1
; LDSByteSize: 0 bytes/workgroup (compile time only)
; SGPRBlocks: 0
; VGPRBlocks: 3
; NumSGPRsForWavesPerEU: 36
; NumVGPRsForWavesPerEU: 51
; NamedBarCnt: 0
; Occupancy: 16
; WaveLimiterHint : 1
; COMPUTE_PGM_RSRC2:SCRATCH_EN: 1
; COMPUTE_PGM_RSRC2:USER_SGPR: 2
; COMPUTE_PGM_RSRC2:TRAP_HANDLER: 0
; COMPUTE_PGM_RSRC2:TGID_X_EN: 1
; COMPUTE_PGM_RSRC2:TGID_Y_EN: 0
; COMPUTE_PGM_RSRC2:TGID_Z_EN: 0
; COMPUTE_PGM_RSRC2:TIDIG_COMP_CNT: 0
	.section	.text._Z39paged_attention_ll4mi_QKV_mfma16_kernelI14__hip_bfloat16hLN4vllm18Fp8KVCacheDataTypeE1EhLi32ELi64ELi256ELb0ELi5EEvPKT_PKT0_S8_ifPKiSA_SA_iPKfiiiPfSD_PS3_PT2_iSC_SC_,"axG",@progbits,_Z39paged_attention_ll4mi_QKV_mfma16_kernelI14__hip_bfloat16hLN4vllm18Fp8KVCacheDataTypeE1EhLi32ELi64ELi256ELb0ELi5EEvPKT_PKT0_S8_ifPKiSA_SA_iPKfiiiPfSD_PS3_PT2_iSC_SC_,comdat
	.protected	_Z39paged_attention_ll4mi_QKV_mfma16_kernelI14__hip_bfloat16hLN4vllm18Fp8KVCacheDataTypeE1EhLi32ELi64ELi256ELb0ELi5EEvPKT_PKT0_S8_ifPKiSA_SA_iPKfiiiPfSD_PS3_PT2_iSC_SC_ ; -- Begin function _Z39paged_attention_ll4mi_QKV_mfma16_kernelI14__hip_bfloat16hLN4vllm18Fp8KVCacheDataTypeE1EhLi32ELi64ELi256ELb0ELi5EEvPKT_PKT0_S8_ifPKiSA_SA_iPKfiiiPfSD_PS3_PT2_iSC_SC_
	.globl	_Z39paged_attention_ll4mi_QKV_mfma16_kernelI14__hip_bfloat16hLN4vllm18Fp8KVCacheDataTypeE1EhLi32ELi64ELi256ELb0ELi5EEvPKT_PKT0_S8_ifPKiSA_SA_iPKfiiiPfSD_PS3_PT2_iSC_SC_
	.p2align	8
	.type	_Z39paged_attention_ll4mi_QKV_mfma16_kernelI14__hip_bfloat16hLN4vllm18Fp8KVCacheDataTypeE1EhLi32ELi64ELi256ELb0ELi5EEvPKT_PKT0_S8_ifPKiSA_SA_iPKfiiiPfSD_PS3_PT2_iSC_SC_,@function
_Z39paged_attention_ll4mi_QKV_mfma16_kernelI14__hip_bfloat16hLN4vllm18Fp8KVCacheDataTypeE1EhLi32ELi64ELi256ELb0ELi5EEvPKT_PKT0_S8_ifPKiSA_SA_iPKfiiiPfSD_PS3_PT2_iSC_SC_: ; @_Z39paged_attention_ll4mi_QKV_mfma16_kernelI14__hip_bfloat16hLN4vllm18Fp8KVCacheDataTypeE1EhLi32ELi64ELi256ELb0ELi5EEvPKT_PKT0_S8_ifPKiSA_SA_iPKfiiiPfSD_PS3_PT2_iSC_SC_
; %bb.0:
	s_get_pc_i64 s[2:3]
	s_add_nc_u64 s[2:3], s[2:3], __PRETTY_FUNCTION__._Z39paged_attention_ll4mi_QKV_mfma16_kernelI14__hip_bfloat16hLN4vllm18Fp8KVCacheDataTypeE1EhLi32ELi64ELi256ELb0ELi5EEvPKT_PKT0_S8_ifPKiSA_SA_iPKfiiiPfSD_PS3_PT2_iSC_SC_@rel64+4
	s_delay_alu instid0(SALU_CYCLE_1)
	v_dual_mov_b32 v0, 0xbb3 :: v_dual_mov_b32 v1, s2
	v_mov_b32_e32 v2, s3
	s_add_nc_u64 s[8:9], s[0:1], 0x90
	s_get_pc_i64 s[0:1]
	s_add_nc_u64 s[0:1], s[0:1], __assert_fail@rel64+4
	s_mov_b32 s32, 0
	s_swap_pc_i64 s[30:31], s[0:1]
	.section	.rodata,"a",@progbits
	.p2align	6, 0x0
	.amdhsa_kernel _Z39paged_attention_ll4mi_QKV_mfma16_kernelI14__hip_bfloat16hLN4vllm18Fp8KVCacheDataTypeE1EhLi32ELi64ELi256ELb0ELi5EEvPKT_PKT0_S8_ifPKiSA_SA_iPKfiiiPfSD_PS3_PT2_iSC_SC_
		.amdhsa_group_segment_fixed_size 0
		.amdhsa_private_segment_fixed_size 64
		.amdhsa_kernarg_size 400
		.amdhsa_user_sgpr_count 2
		.amdhsa_user_sgpr_dispatch_ptr 0
		.amdhsa_user_sgpr_queue_ptr 0
		.amdhsa_user_sgpr_kernarg_segment_ptr 1
		.amdhsa_user_sgpr_dispatch_id 0
		.amdhsa_user_sgpr_kernarg_preload_length 0
		.amdhsa_user_sgpr_kernarg_preload_offset 0
		.amdhsa_user_sgpr_private_segment_size 0
		.amdhsa_wavefront_size32 1
		.amdhsa_uses_dynamic_stack 0
		.amdhsa_enable_private_segment 1
		.amdhsa_system_sgpr_workgroup_id_x 1
		.amdhsa_system_sgpr_workgroup_id_y 0
		.amdhsa_system_sgpr_workgroup_id_z 0
		.amdhsa_system_sgpr_workgroup_info 0
		.amdhsa_system_vgpr_workitem_id 0
		.amdhsa_next_free_vgpr 51
		.amdhsa_next_free_sgpr 34
		.amdhsa_named_barrier_count 0
		.amdhsa_reserve_vcc 1
		.amdhsa_float_round_mode_32 0
		.amdhsa_float_round_mode_16_64 0
		.amdhsa_float_denorm_mode_32 3
		.amdhsa_float_denorm_mode_16_64 3
		.amdhsa_fp16_overflow 0
		.amdhsa_memory_ordered 1
		.amdhsa_forward_progress 1
		.amdhsa_inst_pref_size 1
		.amdhsa_round_robin_scheduling 0
		.amdhsa_exception_fp_ieee_invalid_op 0
		.amdhsa_exception_fp_denorm_src 0
		.amdhsa_exception_fp_ieee_div_zero 0
		.amdhsa_exception_fp_ieee_overflow 0
		.amdhsa_exception_fp_ieee_underflow 0
		.amdhsa_exception_fp_ieee_inexact 0
		.amdhsa_exception_int_div_zero 0
	.end_amdhsa_kernel
	.section	.text._Z39paged_attention_ll4mi_QKV_mfma16_kernelI14__hip_bfloat16hLN4vllm18Fp8KVCacheDataTypeE1EhLi32ELi64ELi256ELb0ELi5EEvPKT_PKT0_S8_ifPKiSA_SA_iPKfiiiPfSD_PS3_PT2_iSC_SC_,"axG",@progbits,_Z39paged_attention_ll4mi_QKV_mfma16_kernelI14__hip_bfloat16hLN4vllm18Fp8KVCacheDataTypeE1EhLi32ELi64ELi256ELb0ELi5EEvPKT_PKT0_S8_ifPKiSA_SA_iPKfiiiPfSD_PS3_PT2_iSC_SC_,comdat
.Lfunc_end1194:
	.size	_Z39paged_attention_ll4mi_QKV_mfma16_kernelI14__hip_bfloat16hLN4vllm18Fp8KVCacheDataTypeE1EhLi32ELi64ELi256ELb0ELi5EEvPKT_PKT0_S8_ifPKiSA_SA_iPKfiiiPfSD_PS3_PT2_iSC_SC_, .Lfunc_end1194-_Z39paged_attention_ll4mi_QKV_mfma16_kernelI14__hip_bfloat16hLN4vllm18Fp8KVCacheDataTypeE1EhLi32ELi64ELi256ELb0ELi5EEvPKT_PKT0_S8_ifPKiSA_SA_iPKfiiiPfSD_PS3_PT2_iSC_SC_
                                        ; -- End function
	.set _Z39paged_attention_ll4mi_QKV_mfma16_kernelI14__hip_bfloat16hLN4vllm18Fp8KVCacheDataTypeE1EhLi32ELi64ELi256ELb0ELi5EEvPKT_PKT0_S8_ifPKiSA_SA_iPKfiiiPfSD_PS3_PT2_iSC_SC_.num_vgpr, max(3, .L__assert_fail.num_vgpr)
	.set _Z39paged_attention_ll4mi_QKV_mfma16_kernelI14__hip_bfloat16hLN4vllm18Fp8KVCacheDataTypeE1EhLi32ELi64ELi256ELb0ELi5EEvPKT_PKT0_S8_ifPKiSA_SA_iPKfiiiPfSD_PS3_PT2_iSC_SC_.num_agpr, max(0, .L__assert_fail.num_agpr)
	.set _Z39paged_attention_ll4mi_QKV_mfma16_kernelI14__hip_bfloat16hLN4vllm18Fp8KVCacheDataTypeE1EhLi32ELi64ELi256ELb0ELi5EEvPKT_PKT0_S8_ifPKiSA_SA_iPKfiiiPfSD_PS3_PT2_iSC_SC_.numbered_sgpr, max(33, .L__assert_fail.numbered_sgpr)
	.set _Z39paged_attention_ll4mi_QKV_mfma16_kernelI14__hip_bfloat16hLN4vllm18Fp8KVCacheDataTypeE1EhLi32ELi64ELi256ELb0ELi5EEvPKT_PKT0_S8_ifPKiSA_SA_iPKfiiiPfSD_PS3_PT2_iSC_SC_.num_named_barrier, max(0, .L__assert_fail.num_named_barrier)
	.set _Z39paged_attention_ll4mi_QKV_mfma16_kernelI14__hip_bfloat16hLN4vllm18Fp8KVCacheDataTypeE1EhLi32ELi64ELi256ELb0ELi5EEvPKT_PKT0_S8_ifPKiSA_SA_iPKfiiiPfSD_PS3_PT2_iSC_SC_.private_seg_size, 0+max(.L__assert_fail.private_seg_size)
	.set _Z39paged_attention_ll4mi_QKV_mfma16_kernelI14__hip_bfloat16hLN4vllm18Fp8KVCacheDataTypeE1EhLi32ELi64ELi256ELb0ELi5EEvPKT_PKT0_S8_ifPKiSA_SA_iPKfiiiPfSD_PS3_PT2_iSC_SC_.uses_vcc, or(1, .L__assert_fail.uses_vcc)
	.set _Z39paged_attention_ll4mi_QKV_mfma16_kernelI14__hip_bfloat16hLN4vllm18Fp8KVCacheDataTypeE1EhLi32ELi64ELi256ELb0ELi5EEvPKT_PKT0_S8_ifPKiSA_SA_iPKfiiiPfSD_PS3_PT2_iSC_SC_.uses_flat_scratch, or(0, .L__assert_fail.uses_flat_scratch)
	.set _Z39paged_attention_ll4mi_QKV_mfma16_kernelI14__hip_bfloat16hLN4vllm18Fp8KVCacheDataTypeE1EhLi32ELi64ELi256ELb0ELi5EEvPKT_PKT0_S8_ifPKiSA_SA_iPKfiiiPfSD_PS3_PT2_iSC_SC_.has_dyn_sized_stack, or(0, .L__assert_fail.has_dyn_sized_stack)
	.set _Z39paged_attention_ll4mi_QKV_mfma16_kernelI14__hip_bfloat16hLN4vllm18Fp8KVCacheDataTypeE1EhLi32ELi64ELi256ELb0ELi5EEvPKT_PKT0_S8_ifPKiSA_SA_iPKfiiiPfSD_PS3_PT2_iSC_SC_.has_recursion, or(0, .L__assert_fail.has_recursion)
	.set _Z39paged_attention_ll4mi_QKV_mfma16_kernelI14__hip_bfloat16hLN4vllm18Fp8KVCacheDataTypeE1EhLi32ELi64ELi256ELb0ELi5EEvPKT_PKT0_S8_ifPKiSA_SA_iPKfiiiPfSD_PS3_PT2_iSC_SC_.has_indirect_call, or(0, .L__assert_fail.has_indirect_call)
	.section	.AMDGPU.csdata,"",@progbits
; Kernel info:
; codeLenInByte = 68
; TotalNumSgprs: 36
; NumVgprs: 51
; ScratchSize: 64
; MemoryBound: 0
; FloatMode: 240
; IeeeMode: 1
; LDSByteSize: 0 bytes/workgroup (compile time only)
; SGPRBlocks: 0
; VGPRBlocks: 3
; NumSGPRsForWavesPerEU: 36
; NumVGPRsForWavesPerEU: 51
; NamedBarCnt: 0
; Occupancy: 16
; WaveLimiterHint : 1
; COMPUTE_PGM_RSRC2:SCRATCH_EN: 1
; COMPUTE_PGM_RSRC2:USER_SGPR: 2
; COMPUTE_PGM_RSRC2:TRAP_HANDLER: 0
; COMPUTE_PGM_RSRC2:TGID_X_EN: 1
; COMPUTE_PGM_RSRC2:TGID_Y_EN: 0
; COMPUTE_PGM_RSRC2:TGID_Z_EN: 0
; COMPUTE_PGM_RSRC2:TIDIG_COMP_CNT: 0
	.section	.text._Z39paged_attention_ll4mi_QKV_mfma16_kernelI14__hip_bfloat16hLN4vllm18Fp8KVCacheDataTypeE1EhLi32ELi64ELi256ELb0ELi6EEvPKT_PKT0_S8_ifPKiSA_SA_iPKfiiiPfSD_PS3_PT2_iSC_SC_,"axG",@progbits,_Z39paged_attention_ll4mi_QKV_mfma16_kernelI14__hip_bfloat16hLN4vllm18Fp8KVCacheDataTypeE1EhLi32ELi64ELi256ELb0ELi6EEvPKT_PKT0_S8_ifPKiSA_SA_iPKfiiiPfSD_PS3_PT2_iSC_SC_,comdat
	.protected	_Z39paged_attention_ll4mi_QKV_mfma16_kernelI14__hip_bfloat16hLN4vllm18Fp8KVCacheDataTypeE1EhLi32ELi64ELi256ELb0ELi6EEvPKT_PKT0_S8_ifPKiSA_SA_iPKfiiiPfSD_PS3_PT2_iSC_SC_ ; -- Begin function _Z39paged_attention_ll4mi_QKV_mfma16_kernelI14__hip_bfloat16hLN4vllm18Fp8KVCacheDataTypeE1EhLi32ELi64ELi256ELb0ELi6EEvPKT_PKT0_S8_ifPKiSA_SA_iPKfiiiPfSD_PS3_PT2_iSC_SC_
	.globl	_Z39paged_attention_ll4mi_QKV_mfma16_kernelI14__hip_bfloat16hLN4vllm18Fp8KVCacheDataTypeE1EhLi32ELi64ELi256ELb0ELi6EEvPKT_PKT0_S8_ifPKiSA_SA_iPKfiiiPfSD_PS3_PT2_iSC_SC_
	.p2align	8
	.type	_Z39paged_attention_ll4mi_QKV_mfma16_kernelI14__hip_bfloat16hLN4vllm18Fp8KVCacheDataTypeE1EhLi32ELi64ELi256ELb0ELi6EEvPKT_PKT0_S8_ifPKiSA_SA_iPKfiiiPfSD_PS3_PT2_iSC_SC_,@function
_Z39paged_attention_ll4mi_QKV_mfma16_kernelI14__hip_bfloat16hLN4vllm18Fp8KVCacheDataTypeE1EhLi32ELi64ELi256ELb0ELi6EEvPKT_PKT0_S8_ifPKiSA_SA_iPKfiiiPfSD_PS3_PT2_iSC_SC_: ; @_Z39paged_attention_ll4mi_QKV_mfma16_kernelI14__hip_bfloat16hLN4vllm18Fp8KVCacheDataTypeE1EhLi32ELi64ELi256ELb0ELi6EEvPKT_PKT0_S8_ifPKiSA_SA_iPKfiiiPfSD_PS3_PT2_iSC_SC_
; %bb.0:
	s_get_pc_i64 s[2:3]
	s_add_nc_u64 s[2:3], s[2:3], __PRETTY_FUNCTION__._Z39paged_attention_ll4mi_QKV_mfma16_kernelI14__hip_bfloat16hLN4vllm18Fp8KVCacheDataTypeE1EhLi32ELi64ELi256ELb0ELi6EEvPKT_PKT0_S8_ifPKiSA_SA_iPKfiiiPfSD_PS3_PT2_iSC_SC_@rel64+4
	s_delay_alu instid0(SALU_CYCLE_1)
	v_dual_mov_b32 v0, 0xbb3 :: v_dual_mov_b32 v1, s2
	v_mov_b32_e32 v2, s3
	s_add_nc_u64 s[8:9], s[0:1], 0x90
	s_get_pc_i64 s[0:1]
	s_add_nc_u64 s[0:1], s[0:1], __assert_fail@rel64+4
	s_mov_b32 s32, 0
	s_swap_pc_i64 s[30:31], s[0:1]
	.section	.rodata,"a",@progbits
	.p2align	6, 0x0
	.amdhsa_kernel _Z39paged_attention_ll4mi_QKV_mfma16_kernelI14__hip_bfloat16hLN4vllm18Fp8KVCacheDataTypeE1EhLi32ELi64ELi256ELb0ELi6EEvPKT_PKT0_S8_ifPKiSA_SA_iPKfiiiPfSD_PS3_PT2_iSC_SC_
		.amdhsa_group_segment_fixed_size 0
		.amdhsa_private_segment_fixed_size 64
		.amdhsa_kernarg_size 400
		.amdhsa_user_sgpr_count 2
		.amdhsa_user_sgpr_dispatch_ptr 0
		.amdhsa_user_sgpr_queue_ptr 0
		.amdhsa_user_sgpr_kernarg_segment_ptr 1
		.amdhsa_user_sgpr_dispatch_id 0
		.amdhsa_user_sgpr_kernarg_preload_length 0
		.amdhsa_user_sgpr_kernarg_preload_offset 0
		.amdhsa_user_sgpr_private_segment_size 0
		.amdhsa_wavefront_size32 1
		.amdhsa_uses_dynamic_stack 0
		.amdhsa_enable_private_segment 1
		.amdhsa_system_sgpr_workgroup_id_x 1
		.amdhsa_system_sgpr_workgroup_id_y 0
		.amdhsa_system_sgpr_workgroup_id_z 0
		.amdhsa_system_sgpr_workgroup_info 0
		.amdhsa_system_vgpr_workitem_id 0
		.amdhsa_next_free_vgpr 51
		.amdhsa_next_free_sgpr 34
		.amdhsa_named_barrier_count 0
		.amdhsa_reserve_vcc 1
		.amdhsa_float_round_mode_32 0
		.amdhsa_float_round_mode_16_64 0
		.amdhsa_float_denorm_mode_32 3
		.amdhsa_float_denorm_mode_16_64 3
		.amdhsa_fp16_overflow 0
		.amdhsa_memory_ordered 1
		.amdhsa_forward_progress 1
		.amdhsa_inst_pref_size 1
		.amdhsa_round_robin_scheduling 0
		.amdhsa_exception_fp_ieee_invalid_op 0
		.amdhsa_exception_fp_denorm_src 0
		.amdhsa_exception_fp_ieee_div_zero 0
		.amdhsa_exception_fp_ieee_overflow 0
		.amdhsa_exception_fp_ieee_underflow 0
		.amdhsa_exception_fp_ieee_inexact 0
		.amdhsa_exception_int_div_zero 0
	.end_amdhsa_kernel
	.section	.text._Z39paged_attention_ll4mi_QKV_mfma16_kernelI14__hip_bfloat16hLN4vllm18Fp8KVCacheDataTypeE1EhLi32ELi64ELi256ELb0ELi6EEvPKT_PKT0_S8_ifPKiSA_SA_iPKfiiiPfSD_PS3_PT2_iSC_SC_,"axG",@progbits,_Z39paged_attention_ll4mi_QKV_mfma16_kernelI14__hip_bfloat16hLN4vllm18Fp8KVCacheDataTypeE1EhLi32ELi64ELi256ELb0ELi6EEvPKT_PKT0_S8_ifPKiSA_SA_iPKfiiiPfSD_PS3_PT2_iSC_SC_,comdat
.Lfunc_end1195:
	.size	_Z39paged_attention_ll4mi_QKV_mfma16_kernelI14__hip_bfloat16hLN4vllm18Fp8KVCacheDataTypeE1EhLi32ELi64ELi256ELb0ELi6EEvPKT_PKT0_S8_ifPKiSA_SA_iPKfiiiPfSD_PS3_PT2_iSC_SC_, .Lfunc_end1195-_Z39paged_attention_ll4mi_QKV_mfma16_kernelI14__hip_bfloat16hLN4vllm18Fp8KVCacheDataTypeE1EhLi32ELi64ELi256ELb0ELi6EEvPKT_PKT0_S8_ifPKiSA_SA_iPKfiiiPfSD_PS3_PT2_iSC_SC_
                                        ; -- End function
	.set _Z39paged_attention_ll4mi_QKV_mfma16_kernelI14__hip_bfloat16hLN4vllm18Fp8KVCacheDataTypeE1EhLi32ELi64ELi256ELb0ELi6EEvPKT_PKT0_S8_ifPKiSA_SA_iPKfiiiPfSD_PS3_PT2_iSC_SC_.num_vgpr, max(3, .L__assert_fail.num_vgpr)
	.set _Z39paged_attention_ll4mi_QKV_mfma16_kernelI14__hip_bfloat16hLN4vllm18Fp8KVCacheDataTypeE1EhLi32ELi64ELi256ELb0ELi6EEvPKT_PKT0_S8_ifPKiSA_SA_iPKfiiiPfSD_PS3_PT2_iSC_SC_.num_agpr, max(0, .L__assert_fail.num_agpr)
	.set _Z39paged_attention_ll4mi_QKV_mfma16_kernelI14__hip_bfloat16hLN4vllm18Fp8KVCacheDataTypeE1EhLi32ELi64ELi256ELb0ELi6EEvPKT_PKT0_S8_ifPKiSA_SA_iPKfiiiPfSD_PS3_PT2_iSC_SC_.numbered_sgpr, max(33, .L__assert_fail.numbered_sgpr)
	.set _Z39paged_attention_ll4mi_QKV_mfma16_kernelI14__hip_bfloat16hLN4vllm18Fp8KVCacheDataTypeE1EhLi32ELi64ELi256ELb0ELi6EEvPKT_PKT0_S8_ifPKiSA_SA_iPKfiiiPfSD_PS3_PT2_iSC_SC_.num_named_barrier, max(0, .L__assert_fail.num_named_barrier)
	.set _Z39paged_attention_ll4mi_QKV_mfma16_kernelI14__hip_bfloat16hLN4vllm18Fp8KVCacheDataTypeE1EhLi32ELi64ELi256ELb0ELi6EEvPKT_PKT0_S8_ifPKiSA_SA_iPKfiiiPfSD_PS3_PT2_iSC_SC_.private_seg_size, 0+max(.L__assert_fail.private_seg_size)
	.set _Z39paged_attention_ll4mi_QKV_mfma16_kernelI14__hip_bfloat16hLN4vllm18Fp8KVCacheDataTypeE1EhLi32ELi64ELi256ELb0ELi6EEvPKT_PKT0_S8_ifPKiSA_SA_iPKfiiiPfSD_PS3_PT2_iSC_SC_.uses_vcc, or(1, .L__assert_fail.uses_vcc)
	.set _Z39paged_attention_ll4mi_QKV_mfma16_kernelI14__hip_bfloat16hLN4vllm18Fp8KVCacheDataTypeE1EhLi32ELi64ELi256ELb0ELi6EEvPKT_PKT0_S8_ifPKiSA_SA_iPKfiiiPfSD_PS3_PT2_iSC_SC_.uses_flat_scratch, or(0, .L__assert_fail.uses_flat_scratch)
	.set _Z39paged_attention_ll4mi_QKV_mfma16_kernelI14__hip_bfloat16hLN4vllm18Fp8KVCacheDataTypeE1EhLi32ELi64ELi256ELb0ELi6EEvPKT_PKT0_S8_ifPKiSA_SA_iPKfiiiPfSD_PS3_PT2_iSC_SC_.has_dyn_sized_stack, or(0, .L__assert_fail.has_dyn_sized_stack)
	.set _Z39paged_attention_ll4mi_QKV_mfma16_kernelI14__hip_bfloat16hLN4vllm18Fp8KVCacheDataTypeE1EhLi32ELi64ELi256ELb0ELi6EEvPKT_PKT0_S8_ifPKiSA_SA_iPKfiiiPfSD_PS3_PT2_iSC_SC_.has_recursion, or(0, .L__assert_fail.has_recursion)
	.set _Z39paged_attention_ll4mi_QKV_mfma16_kernelI14__hip_bfloat16hLN4vllm18Fp8KVCacheDataTypeE1EhLi32ELi64ELi256ELb0ELi6EEvPKT_PKT0_S8_ifPKiSA_SA_iPKfiiiPfSD_PS3_PT2_iSC_SC_.has_indirect_call, or(0, .L__assert_fail.has_indirect_call)
	.section	.AMDGPU.csdata,"",@progbits
; Kernel info:
; codeLenInByte = 68
; TotalNumSgprs: 36
; NumVgprs: 51
; ScratchSize: 64
; MemoryBound: 0
; FloatMode: 240
; IeeeMode: 1
; LDSByteSize: 0 bytes/workgroup (compile time only)
; SGPRBlocks: 0
; VGPRBlocks: 3
; NumSGPRsForWavesPerEU: 36
; NumVGPRsForWavesPerEU: 51
; NamedBarCnt: 0
; Occupancy: 16
; WaveLimiterHint : 1
; COMPUTE_PGM_RSRC2:SCRATCH_EN: 1
; COMPUTE_PGM_RSRC2:USER_SGPR: 2
; COMPUTE_PGM_RSRC2:TRAP_HANDLER: 0
; COMPUTE_PGM_RSRC2:TGID_X_EN: 1
; COMPUTE_PGM_RSRC2:TGID_Y_EN: 0
; COMPUTE_PGM_RSRC2:TGID_Z_EN: 0
; COMPUTE_PGM_RSRC2:TIDIG_COMP_CNT: 0
	.section	.text._Z39paged_attention_ll4mi_QKV_mfma16_kernelI14__hip_bfloat16hLN4vllm18Fp8KVCacheDataTypeE1EhLi32ELi64ELi256ELb0ELi7EEvPKT_PKT0_S8_ifPKiSA_SA_iPKfiiiPfSD_PS3_PT2_iSC_SC_,"axG",@progbits,_Z39paged_attention_ll4mi_QKV_mfma16_kernelI14__hip_bfloat16hLN4vllm18Fp8KVCacheDataTypeE1EhLi32ELi64ELi256ELb0ELi7EEvPKT_PKT0_S8_ifPKiSA_SA_iPKfiiiPfSD_PS3_PT2_iSC_SC_,comdat
	.protected	_Z39paged_attention_ll4mi_QKV_mfma16_kernelI14__hip_bfloat16hLN4vllm18Fp8KVCacheDataTypeE1EhLi32ELi64ELi256ELb0ELi7EEvPKT_PKT0_S8_ifPKiSA_SA_iPKfiiiPfSD_PS3_PT2_iSC_SC_ ; -- Begin function _Z39paged_attention_ll4mi_QKV_mfma16_kernelI14__hip_bfloat16hLN4vllm18Fp8KVCacheDataTypeE1EhLi32ELi64ELi256ELb0ELi7EEvPKT_PKT0_S8_ifPKiSA_SA_iPKfiiiPfSD_PS3_PT2_iSC_SC_
	.globl	_Z39paged_attention_ll4mi_QKV_mfma16_kernelI14__hip_bfloat16hLN4vllm18Fp8KVCacheDataTypeE1EhLi32ELi64ELi256ELb0ELi7EEvPKT_PKT0_S8_ifPKiSA_SA_iPKfiiiPfSD_PS3_PT2_iSC_SC_
	.p2align	8
	.type	_Z39paged_attention_ll4mi_QKV_mfma16_kernelI14__hip_bfloat16hLN4vllm18Fp8KVCacheDataTypeE1EhLi32ELi64ELi256ELb0ELi7EEvPKT_PKT0_S8_ifPKiSA_SA_iPKfiiiPfSD_PS3_PT2_iSC_SC_,@function
_Z39paged_attention_ll4mi_QKV_mfma16_kernelI14__hip_bfloat16hLN4vllm18Fp8KVCacheDataTypeE1EhLi32ELi64ELi256ELb0ELi7EEvPKT_PKT0_S8_ifPKiSA_SA_iPKfiiiPfSD_PS3_PT2_iSC_SC_: ; @_Z39paged_attention_ll4mi_QKV_mfma16_kernelI14__hip_bfloat16hLN4vllm18Fp8KVCacheDataTypeE1EhLi32ELi64ELi256ELb0ELi7EEvPKT_PKT0_S8_ifPKiSA_SA_iPKfiiiPfSD_PS3_PT2_iSC_SC_
; %bb.0:
	s_get_pc_i64 s[2:3]
	s_add_nc_u64 s[2:3], s[2:3], __PRETTY_FUNCTION__._Z39paged_attention_ll4mi_QKV_mfma16_kernelI14__hip_bfloat16hLN4vllm18Fp8KVCacheDataTypeE1EhLi32ELi64ELi256ELb0ELi7EEvPKT_PKT0_S8_ifPKiSA_SA_iPKfiiiPfSD_PS3_PT2_iSC_SC_@rel64+4
	s_delay_alu instid0(SALU_CYCLE_1)
	v_dual_mov_b32 v0, 0xbb3 :: v_dual_mov_b32 v1, s2
	v_mov_b32_e32 v2, s3
	s_add_nc_u64 s[8:9], s[0:1], 0x90
	s_get_pc_i64 s[0:1]
	s_add_nc_u64 s[0:1], s[0:1], __assert_fail@rel64+4
	s_mov_b32 s32, 0
	s_swap_pc_i64 s[30:31], s[0:1]
	.section	.rodata,"a",@progbits
	.p2align	6, 0x0
	.amdhsa_kernel _Z39paged_attention_ll4mi_QKV_mfma16_kernelI14__hip_bfloat16hLN4vllm18Fp8KVCacheDataTypeE1EhLi32ELi64ELi256ELb0ELi7EEvPKT_PKT0_S8_ifPKiSA_SA_iPKfiiiPfSD_PS3_PT2_iSC_SC_
		.amdhsa_group_segment_fixed_size 0
		.amdhsa_private_segment_fixed_size 64
		.amdhsa_kernarg_size 400
		.amdhsa_user_sgpr_count 2
		.amdhsa_user_sgpr_dispatch_ptr 0
		.amdhsa_user_sgpr_queue_ptr 0
		.amdhsa_user_sgpr_kernarg_segment_ptr 1
		.amdhsa_user_sgpr_dispatch_id 0
		.amdhsa_user_sgpr_kernarg_preload_length 0
		.amdhsa_user_sgpr_kernarg_preload_offset 0
		.amdhsa_user_sgpr_private_segment_size 0
		.amdhsa_wavefront_size32 1
		.amdhsa_uses_dynamic_stack 0
		.amdhsa_enable_private_segment 1
		.amdhsa_system_sgpr_workgroup_id_x 1
		.amdhsa_system_sgpr_workgroup_id_y 0
		.amdhsa_system_sgpr_workgroup_id_z 0
		.amdhsa_system_sgpr_workgroup_info 0
		.amdhsa_system_vgpr_workitem_id 0
		.amdhsa_next_free_vgpr 51
		.amdhsa_next_free_sgpr 34
		.amdhsa_named_barrier_count 0
		.amdhsa_reserve_vcc 1
		.amdhsa_float_round_mode_32 0
		.amdhsa_float_round_mode_16_64 0
		.amdhsa_float_denorm_mode_32 3
		.amdhsa_float_denorm_mode_16_64 3
		.amdhsa_fp16_overflow 0
		.amdhsa_memory_ordered 1
		.amdhsa_forward_progress 1
		.amdhsa_inst_pref_size 1
		.amdhsa_round_robin_scheduling 0
		.amdhsa_exception_fp_ieee_invalid_op 0
		.amdhsa_exception_fp_denorm_src 0
		.amdhsa_exception_fp_ieee_div_zero 0
		.amdhsa_exception_fp_ieee_overflow 0
		.amdhsa_exception_fp_ieee_underflow 0
		.amdhsa_exception_fp_ieee_inexact 0
		.amdhsa_exception_int_div_zero 0
	.end_amdhsa_kernel
	.section	.text._Z39paged_attention_ll4mi_QKV_mfma16_kernelI14__hip_bfloat16hLN4vllm18Fp8KVCacheDataTypeE1EhLi32ELi64ELi256ELb0ELi7EEvPKT_PKT0_S8_ifPKiSA_SA_iPKfiiiPfSD_PS3_PT2_iSC_SC_,"axG",@progbits,_Z39paged_attention_ll4mi_QKV_mfma16_kernelI14__hip_bfloat16hLN4vllm18Fp8KVCacheDataTypeE1EhLi32ELi64ELi256ELb0ELi7EEvPKT_PKT0_S8_ifPKiSA_SA_iPKfiiiPfSD_PS3_PT2_iSC_SC_,comdat
.Lfunc_end1196:
	.size	_Z39paged_attention_ll4mi_QKV_mfma16_kernelI14__hip_bfloat16hLN4vllm18Fp8KVCacheDataTypeE1EhLi32ELi64ELi256ELb0ELi7EEvPKT_PKT0_S8_ifPKiSA_SA_iPKfiiiPfSD_PS3_PT2_iSC_SC_, .Lfunc_end1196-_Z39paged_attention_ll4mi_QKV_mfma16_kernelI14__hip_bfloat16hLN4vllm18Fp8KVCacheDataTypeE1EhLi32ELi64ELi256ELb0ELi7EEvPKT_PKT0_S8_ifPKiSA_SA_iPKfiiiPfSD_PS3_PT2_iSC_SC_
                                        ; -- End function
	.set _Z39paged_attention_ll4mi_QKV_mfma16_kernelI14__hip_bfloat16hLN4vllm18Fp8KVCacheDataTypeE1EhLi32ELi64ELi256ELb0ELi7EEvPKT_PKT0_S8_ifPKiSA_SA_iPKfiiiPfSD_PS3_PT2_iSC_SC_.num_vgpr, max(3, .L__assert_fail.num_vgpr)
	.set _Z39paged_attention_ll4mi_QKV_mfma16_kernelI14__hip_bfloat16hLN4vllm18Fp8KVCacheDataTypeE1EhLi32ELi64ELi256ELb0ELi7EEvPKT_PKT0_S8_ifPKiSA_SA_iPKfiiiPfSD_PS3_PT2_iSC_SC_.num_agpr, max(0, .L__assert_fail.num_agpr)
	.set _Z39paged_attention_ll4mi_QKV_mfma16_kernelI14__hip_bfloat16hLN4vllm18Fp8KVCacheDataTypeE1EhLi32ELi64ELi256ELb0ELi7EEvPKT_PKT0_S8_ifPKiSA_SA_iPKfiiiPfSD_PS3_PT2_iSC_SC_.numbered_sgpr, max(33, .L__assert_fail.numbered_sgpr)
	.set _Z39paged_attention_ll4mi_QKV_mfma16_kernelI14__hip_bfloat16hLN4vllm18Fp8KVCacheDataTypeE1EhLi32ELi64ELi256ELb0ELi7EEvPKT_PKT0_S8_ifPKiSA_SA_iPKfiiiPfSD_PS3_PT2_iSC_SC_.num_named_barrier, max(0, .L__assert_fail.num_named_barrier)
	.set _Z39paged_attention_ll4mi_QKV_mfma16_kernelI14__hip_bfloat16hLN4vllm18Fp8KVCacheDataTypeE1EhLi32ELi64ELi256ELb0ELi7EEvPKT_PKT0_S8_ifPKiSA_SA_iPKfiiiPfSD_PS3_PT2_iSC_SC_.private_seg_size, 0+max(.L__assert_fail.private_seg_size)
	.set _Z39paged_attention_ll4mi_QKV_mfma16_kernelI14__hip_bfloat16hLN4vllm18Fp8KVCacheDataTypeE1EhLi32ELi64ELi256ELb0ELi7EEvPKT_PKT0_S8_ifPKiSA_SA_iPKfiiiPfSD_PS3_PT2_iSC_SC_.uses_vcc, or(1, .L__assert_fail.uses_vcc)
	.set _Z39paged_attention_ll4mi_QKV_mfma16_kernelI14__hip_bfloat16hLN4vllm18Fp8KVCacheDataTypeE1EhLi32ELi64ELi256ELb0ELi7EEvPKT_PKT0_S8_ifPKiSA_SA_iPKfiiiPfSD_PS3_PT2_iSC_SC_.uses_flat_scratch, or(0, .L__assert_fail.uses_flat_scratch)
	.set _Z39paged_attention_ll4mi_QKV_mfma16_kernelI14__hip_bfloat16hLN4vllm18Fp8KVCacheDataTypeE1EhLi32ELi64ELi256ELb0ELi7EEvPKT_PKT0_S8_ifPKiSA_SA_iPKfiiiPfSD_PS3_PT2_iSC_SC_.has_dyn_sized_stack, or(0, .L__assert_fail.has_dyn_sized_stack)
	.set _Z39paged_attention_ll4mi_QKV_mfma16_kernelI14__hip_bfloat16hLN4vllm18Fp8KVCacheDataTypeE1EhLi32ELi64ELi256ELb0ELi7EEvPKT_PKT0_S8_ifPKiSA_SA_iPKfiiiPfSD_PS3_PT2_iSC_SC_.has_recursion, or(0, .L__assert_fail.has_recursion)
	.set _Z39paged_attention_ll4mi_QKV_mfma16_kernelI14__hip_bfloat16hLN4vllm18Fp8KVCacheDataTypeE1EhLi32ELi64ELi256ELb0ELi7EEvPKT_PKT0_S8_ifPKiSA_SA_iPKfiiiPfSD_PS3_PT2_iSC_SC_.has_indirect_call, or(0, .L__assert_fail.has_indirect_call)
	.section	.AMDGPU.csdata,"",@progbits
; Kernel info:
; codeLenInByte = 68
; TotalNumSgprs: 36
; NumVgprs: 51
; ScratchSize: 64
; MemoryBound: 0
; FloatMode: 240
; IeeeMode: 1
; LDSByteSize: 0 bytes/workgroup (compile time only)
; SGPRBlocks: 0
; VGPRBlocks: 3
; NumSGPRsForWavesPerEU: 36
; NumVGPRsForWavesPerEU: 51
; NamedBarCnt: 0
; Occupancy: 16
; WaveLimiterHint : 1
; COMPUTE_PGM_RSRC2:SCRATCH_EN: 1
; COMPUTE_PGM_RSRC2:USER_SGPR: 2
; COMPUTE_PGM_RSRC2:TRAP_HANDLER: 0
; COMPUTE_PGM_RSRC2:TGID_X_EN: 1
; COMPUTE_PGM_RSRC2:TGID_Y_EN: 0
; COMPUTE_PGM_RSRC2:TGID_Z_EN: 0
; COMPUTE_PGM_RSRC2:TIDIG_COMP_CNT: 0
	.section	.text._Z39paged_attention_ll4mi_QKV_mfma16_kernelI14__hip_bfloat16hLN4vllm18Fp8KVCacheDataTypeE1EhLi32ELi64ELi256ELb0ELi8EEvPKT_PKT0_S8_ifPKiSA_SA_iPKfiiiPfSD_PS3_PT2_iSC_SC_,"axG",@progbits,_Z39paged_attention_ll4mi_QKV_mfma16_kernelI14__hip_bfloat16hLN4vllm18Fp8KVCacheDataTypeE1EhLi32ELi64ELi256ELb0ELi8EEvPKT_PKT0_S8_ifPKiSA_SA_iPKfiiiPfSD_PS3_PT2_iSC_SC_,comdat
	.protected	_Z39paged_attention_ll4mi_QKV_mfma16_kernelI14__hip_bfloat16hLN4vllm18Fp8KVCacheDataTypeE1EhLi32ELi64ELi256ELb0ELi8EEvPKT_PKT0_S8_ifPKiSA_SA_iPKfiiiPfSD_PS3_PT2_iSC_SC_ ; -- Begin function _Z39paged_attention_ll4mi_QKV_mfma16_kernelI14__hip_bfloat16hLN4vllm18Fp8KVCacheDataTypeE1EhLi32ELi64ELi256ELb0ELi8EEvPKT_PKT0_S8_ifPKiSA_SA_iPKfiiiPfSD_PS3_PT2_iSC_SC_
	.globl	_Z39paged_attention_ll4mi_QKV_mfma16_kernelI14__hip_bfloat16hLN4vllm18Fp8KVCacheDataTypeE1EhLi32ELi64ELi256ELb0ELi8EEvPKT_PKT0_S8_ifPKiSA_SA_iPKfiiiPfSD_PS3_PT2_iSC_SC_
	.p2align	8
	.type	_Z39paged_attention_ll4mi_QKV_mfma16_kernelI14__hip_bfloat16hLN4vllm18Fp8KVCacheDataTypeE1EhLi32ELi64ELi256ELb0ELi8EEvPKT_PKT0_S8_ifPKiSA_SA_iPKfiiiPfSD_PS3_PT2_iSC_SC_,@function
_Z39paged_attention_ll4mi_QKV_mfma16_kernelI14__hip_bfloat16hLN4vllm18Fp8KVCacheDataTypeE1EhLi32ELi64ELi256ELb0ELi8EEvPKT_PKT0_S8_ifPKiSA_SA_iPKfiiiPfSD_PS3_PT2_iSC_SC_: ; @_Z39paged_attention_ll4mi_QKV_mfma16_kernelI14__hip_bfloat16hLN4vllm18Fp8KVCacheDataTypeE1EhLi32ELi64ELi256ELb0ELi8EEvPKT_PKT0_S8_ifPKiSA_SA_iPKfiiiPfSD_PS3_PT2_iSC_SC_
; %bb.0:
	s_get_pc_i64 s[2:3]
	s_add_nc_u64 s[2:3], s[2:3], __PRETTY_FUNCTION__._Z39paged_attention_ll4mi_QKV_mfma16_kernelI14__hip_bfloat16hLN4vllm18Fp8KVCacheDataTypeE1EhLi32ELi64ELi256ELb0ELi8EEvPKT_PKT0_S8_ifPKiSA_SA_iPKfiiiPfSD_PS3_PT2_iSC_SC_@rel64+4
	s_delay_alu instid0(SALU_CYCLE_1)
	v_dual_mov_b32 v0, 0xbb3 :: v_dual_mov_b32 v1, s2
	v_mov_b32_e32 v2, s3
	s_add_nc_u64 s[8:9], s[0:1], 0x90
	s_get_pc_i64 s[0:1]
	s_add_nc_u64 s[0:1], s[0:1], __assert_fail@rel64+4
	s_mov_b32 s32, 0
	s_swap_pc_i64 s[30:31], s[0:1]
	.section	.rodata,"a",@progbits
	.p2align	6, 0x0
	.amdhsa_kernel _Z39paged_attention_ll4mi_QKV_mfma16_kernelI14__hip_bfloat16hLN4vllm18Fp8KVCacheDataTypeE1EhLi32ELi64ELi256ELb0ELi8EEvPKT_PKT0_S8_ifPKiSA_SA_iPKfiiiPfSD_PS3_PT2_iSC_SC_
		.amdhsa_group_segment_fixed_size 0
		.amdhsa_private_segment_fixed_size 64
		.amdhsa_kernarg_size 400
		.amdhsa_user_sgpr_count 2
		.amdhsa_user_sgpr_dispatch_ptr 0
		.amdhsa_user_sgpr_queue_ptr 0
		.amdhsa_user_sgpr_kernarg_segment_ptr 1
		.amdhsa_user_sgpr_dispatch_id 0
		.amdhsa_user_sgpr_kernarg_preload_length 0
		.amdhsa_user_sgpr_kernarg_preload_offset 0
		.amdhsa_user_sgpr_private_segment_size 0
		.amdhsa_wavefront_size32 1
		.amdhsa_uses_dynamic_stack 0
		.amdhsa_enable_private_segment 1
		.amdhsa_system_sgpr_workgroup_id_x 1
		.amdhsa_system_sgpr_workgroup_id_y 0
		.amdhsa_system_sgpr_workgroup_id_z 0
		.amdhsa_system_sgpr_workgroup_info 0
		.amdhsa_system_vgpr_workitem_id 0
		.amdhsa_next_free_vgpr 51
		.amdhsa_next_free_sgpr 34
		.amdhsa_named_barrier_count 0
		.amdhsa_reserve_vcc 1
		.amdhsa_float_round_mode_32 0
		.amdhsa_float_round_mode_16_64 0
		.amdhsa_float_denorm_mode_32 3
		.amdhsa_float_denorm_mode_16_64 3
		.amdhsa_fp16_overflow 0
		.amdhsa_memory_ordered 1
		.amdhsa_forward_progress 1
		.amdhsa_inst_pref_size 1
		.amdhsa_round_robin_scheduling 0
		.amdhsa_exception_fp_ieee_invalid_op 0
		.amdhsa_exception_fp_denorm_src 0
		.amdhsa_exception_fp_ieee_div_zero 0
		.amdhsa_exception_fp_ieee_overflow 0
		.amdhsa_exception_fp_ieee_underflow 0
		.amdhsa_exception_fp_ieee_inexact 0
		.amdhsa_exception_int_div_zero 0
	.end_amdhsa_kernel
	.section	.text._Z39paged_attention_ll4mi_QKV_mfma16_kernelI14__hip_bfloat16hLN4vllm18Fp8KVCacheDataTypeE1EhLi32ELi64ELi256ELb0ELi8EEvPKT_PKT0_S8_ifPKiSA_SA_iPKfiiiPfSD_PS3_PT2_iSC_SC_,"axG",@progbits,_Z39paged_attention_ll4mi_QKV_mfma16_kernelI14__hip_bfloat16hLN4vllm18Fp8KVCacheDataTypeE1EhLi32ELi64ELi256ELb0ELi8EEvPKT_PKT0_S8_ifPKiSA_SA_iPKfiiiPfSD_PS3_PT2_iSC_SC_,comdat
.Lfunc_end1197:
	.size	_Z39paged_attention_ll4mi_QKV_mfma16_kernelI14__hip_bfloat16hLN4vllm18Fp8KVCacheDataTypeE1EhLi32ELi64ELi256ELb0ELi8EEvPKT_PKT0_S8_ifPKiSA_SA_iPKfiiiPfSD_PS3_PT2_iSC_SC_, .Lfunc_end1197-_Z39paged_attention_ll4mi_QKV_mfma16_kernelI14__hip_bfloat16hLN4vllm18Fp8KVCacheDataTypeE1EhLi32ELi64ELi256ELb0ELi8EEvPKT_PKT0_S8_ifPKiSA_SA_iPKfiiiPfSD_PS3_PT2_iSC_SC_
                                        ; -- End function
	.set _Z39paged_attention_ll4mi_QKV_mfma16_kernelI14__hip_bfloat16hLN4vllm18Fp8KVCacheDataTypeE1EhLi32ELi64ELi256ELb0ELi8EEvPKT_PKT0_S8_ifPKiSA_SA_iPKfiiiPfSD_PS3_PT2_iSC_SC_.num_vgpr, max(3, .L__assert_fail.num_vgpr)
	.set _Z39paged_attention_ll4mi_QKV_mfma16_kernelI14__hip_bfloat16hLN4vllm18Fp8KVCacheDataTypeE1EhLi32ELi64ELi256ELb0ELi8EEvPKT_PKT0_S8_ifPKiSA_SA_iPKfiiiPfSD_PS3_PT2_iSC_SC_.num_agpr, max(0, .L__assert_fail.num_agpr)
	.set _Z39paged_attention_ll4mi_QKV_mfma16_kernelI14__hip_bfloat16hLN4vllm18Fp8KVCacheDataTypeE1EhLi32ELi64ELi256ELb0ELi8EEvPKT_PKT0_S8_ifPKiSA_SA_iPKfiiiPfSD_PS3_PT2_iSC_SC_.numbered_sgpr, max(33, .L__assert_fail.numbered_sgpr)
	.set _Z39paged_attention_ll4mi_QKV_mfma16_kernelI14__hip_bfloat16hLN4vllm18Fp8KVCacheDataTypeE1EhLi32ELi64ELi256ELb0ELi8EEvPKT_PKT0_S8_ifPKiSA_SA_iPKfiiiPfSD_PS3_PT2_iSC_SC_.num_named_barrier, max(0, .L__assert_fail.num_named_barrier)
	.set _Z39paged_attention_ll4mi_QKV_mfma16_kernelI14__hip_bfloat16hLN4vllm18Fp8KVCacheDataTypeE1EhLi32ELi64ELi256ELb0ELi8EEvPKT_PKT0_S8_ifPKiSA_SA_iPKfiiiPfSD_PS3_PT2_iSC_SC_.private_seg_size, 0+max(.L__assert_fail.private_seg_size)
	.set _Z39paged_attention_ll4mi_QKV_mfma16_kernelI14__hip_bfloat16hLN4vllm18Fp8KVCacheDataTypeE1EhLi32ELi64ELi256ELb0ELi8EEvPKT_PKT0_S8_ifPKiSA_SA_iPKfiiiPfSD_PS3_PT2_iSC_SC_.uses_vcc, or(1, .L__assert_fail.uses_vcc)
	.set _Z39paged_attention_ll4mi_QKV_mfma16_kernelI14__hip_bfloat16hLN4vllm18Fp8KVCacheDataTypeE1EhLi32ELi64ELi256ELb0ELi8EEvPKT_PKT0_S8_ifPKiSA_SA_iPKfiiiPfSD_PS3_PT2_iSC_SC_.uses_flat_scratch, or(0, .L__assert_fail.uses_flat_scratch)
	.set _Z39paged_attention_ll4mi_QKV_mfma16_kernelI14__hip_bfloat16hLN4vllm18Fp8KVCacheDataTypeE1EhLi32ELi64ELi256ELb0ELi8EEvPKT_PKT0_S8_ifPKiSA_SA_iPKfiiiPfSD_PS3_PT2_iSC_SC_.has_dyn_sized_stack, or(0, .L__assert_fail.has_dyn_sized_stack)
	.set _Z39paged_attention_ll4mi_QKV_mfma16_kernelI14__hip_bfloat16hLN4vllm18Fp8KVCacheDataTypeE1EhLi32ELi64ELi256ELb0ELi8EEvPKT_PKT0_S8_ifPKiSA_SA_iPKfiiiPfSD_PS3_PT2_iSC_SC_.has_recursion, or(0, .L__assert_fail.has_recursion)
	.set _Z39paged_attention_ll4mi_QKV_mfma16_kernelI14__hip_bfloat16hLN4vllm18Fp8KVCacheDataTypeE1EhLi32ELi64ELi256ELb0ELi8EEvPKT_PKT0_S8_ifPKiSA_SA_iPKfiiiPfSD_PS3_PT2_iSC_SC_.has_indirect_call, or(0, .L__assert_fail.has_indirect_call)
	.section	.AMDGPU.csdata,"",@progbits
; Kernel info:
; codeLenInByte = 68
; TotalNumSgprs: 36
; NumVgprs: 51
; ScratchSize: 64
; MemoryBound: 0
; FloatMode: 240
; IeeeMode: 1
; LDSByteSize: 0 bytes/workgroup (compile time only)
; SGPRBlocks: 0
; VGPRBlocks: 3
; NumSGPRsForWavesPerEU: 36
; NumVGPRsForWavesPerEU: 51
; NamedBarCnt: 0
; Occupancy: 16
; WaveLimiterHint : 1
; COMPUTE_PGM_RSRC2:SCRATCH_EN: 1
; COMPUTE_PGM_RSRC2:USER_SGPR: 2
; COMPUTE_PGM_RSRC2:TRAP_HANDLER: 0
; COMPUTE_PGM_RSRC2:TGID_X_EN: 1
; COMPUTE_PGM_RSRC2:TGID_Y_EN: 0
; COMPUTE_PGM_RSRC2:TGID_Z_EN: 0
; COMPUTE_PGM_RSRC2:TIDIG_COMP_CNT: 0
	.section	.text._Z39paged_attention_ll4mi_QKV_mfma16_kernelI14__hip_bfloat16hLN4vllm18Fp8KVCacheDataTypeE1EhLi32ELi64ELi256ELb0ELi9EEvPKT_PKT0_S8_ifPKiSA_SA_iPKfiiiPfSD_PS3_PT2_iSC_SC_,"axG",@progbits,_Z39paged_attention_ll4mi_QKV_mfma16_kernelI14__hip_bfloat16hLN4vllm18Fp8KVCacheDataTypeE1EhLi32ELi64ELi256ELb0ELi9EEvPKT_PKT0_S8_ifPKiSA_SA_iPKfiiiPfSD_PS3_PT2_iSC_SC_,comdat
	.protected	_Z39paged_attention_ll4mi_QKV_mfma16_kernelI14__hip_bfloat16hLN4vllm18Fp8KVCacheDataTypeE1EhLi32ELi64ELi256ELb0ELi9EEvPKT_PKT0_S8_ifPKiSA_SA_iPKfiiiPfSD_PS3_PT2_iSC_SC_ ; -- Begin function _Z39paged_attention_ll4mi_QKV_mfma16_kernelI14__hip_bfloat16hLN4vllm18Fp8KVCacheDataTypeE1EhLi32ELi64ELi256ELb0ELi9EEvPKT_PKT0_S8_ifPKiSA_SA_iPKfiiiPfSD_PS3_PT2_iSC_SC_
	.globl	_Z39paged_attention_ll4mi_QKV_mfma16_kernelI14__hip_bfloat16hLN4vllm18Fp8KVCacheDataTypeE1EhLi32ELi64ELi256ELb0ELi9EEvPKT_PKT0_S8_ifPKiSA_SA_iPKfiiiPfSD_PS3_PT2_iSC_SC_
	.p2align	8
	.type	_Z39paged_attention_ll4mi_QKV_mfma16_kernelI14__hip_bfloat16hLN4vllm18Fp8KVCacheDataTypeE1EhLi32ELi64ELi256ELb0ELi9EEvPKT_PKT0_S8_ifPKiSA_SA_iPKfiiiPfSD_PS3_PT2_iSC_SC_,@function
_Z39paged_attention_ll4mi_QKV_mfma16_kernelI14__hip_bfloat16hLN4vllm18Fp8KVCacheDataTypeE1EhLi32ELi64ELi256ELb0ELi9EEvPKT_PKT0_S8_ifPKiSA_SA_iPKfiiiPfSD_PS3_PT2_iSC_SC_: ; @_Z39paged_attention_ll4mi_QKV_mfma16_kernelI14__hip_bfloat16hLN4vllm18Fp8KVCacheDataTypeE1EhLi32ELi64ELi256ELb0ELi9EEvPKT_PKT0_S8_ifPKiSA_SA_iPKfiiiPfSD_PS3_PT2_iSC_SC_
; %bb.0:
	s_get_pc_i64 s[2:3]
	s_add_nc_u64 s[2:3], s[2:3], __PRETTY_FUNCTION__._Z39paged_attention_ll4mi_QKV_mfma16_kernelI14__hip_bfloat16hLN4vllm18Fp8KVCacheDataTypeE1EhLi32ELi64ELi256ELb0ELi9EEvPKT_PKT0_S8_ifPKiSA_SA_iPKfiiiPfSD_PS3_PT2_iSC_SC_@rel64+4
	s_delay_alu instid0(SALU_CYCLE_1)
	v_dual_mov_b32 v0, 0xbb3 :: v_dual_mov_b32 v1, s2
	v_mov_b32_e32 v2, s3
	s_add_nc_u64 s[8:9], s[0:1], 0x90
	s_get_pc_i64 s[0:1]
	s_add_nc_u64 s[0:1], s[0:1], __assert_fail@rel64+4
	s_mov_b32 s32, 0
	s_swap_pc_i64 s[30:31], s[0:1]
	.section	.rodata,"a",@progbits
	.p2align	6, 0x0
	.amdhsa_kernel _Z39paged_attention_ll4mi_QKV_mfma16_kernelI14__hip_bfloat16hLN4vllm18Fp8KVCacheDataTypeE1EhLi32ELi64ELi256ELb0ELi9EEvPKT_PKT0_S8_ifPKiSA_SA_iPKfiiiPfSD_PS3_PT2_iSC_SC_
		.amdhsa_group_segment_fixed_size 0
		.amdhsa_private_segment_fixed_size 64
		.amdhsa_kernarg_size 400
		.amdhsa_user_sgpr_count 2
		.amdhsa_user_sgpr_dispatch_ptr 0
		.amdhsa_user_sgpr_queue_ptr 0
		.amdhsa_user_sgpr_kernarg_segment_ptr 1
		.amdhsa_user_sgpr_dispatch_id 0
		.amdhsa_user_sgpr_kernarg_preload_length 0
		.amdhsa_user_sgpr_kernarg_preload_offset 0
		.amdhsa_user_sgpr_private_segment_size 0
		.amdhsa_wavefront_size32 1
		.amdhsa_uses_dynamic_stack 0
		.amdhsa_enable_private_segment 1
		.amdhsa_system_sgpr_workgroup_id_x 1
		.amdhsa_system_sgpr_workgroup_id_y 0
		.amdhsa_system_sgpr_workgroup_id_z 0
		.amdhsa_system_sgpr_workgroup_info 0
		.amdhsa_system_vgpr_workitem_id 0
		.amdhsa_next_free_vgpr 51
		.amdhsa_next_free_sgpr 34
		.amdhsa_named_barrier_count 0
		.amdhsa_reserve_vcc 1
		.amdhsa_float_round_mode_32 0
		.amdhsa_float_round_mode_16_64 0
		.amdhsa_float_denorm_mode_32 3
		.amdhsa_float_denorm_mode_16_64 3
		.amdhsa_fp16_overflow 0
		.amdhsa_memory_ordered 1
		.amdhsa_forward_progress 1
		.amdhsa_inst_pref_size 1
		.amdhsa_round_robin_scheduling 0
		.amdhsa_exception_fp_ieee_invalid_op 0
		.amdhsa_exception_fp_denorm_src 0
		.amdhsa_exception_fp_ieee_div_zero 0
		.amdhsa_exception_fp_ieee_overflow 0
		.amdhsa_exception_fp_ieee_underflow 0
		.amdhsa_exception_fp_ieee_inexact 0
		.amdhsa_exception_int_div_zero 0
	.end_amdhsa_kernel
	.section	.text._Z39paged_attention_ll4mi_QKV_mfma16_kernelI14__hip_bfloat16hLN4vllm18Fp8KVCacheDataTypeE1EhLi32ELi64ELi256ELb0ELi9EEvPKT_PKT0_S8_ifPKiSA_SA_iPKfiiiPfSD_PS3_PT2_iSC_SC_,"axG",@progbits,_Z39paged_attention_ll4mi_QKV_mfma16_kernelI14__hip_bfloat16hLN4vllm18Fp8KVCacheDataTypeE1EhLi32ELi64ELi256ELb0ELi9EEvPKT_PKT0_S8_ifPKiSA_SA_iPKfiiiPfSD_PS3_PT2_iSC_SC_,comdat
.Lfunc_end1198:
	.size	_Z39paged_attention_ll4mi_QKV_mfma16_kernelI14__hip_bfloat16hLN4vllm18Fp8KVCacheDataTypeE1EhLi32ELi64ELi256ELb0ELi9EEvPKT_PKT0_S8_ifPKiSA_SA_iPKfiiiPfSD_PS3_PT2_iSC_SC_, .Lfunc_end1198-_Z39paged_attention_ll4mi_QKV_mfma16_kernelI14__hip_bfloat16hLN4vllm18Fp8KVCacheDataTypeE1EhLi32ELi64ELi256ELb0ELi9EEvPKT_PKT0_S8_ifPKiSA_SA_iPKfiiiPfSD_PS3_PT2_iSC_SC_
                                        ; -- End function
	.set _Z39paged_attention_ll4mi_QKV_mfma16_kernelI14__hip_bfloat16hLN4vllm18Fp8KVCacheDataTypeE1EhLi32ELi64ELi256ELb0ELi9EEvPKT_PKT0_S8_ifPKiSA_SA_iPKfiiiPfSD_PS3_PT2_iSC_SC_.num_vgpr, max(3, .L__assert_fail.num_vgpr)
	.set _Z39paged_attention_ll4mi_QKV_mfma16_kernelI14__hip_bfloat16hLN4vllm18Fp8KVCacheDataTypeE1EhLi32ELi64ELi256ELb0ELi9EEvPKT_PKT0_S8_ifPKiSA_SA_iPKfiiiPfSD_PS3_PT2_iSC_SC_.num_agpr, max(0, .L__assert_fail.num_agpr)
	.set _Z39paged_attention_ll4mi_QKV_mfma16_kernelI14__hip_bfloat16hLN4vllm18Fp8KVCacheDataTypeE1EhLi32ELi64ELi256ELb0ELi9EEvPKT_PKT0_S8_ifPKiSA_SA_iPKfiiiPfSD_PS3_PT2_iSC_SC_.numbered_sgpr, max(33, .L__assert_fail.numbered_sgpr)
	.set _Z39paged_attention_ll4mi_QKV_mfma16_kernelI14__hip_bfloat16hLN4vllm18Fp8KVCacheDataTypeE1EhLi32ELi64ELi256ELb0ELi9EEvPKT_PKT0_S8_ifPKiSA_SA_iPKfiiiPfSD_PS3_PT2_iSC_SC_.num_named_barrier, max(0, .L__assert_fail.num_named_barrier)
	.set _Z39paged_attention_ll4mi_QKV_mfma16_kernelI14__hip_bfloat16hLN4vllm18Fp8KVCacheDataTypeE1EhLi32ELi64ELi256ELb0ELi9EEvPKT_PKT0_S8_ifPKiSA_SA_iPKfiiiPfSD_PS3_PT2_iSC_SC_.private_seg_size, 0+max(.L__assert_fail.private_seg_size)
	.set _Z39paged_attention_ll4mi_QKV_mfma16_kernelI14__hip_bfloat16hLN4vllm18Fp8KVCacheDataTypeE1EhLi32ELi64ELi256ELb0ELi9EEvPKT_PKT0_S8_ifPKiSA_SA_iPKfiiiPfSD_PS3_PT2_iSC_SC_.uses_vcc, or(1, .L__assert_fail.uses_vcc)
	.set _Z39paged_attention_ll4mi_QKV_mfma16_kernelI14__hip_bfloat16hLN4vllm18Fp8KVCacheDataTypeE1EhLi32ELi64ELi256ELb0ELi9EEvPKT_PKT0_S8_ifPKiSA_SA_iPKfiiiPfSD_PS3_PT2_iSC_SC_.uses_flat_scratch, or(0, .L__assert_fail.uses_flat_scratch)
	.set _Z39paged_attention_ll4mi_QKV_mfma16_kernelI14__hip_bfloat16hLN4vllm18Fp8KVCacheDataTypeE1EhLi32ELi64ELi256ELb0ELi9EEvPKT_PKT0_S8_ifPKiSA_SA_iPKfiiiPfSD_PS3_PT2_iSC_SC_.has_dyn_sized_stack, or(0, .L__assert_fail.has_dyn_sized_stack)
	.set _Z39paged_attention_ll4mi_QKV_mfma16_kernelI14__hip_bfloat16hLN4vllm18Fp8KVCacheDataTypeE1EhLi32ELi64ELi256ELb0ELi9EEvPKT_PKT0_S8_ifPKiSA_SA_iPKfiiiPfSD_PS3_PT2_iSC_SC_.has_recursion, or(0, .L__assert_fail.has_recursion)
	.set _Z39paged_attention_ll4mi_QKV_mfma16_kernelI14__hip_bfloat16hLN4vllm18Fp8KVCacheDataTypeE1EhLi32ELi64ELi256ELb0ELi9EEvPKT_PKT0_S8_ifPKiSA_SA_iPKfiiiPfSD_PS3_PT2_iSC_SC_.has_indirect_call, or(0, .L__assert_fail.has_indirect_call)
	.section	.AMDGPU.csdata,"",@progbits
; Kernel info:
; codeLenInByte = 68
; TotalNumSgprs: 36
; NumVgprs: 51
; ScratchSize: 64
; MemoryBound: 0
; FloatMode: 240
; IeeeMode: 1
; LDSByteSize: 0 bytes/workgroup (compile time only)
; SGPRBlocks: 0
; VGPRBlocks: 3
; NumSGPRsForWavesPerEU: 36
; NumVGPRsForWavesPerEU: 51
; NamedBarCnt: 0
; Occupancy: 16
; WaveLimiterHint : 1
; COMPUTE_PGM_RSRC2:SCRATCH_EN: 1
; COMPUTE_PGM_RSRC2:USER_SGPR: 2
; COMPUTE_PGM_RSRC2:TRAP_HANDLER: 0
; COMPUTE_PGM_RSRC2:TGID_X_EN: 1
; COMPUTE_PGM_RSRC2:TGID_Y_EN: 0
; COMPUTE_PGM_RSRC2:TGID_Z_EN: 0
; COMPUTE_PGM_RSRC2:TIDIG_COMP_CNT: 0
	.section	.text._Z39paged_attention_ll4mi_QKV_mfma16_kernelI14__hip_bfloat16hLN4vllm18Fp8KVCacheDataTypeE1EhLi32ELi64ELi256ELb0ELi10EEvPKT_PKT0_S8_ifPKiSA_SA_iPKfiiiPfSD_PS3_PT2_iSC_SC_,"axG",@progbits,_Z39paged_attention_ll4mi_QKV_mfma16_kernelI14__hip_bfloat16hLN4vllm18Fp8KVCacheDataTypeE1EhLi32ELi64ELi256ELb0ELi10EEvPKT_PKT0_S8_ifPKiSA_SA_iPKfiiiPfSD_PS3_PT2_iSC_SC_,comdat
	.protected	_Z39paged_attention_ll4mi_QKV_mfma16_kernelI14__hip_bfloat16hLN4vllm18Fp8KVCacheDataTypeE1EhLi32ELi64ELi256ELb0ELi10EEvPKT_PKT0_S8_ifPKiSA_SA_iPKfiiiPfSD_PS3_PT2_iSC_SC_ ; -- Begin function _Z39paged_attention_ll4mi_QKV_mfma16_kernelI14__hip_bfloat16hLN4vllm18Fp8KVCacheDataTypeE1EhLi32ELi64ELi256ELb0ELi10EEvPKT_PKT0_S8_ifPKiSA_SA_iPKfiiiPfSD_PS3_PT2_iSC_SC_
	.globl	_Z39paged_attention_ll4mi_QKV_mfma16_kernelI14__hip_bfloat16hLN4vllm18Fp8KVCacheDataTypeE1EhLi32ELi64ELi256ELb0ELi10EEvPKT_PKT0_S8_ifPKiSA_SA_iPKfiiiPfSD_PS3_PT2_iSC_SC_
	.p2align	8
	.type	_Z39paged_attention_ll4mi_QKV_mfma16_kernelI14__hip_bfloat16hLN4vllm18Fp8KVCacheDataTypeE1EhLi32ELi64ELi256ELb0ELi10EEvPKT_PKT0_S8_ifPKiSA_SA_iPKfiiiPfSD_PS3_PT2_iSC_SC_,@function
_Z39paged_attention_ll4mi_QKV_mfma16_kernelI14__hip_bfloat16hLN4vllm18Fp8KVCacheDataTypeE1EhLi32ELi64ELi256ELb0ELi10EEvPKT_PKT0_S8_ifPKiSA_SA_iPKfiiiPfSD_PS3_PT2_iSC_SC_: ; @_Z39paged_attention_ll4mi_QKV_mfma16_kernelI14__hip_bfloat16hLN4vllm18Fp8KVCacheDataTypeE1EhLi32ELi64ELi256ELb0ELi10EEvPKT_PKT0_S8_ifPKiSA_SA_iPKfiiiPfSD_PS3_PT2_iSC_SC_
; %bb.0:
	s_get_pc_i64 s[2:3]
	s_add_nc_u64 s[2:3], s[2:3], __PRETTY_FUNCTION__._Z39paged_attention_ll4mi_QKV_mfma16_kernelI14__hip_bfloat16hLN4vllm18Fp8KVCacheDataTypeE1EhLi32ELi64ELi256ELb0ELi10EEvPKT_PKT0_S8_ifPKiSA_SA_iPKfiiiPfSD_PS3_PT2_iSC_SC_@rel64+4
	s_delay_alu instid0(SALU_CYCLE_1)
	v_dual_mov_b32 v0, 0xbb3 :: v_dual_mov_b32 v1, s2
	v_mov_b32_e32 v2, s3
	s_add_nc_u64 s[8:9], s[0:1], 0x90
	s_get_pc_i64 s[0:1]
	s_add_nc_u64 s[0:1], s[0:1], __assert_fail@rel64+4
	s_mov_b32 s32, 0
	s_swap_pc_i64 s[30:31], s[0:1]
	.section	.rodata,"a",@progbits
	.p2align	6, 0x0
	.amdhsa_kernel _Z39paged_attention_ll4mi_QKV_mfma16_kernelI14__hip_bfloat16hLN4vllm18Fp8KVCacheDataTypeE1EhLi32ELi64ELi256ELb0ELi10EEvPKT_PKT0_S8_ifPKiSA_SA_iPKfiiiPfSD_PS3_PT2_iSC_SC_
		.amdhsa_group_segment_fixed_size 0
		.amdhsa_private_segment_fixed_size 64
		.amdhsa_kernarg_size 400
		.amdhsa_user_sgpr_count 2
		.amdhsa_user_sgpr_dispatch_ptr 0
		.amdhsa_user_sgpr_queue_ptr 0
		.amdhsa_user_sgpr_kernarg_segment_ptr 1
		.amdhsa_user_sgpr_dispatch_id 0
		.amdhsa_user_sgpr_kernarg_preload_length 0
		.amdhsa_user_sgpr_kernarg_preload_offset 0
		.amdhsa_user_sgpr_private_segment_size 0
		.amdhsa_wavefront_size32 1
		.amdhsa_uses_dynamic_stack 0
		.amdhsa_enable_private_segment 1
		.amdhsa_system_sgpr_workgroup_id_x 1
		.amdhsa_system_sgpr_workgroup_id_y 0
		.amdhsa_system_sgpr_workgroup_id_z 0
		.amdhsa_system_sgpr_workgroup_info 0
		.amdhsa_system_vgpr_workitem_id 0
		.amdhsa_next_free_vgpr 51
		.amdhsa_next_free_sgpr 34
		.amdhsa_named_barrier_count 0
		.amdhsa_reserve_vcc 1
		.amdhsa_float_round_mode_32 0
		.amdhsa_float_round_mode_16_64 0
		.amdhsa_float_denorm_mode_32 3
		.amdhsa_float_denorm_mode_16_64 3
		.amdhsa_fp16_overflow 0
		.amdhsa_memory_ordered 1
		.amdhsa_forward_progress 1
		.amdhsa_inst_pref_size 1
		.amdhsa_round_robin_scheduling 0
		.amdhsa_exception_fp_ieee_invalid_op 0
		.amdhsa_exception_fp_denorm_src 0
		.amdhsa_exception_fp_ieee_div_zero 0
		.amdhsa_exception_fp_ieee_overflow 0
		.amdhsa_exception_fp_ieee_underflow 0
		.amdhsa_exception_fp_ieee_inexact 0
		.amdhsa_exception_int_div_zero 0
	.end_amdhsa_kernel
	.section	.text._Z39paged_attention_ll4mi_QKV_mfma16_kernelI14__hip_bfloat16hLN4vllm18Fp8KVCacheDataTypeE1EhLi32ELi64ELi256ELb0ELi10EEvPKT_PKT0_S8_ifPKiSA_SA_iPKfiiiPfSD_PS3_PT2_iSC_SC_,"axG",@progbits,_Z39paged_attention_ll4mi_QKV_mfma16_kernelI14__hip_bfloat16hLN4vllm18Fp8KVCacheDataTypeE1EhLi32ELi64ELi256ELb0ELi10EEvPKT_PKT0_S8_ifPKiSA_SA_iPKfiiiPfSD_PS3_PT2_iSC_SC_,comdat
.Lfunc_end1199:
	.size	_Z39paged_attention_ll4mi_QKV_mfma16_kernelI14__hip_bfloat16hLN4vllm18Fp8KVCacheDataTypeE1EhLi32ELi64ELi256ELb0ELi10EEvPKT_PKT0_S8_ifPKiSA_SA_iPKfiiiPfSD_PS3_PT2_iSC_SC_, .Lfunc_end1199-_Z39paged_attention_ll4mi_QKV_mfma16_kernelI14__hip_bfloat16hLN4vllm18Fp8KVCacheDataTypeE1EhLi32ELi64ELi256ELb0ELi10EEvPKT_PKT0_S8_ifPKiSA_SA_iPKfiiiPfSD_PS3_PT2_iSC_SC_
                                        ; -- End function
	.set _Z39paged_attention_ll4mi_QKV_mfma16_kernelI14__hip_bfloat16hLN4vllm18Fp8KVCacheDataTypeE1EhLi32ELi64ELi256ELb0ELi10EEvPKT_PKT0_S8_ifPKiSA_SA_iPKfiiiPfSD_PS3_PT2_iSC_SC_.num_vgpr, max(3, .L__assert_fail.num_vgpr)
	.set _Z39paged_attention_ll4mi_QKV_mfma16_kernelI14__hip_bfloat16hLN4vllm18Fp8KVCacheDataTypeE1EhLi32ELi64ELi256ELb0ELi10EEvPKT_PKT0_S8_ifPKiSA_SA_iPKfiiiPfSD_PS3_PT2_iSC_SC_.num_agpr, max(0, .L__assert_fail.num_agpr)
	.set _Z39paged_attention_ll4mi_QKV_mfma16_kernelI14__hip_bfloat16hLN4vllm18Fp8KVCacheDataTypeE1EhLi32ELi64ELi256ELb0ELi10EEvPKT_PKT0_S8_ifPKiSA_SA_iPKfiiiPfSD_PS3_PT2_iSC_SC_.numbered_sgpr, max(33, .L__assert_fail.numbered_sgpr)
	.set _Z39paged_attention_ll4mi_QKV_mfma16_kernelI14__hip_bfloat16hLN4vllm18Fp8KVCacheDataTypeE1EhLi32ELi64ELi256ELb0ELi10EEvPKT_PKT0_S8_ifPKiSA_SA_iPKfiiiPfSD_PS3_PT2_iSC_SC_.num_named_barrier, max(0, .L__assert_fail.num_named_barrier)
	.set _Z39paged_attention_ll4mi_QKV_mfma16_kernelI14__hip_bfloat16hLN4vllm18Fp8KVCacheDataTypeE1EhLi32ELi64ELi256ELb0ELi10EEvPKT_PKT0_S8_ifPKiSA_SA_iPKfiiiPfSD_PS3_PT2_iSC_SC_.private_seg_size, 0+max(.L__assert_fail.private_seg_size)
	.set _Z39paged_attention_ll4mi_QKV_mfma16_kernelI14__hip_bfloat16hLN4vllm18Fp8KVCacheDataTypeE1EhLi32ELi64ELi256ELb0ELi10EEvPKT_PKT0_S8_ifPKiSA_SA_iPKfiiiPfSD_PS3_PT2_iSC_SC_.uses_vcc, or(1, .L__assert_fail.uses_vcc)
	.set _Z39paged_attention_ll4mi_QKV_mfma16_kernelI14__hip_bfloat16hLN4vllm18Fp8KVCacheDataTypeE1EhLi32ELi64ELi256ELb0ELi10EEvPKT_PKT0_S8_ifPKiSA_SA_iPKfiiiPfSD_PS3_PT2_iSC_SC_.uses_flat_scratch, or(0, .L__assert_fail.uses_flat_scratch)
	.set _Z39paged_attention_ll4mi_QKV_mfma16_kernelI14__hip_bfloat16hLN4vllm18Fp8KVCacheDataTypeE1EhLi32ELi64ELi256ELb0ELi10EEvPKT_PKT0_S8_ifPKiSA_SA_iPKfiiiPfSD_PS3_PT2_iSC_SC_.has_dyn_sized_stack, or(0, .L__assert_fail.has_dyn_sized_stack)
	.set _Z39paged_attention_ll4mi_QKV_mfma16_kernelI14__hip_bfloat16hLN4vllm18Fp8KVCacheDataTypeE1EhLi32ELi64ELi256ELb0ELi10EEvPKT_PKT0_S8_ifPKiSA_SA_iPKfiiiPfSD_PS3_PT2_iSC_SC_.has_recursion, or(0, .L__assert_fail.has_recursion)
	.set _Z39paged_attention_ll4mi_QKV_mfma16_kernelI14__hip_bfloat16hLN4vllm18Fp8KVCacheDataTypeE1EhLi32ELi64ELi256ELb0ELi10EEvPKT_PKT0_S8_ifPKiSA_SA_iPKfiiiPfSD_PS3_PT2_iSC_SC_.has_indirect_call, or(0, .L__assert_fail.has_indirect_call)
	.section	.AMDGPU.csdata,"",@progbits
; Kernel info:
; codeLenInByte = 68
; TotalNumSgprs: 36
; NumVgprs: 51
; ScratchSize: 64
; MemoryBound: 0
; FloatMode: 240
; IeeeMode: 1
; LDSByteSize: 0 bytes/workgroup (compile time only)
; SGPRBlocks: 0
; VGPRBlocks: 3
; NumSGPRsForWavesPerEU: 36
; NumVGPRsForWavesPerEU: 51
; NamedBarCnt: 0
; Occupancy: 16
; WaveLimiterHint : 1
; COMPUTE_PGM_RSRC2:SCRATCH_EN: 1
; COMPUTE_PGM_RSRC2:USER_SGPR: 2
; COMPUTE_PGM_RSRC2:TRAP_HANDLER: 0
; COMPUTE_PGM_RSRC2:TGID_X_EN: 1
; COMPUTE_PGM_RSRC2:TGID_Y_EN: 0
; COMPUTE_PGM_RSRC2:TGID_Z_EN: 0
; COMPUTE_PGM_RSRC2:TIDIG_COMP_CNT: 0
	.section	.text._Z39paged_attention_ll4mi_QKV_mfma16_kernelI14__hip_bfloat16hLN4vllm18Fp8KVCacheDataTypeE1EhLi32ELi64ELi256ELb0ELi11EEvPKT_PKT0_S8_ifPKiSA_SA_iPKfiiiPfSD_PS3_PT2_iSC_SC_,"axG",@progbits,_Z39paged_attention_ll4mi_QKV_mfma16_kernelI14__hip_bfloat16hLN4vllm18Fp8KVCacheDataTypeE1EhLi32ELi64ELi256ELb0ELi11EEvPKT_PKT0_S8_ifPKiSA_SA_iPKfiiiPfSD_PS3_PT2_iSC_SC_,comdat
	.protected	_Z39paged_attention_ll4mi_QKV_mfma16_kernelI14__hip_bfloat16hLN4vllm18Fp8KVCacheDataTypeE1EhLi32ELi64ELi256ELb0ELi11EEvPKT_PKT0_S8_ifPKiSA_SA_iPKfiiiPfSD_PS3_PT2_iSC_SC_ ; -- Begin function _Z39paged_attention_ll4mi_QKV_mfma16_kernelI14__hip_bfloat16hLN4vllm18Fp8KVCacheDataTypeE1EhLi32ELi64ELi256ELb0ELi11EEvPKT_PKT0_S8_ifPKiSA_SA_iPKfiiiPfSD_PS3_PT2_iSC_SC_
	.globl	_Z39paged_attention_ll4mi_QKV_mfma16_kernelI14__hip_bfloat16hLN4vllm18Fp8KVCacheDataTypeE1EhLi32ELi64ELi256ELb0ELi11EEvPKT_PKT0_S8_ifPKiSA_SA_iPKfiiiPfSD_PS3_PT2_iSC_SC_
	.p2align	8
	.type	_Z39paged_attention_ll4mi_QKV_mfma16_kernelI14__hip_bfloat16hLN4vllm18Fp8KVCacheDataTypeE1EhLi32ELi64ELi256ELb0ELi11EEvPKT_PKT0_S8_ifPKiSA_SA_iPKfiiiPfSD_PS3_PT2_iSC_SC_,@function
_Z39paged_attention_ll4mi_QKV_mfma16_kernelI14__hip_bfloat16hLN4vllm18Fp8KVCacheDataTypeE1EhLi32ELi64ELi256ELb0ELi11EEvPKT_PKT0_S8_ifPKiSA_SA_iPKfiiiPfSD_PS3_PT2_iSC_SC_: ; @_Z39paged_attention_ll4mi_QKV_mfma16_kernelI14__hip_bfloat16hLN4vllm18Fp8KVCacheDataTypeE1EhLi32ELi64ELi256ELb0ELi11EEvPKT_PKT0_S8_ifPKiSA_SA_iPKfiiiPfSD_PS3_PT2_iSC_SC_
; %bb.0:
	s_get_pc_i64 s[2:3]
	s_add_nc_u64 s[2:3], s[2:3], __PRETTY_FUNCTION__._Z39paged_attention_ll4mi_QKV_mfma16_kernelI14__hip_bfloat16hLN4vllm18Fp8KVCacheDataTypeE1EhLi32ELi64ELi256ELb0ELi11EEvPKT_PKT0_S8_ifPKiSA_SA_iPKfiiiPfSD_PS3_PT2_iSC_SC_@rel64+4
	s_delay_alu instid0(SALU_CYCLE_1)
	v_dual_mov_b32 v0, 0xbb3 :: v_dual_mov_b32 v1, s2
	v_mov_b32_e32 v2, s3
	s_add_nc_u64 s[8:9], s[0:1], 0x90
	s_get_pc_i64 s[0:1]
	s_add_nc_u64 s[0:1], s[0:1], __assert_fail@rel64+4
	s_mov_b32 s32, 0
	s_swap_pc_i64 s[30:31], s[0:1]
	.section	.rodata,"a",@progbits
	.p2align	6, 0x0
	.amdhsa_kernel _Z39paged_attention_ll4mi_QKV_mfma16_kernelI14__hip_bfloat16hLN4vllm18Fp8KVCacheDataTypeE1EhLi32ELi64ELi256ELb0ELi11EEvPKT_PKT0_S8_ifPKiSA_SA_iPKfiiiPfSD_PS3_PT2_iSC_SC_
		.amdhsa_group_segment_fixed_size 0
		.amdhsa_private_segment_fixed_size 64
		.amdhsa_kernarg_size 400
		.amdhsa_user_sgpr_count 2
		.amdhsa_user_sgpr_dispatch_ptr 0
		.amdhsa_user_sgpr_queue_ptr 0
		.amdhsa_user_sgpr_kernarg_segment_ptr 1
		.amdhsa_user_sgpr_dispatch_id 0
		.amdhsa_user_sgpr_kernarg_preload_length 0
		.amdhsa_user_sgpr_kernarg_preload_offset 0
		.amdhsa_user_sgpr_private_segment_size 0
		.amdhsa_wavefront_size32 1
		.amdhsa_uses_dynamic_stack 0
		.amdhsa_enable_private_segment 1
		.amdhsa_system_sgpr_workgroup_id_x 1
		.amdhsa_system_sgpr_workgroup_id_y 0
		.amdhsa_system_sgpr_workgroup_id_z 0
		.amdhsa_system_sgpr_workgroup_info 0
		.amdhsa_system_vgpr_workitem_id 0
		.amdhsa_next_free_vgpr 51
		.amdhsa_next_free_sgpr 34
		.amdhsa_named_barrier_count 0
		.amdhsa_reserve_vcc 1
		.amdhsa_float_round_mode_32 0
		.amdhsa_float_round_mode_16_64 0
		.amdhsa_float_denorm_mode_32 3
		.amdhsa_float_denorm_mode_16_64 3
		.amdhsa_fp16_overflow 0
		.amdhsa_memory_ordered 1
		.amdhsa_forward_progress 1
		.amdhsa_inst_pref_size 1
		.amdhsa_round_robin_scheduling 0
		.amdhsa_exception_fp_ieee_invalid_op 0
		.amdhsa_exception_fp_denorm_src 0
		.amdhsa_exception_fp_ieee_div_zero 0
		.amdhsa_exception_fp_ieee_overflow 0
		.amdhsa_exception_fp_ieee_underflow 0
		.amdhsa_exception_fp_ieee_inexact 0
		.amdhsa_exception_int_div_zero 0
	.end_amdhsa_kernel
	.section	.text._Z39paged_attention_ll4mi_QKV_mfma16_kernelI14__hip_bfloat16hLN4vllm18Fp8KVCacheDataTypeE1EhLi32ELi64ELi256ELb0ELi11EEvPKT_PKT0_S8_ifPKiSA_SA_iPKfiiiPfSD_PS3_PT2_iSC_SC_,"axG",@progbits,_Z39paged_attention_ll4mi_QKV_mfma16_kernelI14__hip_bfloat16hLN4vllm18Fp8KVCacheDataTypeE1EhLi32ELi64ELi256ELb0ELi11EEvPKT_PKT0_S8_ifPKiSA_SA_iPKfiiiPfSD_PS3_PT2_iSC_SC_,comdat
.Lfunc_end1200:
	.size	_Z39paged_attention_ll4mi_QKV_mfma16_kernelI14__hip_bfloat16hLN4vllm18Fp8KVCacheDataTypeE1EhLi32ELi64ELi256ELb0ELi11EEvPKT_PKT0_S8_ifPKiSA_SA_iPKfiiiPfSD_PS3_PT2_iSC_SC_, .Lfunc_end1200-_Z39paged_attention_ll4mi_QKV_mfma16_kernelI14__hip_bfloat16hLN4vllm18Fp8KVCacheDataTypeE1EhLi32ELi64ELi256ELb0ELi11EEvPKT_PKT0_S8_ifPKiSA_SA_iPKfiiiPfSD_PS3_PT2_iSC_SC_
                                        ; -- End function
	.set _Z39paged_attention_ll4mi_QKV_mfma16_kernelI14__hip_bfloat16hLN4vllm18Fp8KVCacheDataTypeE1EhLi32ELi64ELi256ELb0ELi11EEvPKT_PKT0_S8_ifPKiSA_SA_iPKfiiiPfSD_PS3_PT2_iSC_SC_.num_vgpr, max(3, .L__assert_fail.num_vgpr)
	.set _Z39paged_attention_ll4mi_QKV_mfma16_kernelI14__hip_bfloat16hLN4vllm18Fp8KVCacheDataTypeE1EhLi32ELi64ELi256ELb0ELi11EEvPKT_PKT0_S8_ifPKiSA_SA_iPKfiiiPfSD_PS3_PT2_iSC_SC_.num_agpr, max(0, .L__assert_fail.num_agpr)
	.set _Z39paged_attention_ll4mi_QKV_mfma16_kernelI14__hip_bfloat16hLN4vllm18Fp8KVCacheDataTypeE1EhLi32ELi64ELi256ELb0ELi11EEvPKT_PKT0_S8_ifPKiSA_SA_iPKfiiiPfSD_PS3_PT2_iSC_SC_.numbered_sgpr, max(33, .L__assert_fail.numbered_sgpr)
	.set _Z39paged_attention_ll4mi_QKV_mfma16_kernelI14__hip_bfloat16hLN4vllm18Fp8KVCacheDataTypeE1EhLi32ELi64ELi256ELb0ELi11EEvPKT_PKT0_S8_ifPKiSA_SA_iPKfiiiPfSD_PS3_PT2_iSC_SC_.num_named_barrier, max(0, .L__assert_fail.num_named_barrier)
	.set _Z39paged_attention_ll4mi_QKV_mfma16_kernelI14__hip_bfloat16hLN4vllm18Fp8KVCacheDataTypeE1EhLi32ELi64ELi256ELb0ELi11EEvPKT_PKT0_S8_ifPKiSA_SA_iPKfiiiPfSD_PS3_PT2_iSC_SC_.private_seg_size, 0+max(.L__assert_fail.private_seg_size)
	.set _Z39paged_attention_ll4mi_QKV_mfma16_kernelI14__hip_bfloat16hLN4vllm18Fp8KVCacheDataTypeE1EhLi32ELi64ELi256ELb0ELi11EEvPKT_PKT0_S8_ifPKiSA_SA_iPKfiiiPfSD_PS3_PT2_iSC_SC_.uses_vcc, or(1, .L__assert_fail.uses_vcc)
	.set _Z39paged_attention_ll4mi_QKV_mfma16_kernelI14__hip_bfloat16hLN4vllm18Fp8KVCacheDataTypeE1EhLi32ELi64ELi256ELb0ELi11EEvPKT_PKT0_S8_ifPKiSA_SA_iPKfiiiPfSD_PS3_PT2_iSC_SC_.uses_flat_scratch, or(0, .L__assert_fail.uses_flat_scratch)
	.set _Z39paged_attention_ll4mi_QKV_mfma16_kernelI14__hip_bfloat16hLN4vllm18Fp8KVCacheDataTypeE1EhLi32ELi64ELi256ELb0ELi11EEvPKT_PKT0_S8_ifPKiSA_SA_iPKfiiiPfSD_PS3_PT2_iSC_SC_.has_dyn_sized_stack, or(0, .L__assert_fail.has_dyn_sized_stack)
	.set _Z39paged_attention_ll4mi_QKV_mfma16_kernelI14__hip_bfloat16hLN4vllm18Fp8KVCacheDataTypeE1EhLi32ELi64ELi256ELb0ELi11EEvPKT_PKT0_S8_ifPKiSA_SA_iPKfiiiPfSD_PS3_PT2_iSC_SC_.has_recursion, or(0, .L__assert_fail.has_recursion)
	.set _Z39paged_attention_ll4mi_QKV_mfma16_kernelI14__hip_bfloat16hLN4vllm18Fp8KVCacheDataTypeE1EhLi32ELi64ELi256ELb0ELi11EEvPKT_PKT0_S8_ifPKiSA_SA_iPKfiiiPfSD_PS3_PT2_iSC_SC_.has_indirect_call, or(0, .L__assert_fail.has_indirect_call)
	.section	.AMDGPU.csdata,"",@progbits
; Kernel info:
; codeLenInByte = 68
; TotalNumSgprs: 36
; NumVgprs: 51
; ScratchSize: 64
; MemoryBound: 0
; FloatMode: 240
; IeeeMode: 1
; LDSByteSize: 0 bytes/workgroup (compile time only)
; SGPRBlocks: 0
; VGPRBlocks: 3
; NumSGPRsForWavesPerEU: 36
; NumVGPRsForWavesPerEU: 51
; NamedBarCnt: 0
; Occupancy: 16
; WaveLimiterHint : 1
; COMPUTE_PGM_RSRC2:SCRATCH_EN: 1
; COMPUTE_PGM_RSRC2:USER_SGPR: 2
; COMPUTE_PGM_RSRC2:TRAP_HANDLER: 0
; COMPUTE_PGM_RSRC2:TGID_X_EN: 1
; COMPUTE_PGM_RSRC2:TGID_Y_EN: 0
; COMPUTE_PGM_RSRC2:TGID_Z_EN: 0
; COMPUTE_PGM_RSRC2:TIDIG_COMP_CNT: 0
	.section	.text._Z39paged_attention_ll4mi_QKV_mfma16_kernelI14__hip_bfloat16hLN4vllm18Fp8KVCacheDataTypeE1EhLi32ELi64ELi256ELb0ELi12EEvPKT_PKT0_S8_ifPKiSA_SA_iPKfiiiPfSD_PS3_PT2_iSC_SC_,"axG",@progbits,_Z39paged_attention_ll4mi_QKV_mfma16_kernelI14__hip_bfloat16hLN4vllm18Fp8KVCacheDataTypeE1EhLi32ELi64ELi256ELb0ELi12EEvPKT_PKT0_S8_ifPKiSA_SA_iPKfiiiPfSD_PS3_PT2_iSC_SC_,comdat
	.protected	_Z39paged_attention_ll4mi_QKV_mfma16_kernelI14__hip_bfloat16hLN4vllm18Fp8KVCacheDataTypeE1EhLi32ELi64ELi256ELb0ELi12EEvPKT_PKT0_S8_ifPKiSA_SA_iPKfiiiPfSD_PS3_PT2_iSC_SC_ ; -- Begin function _Z39paged_attention_ll4mi_QKV_mfma16_kernelI14__hip_bfloat16hLN4vllm18Fp8KVCacheDataTypeE1EhLi32ELi64ELi256ELb0ELi12EEvPKT_PKT0_S8_ifPKiSA_SA_iPKfiiiPfSD_PS3_PT2_iSC_SC_
	.globl	_Z39paged_attention_ll4mi_QKV_mfma16_kernelI14__hip_bfloat16hLN4vllm18Fp8KVCacheDataTypeE1EhLi32ELi64ELi256ELb0ELi12EEvPKT_PKT0_S8_ifPKiSA_SA_iPKfiiiPfSD_PS3_PT2_iSC_SC_
	.p2align	8
	.type	_Z39paged_attention_ll4mi_QKV_mfma16_kernelI14__hip_bfloat16hLN4vllm18Fp8KVCacheDataTypeE1EhLi32ELi64ELi256ELb0ELi12EEvPKT_PKT0_S8_ifPKiSA_SA_iPKfiiiPfSD_PS3_PT2_iSC_SC_,@function
_Z39paged_attention_ll4mi_QKV_mfma16_kernelI14__hip_bfloat16hLN4vllm18Fp8KVCacheDataTypeE1EhLi32ELi64ELi256ELb0ELi12EEvPKT_PKT0_S8_ifPKiSA_SA_iPKfiiiPfSD_PS3_PT2_iSC_SC_: ; @_Z39paged_attention_ll4mi_QKV_mfma16_kernelI14__hip_bfloat16hLN4vllm18Fp8KVCacheDataTypeE1EhLi32ELi64ELi256ELb0ELi12EEvPKT_PKT0_S8_ifPKiSA_SA_iPKfiiiPfSD_PS3_PT2_iSC_SC_
; %bb.0:
	s_get_pc_i64 s[2:3]
	s_add_nc_u64 s[2:3], s[2:3], __PRETTY_FUNCTION__._Z39paged_attention_ll4mi_QKV_mfma16_kernelI14__hip_bfloat16hLN4vllm18Fp8KVCacheDataTypeE1EhLi32ELi64ELi256ELb0ELi12EEvPKT_PKT0_S8_ifPKiSA_SA_iPKfiiiPfSD_PS3_PT2_iSC_SC_@rel64+4
	s_delay_alu instid0(SALU_CYCLE_1)
	v_dual_mov_b32 v0, 0xbb3 :: v_dual_mov_b32 v1, s2
	v_mov_b32_e32 v2, s3
	s_add_nc_u64 s[8:9], s[0:1], 0x90
	s_get_pc_i64 s[0:1]
	s_add_nc_u64 s[0:1], s[0:1], __assert_fail@rel64+4
	s_mov_b32 s32, 0
	s_swap_pc_i64 s[30:31], s[0:1]
	.section	.rodata,"a",@progbits
	.p2align	6, 0x0
	.amdhsa_kernel _Z39paged_attention_ll4mi_QKV_mfma16_kernelI14__hip_bfloat16hLN4vllm18Fp8KVCacheDataTypeE1EhLi32ELi64ELi256ELb0ELi12EEvPKT_PKT0_S8_ifPKiSA_SA_iPKfiiiPfSD_PS3_PT2_iSC_SC_
		.amdhsa_group_segment_fixed_size 0
		.amdhsa_private_segment_fixed_size 64
		.amdhsa_kernarg_size 400
		.amdhsa_user_sgpr_count 2
		.amdhsa_user_sgpr_dispatch_ptr 0
		.amdhsa_user_sgpr_queue_ptr 0
		.amdhsa_user_sgpr_kernarg_segment_ptr 1
		.amdhsa_user_sgpr_dispatch_id 0
		.amdhsa_user_sgpr_kernarg_preload_length 0
		.amdhsa_user_sgpr_kernarg_preload_offset 0
		.amdhsa_user_sgpr_private_segment_size 0
		.amdhsa_wavefront_size32 1
		.amdhsa_uses_dynamic_stack 0
		.amdhsa_enable_private_segment 1
		.amdhsa_system_sgpr_workgroup_id_x 1
		.amdhsa_system_sgpr_workgroup_id_y 0
		.amdhsa_system_sgpr_workgroup_id_z 0
		.amdhsa_system_sgpr_workgroup_info 0
		.amdhsa_system_vgpr_workitem_id 0
		.amdhsa_next_free_vgpr 51
		.amdhsa_next_free_sgpr 34
		.amdhsa_named_barrier_count 0
		.amdhsa_reserve_vcc 1
		.amdhsa_float_round_mode_32 0
		.amdhsa_float_round_mode_16_64 0
		.amdhsa_float_denorm_mode_32 3
		.amdhsa_float_denorm_mode_16_64 3
		.amdhsa_fp16_overflow 0
		.amdhsa_memory_ordered 1
		.amdhsa_forward_progress 1
		.amdhsa_inst_pref_size 1
		.amdhsa_round_robin_scheduling 0
		.amdhsa_exception_fp_ieee_invalid_op 0
		.amdhsa_exception_fp_denorm_src 0
		.amdhsa_exception_fp_ieee_div_zero 0
		.amdhsa_exception_fp_ieee_overflow 0
		.amdhsa_exception_fp_ieee_underflow 0
		.amdhsa_exception_fp_ieee_inexact 0
		.amdhsa_exception_int_div_zero 0
	.end_amdhsa_kernel
	.section	.text._Z39paged_attention_ll4mi_QKV_mfma16_kernelI14__hip_bfloat16hLN4vllm18Fp8KVCacheDataTypeE1EhLi32ELi64ELi256ELb0ELi12EEvPKT_PKT0_S8_ifPKiSA_SA_iPKfiiiPfSD_PS3_PT2_iSC_SC_,"axG",@progbits,_Z39paged_attention_ll4mi_QKV_mfma16_kernelI14__hip_bfloat16hLN4vllm18Fp8KVCacheDataTypeE1EhLi32ELi64ELi256ELb0ELi12EEvPKT_PKT0_S8_ifPKiSA_SA_iPKfiiiPfSD_PS3_PT2_iSC_SC_,comdat
.Lfunc_end1201:
	.size	_Z39paged_attention_ll4mi_QKV_mfma16_kernelI14__hip_bfloat16hLN4vllm18Fp8KVCacheDataTypeE1EhLi32ELi64ELi256ELb0ELi12EEvPKT_PKT0_S8_ifPKiSA_SA_iPKfiiiPfSD_PS3_PT2_iSC_SC_, .Lfunc_end1201-_Z39paged_attention_ll4mi_QKV_mfma16_kernelI14__hip_bfloat16hLN4vllm18Fp8KVCacheDataTypeE1EhLi32ELi64ELi256ELb0ELi12EEvPKT_PKT0_S8_ifPKiSA_SA_iPKfiiiPfSD_PS3_PT2_iSC_SC_
                                        ; -- End function
	.set _Z39paged_attention_ll4mi_QKV_mfma16_kernelI14__hip_bfloat16hLN4vllm18Fp8KVCacheDataTypeE1EhLi32ELi64ELi256ELb0ELi12EEvPKT_PKT0_S8_ifPKiSA_SA_iPKfiiiPfSD_PS3_PT2_iSC_SC_.num_vgpr, max(3, .L__assert_fail.num_vgpr)
	.set _Z39paged_attention_ll4mi_QKV_mfma16_kernelI14__hip_bfloat16hLN4vllm18Fp8KVCacheDataTypeE1EhLi32ELi64ELi256ELb0ELi12EEvPKT_PKT0_S8_ifPKiSA_SA_iPKfiiiPfSD_PS3_PT2_iSC_SC_.num_agpr, max(0, .L__assert_fail.num_agpr)
	.set _Z39paged_attention_ll4mi_QKV_mfma16_kernelI14__hip_bfloat16hLN4vllm18Fp8KVCacheDataTypeE1EhLi32ELi64ELi256ELb0ELi12EEvPKT_PKT0_S8_ifPKiSA_SA_iPKfiiiPfSD_PS3_PT2_iSC_SC_.numbered_sgpr, max(33, .L__assert_fail.numbered_sgpr)
	.set _Z39paged_attention_ll4mi_QKV_mfma16_kernelI14__hip_bfloat16hLN4vllm18Fp8KVCacheDataTypeE1EhLi32ELi64ELi256ELb0ELi12EEvPKT_PKT0_S8_ifPKiSA_SA_iPKfiiiPfSD_PS3_PT2_iSC_SC_.num_named_barrier, max(0, .L__assert_fail.num_named_barrier)
	.set _Z39paged_attention_ll4mi_QKV_mfma16_kernelI14__hip_bfloat16hLN4vllm18Fp8KVCacheDataTypeE1EhLi32ELi64ELi256ELb0ELi12EEvPKT_PKT0_S8_ifPKiSA_SA_iPKfiiiPfSD_PS3_PT2_iSC_SC_.private_seg_size, 0+max(.L__assert_fail.private_seg_size)
	.set _Z39paged_attention_ll4mi_QKV_mfma16_kernelI14__hip_bfloat16hLN4vllm18Fp8KVCacheDataTypeE1EhLi32ELi64ELi256ELb0ELi12EEvPKT_PKT0_S8_ifPKiSA_SA_iPKfiiiPfSD_PS3_PT2_iSC_SC_.uses_vcc, or(1, .L__assert_fail.uses_vcc)
	.set _Z39paged_attention_ll4mi_QKV_mfma16_kernelI14__hip_bfloat16hLN4vllm18Fp8KVCacheDataTypeE1EhLi32ELi64ELi256ELb0ELi12EEvPKT_PKT0_S8_ifPKiSA_SA_iPKfiiiPfSD_PS3_PT2_iSC_SC_.uses_flat_scratch, or(0, .L__assert_fail.uses_flat_scratch)
	.set _Z39paged_attention_ll4mi_QKV_mfma16_kernelI14__hip_bfloat16hLN4vllm18Fp8KVCacheDataTypeE1EhLi32ELi64ELi256ELb0ELi12EEvPKT_PKT0_S8_ifPKiSA_SA_iPKfiiiPfSD_PS3_PT2_iSC_SC_.has_dyn_sized_stack, or(0, .L__assert_fail.has_dyn_sized_stack)
	.set _Z39paged_attention_ll4mi_QKV_mfma16_kernelI14__hip_bfloat16hLN4vllm18Fp8KVCacheDataTypeE1EhLi32ELi64ELi256ELb0ELi12EEvPKT_PKT0_S8_ifPKiSA_SA_iPKfiiiPfSD_PS3_PT2_iSC_SC_.has_recursion, or(0, .L__assert_fail.has_recursion)
	.set _Z39paged_attention_ll4mi_QKV_mfma16_kernelI14__hip_bfloat16hLN4vllm18Fp8KVCacheDataTypeE1EhLi32ELi64ELi256ELb0ELi12EEvPKT_PKT0_S8_ifPKiSA_SA_iPKfiiiPfSD_PS3_PT2_iSC_SC_.has_indirect_call, or(0, .L__assert_fail.has_indirect_call)
	.section	.AMDGPU.csdata,"",@progbits
; Kernel info:
; codeLenInByte = 68
; TotalNumSgprs: 36
; NumVgprs: 51
; ScratchSize: 64
; MemoryBound: 0
; FloatMode: 240
; IeeeMode: 1
; LDSByteSize: 0 bytes/workgroup (compile time only)
; SGPRBlocks: 0
; VGPRBlocks: 3
; NumSGPRsForWavesPerEU: 36
; NumVGPRsForWavesPerEU: 51
; NamedBarCnt: 0
; Occupancy: 16
; WaveLimiterHint : 1
; COMPUTE_PGM_RSRC2:SCRATCH_EN: 1
; COMPUTE_PGM_RSRC2:USER_SGPR: 2
; COMPUTE_PGM_RSRC2:TRAP_HANDLER: 0
; COMPUTE_PGM_RSRC2:TGID_X_EN: 1
; COMPUTE_PGM_RSRC2:TGID_Y_EN: 0
; COMPUTE_PGM_RSRC2:TGID_Z_EN: 0
; COMPUTE_PGM_RSRC2:TIDIG_COMP_CNT: 0
	.section	.text._Z39paged_attention_ll4mi_QKV_mfma16_kernelI14__hip_bfloat16hLN4vllm18Fp8KVCacheDataTypeE1EhLi32ELi64ELi256ELb0ELi13EEvPKT_PKT0_S8_ifPKiSA_SA_iPKfiiiPfSD_PS3_PT2_iSC_SC_,"axG",@progbits,_Z39paged_attention_ll4mi_QKV_mfma16_kernelI14__hip_bfloat16hLN4vllm18Fp8KVCacheDataTypeE1EhLi32ELi64ELi256ELb0ELi13EEvPKT_PKT0_S8_ifPKiSA_SA_iPKfiiiPfSD_PS3_PT2_iSC_SC_,comdat
	.protected	_Z39paged_attention_ll4mi_QKV_mfma16_kernelI14__hip_bfloat16hLN4vllm18Fp8KVCacheDataTypeE1EhLi32ELi64ELi256ELb0ELi13EEvPKT_PKT0_S8_ifPKiSA_SA_iPKfiiiPfSD_PS3_PT2_iSC_SC_ ; -- Begin function _Z39paged_attention_ll4mi_QKV_mfma16_kernelI14__hip_bfloat16hLN4vllm18Fp8KVCacheDataTypeE1EhLi32ELi64ELi256ELb0ELi13EEvPKT_PKT0_S8_ifPKiSA_SA_iPKfiiiPfSD_PS3_PT2_iSC_SC_
	.globl	_Z39paged_attention_ll4mi_QKV_mfma16_kernelI14__hip_bfloat16hLN4vllm18Fp8KVCacheDataTypeE1EhLi32ELi64ELi256ELb0ELi13EEvPKT_PKT0_S8_ifPKiSA_SA_iPKfiiiPfSD_PS3_PT2_iSC_SC_
	.p2align	8
	.type	_Z39paged_attention_ll4mi_QKV_mfma16_kernelI14__hip_bfloat16hLN4vllm18Fp8KVCacheDataTypeE1EhLi32ELi64ELi256ELb0ELi13EEvPKT_PKT0_S8_ifPKiSA_SA_iPKfiiiPfSD_PS3_PT2_iSC_SC_,@function
_Z39paged_attention_ll4mi_QKV_mfma16_kernelI14__hip_bfloat16hLN4vllm18Fp8KVCacheDataTypeE1EhLi32ELi64ELi256ELb0ELi13EEvPKT_PKT0_S8_ifPKiSA_SA_iPKfiiiPfSD_PS3_PT2_iSC_SC_: ; @_Z39paged_attention_ll4mi_QKV_mfma16_kernelI14__hip_bfloat16hLN4vllm18Fp8KVCacheDataTypeE1EhLi32ELi64ELi256ELb0ELi13EEvPKT_PKT0_S8_ifPKiSA_SA_iPKfiiiPfSD_PS3_PT2_iSC_SC_
; %bb.0:
	s_get_pc_i64 s[2:3]
	s_add_nc_u64 s[2:3], s[2:3], __PRETTY_FUNCTION__._Z39paged_attention_ll4mi_QKV_mfma16_kernelI14__hip_bfloat16hLN4vllm18Fp8KVCacheDataTypeE1EhLi32ELi64ELi256ELb0ELi13EEvPKT_PKT0_S8_ifPKiSA_SA_iPKfiiiPfSD_PS3_PT2_iSC_SC_@rel64+4
	s_delay_alu instid0(SALU_CYCLE_1)
	v_dual_mov_b32 v0, 0xbb3 :: v_dual_mov_b32 v1, s2
	v_mov_b32_e32 v2, s3
	s_add_nc_u64 s[8:9], s[0:1], 0x90
	s_get_pc_i64 s[0:1]
	s_add_nc_u64 s[0:1], s[0:1], __assert_fail@rel64+4
	s_mov_b32 s32, 0
	s_swap_pc_i64 s[30:31], s[0:1]
	.section	.rodata,"a",@progbits
	.p2align	6, 0x0
	.amdhsa_kernel _Z39paged_attention_ll4mi_QKV_mfma16_kernelI14__hip_bfloat16hLN4vllm18Fp8KVCacheDataTypeE1EhLi32ELi64ELi256ELb0ELi13EEvPKT_PKT0_S8_ifPKiSA_SA_iPKfiiiPfSD_PS3_PT2_iSC_SC_
		.amdhsa_group_segment_fixed_size 0
		.amdhsa_private_segment_fixed_size 64
		.amdhsa_kernarg_size 400
		.amdhsa_user_sgpr_count 2
		.amdhsa_user_sgpr_dispatch_ptr 0
		.amdhsa_user_sgpr_queue_ptr 0
		.amdhsa_user_sgpr_kernarg_segment_ptr 1
		.amdhsa_user_sgpr_dispatch_id 0
		.amdhsa_user_sgpr_kernarg_preload_length 0
		.amdhsa_user_sgpr_kernarg_preload_offset 0
		.amdhsa_user_sgpr_private_segment_size 0
		.amdhsa_wavefront_size32 1
		.amdhsa_uses_dynamic_stack 0
		.amdhsa_enable_private_segment 1
		.amdhsa_system_sgpr_workgroup_id_x 1
		.amdhsa_system_sgpr_workgroup_id_y 0
		.amdhsa_system_sgpr_workgroup_id_z 0
		.amdhsa_system_sgpr_workgroup_info 0
		.amdhsa_system_vgpr_workitem_id 0
		.amdhsa_next_free_vgpr 51
		.amdhsa_next_free_sgpr 34
		.amdhsa_named_barrier_count 0
		.amdhsa_reserve_vcc 1
		.amdhsa_float_round_mode_32 0
		.amdhsa_float_round_mode_16_64 0
		.amdhsa_float_denorm_mode_32 3
		.amdhsa_float_denorm_mode_16_64 3
		.amdhsa_fp16_overflow 0
		.amdhsa_memory_ordered 1
		.amdhsa_forward_progress 1
		.amdhsa_inst_pref_size 1
		.amdhsa_round_robin_scheduling 0
		.amdhsa_exception_fp_ieee_invalid_op 0
		.amdhsa_exception_fp_denorm_src 0
		.amdhsa_exception_fp_ieee_div_zero 0
		.amdhsa_exception_fp_ieee_overflow 0
		.amdhsa_exception_fp_ieee_underflow 0
		.amdhsa_exception_fp_ieee_inexact 0
		.amdhsa_exception_int_div_zero 0
	.end_amdhsa_kernel
	.section	.text._Z39paged_attention_ll4mi_QKV_mfma16_kernelI14__hip_bfloat16hLN4vllm18Fp8KVCacheDataTypeE1EhLi32ELi64ELi256ELb0ELi13EEvPKT_PKT0_S8_ifPKiSA_SA_iPKfiiiPfSD_PS3_PT2_iSC_SC_,"axG",@progbits,_Z39paged_attention_ll4mi_QKV_mfma16_kernelI14__hip_bfloat16hLN4vllm18Fp8KVCacheDataTypeE1EhLi32ELi64ELi256ELb0ELi13EEvPKT_PKT0_S8_ifPKiSA_SA_iPKfiiiPfSD_PS3_PT2_iSC_SC_,comdat
.Lfunc_end1202:
	.size	_Z39paged_attention_ll4mi_QKV_mfma16_kernelI14__hip_bfloat16hLN4vllm18Fp8KVCacheDataTypeE1EhLi32ELi64ELi256ELb0ELi13EEvPKT_PKT0_S8_ifPKiSA_SA_iPKfiiiPfSD_PS3_PT2_iSC_SC_, .Lfunc_end1202-_Z39paged_attention_ll4mi_QKV_mfma16_kernelI14__hip_bfloat16hLN4vllm18Fp8KVCacheDataTypeE1EhLi32ELi64ELi256ELb0ELi13EEvPKT_PKT0_S8_ifPKiSA_SA_iPKfiiiPfSD_PS3_PT2_iSC_SC_
                                        ; -- End function
	.set _Z39paged_attention_ll4mi_QKV_mfma16_kernelI14__hip_bfloat16hLN4vllm18Fp8KVCacheDataTypeE1EhLi32ELi64ELi256ELb0ELi13EEvPKT_PKT0_S8_ifPKiSA_SA_iPKfiiiPfSD_PS3_PT2_iSC_SC_.num_vgpr, max(3, .L__assert_fail.num_vgpr)
	.set _Z39paged_attention_ll4mi_QKV_mfma16_kernelI14__hip_bfloat16hLN4vllm18Fp8KVCacheDataTypeE1EhLi32ELi64ELi256ELb0ELi13EEvPKT_PKT0_S8_ifPKiSA_SA_iPKfiiiPfSD_PS3_PT2_iSC_SC_.num_agpr, max(0, .L__assert_fail.num_agpr)
	.set _Z39paged_attention_ll4mi_QKV_mfma16_kernelI14__hip_bfloat16hLN4vllm18Fp8KVCacheDataTypeE1EhLi32ELi64ELi256ELb0ELi13EEvPKT_PKT0_S8_ifPKiSA_SA_iPKfiiiPfSD_PS3_PT2_iSC_SC_.numbered_sgpr, max(33, .L__assert_fail.numbered_sgpr)
	.set _Z39paged_attention_ll4mi_QKV_mfma16_kernelI14__hip_bfloat16hLN4vllm18Fp8KVCacheDataTypeE1EhLi32ELi64ELi256ELb0ELi13EEvPKT_PKT0_S8_ifPKiSA_SA_iPKfiiiPfSD_PS3_PT2_iSC_SC_.num_named_barrier, max(0, .L__assert_fail.num_named_barrier)
	.set _Z39paged_attention_ll4mi_QKV_mfma16_kernelI14__hip_bfloat16hLN4vllm18Fp8KVCacheDataTypeE1EhLi32ELi64ELi256ELb0ELi13EEvPKT_PKT0_S8_ifPKiSA_SA_iPKfiiiPfSD_PS3_PT2_iSC_SC_.private_seg_size, 0+max(.L__assert_fail.private_seg_size)
	.set _Z39paged_attention_ll4mi_QKV_mfma16_kernelI14__hip_bfloat16hLN4vllm18Fp8KVCacheDataTypeE1EhLi32ELi64ELi256ELb0ELi13EEvPKT_PKT0_S8_ifPKiSA_SA_iPKfiiiPfSD_PS3_PT2_iSC_SC_.uses_vcc, or(1, .L__assert_fail.uses_vcc)
	.set _Z39paged_attention_ll4mi_QKV_mfma16_kernelI14__hip_bfloat16hLN4vllm18Fp8KVCacheDataTypeE1EhLi32ELi64ELi256ELb0ELi13EEvPKT_PKT0_S8_ifPKiSA_SA_iPKfiiiPfSD_PS3_PT2_iSC_SC_.uses_flat_scratch, or(0, .L__assert_fail.uses_flat_scratch)
	.set _Z39paged_attention_ll4mi_QKV_mfma16_kernelI14__hip_bfloat16hLN4vllm18Fp8KVCacheDataTypeE1EhLi32ELi64ELi256ELb0ELi13EEvPKT_PKT0_S8_ifPKiSA_SA_iPKfiiiPfSD_PS3_PT2_iSC_SC_.has_dyn_sized_stack, or(0, .L__assert_fail.has_dyn_sized_stack)
	.set _Z39paged_attention_ll4mi_QKV_mfma16_kernelI14__hip_bfloat16hLN4vllm18Fp8KVCacheDataTypeE1EhLi32ELi64ELi256ELb0ELi13EEvPKT_PKT0_S8_ifPKiSA_SA_iPKfiiiPfSD_PS3_PT2_iSC_SC_.has_recursion, or(0, .L__assert_fail.has_recursion)
	.set _Z39paged_attention_ll4mi_QKV_mfma16_kernelI14__hip_bfloat16hLN4vllm18Fp8KVCacheDataTypeE1EhLi32ELi64ELi256ELb0ELi13EEvPKT_PKT0_S8_ifPKiSA_SA_iPKfiiiPfSD_PS3_PT2_iSC_SC_.has_indirect_call, or(0, .L__assert_fail.has_indirect_call)
	.section	.AMDGPU.csdata,"",@progbits
; Kernel info:
; codeLenInByte = 68
; TotalNumSgprs: 36
; NumVgprs: 51
; ScratchSize: 64
; MemoryBound: 0
; FloatMode: 240
; IeeeMode: 1
; LDSByteSize: 0 bytes/workgroup (compile time only)
; SGPRBlocks: 0
; VGPRBlocks: 3
; NumSGPRsForWavesPerEU: 36
; NumVGPRsForWavesPerEU: 51
; NamedBarCnt: 0
; Occupancy: 16
; WaveLimiterHint : 1
; COMPUTE_PGM_RSRC2:SCRATCH_EN: 1
; COMPUTE_PGM_RSRC2:USER_SGPR: 2
; COMPUTE_PGM_RSRC2:TRAP_HANDLER: 0
; COMPUTE_PGM_RSRC2:TGID_X_EN: 1
; COMPUTE_PGM_RSRC2:TGID_Y_EN: 0
; COMPUTE_PGM_RSRC2:TGID_Z_EN: 0
; COMPUTE_PGM_RSRC2:TIDIG_COMP_CNT: 0
	.section	.text._Z39paged_attention_ll4mi_QKV_mfma16_kernelI14__hip_bfloat16hLN4vllm18Fp8KVCacheDataTypeE1EhLi32ELi64ELi256ELb0ELi14EEvPKT_PKT0_S8_ifPKiSA_SA_iPKfiiiPfSD_PS3_PT2_iSC_SC_,"axG",@progbits,_Z39paged_attention_ll4mi_QKV_mfma16_kernelI14__hip_bfloat16hLN4vllm18Fp8KVCacheDataTypeE1EhLi32ELi64ELi256ELb0ELi14EEvPKT_PKT0_S8_ifPKiSA_SA_iPKfiiiPfSD_PS3_PT2_iSC_SC_,comdat
	.protected	_Z39paged_attention_ll4mi_QKV_mfma16_kernelI14__hip_bfloat16hLN4vllm18Fp8KVCacheDataTypeE1EhLi32ELi64ELi256ELb0ELi14EEvPKT_PKT0_S8_ifPKiSA_SA_iPKfiiiPfSD_PS3_PT2_iSC_SC_ ; -- Begin function _Z39paged_attention_ll4mi_QKV_mfma16_kernelI14__hip_bfloat16hLN4vllm18Fp8KVCacheDataTypeE1EhLi32ELi64ELi256ELb0ELi14EEvPKT_PKT0_S8_ifPKiSA_SA_iPKfiiiPfSD_PS3_PT2_iSC_SC_
	.globl	_Z39paged_attention_ll4mi_QKV_mfma16_kernelI14__hip_bfloat16hLN4vllm18Fp8KVCacheDataTypeE1EhLi32ELi64ELi256ELb0ELi14EEvPKT_PKT0_S8_ifPKiSA_SA_iPKfiiiPfSD_PS3_PT2_iSC_SC_
	.p2align	8
	.type	_Z39paged_attention_ll4mi_QKV_mfma16_kernelI14__hip_bfloat16hLN4vllm18Fp8KVCacheDataTypeE1EhLi32ELi64ELi256ELb0ELi14EEvPKT_PKT0_S8_ifPKiSA_SA_iPKfiiiPfSD_PS3_PT2_iSC_SC_,@function
_Z39paged_attention_ll4mi_QKV_mfma16_kernelI14__hip_bfloat16hLN4vllm18Fp8KVCacheDataTypeE1EhLi32ELi64ELi256ELb0ELi14EEvPKT_PKT0_S8_ifPKiSA_SA_iPKfiiiPfSD_PS3_PT2_iSC_SC_: ; @_Z39paged_attention_ll4mi_QKV_mfma16_kernelI14__hip_bfloat16hLN4vllm18Fp8KVCacheDataTypeE1EhLi32ELi64ELi256ELb0ELi14EEvPKT_PKT0_S8_ifPKiSA_SA_iPKfiiiPfSD_PS3_PT2_iSC_SC_
; %bb.0:
	s_get_pc_i64 s[2:3]
	s_add_nc_u64 s[2:3], s[2:3], __PRETTY_FUNCTION__._Z39paged_attention_ll4mi_QKV_mfma16_kernelI14__hip_bfloat16hLN4vllm18Fp8KVCacheDataTypeE1EhLi32ELi64ELi256ELb0ELi14EEvPKT_PKT0_S8_ifPKiSA_SA_iPKfiiiPfSD_PS3_PT2_iSC_SC_@rel64+4
	s_delay_alu instid0(SALU_CYCLE_1)
	v_dual_mov_b32 v0, 0xbb3 :: v_dual_mov_b32 v1, s2
	v_mov_b32_e32 v2, s3
	s_add_nc_u64 s[8:9], s[0:1], 0x90
	s_get_pc_i64 s[0:1]
	s_add_nc_u64 s[0:1], s[0:1], __assert_fail@rel64+4
	s_mov_b32 s32, 0
	s_swap_pc_i64 s[30:31], s[0:1]
	.section	.rodata,"a",@progbits
	.p2align	6, 0x0
	.amdhsa_kernel _Z39paged_attention_ll4mi_QKV_mfma16_kernelI14__hip_bfloat16hLN4vllm18Fp8KVCacheDataTypeE1EhLi32ELi64ELi256ELb0ELi14EEvPKT_PKT0_S8_ifPKiSA_SA_iPKfiiiPfSD_PS3_PT2_iSC_SC_
		.amdhsa_group_segment_fixed_size 0
		.amdhsa_private_segment_fixed_size 64
		.amdhsa_kernarg_size 400
		.amdhsa_user_sgpr_count 2
		.amdhsa_user_sgpr_dispatch_ptr 0
		.amdhsa_user_sgpr_queue_ptr 0
		.amdhsa_user_sgpr_kernarg_segment_ptr 1
		.amdhsa_user_sgpr_dispatch_id 0
		.amdhsa_user_sgpr_kernarg_preload_length 0
		.amdhsa_user_sgpr_kernarg_preload_offset 0
		.amdhsa_user_sgpr_private_segment_size 0
		.amdhsa_wavefront_size32 1
		.amdhsa_uses_dynamic_stack 0
		.amdhsa_enable_private_segment 1
		.amdhsa_system_sgpr_workgroup_id_x 1
		.amdhsa_system_sgpr_workgroup_id_y 0
		.amdhsa_system_sgpr_workgroup_id_z 0
		.amdhsa_system_sgpr_workgroup_info 0
		.amdhsa_system_vgpr_workitem_id 0
		.amdhsa_next_free_vgpr 51
		.amdhsa_next_free_sgpr 34
		.amdhsa_named_barrier_count 0
		.amdhsa_reserve_vcc 1
		.amdhsa_float_round_mode_32 0
		.amdhsa_float_round_mode_16_64 0
		.amdhsa_float_denorm_mode_32 3
		.amdhsa_float_denorm_mode_16_64 3
		.amdhsa_fp16_overflow 0
		.amdhsa_memory_ordered 1
		.amdhsa_forward_progress 1
		.amdhsa_inst_pref_size 1
		.amdhsa_round_robin_scheduling 0
		.amdhsa_exception_fp_ieee_invalid_op 0
		.amdhsa_exception_fp_denorm_src 0
		.amdhsa_exception_fp_ieee_div_zero 0
		.amdhsa_exception_fp_ieee_overflow 0
		.amdhsa_exception_fp_ieee_underflow 0
		.amdhsa_exception_fp_ieee_inexact 0
		.amdhsa_exception_int_div_zero 0
	.end_amdhsa_kernel
	.section	.text._Z39paged_attention_ll4mi_QKV_mfma16_kernelI14__hip_bfloat16hLN4vllm18Fp8KVCacheDataTypeE1EhLi32ELi64ELi256ELb0ELi14EEvPKT_PKT0_S8_ifPKiSA_SA_iPKfiiiPfSD_PS3_PT2_iSC_SC_,"axG",@progbits,_Z39paged_attention_ll4mi_QKV_mfma16_kernelI14__hip_bfloat16hLN4vllm18Fp8KVCacheDataTypeE1EhLi32ELi64ELi256ELb0ELi14EEvPKT_PKT0_S8_ifPKiSA_SA_iPKfiiiPfSD_PS3_PT2_iSC_SC_,comdat
.Lfunc_end1203:
	.size	_Z39paged_attention_ll4mi_QKV_mfma16_kernelI14__hip_bfloat16hLN4vllm18Fp8KVCacheDataTypeE1EhLi32ELi64ELi256ELb0ELi14EEvPKT_PKT0_S8_ifPKiSA_SA_iPKfiiiPfSD_PS3_PT2_iSC_SC_, .Lfunc_end1203-_Z39paged_attention_ll4mi_QKV_mfma16_kernelI14__hip_bfloat16hLN4vllm18Fp8KVCacheDataTypeE1EhLi32ELi64ELi256ELb0ELi14EEvPKT_PKT0_S8_ifPKiSA_SA_iPKfiiiPfSD_PS3_PT2_iSC_SC_
                                        ; -- End function
	.set _Z39paged_attention_ll4mi_QKV_mfma16_kernelI14__hip_bfloat16hLN4vllm18Fp8KVCacheDataTypeE1EhLi32ELi64ELi256ELb0ELi14EEvPKT_PKT0_S8_ifPKiSA_SA_iPKfiiiPfSD_PS3_PT2_iSC_SC_.num_vgpr, max(3, .L__assert_fail.num_vgpr)
	.set _Z39paged_attention_ll4mi_QKV_mfma16_kernelI14__hip_bfloat16hLN4vllm18Fp8KVCacheDataTypeE1EhLi32ELi64ELi256ELb0ELi14EEvPKT_PKT0_S8_ifPKiSA_SA_iPKfiiiPfSD_PS3_PT2_iSC_SC_.num_agpr, max(0, .L__assert_fail.num_agpr)
	.set _Z39paged_attention_ll4mi_QKV_mfma16_kernelI14__hip_bfloat16hLN4vllm18Fp8KVCacheDataTypeE1EhLi32ELi64ELi256ELb0ELi14EEvPKT_PKT0_S8_ifPKiSA_SA_iPKfiiiPfSD_PS3_PT2_iSC_SC_.numbered_sgpr, max(33, .L__assert_fail.numbered_sgpr)
	.set _Z39paged_attention_ll4mi_QKV_mfma16_kernelI14__hip_bfloat16hLN4vllm18Fp8KVCacheDataTypeE1EhLi32ELi64ELi256ELb0ELi14EEvPKT_PKT0_S8_ifPKiSA_SA_iPKfiiiPfSD_PS3_PT2_iSC_SC_.num_named_barrier, max(0, .L__assert_fail.num_named_barrier)
	.set _Z39paged_attention_ll4mi_QKV_mfma16_kernelI14__hip_bfloat16hLN4vllm18Fp8KVCacheDataTypeE1EhLi32ELi64ELi256ELb0ELi14EEvPKT_PKT0_S8_ifPKiSA_SA_iPKfiiiPfSD_PS3_PT2_iSC_SC_.private_seg_size, 0+max(.L__assert_fail.private_seg_size)
	.set _Z39paged_attention_ll4mi_QKV_mfma16_kernelI14__hip_bfloat16hLN4vllm18Fp8KVCacheDataTypeE1EhLi32ELi64ELi256ELb0ELi14EEvPKT_PKT0_S8_ifPKiSA_SA_iPKfiiiPfSD_PS3_PT2_iSC_SC_.uses_vcc, or(1, .L__assert_fail.uses_vcc)
	.set _Z39paged_attention_ll4mi_QKV_mfma16_kernelI14__hip_bfloat16hLN4vllm18Fp8KVCacheDataTypeE1EhLi32ELi64ELi256ELb0ELi14EEvPKT_PKT0_S8_ifPKiSA_SA_iPKfiiiPfSD_PS3_PT2_iSC_SC_.uses_flat_scratch, or(0, .L__assert_fail.uses_flat_scratch)
	.set _Z39paged_attention_ll4mi_QKV_mfma16_kernelI14__hip_bfloat16hLN4vllm18Fp8KVCacheDataTypeE1EhLi32ELi64ELi256ELb0ELi14EEvPKT_PKT0_S8_ifPKiSA_SA_iPKfiiiPfSD_PS3_PT2_iSC_SC_.has_dyn_sized_stack, or(0, .L__assert_fail.has_dyn_sized_stack)
	.set _Z39paged_attention_ll4mi_QKV_mfma16_kernelI14__hip_bfloat16hLN4vllm18Fp8KVCacheDataTypeE1EhLi32ELi64ELi256ELb0ELi14EEvPKT_PKT0_S8_ifPKiSA_SA_iPKfiiiPfSD_PS3_PT2_iSC_SC_.has_recursion, or(0, .L__assert_fail.has_recursion)
	.set _Z39paged_attention_ll4mi_QKV_mfma16_kernelI14__hip_bfloat16hLN4vllm18Fp8KVCacheDataTypeE1EhLi32ELi64ELi256ELb0ELi14EEvPKT_PKT0_S8_ifPKiSA_SA_iPKfiiiPfSD_PS3_PT2_iSC_SC_.has_indirect_call, or(0, .L__assert_fail.has_indirect_call)
	.section	.AMDGPU.csdata,"",@progbits
; Kernel info:
; codeLenInByte = 68
; TotalNumSgprs: 36
; NumVgprs: 51
; ScratchSize: 64
; MemoryBound: 0
; FloatMode: 240
; IeeeMode: 1
; LDSByteSize: 0 bytes/workgroup (compile time only)
; SGPRBlocks: 0
; VGPRBlocks: 3
; NumSGPRsForWavesPerEU: 36
; NumVGPRsForWavesPerEU: 51
; NamedBarCnt: 0
; Occupancy: 16
; WaveLimiterHint : 1
; COMPUTE_PGM_RSRC2:SCRATCH_EN: 1
; COMPUTE_PGM_RSRC2:USER_SGPR: 2
; COMPUTE_PGM_RSRC2:TRAP_HANDLER: 0
; COMPUTE_PGM_RSRC2:TGID_X_EN: 1
; COMPUTE_PGM_RSRC2:TGID_Y_EN: 0
; COMPUTE_PGM_RSRC2:TGID_Z_EN: 0
; COMPUTE_PGM_RSRC2:TIDIG_COMP_CNT: 0
	.section	.text._Z39paged_attention_ll4mi_QKV_mfma16_kernelI14__hip_bfloat16hLN4vllm18Fp8KVCacheDataTypeE1EhLi32ELi64ELi256ELb0ELi15EEvPKT_PKT0_S8_ifPKiSA_SA_iPKfiiiPfSD_PS3_PT2_iSC_SC_,"axG",@progbits,_Z39paged_attention_ll4mi_QKV_mfma16_kernelI14__hip_bfloat16hLN4vllm18Fp8KVCacheDataTypeE1EhLi32ELi64ELi256ELb0ELi15EEvPKT_PKT0_S8_ifPKiSA_SA_iPKfiiiPfSD_PS3_PT2_iSC_SC_,comdat
	.protected	_Z39paged_attention_ll4mi_QKV_mfma16_kernelI14__hip_bfloat16hLN4vllm18Fp8KVCacheDataTypeE1EhLi32ELi64ELi256ELb0ELi15EEvPKT_PKT0_S8_ifPKiSA_SA_iPKfiiiPfSD_PS3_PT2_iSC_SC_ ; -- Begin function _Z39paged_attention_ll4mi_QKV_mfma16_kernelI14__hip_bfloat16hLN4vllm18Fp8KVCacheDataTypeE1EhLi32ELi64ELi256ELb0ELi15EEvPKT_PKT0_S8_ifPKiSA_SA_iPKfiiiPfSD_PS3_PT2_iSC_SC_
	.globl	_Z39paged_attention_ll4mi_QKV_mfma16_kernelI14__hip_bfloat16hLN4vllm18Fp8KVCacheDataTypeE1EhLi32ELi64ELi256ELb0ELi15EEvPKT_PKT0_S8_ifPKiSA_SA_iPKfiiiPfSD_PS3_PT2_iSC_SC_
	.p2align	8
	.type	_Z39paged_attention_ll4mi_QKV_mfma16_kernelI14__hip_bfloat16hLN4vllm18Fp8KVCacheDataTypeE1EhLi32ELi64ELi256ELb0ELi15EEvPKT_PKT0_S8_ifPKiSA_SA_iPKfiiiPfSD_PS3_PT2_iSC_SC_,@function
_Z39paged_attention_ll4mi_QKV_mfma16_kernelI14__hip_bfloat16hLN4vllm18Fp8KVCacheDataTypeE1EhLi32ELi64ELi256ELb0ELi15EEvPKT_PKT0_S8_ifPKiSA_SA_iPKfiiiPfSD_PS3_PT2_iSC_SC_: ; @_Z39paged_attention_ll4mi_QKV_mfma16_kernelI14__hip_bfloat16hLN4vllm18Fp8KVCacheDataTypeE1EhLi32ELi64ELi256ELb0ELi15EEvPKT_PKT0_S8_ifPKiSA_SA_iPKfiiiPfSD_PS3_PT2_iSC_SC_
; %bb.0:
	s_get_pc_i64 s[2:3]
	s_add_nc_u64 s[2:3], s[2:3], __PRETTY_FUNCTION__._Z39paged_attention_ll4mi_QKV_mfma16_kernelI14__hip_bfloat16hLN4vllm18Fp8KVCacheDataTypeE1EhLi32ELi64ELi256ELb0ELi15EEvPKT_PKT0_S8_ifPKiSA_SA_iPKfiiiPfSD_PS3_PT2_iSC_SC_@rel64+4
	s_delay_alu instid0(SALU_CYCLE_1)
	v_dual_mov_b32 v0, 0xbb3 :: v_dual_mov_b32 v1, s2
	v_mov_b32_e32 v2, s3
	s_add_nc_u64 s[8:9], s[0:1], 0x90
	s_get_pc_i64 s[0:1]
	s_add_nc_u64 s[0:1], s[0:1], __assert_fail@rel64+4
	s_mov_b32 s32, 0
	s_swap_pc_i64 s[30:31], s[0:1]
	.section	.rodata,"a",@progbits
	.p2align	6, 0x0
	.amdhsa_kernel _Z39paged_attention_ll4mi_QKV_mfma16_kernelI14__hip_bfloat16hLN4vllm18Fp8KVCacheDataTypeE1EhLi32ELi64ELi256ELb0ELi15EEvPKT_PKT0_S8_ifPKiSA_SA_iPKfiiiPfSD_PS3_PT2_iSC_SC_
		.amdhsa_group_segment_fixed_size 0
		.amdhsa_private_segment_fixed_size 64
		.amdhsa_kernarg_size 400
		.amdhsa_user_sgpr_count 2
		.amdhsa_user_sgpr_dispatch_ptr 0
		.amdhsa_user_sgpr_queue_ptr 0
		.amdhsa_user_sgpr_kernarg_segment_ptr 1
		.amdhsa_user_sgpr_dispatch_id 0
		.amdhsa_user_sgpr_kernarg_preload_length 0
		.amdhsa_user_sgpr_kernarg_preload_offset 0
		.amdhsa_user_sgpr_private_segment_size 0
		.amdhsa_wavefront_size32 1
		.amdhsa_uses_dynamic_stack 0
		.amdhsa_enable_private_segment 1
		.amdhsa_system_sgpr_workgroup_id_x 1
		.amdhsa_system_sgpr_workgroup_id_y 0
		.amdhsa_system_sgpr_workgroup_id_z 0
		.amdhsa_system_sgpr_workgroup_info 0
		.amdhsa_system_vgpr_workitem_id 0
		.amdhsa_next_free_vgpr 51
		.amdhsa_next_free_sgpr 34
		.amdhsa_named_barrier_count 0
		.amdhsa_reserve_vcc 1
		.amdhsa_float_round_mode_32 0
		.amdhsa_float_round_mode_16_64 0
		.amdhsa_float_denorm_mode_32 3
		.amdhsa_float_denorm_mode_16_64 3
		.amdhsa_fp16_overflow 0
		.amdhsa_memory_ordered 1
		.amdhsa_forward_progress 1
		.amdhsa_inst_pref_size 1
		.amdhsa_round_robin_scheduling 0
		.amdhsa_exception_fp_ieee_invalid_op 0
		.amdhsa_exception_fp_denorm_src 0
		.amdhsa_exception_fp_ieee_div_zero 0
		.amdhsa_exception_fp_ieee_overflow 0
		.amdhsa_exception_fp_ieee_underflow 0
		.amdhsa_exception_fp_ieee_inexact 0
		.amdhsa_exception_int_div_zero 0
	.end_amdhsa_kernel
	.section	.text._Z39paged_attention_ll4mi_QKV_mfma16_kernelI14__hip_bfloat16hLN4vllm18Fp8KVCacheDataTypeE1EhLi32ELi64ELi256ELb0ELi15EEvPKT_PKT0_S8_ifPKiSA_SA_iPKfiiiPfSD_PS3_PT2_iSC_SC_,"axG",@progbits,_Z39paged_attention_ll4mi_QKV_mfma16_kernelI14__hip_bfloat16hLN4vllm18Fp8KVCacheDataTypeE1EhLi32ELi64ELi256ELb0ELi15EEvPKT_PKT0_S8_ifPKiSA_SA_iPKfiiiPfSD_PS3_PT2_iSC_SC_,comdat
.Lfunc_end1204:
	.size	_Z39paged_attention_ll4mi_QKV_mfma16_kernelI14__hip_bfloat16hLN4vllm18Fp8KVCacheDataTypeE1EhLi32ELi64ELi256ELb0ELi15EEvPKT_PKT0_S8_ifPKiSA_SA_iPKfiiiPfSD_PS3_PT2_iSC_SC_, .Lfunc_end1204-_Z39paged_attention_ll4mi_QKV_mfma16_kernelI14__hip_bfloat16hLN4vllm18Fp8KVCacheDataTypeE1EhLi32ELi64ELi256ELb0ELi15EEvPKT_PKT0_S8_ifPKiSA_SA_iPKfiiiPfSD_PS3_PT2_iSC_SC_
                                        ; -- End function
	.set _Z39paged_attention_ll4mi_QKV_mfma16_kernelI14__hip_bfloat16hLN4vllm18Fp8KVCacheDataTypeE1EhLi32ELi64ELi256ELb0ELi15EEvPKT_PKT0_S8_ifPKiSA_SA_iPKfiiiPfSD_PS3_PT2_iSC_SC_.num_vgpr, max(3, .L__assert_fail.num_vgpr)
	.set _Z39paged_attention_ll4mi_QKV_mfma16_kernelI14__hip_bfloat16hLN4vllm18Fp8KVCacheDataTypeE1EhLi32ELi64ELi256ELb0ELi15EEvPKT_PKT0_S8_ifPKiSA_SA_iPKfiiiPfSD_PS3_PT2_iSC_SC_.num_agpr, max(0, .L__assert_fail.num_agpr)
	.set _Z39paged_attention_ll4mi_QKV_mfma16_kernelI14__hip_bfloat16hLN4vllm18Fp8KVCacheDataTypeE1EhLi32ELi64ELi256ELb0ELi15EEvPKT_PKT0_S8_ifPKiSA_SA_iPKfiiiPfSD_PS3_PT2_iSC_SC_.numbered_sgpr, max(33, .L__assert_fail.numbered_sgpr)
	.set _Z39paged_attention_ll4mi_QKV_mfma16_kernelI14__hip_bfloat16hLN4vllm18Fp8KVCacheDataTypeE1EhLi32ELi64ELi256ELb0ELi15EEvPKT_PKT0_S8_ifPKiSA_SA_iPKfiiiPfSD_PS3_PT2_iSC_SC_.num_named_barrier, max(0, .L__assert_fail.num_named_barrier)
	.set _Z39paged_attention_ll4mi_QKV_mfma16_kernelI14__hip_bfloat16hLN4vllm18Fp8KVCacheDataTypeE1EhLi32ELi64ELi256ELb0ELi15EEvPKT_PKT0_S8_ifPKiSA_SA_iPKfiiiPfSD_PS3_PT2_iSC_SC_.private_seg_size, 0+max(.L__assert_fail.private_seg_size)
	.set _Z39paged_attention_ll4mi_QKV_mfma16_kernelI14__hip_bfloat16hLN4vllm18Fp8KVCacheDataTypeE1EhLi32ELi64ELi256ELb0ELi15EEvPKT_PKT0_S8_ifPKiSA_SA_iPKfiiiPfSD_PS3_PT2_iSC_SC_.uses_vcc, or(1, .L__assert_fail.uses_vcc)
	.set _Z39paged_attention_ll4mi_QKV_mfma16_kernelI14__hip_bfloat16hLN4vllm18Fp8KVCacheDataTypeE1EhLi32ELi64ELi256ELb0ELi15EEvPKT_PKT0_S8_ifPKiSA_SA_iPKfiiiPfSD_PS3_PT2_iSC_SC_.uses_flat_scratch, or(0, .L__assert_fail.uses_flat_scratch)
	.set _Z39paged_attention_ll4mi_QKV_mfma16_kernelI14__hip_bfloat16hLN4vllm18Fp8KVCacheDataTypeE1EhLi32ELi64ELi256ELb0ELi15EEvPKT_PKT0_S8_ifPKiSA_SA_iPKfiiiPfSD_PS3_PT2_iSC_SC_.has_dyn_sized_stack, or(0, .L__assert_fail.has_dyn_sized_stack)
	.set _Z39paged_attention_ll4mi_QKV_mfma16_kernelI14__hip_bfloat16hLN4vllm18Fp8KVCacheDataTypeE1EhLi32ELi64ELi256ELb0ELi15EEvPKT_PKT0_S8_ifPKiSA_SA_iPKfiiiPfSD_PS3_PT2_iSC_SC_.has_recursion, or(0, .L__assert_fail.has_recursion)
	.set _Z39paged_attention_ll4mi_QKV_mfma16_kernelI14__hip_bfloat16hLN4vllm18Fp8KVCacheDataTypeE1EhLi32ELi64ELi256ELb0ELi15EEvPKT_PKT0_S8_ifPKiSA_SA_iPKfiiiPfSD_PS3_PT2_iSC_SC_.has_indirect_call, or(0, .L__assert_fail.has_indirect_call)
	.section	.AMDGPU.csdata,"",@progbits
; Kernel info:
; codeLenInByte = 68
; TotalNumSgprs: 36
; NumVgprs: 51
; ScratchSize: 64
; MemoryBound: 0
; FloatMode: 240
; IeeeMode: 1
; LDSByteSize: 0 bytes/workgroup (compile time only)
; SGPRBlocks: 0
; VGPRBlocks: 3
; NumSGPRsForWavesPerEU: 36
; NumVGPRsForWavesPerEU: 51
; NamedBarCnt: 0
; Occupancy: 16
; WaveLimiterHint : 1
; COMPUTE_PGM_RSRC2:SCRATCH_EN: 1
; COMPUTE_PGM_RSRC2:USER_SGPR: 2
; COMPUTE_PGM_RSRC2:TRAP_HANDLER: 0
; COMPUTE_PGM_RSRC2:TGID_X_EN: 1
; COMPUTE_PGM_RSRC2:TGID_Y_EN: 0
; COMPUTE_PGM_RSRC2:TGID_Z_EN: 0
; COMPUTE_PGM_RSRC2:TIDIG_COMP_CNT: 0
	.section	.text._Z39paged_attention_ll4mi_QKV_mfma16_kernelI14__hip_bfloat16hLN4vllm18Fp8KVCacheDataTypeE1EhLi32ELi64ELi256ELb0ELi16EEvPKT_PKT0_S8_ifPKiSA_SA_iPKfiiiPfSD_PS3_PT2_iSC_SC_,"axG",@progbits,_Z39paged_attention_ll4mi_QKV_mfma16_kernelI14__hip_bfloat16hLN4vllm18Fp8KVCacheDataTypeE1EhLi32ELi64ELi256ELb0ELi16EEvPKT_PKT0_S8_ifPKiSA_SA_iPKfiiiPfSD_PS3_PT2_iSC_SC_,comdat
	.protected	_Z39paged_attention_ll4mi_QKV_mfma16_kernelI14__hip_bfloat16hLN4vllm18Fp8KVCacheDataTypeE1EhLi32ELi64ELi256ELb0ELi16EEvPKT_PKT0_S8_ifPKiSA_SA_iPKfiiiPfSD_PS3_PT2_iSC_SC_ ; -- Begin function _Z39paged_attention_ll4mi_QKV_mfma16_kernelI14__hip_bfloat16hLN4vllm18Fp8KVCacheDataTypeE1EhLi32ELi64ELi256ELb0ELi16EEvPKT_PKT0_S8_ifPKiSA_SA_iPKfiiiPfSD_PS3_PT2_iSC_SC_
	.globl	_Z39paged_attention_ll4mi_QKV_mfma16_kernelI14__hip_bfloat16hLN4vllm18Fp8KVCacheDataTypeE1EhLi32ELi64ELi256ELb0ELi16EEvPKT_PKT0_S8_ifPKiSA_SA_iPKfiiiPfSD_PS3_PT2_iSC_SC_
	.p2align	8
	.type	_Z39paged_attention_ll4mi_QKV_mfma16_kernelI14__hip_bfloat16hLN4vllm18Fp8KVCacheDataTypeE1EhLi32ELi64ELi256ELb0ELi16EEvPKT_PKT0_S8_ifPKiSA_SA_iPKfiiiPfSD_PS3_PT2_iSC_SC_,@function
_Z39paged_attention_ll4mi_QKV_mfma16_kernelI14__hip_bfloat16hLN4vllm18Fp8KVCacheDataTypeE1EhLi32ELi64ELi256ELb0ELi16EEvPKT_PKT0_S8_ifPKiSA_SA_iPKfiiiPfSD_PS3_PT2_iSC_SC_: ; @_Z39paged_attention_ll4mi_QKV_mfma16_kernelI14__hip_bfloat16hLN4vllm18Fp8KVCacheDataTypeE1EhLi32ELi64ELi256ELb0ELi16EEvPKT_PKT0_S8_ifPKiSA_SA_iPKfiiiPfSD_PS3_PT2_iSC_SC_
; %bb.0:
	s_get_pc_i64 s[2:3]
	s_add_nc_u64 s[2:3], s[2:3], __PRETTY_FUNCTION__._Z39paged_attention_ll4mi_QKV_mfma16_kernelI14__hip_bfloat16hLN4vllm18Fp8KVCacheDataTypeE1EhLi32ELi64ELi256ELb0ELi16EEvPKT_PKT0_S8_ifPKiSA_SA_iPKfiiiPfSD_PS3_PT2_iSC_SC_@rel64+4
	s_delay_alu instid0(SALU_CYCLE_1)
	v_dual_mov_b32 v0, 0xbb3 :: v_dual_mov_b32 v1, s2
	v_mov_b32_e32 v2, s3
	s_add_nc_u64 s[8:9], s[0:1], 0x90
	s_get_pc_i64 s[0:1]
	s_add_nc_u64 s[0:1], s[0:1], __assert_fail@rel64+4
	s_mov_b32 s32, 0
	s_swap_pc_i64 s[30:31], s[0:1]
	.section	.rodata,"a",@progbits
	.p2align	6, 0x0
	.amdhsa_kernel _Z39paged_attention_ll4mi_QKV_mfma16_kernelI14__hip_bfloat16hLN4vllm18Fp8KVCacheDataTypeE1EhLi32ELi64ELi256ELb0ELi16EEvPKT_PKT0_S8_ifPKiSA_SA_iPKfiiiPfSD_PS3_PT2_iSC_SC_
		.amdhsa_group_segment_fixed_size 0
		.amdhsa_private_segment_fixed_size 64
		.amdhsa_kernarg_size 400
		.amdhsa_user_sgpr_count 2
		.amdhsa_user_sgpr_dispatch_ptr 0
		.amdhsa_user_sgpr_queue_ptr 0
		.amdhsa_user_sgpr_kernarg_segment_ptr 1
		.amdhsa_user_sgpr_dispatch_id 0
		.amdhsa_user_sgpr_kernarg_preload_length 0
		.amdhsa_user_sgpr_kernarg_preload_offset 0
		.amdhsa_user_sgpr_private_segment_size 0
		.amdhsa_wavefront_size32 1
		.amdhsa_uses_dynamic_stack 0
		.amdhsa_enable_private_segment 1
		.amdhsa_system_sgpr_workgroup_id_x 1
		.amdhsa_system_sgpr_workgroup_id_y 0
		.amdhsa_system_sgpr_workgroup_id_z 0
		.amdhsa_system_sgpr_workgroup_info 0
		.amdhsa_system_vgpr_workitem_id 0
		.amdhsa_next_free_vgpr 51
		.amdhsa_next_free_sgpr 34
		.amdhsa_named_barrier_count 0
		.amdhsa_reserve_vcc 1
		.amdhsa_float_round_mode_32 0
		.amdhsa_float_round_mode_16_64 0
		.amdhsa_float_denorm_mode_32 3
		.amdhsa_float_denorm_mode_16_64 3
		.amdhsa_fp16_overflow 0
		.amdhsa_memory_ordered 1
		.amdhsa_forward_progress 1
		.amdhsa_inst_pref_size 1
		.amdhsa_round_robin_scheduling 0
		.amdhsa_exception_fp_ieee_invalid_op 0
		.amdhsa_exception_fp_denorm_src 0
		.amdhsa_exception_fp_ieee_div_zero 0
		.amdhsa_exception_fp_ieee_overflow 0
		.amdhsa_exception_fp_ieee_underflow 0
		.amdhsa_exception_fp_ieee_inexact 0
		.amdhsa_exception_int_div_zero 0
	.end_amdhsa_kernel
	.section	.text._Z39paged_attention_ll4mi_QKV_mfma16_kernelI14__hip_bfloat16hLN4vllm18Fp8KVCacheDataTypeE1EhLi32ELi64ELi256ELb0ELi16EEvPKT_PKT0_S8_ifPKiSA_SA_iPKfiiiPfSD_PS3_PT2_iSC_SC_,"axG",@progbits,_Z39paged_attention_ll4mi_QKV_mfma16_kernelI14__hip_bfloat16hLN4vllm18Fp8KVCacheDataTypeE1EhLi32ELi64ELi256ELb0ELi16EEvPKT_PKT0_S8_ifPKiSA_SA_iPKfiiiPfSD_PS3_PT2_iSC_SC_,comdat
.Lfunc_end1205:
	.size	_Z39paged_attention_ll4mi_QKV_mfma16_kernelI14__hip_bfloat16hLN4vllm18Fp8KVCacheDataTypeE1EhLi32ELi64ELi256ELb0ELi16EEvPKT_PKT0_S8_ifPKiSA_SA_iPKfiiiPfSD_PS3_PT2_iSC_SC_, .Lfunc_end1205-_Z39paged_attention_ll4mi_QKV_mfma16_kernelI14__hip_bfloat16hLN4vllm18Fp8KVCacheDataTypeE1EhLi32ELi64ELi256ELb0ELi16EEvPKT_PKT0_S8_ifPKiSA_SA_iPKfiiiPfSD_PS3_PT2_iSC_SC_
                                        ; -- End function
	.set _Z39paged_attention_ll4mi_QKV_mfma16_kernelI14__hip_bfloat16hLN4vllm18Fp8KVCacheDataTypeE1EhLi32ELi64ELi256ELb0ELi16EEvPKT_PKT0_S8_ifPKiSA_SA_iPKfiiiPfSD_PS3_PT2_iSC_SC_.num_vgpr, max(3, .L__assert_fail.num_vgpr)
	.set _Z39paged_attention_ll4mi_QKV_mfma16_kernelI14__hip_bfloat16hLN4vllm18Fp8KVCacheDataTypeE1EhLi32ELi64ELi256ELb0ELi16EEvPKT_PKT0_S8_ifPKiSA_SA_iPKfiiiPfSD_PS3_PT2_iSC_SC_.num_agpr, max(0, .L__assert_fail.num_agpr)
	.set _Z39paged_attention_ll4mi_QKV_mfma16_kernelI14__hip_bfloat16hLN4vllm18Fp8KVCacheDataTypeE1EhLi32ELi64ELi256ELb0ELi16EEvPKT_PKT0_S8_ifPKiSA_SA_iPKfiiiPfSD_PS3_PT2_iSC_SC_.numbered_sgpr, max(33, .L__assert_fail.numbered_sgpr)
	.set _Z39paged_attention_ll4mi_QKV_mfma16_kernelI14__hip_bfloat16hLN4vllm18Fp8KVCacheDataTypeE1EhLi32ELi64ELi256ELb0ELi16EEvPKT_PKT0_S8_ifPKiSA_SA_iPKfiiiPfSD_PS3_PT2_iSC_SC_.num_named_barrier, max(0, .L__assert_fail.num_named_barrier)
	.set _Z39paged_attention_ll4mi_QKV_mfma16_kernelI14__hip_bfloat16hLN4vllm18Fp8KVCacheDataTypeE1EhLi32ELi64ELi256ELb0ELi16EEvPKT_PKT0_S8_ifPKiSA_SA_iPKfiiiPfSD_PS3_PT2_iSC_SC_.private_seg_size, 0+max(.L__assert_fail.private_seg_size)
	.set _Z39paged_attention_ll4mi_QKV_mfma16_kernelI14__hip_bfloat16hLN4vllm18Fp8KVCacheDataTypeE1EhLi32ELi64ELi256ELb0ELi16EEvPKT_PKT0_S8_ifPKiSA_SA_iPKfiiiPfSD_PS3_PT2_iSC_SC_.uses_vcc, or(1, .L__assert_fail.uses_vcc)
	.set _Z39paged_attention_ll4mi_QKV_mfma16_kernelI14__hip_bfloat16hLN4vllm18Fp8KVCacheDataTypeE1EhLi32ELi64ELi256ELb0ELi16EEvPKT_PKT0_S8_ifPKiSA_SA_iPKfiiiPfSD_PS3_PT2_iSC_SC_.uses_flat_scratch, or(0, .L__assert_fail.uses_flat_scratch)
	.set _Z39paged_attention_ll4mi_QKV_mfma16_kernelI14__hip_bfloat16hLN4vllm18Fp8KVCacheDataTypeE1EhLi32ELi64ELi256ELb0ELi16EEvPKT_PKT0_S8_ifPKiSA_SA_iPKfiiiPfSD_PS3_PT2_iSC_SC_.has_dyn_sized_stack, or(0, .L__assert_fail.has_dyn_sized_stack)
	.set _Z39paged_attention_ll4mi_QKV_mfma16_kernelI14__hip_bfloat16hLN4vllm18Fp8KVCacheDataTypeE1EhLi32ELi64ELi256ELb0ELi16EEvPKT_PKT0_S8_ifPKiSA_SA_iPKfiiiPfSD_PS3_PT2_iSC_SC_.has_recursion, or(0, .L__assert_fail.has_recursion)
	.set _Z39paged_attention_ll4mi_QKV_mfma16_kernelI14__hip_bfloat16hLN4vllm18Fp8KVCacheDataTypeE1EhLi32ELi64ELi256ELb0ELi16EEvPKT_PKT0_S8_ifPKiSA_SA_iPKfiiiPfSD_PS3_PT2_iSC_SC_.has_indirect_call, or(0, .L__assert_fail.has_indirect_call)
	.section	.AMDGPU.csdata,"",@progbits
; Kernel info:
; codeLenInByte = 68
; TotalNumSgprs: 36
; NumVgprs: 51
; ScratchSize: 64
; MemoryBound: 0
; FloatMode: 240
; IeeeMode: 1
; LDSByteSize: 0 bytes/workgroup (compile time only)
; SGPRBlocks: 0
; VGPRBlocks: 3
; NumSGPRsForWavesPerEU: 36
; NumVGPRsForWavesPerEU: 51
; NamedBarCnt: 0
; Occupancy: 16
; WaveLimiterHint : 1
; COMPUTE_PGM_RSRC2:SCRATCH_EN: 1
; COMPUTE_PGM_RSRC2:USER_SGPR: 2
; COMPUTE_PGM_RSRC2:TRAP_HANDLER: 0
; COMPUTE_PGM_RSRC2:TGID_X_EN: 1
; COMPUTE_PGM_RSRC2:TGID_Y_EN: 0
; COMPUTE_PGM_RSRC2:TGID_Z_EN: 0
; COMPUTE_PGM_RSRC2:TIDIG_COMP_CNT: 0
	.section	.text._Z39paged_attention_ll4mi_QKV_mfma16_kernelI14__hip_bfloat16hLN4vllm18Fp8KVCacheDataTypeE1EhLi32ELi64ELi256ELb0ELi1EEvPKT_PKT0_S8_ifPKiSA_SA_iPKfiiiPfSD_PS3_PT2_iSC_SC_,"axG",@progbits,_Z39paged_attention_ll4mi_QKV_mfma16_kernelI14__hip_bfloat16hLN4vllm18Fp8KVCacheDataTypeE1EhLi32ELi64ELi256ELb0ELi1EEvPKT_PKT0_S8_ifPKiSA_SA_iPKfiiiPfSD_PS3_PT2_iSC_SC_,comdat
	.protected	_Z39paged_attention_ll4mi_QKV_mfma16_kernelI14__hip_bfloat16hLN4vllm18Fp8KVCacheDataTypeE1EhLi32ELi64ELi256ELb0ELi1EEvPKT_PKT0_S8_ifPKiSA_SA_iPKfiiiPfSD_PS3_PT2_iSC_SC_ ; -- Begin function _Z39paged_attention_ll4mi_QKV_mfma16_kernelI14__hip_bfloat16hLN4vllm18Fp8KVCacheDataTypeE1EhLi32ELi64ELi256ELb0ELi1EEvPKT_PKT0_S8_ifPKiSA_SA_iPKfiiiPfSD_PS3_PT2_iSC_SC_
	.globl	_Z39paged_attention_ll4mi_QKV_mfma16_kernelI14__hip_bfloat16hLN4vllm18Fp8KVCacheDataTypeE1EhLi32ELi64ELi256ELb0ELi1EEvPKT_PKT0_S8_ifPKiSA_SA_iPKfiiiPfSD_PS3_PT2_iSC_SC_
	.p2align	8
	.type	_Z39paged_attention_ll4mi_QKV_mfma16_kernelI14__hip_bfloat16hLN4vllm18Fp8KVCacheDataTypeE1EhLi32ELi64ELi256ELb0ELi1EEvPKT_PKT0_S8_ifPKiSA_SA_iPKfiiiPfSD_PS3_PT2_iSC_SC_,@function
_Z39paged_attention_ll4mi_QKV_mfma16_kernelI14__hip_bfloat16hLN4vllm18Fp8KVCacheDataTypeE1EhLi32ELi64ELi256ELb0ELi1EEvPKT_PKT0_S8_ifPKiSA_SA_iPKfiiiPfSD_PS3_PT2_iSC_SC_: ; @_Z39paged_attention_ll4mi_QKV_mfma16_kernelI14__hip_bfloat16hLN4vllm18Fp8KVCacheDataTypeE1EhLi32ELi64ELi256ELb0ELi1EEvPKT_PKT0_S8_ifPKiSA_SA_iPKfiiiPfSD_PS3_PT2_iSC_SC_
; %bb.0:
	s_get_pc_i64 s[2:3]
	s_add_nc_u64 s[2:3], s[2:3], __PRETTY_FUNCTION__._Z39paged_attention_ll4mi_QKV_mfma16_kernelI14__hip_bfloat16hLN4vllm18Fp8KVCacheDataTypeE1EhLi32ELi64ELi256ELb0ELi1EEvPKT_PKT0_S8_ifPKiSA_SA_iPKfiiiPfSD_PS3_PT2_iSC_SC_@rel64+4
	s_delay_alu instid0(SALU_CYCLE_1)
	v_dual_mov_b32 v0, 0xbb3 :: v_dual_mov_b32 v1, s2
	v_mov_b32_e32 v2, s3
	s_add_nc_u64 s[8:9], s[0:1], 0x90
	s_get_pc_i64 s[0:1]
	s_add_nc_u64 s[0:1], s[0:1], __assert_fail@rel64+4
	s_mov_b32 s32, 0
	s_swap_pc_i64 s[30:31], s[0:1]
	.section	.rodata,"a",@progbits
	.p2align	6, 0x0
	.amdhsa_kernel _Z39paged_attention_ll4mi_QKV_mfma16_kernelI14__hip_bfloat16hLN4vllm18Fp8KVCacheDataTypeE1EhLi32ELi64ELi256ELb0ELi1EEvPKT_PKT0_S8_ifPKiSA_SA_iPKfiiiPfSD_PS3_PT2_iSC_SC_
		.amdhsa_group_segment_fixed_size 0
		.amdhsa_private_segment_fixed_size 64
		.amdhsa_kernarg_size 400
		.amdhsa_user_sgpr_count 2
		.amdhsa_user_sgpr_dispatch_ptr 0
		.amdhsa_user_sgpr_queue_ptr 0
		.amdhsa_user_sgpr_kernarg_segment_ptr 1
		.amdhsa_user_sgpr_dispatch_id 0
		.amdhsa_user_sgpr_kernarg_preload_length 0
		.amdhsa_user_sgpr_kernarg_preload_offset 0
		.amdhsa_user_sgpr_private_segment_size 0
		.amdhsa_wavefront_size32 1
		.amdhsa_uses_dynamic_stack 0
		.amdhsa_enable_private_segment 1
		.amdhsa_system_sgpr_workgroup_id_x 1
		.amdhsa_system_sgpr_workgroup_id_y 0
		.amdhsa_system_sgpr_workgroup_id_z 0
		.amdhsa_system_sgpr_workgroup_info 0
		.amdhsa_system_vgpr_workitem_id 0
		.amdhsa_next_free_vgpr 51
		.amdhsa_next_free_sgpr 34
		.amdhsa_named_barrier_count 0
		.amdhsa_reserve_vcc 1
		.amdhsa_float_round_mode_32 0
		.amdhsa_float_round_mode_16_64 0
		.amdhsa_float_denorm_mode_32 3
		.amdhsa_float_denorm_mode_16_64 3
		.amdhsa_fp16_overflow 0
		.amdhsa_memory_ordered 1
		.amdhsa_forward_progress 1
		.amdhsa_inst_pref_size 1
		.amdhsa_round_robin_scheduling 0
		.amdhsa_exception_fp_ieee_invalid_op 0
		.amdhsa_exception_fp_denorm_src 0
		.amdhsa_exception_fp_ieee_div_zero 0
		.amdhsa_exception_fp_ieee_overflow 0
		.amdhsa_exception_fp_ieee_underflow 0
		.amdhsa_exception_fp_ieee_inexact 0
		.amdhsa_exception_int_div_zero 0
	.end_amdhsa_kernel
	.section	.text._Z39paged_attention_ll4mi_QKV_mfma16_kernelI14__hip_bfloat16hLN4vllm18Fp8KVCacheDataTypeE1EhLi32ELi64ELi256ELb0ELi1EEvPKT_PKT0_S8_ifPKiSA_SA_iPKfiiiPfSD_PS3_PT2_iSC_SC_,"axG",@progbits,_Z39paged_attention_ll4mi_QKV_mfma16_kernelI14__hip_bfloat16hLN4vllm18Fp8KVCacheDataTypeE1EhLi32ELi64ELi256ELb0ELi1EEvPKT_PKT0_S8_ifPKiSA_SA_iPKfiiiPfSD_PS3_PT2_iSC_SC_,comdat
.Lfunc_end1206:
	.size	_Z39paged_attention_ll4mi_QKV_mfma16_kernelI14__hip_bfloat16hLN4vllm18Fp8KVCacheDataTypeE1EhLi32ELi64ELi256ELb0ELi1EEvPKT_PKT0_S8_ifPKiSA_SA_iPKfiiiPfSD_PS3_PT2_iSC_SC_, .Lfunc_end1206-_Z39paged_attention_ll4mi_QKV_mfma16_kernelI14__hip_bfloat16hLN4vllm18Fp8KVCacheDataTypeE1EhLi32ELi64ELi256ELb0ELi1EEvPKT_PKT0_S8_ifPKiSA_SA_iPKfiiiPfSD_PS3_PT2_iSC_SC_
                                        ; -- End function
	.set _Z39paged_attention_ll4mi_QKV_mfma16_kernelI14__hip_bfloat16hLN4vllm18Fp8KVCacheDataTypeE1EhLi32ELi64ELi256ELb0ELi1EEvPKT_PKT0_S8_ifPKiSA_SA_iPKfiiiPfSD_PS3_PT2_iSC_SC_.num_vgpr, max(3, .L__assert_fail.num_vgpr)
	.set _Z39paged_attention_ll4mi_QKV_mfma16_kernelI14__hip_bfloat16hLN4vllm18Fp8KVCacheDataTypeE1EhLi32ELi64ELi256ELb0ELi1EEvPKT_PKT0_S8_ifPKiSA_SA_iPKfiiiPfSD_PS3_PT2_iSC_SC_.num_agpr, max(0, .L__assert_fail.num_agpr)
	.set _Z39paged_attention_ll4mi_QKV_mfma16_kernelI14__hip_bfloat16hLN4vllm18Fp8KVCacheDataTypeE1EhLi32ELi64ELi256ELb0ELi1EEvPKT_PKT0_S8_ifPKiSA_SA_iPKfiiiPfSD_PS3_PT2_iSC_SC_.numbered_sgpr, max(33, .L__assert_fail.numbered_sgpr)
	.set _Z39paged_attention_ll4mi_QKV_mfma16_kernelI14__hip_bfloat16hLN4vllm18Fp8KVCacheDataTypeE1EhLi32ELi64ELi256ELb0ELi1EEvPKT_PKT0_S8_ifPKiSA_SA_iPKfiiiPfSD_PS3_PT2_iSC_SC_.num_named_barrier, max(0, .L__assert_fail.num_named_barrier)
	.set _Z39paged_attention_ll4mi_QKV_mfma16_kernelI14__hip_bfloat16hLN4vllm18Fp8KVCacheDataTypeE1EhLi32ELi64ELi256ELb0ELi1EEvPKT_PKT0_S8_ifPKiSA_SA_iPKfiiiPfSD_PS3_PT2_iSC_SC_.private_seg_size, 0+max(.L__assert_fail.private_seg_size)
	.set _Z39paged_attention_ll4mi_QKV_mfma16_kernelI14__hip_bfloat16hLN4vllm18Fp8KVCacheDataTypeE1EhLi32ELi64ELi256ELb0ELi1EEvPKT_PKT0_S8_ifPKiSA_SA_iPKfiiiPfSD_PS3_PT2_iSC_SC_.uses_vcc, or(1, .L__assert_fail.uses_vcc)
	.set _Z39paged_attention_ll4mi_QKV_mfma16_kernelI14__hip_bfloat16hLN4vllm18Fp8KVCacheDataTypeE1EhLi32ELi64ELi256ELb0ELi1EEvPKT_PKT0_S8_ifPKiSA_SA_iPKfiiiPfSD_PS3_PT2_iSC_SC_.uses_flat_scratch, or(0, .L__assert_fail.uses_flat_scratch)
	.set _Z39paged_attention_ll4mi_QKV_mfma16_kernelI14__hip_bfloat16hLN4vllm18Fp8KVCacheDataTypeE1EhLi32ELi64ELi256ELb0ELi1EEvPKT_PKT0_S8_ifPKiSA_SA_iPKfiiiPfSD_PS3_PT2_iSC_SC_.has_dyn_sized_stack, or(0, .L__assert_fail.has_dyn_sized_stack)
	.set _Z39paged_attention_ll4mi_QKV_mfma16_kernelI14__hip_bfloat16hLN4vllm18Fp8KVCacheDataTypeE1EhLi32ELi64ELi256ELb0ELi1EEvPKT_PKT0_S8_ifPKiSA_SA_iPKfiiiPfSD_PS3_PT2_iSC_SC_.has_recursion, or(0, .L__assert_fail.has_recursion)
	.set _Z39paged_attention_ll4mi_QKV_mfma16_kernelI14__hip_bfloat16hLN4vllm18Fp8KVCacheDataTypeE1EhLi32ELi64ELi256ELb0ELi1EEvPKT_PKT0_S8_ifPKiSA_SA_iPKfiiiPfSD_PS3_PT2_iSC_SC_.has_indirect_call, or(0, .L__assert_fail.has_indirect_call)
	.section	.AMDGPU.csdata,"",@progbits
; Kernel info:
; codeLenInByte = 68
; TotalNumSgprs: 36
; NumVgprs: 51
; ScratchSize: 64
; MemoryBound: 0
; FloatMode: 240
; IeeeMode: 1
; LDSByteSize: 0 bytes/workgroup (compile time only)
; SGPRBlocks: 0
; VGPRBlocks: 3
; NumSGPRsForWavesPerEU: 36
; NumVGPRsForWavesPerEU: 51
; NamedBarCnt: 0
; Occupancy: 16
; WaveLimiterHint : 1
; COMPUTE_PGM_RSRC2:SCRATCH_EN: 1
; COMPUTE_PGM_RSRC2:USER_SGPR: 2
; COMPUTE_PGM_RSRC2:TRAP_HANDLER: 0
; COMPUTE_PGM_RSRC2:TGID_X_EN: 1
; COMPUTE_PGM_RSRC2:TGID_Y_EN: 0
; COMPUTE_PGM_RSRC2:TGID_Z_EN: 0
; COMPUTE_PGM_RSRC2:TIDIG_COMP_CNT: 0
	.section	.text._Z39paged_attention_ll4mi_QKV_mfma16_kernelI14__hip_bfloat16hLN4vllm18Fp8KVCacheDataTypeE1EhLi32ELi64ELi256ELb0ELi2EEvPKT_PKT0_S8_ifPKiSA_SA_iPKfiiiPfSD_PS3_PT2_iSC_SC_,"axG",@progbits,_Z39paged_attention_ll4mi_QKV_mfma16_kernelI14__hip_bfloat16hLN4vllm18Fp8KVCacheDataTypeE1EhLi32ELi64ELi256ELb0ELi2EEvPKT_PKT0_S8_ifPKiSA_SA_iPKfiiiPfSD_PS3_PT2_iSC_SC_,comdat
	.protected	_Z39paged_attention_ll4mi_QKV_mfma16_kernelI14__hip_bfloat16hLN4vllm18Fp8KVCacheDataTypeE1EhLi32ELi64ELi256ELb0ELi2EEvPKT_PKT0_S8_ifPKiSA_SA_iPKfiiiPfSD_PS3_PT2_iSC_SC_ ; -- Begin function _Z39paged_attention_ll4mi_QKV_mfma16_kernelI14__hip_bfloat16hLN4vllm18Fp8KVCacheDataTypeE1EhLi32ELi64ELi256ELb0ELi2EEvPKT_PKT0_S8_ifPKiSA_SA_iPKfiiiPfSD_PS3_PT2_iSC_SC_
	.globl	_Z39paged_attention_ll4mi_QKV_mfma16_kernelI14__hip_bfloat16hLN4vllm18Fp8KVCacheDataTypeE1EhLi32ELi64ELi256ELb0ELi2EEvPKT_PKT0_S8_ifPKiSA_SA_iPKfiiiPfSD_PS3_PT2_iSC_SC_
	.p2align	8
	.type	_Z39paged_attention_ll4mi_QKV_mfma16_kernelI14__hip_bfloat16hLN4vllm18Fp8KVCacheDataTypeE1EhLi32ELi64ELi256ELb0ELi2EEvPKT_PKT0_S8_ifPKiSA_SA_iPKfiiiPfSD_PS3_PT2_iSC_SC_,@function
_Z39paged_attention_ll4mi_QKV_mfma16_kernelI14__hip_bfloat16hLN4vllm18Fp8KVCacheDataTypeE1EhLi32ELi64ELi256ELb0ELi2EEvPKT_PKT0_S8_ifPKiSA_SA_iPKfiiiPfSD_PS3_PT2_iSC_SC_: ; @_Z39paged_attention_ll4mi_QKV_mfma16_kernelI14__hip_bfloat16hLN4vllm18Fp8KVCacheDataTypeE1EhLi32ELi64ELi256ELb0ELi2EEvPKT_PKT0_S8_ifPKiSA_SA_iPKfiiiPfSD_PS3_PT2_iSC_SC_
; %bb.0:
	s_get_pc_i64 s[2:3]
	s_add_nc_u64 s[2:3], s[2:3], __PRETTY_FUNCTION__._Z39paged_attention_ll4mi_QKV_mfma16_kernelI14__hip_bfloat16hLN4vllm18Fp8KVCacheDataTypeE1EhLi32ELi64ELi256ELb0ELi2EEvPKT_PKT0_S8_ifPKiSA_SA_iPKfiiiPfSD_PS3_PT2_iSC_SC_@rel64+4
	s_delay_alu instid0(SALU_CYCLE_1)
	v_dual_mov_b32 v0, 0xbb3 :: v_dual_mov_b32 v1, s2
	v_mov_b32_e32 v2, s3
	s_add_nc_u64 s[8:9], s[0:1], 0x90
	s_get_pc_i64 s[0:1]
	s_add_nc_u64 s[0:1], s[0:1], __assert_fail@rel64+4
	s_mov_b32 s32, 0
	s_swap_pc_i64 s[30:31], s[0:1]
	.section	.rodata,"a",@progbits
	.p2align	6, 0x0
	.amdhsa_kernel _Z39paged_attention_ll4mi_QKV_mfma16_kernelI14__hip_bfloat16hLN4vllm18Fp8KVCacheDataTypeE1EhLi32ELi64ELi256ELb0ELi2EEvPKT_PKT0_S8_ifPKiSA_SA_iPKfiiiPfSD_PS3_PT2_iSC_SC_
		.amdhsa_group_segment_fixed_size 0
		.amdhsa_private_segment_fixed_size 64
		.amdhsa_kernarg_size 400
		.amdhsa_user_sgpr_count 2
		.amdhsa_user_sgpr_dispatch_ptr 0
		.amdhsa_user_sgpr_queue_ptr 0
		.amdhsa_user_sgpr_kernarg_segment_ptr 1
		.amdhsa_user_sgpr_dispatch_id 0
		.amdhsa_user_sgpr_kernarg_preload_length 0
		.amdhsa_user_sgpr_kernarg_preload_offset 0
		.amdhsa_user_sgpr_private_segment_size 0
		.amdhsa_wavefront_size32 1
		.amdhsa_uses_dynamic_stack 0
		.amdhsa_enable_private_segment 1
		.amdhsa_system_sgpr_workgroup_id_x 1
		.amdhsa_system_sgpr_workgroup_id_y 0
		.amdhsa_system_sgpr_workgroup_id_z 0
		.amdhsa_system_sgpr_workgroup_info 0
		.amdhsa_system_vgpr_workitem_id 0
		.amdhsa_next_free_vgpr 51
		.amdhsa_next_free_sgpr 34
		.amdhsa_named_barrier_count 0
		.amdhsa_reserve_vcc 1
		.amdhsa_float_round_mode_32 0
		.amdhsa_float_round_mode_16_64 0
		.amdhsa_float_denorm_mode_32 3
		.amdhsa_float_denorm_mode_16_64 3
		.amdhsa_fp16_overflow 0
		.amdhsa_memory_ordered 1
		.amdhsa_forward_progress 1
		.amdhsa_inst_pref_size 1
		.amdhsa_round_robin_scheduling 0
		.amdhsa_exception_fp_ieee_invalid_op 0
		.amdhsa_exception_fp_denorm_src 0
		.amdhsa_exception_fp_ieee_div_zero 0
		.amdhsa_exception_fp_ieee_overflow 0
		.amdhsa_exception_fp_ieee_underflow 0
		.amdhsa_exception_fp_ieee_inexact 0
		.amdhsa_exception_int_div_zero 0
	.end_amdhsa_kernel
	.section	.text._Z39paged_attention_ll4mi_QKV_mfma16_kernelI14__hip_bfloat16hLN4vllm18Fp8KVCacheDataTypeE1EhLi32ELi64ELi256ELb0ELi2EEvPKT_PKT0_S8_ifPKiSA_SA_iPKfiiiPfSD_PS3_PT2_iSC_SC_,"axG",@progbits,_Z39paged_attention_ll4mi_QKV_mfma16_kernelI14__hip_bfloat16hLN4vllm18Fp8KVCacheDataTypeE1EhLi32ELi64ELi256ELb0ELi2EEvPKT_PKT0_S8_ifPKiSA_SA_iPKfiiiPfSD_PS3_PT2_iSC_SC_,comdat
.Lfunc_end1207:
	.size	_Z39paged_attention_ll4mi_QKV_mfma16_kernelI14__hip_bfloat16hLN4vllm18Fp8KVCacheDataTypeE1EhLi32ELi64ELi256ELb0ELi2EEvPKT_PKT0_S8_ifPKiSA_SA_iPKfiiiPfSD_PS3_PT2_iSC_SC_, .Lfunc_end1207-_Z39paged_attention_ll4mi_QKV_mfma16_kernelI14__hip_bfloat16hLN4vllm18Fp8KVCacheDataTypeE1EhLi32ELi64ELi256ELb0ELi2EEvPKT_PKT0_S8_ifPKiSA_SA_iPKfiiiPfSD_PS3_PT2_iSC_SC_
                                        ; -- End function
	.set _Z39paged_attention_ll4mi_QKV_mfma16_kernelI14__hip_bfloat16hLN4vllm18Fp8KVCacheDataTypeE1EhLi32ELi64ELi256ELb0ELi2EEvPKT_PKT0_S8_ifPKiSA_SA_iPKfiiiPfSD_PS3_PT2_iSC_SC_.num_vgpr, max(3, .L__assert_fail.num_vgpr)
	.set _Z39paged_attention_ll4mi_QKV_mfma16_kernelI14__hip_bfloat16hLN4vllm18Fp8KVCacheDataTypeE1EhLi32ELi64ELi256ELb0ELi2EEvPKT_PKT0_S8_ifPKiSA_SA_iPKfiiiPfSD_PS3_PT2_iSC_SC_.num_agpr, max(0, .L__assert_fail.num_agpr)
	.set _Z39paged_attention_ll4mi_QKV_mfma16_kernelI14__hip_bfloat16hLN4vllm18Fp8KVCacheDataTypeE1EhLi32ELi64ELi256ELb0ELi2EEvPKT_PKT0_S8_ifPKiSA_SA_iPKfiiiPfSD_PS3_PT2_iSC_SC_.numbered_sgpr, max(33, .L__assert_fail.numbered_sgpr)
	.set _Z39paged_attention_ll4mi_QKV_mfma16_kernelI14__hip_bfloat16hLN4vllm18Fp8KVCacheDataTypeE1EhLi32ELi64ELi256ELb0ELi2EEvPKT_PKT0_S8_ifPKiSA_SA_iPKfiiiPfSD_PS3_PT2_iSC_SC_.num_named_barrier, max(0, .L__assert_fail.num_named_barrier)
	.set _Z39paged_attention_ll4mi_QKV_mfma16_kernelI14__hip_bfloat16hLN4vllm18Fp8KVCacheDataTypeE1EhLi32ELi64ELi256ELb0ELi2EEvPKT_PKT0_S8_ifPKiSA_SA_iPKfiiiPfSD_PS3_PT2_iSC_SC_.private_seg_size, 0+max(.L__assert_fail.private_seg_size)
	.set _Z39paged_attention_ll4mi_QKV_mfma16_kernelI14__hip_bfloat16hLN4vllm18Fp8KVCacheDataTypeE1EhLi32ELi64ELi256ELb0ELi2EEvPKT_PKT0_S8_ifPKiSA_SA_iPKfiiiPfSD_PS3_PT2_iSC_SC_.uses_vcc, or(1, .L__assert_fail.uses_vcc)
	.set _Z39paged_attention_ll4mi_QKV_mfma16_kernelI14__hip_bfloat16hLN4vllm18Fp8KVCacheDataTypeE1EhLi32ELi64ELi256ELb0ELi2EEvPKT_PKT0_S8_ifPKiSA_SA_iPKfiiiPfSD_PS3_PT2_iSC_SC_.uses_flat_scratch, or(0, .L__assert_fail.uses_flat_scratch)
	.set _Z39paged_attention_ll4mi_QKV_mfma16_kernelI14__hip_bfloat16hLN4vllm18Fp8KVCacheDataTypeE1EhLi32ELi64ELi256ELb0ELi2EEvPKT_PKT0_S8_ifPKiSA_SA_iPKfiiiPfSD_PS3_PT2_iSC_SC_.has_dyn_sized_stack, or(0, .L__assert_fail.has_dyn_sized_stack)
	.set _Z39paged_attention_ll4mi_QKV_mfma16_kernelI14__hip_bfloat16hLN4vllm18Fp8KVCacheDataTypeE1EhLi32ELi64ELi256ELb0ELi2EEvPKT_PKT0_S8_ifPKiSA_SA_iPKfiiiPfSD_PS3_PT2_iSC_SC_.has_recursion, or(0, .L__assert_fail.has_recursion)
	.set _Z39paged_attention_ll4mi_QKV_mfma16_kernelI14__hip_bfloat16hLN4vllm18Fp8KVCacheDataTypeE1EhLi32ELi64ELi256ELb0ELi2EEvPKT_PKT0_S8_ifPKiSA_SA_iPKfiiiPfSD_PS3_PT2_iSC_SC_.has_indirect_call, or(0, .L__assert_fail.has_indirect_call)
	.section	.AMDGPU.csdata,"",@progbits
; Kernel info:
; codeLenInByte = 68
; TotalNumSgprs: 36
; NumVgprs: 51
; ScratchSize: 64
; MemoryBound: 0
; FloatMode: 240
; IeeeMode: 1
; LDSByteSize: 0 bytes/workgroup (compile time only)
; SGPRBlocks: 0
; VGPRBlocks: 3
; NumSGPRsForWavesPerEU: 36
; NumVGPRsForWavesPerEU: 51
; NamedBarCnt: 0
; Occupancy: 16
; WaveLimiterHint : 1
; COMPUTE_PGM_RSRC2:SCRATCH_EN: 1
; COMPUTE_PGM_RSRC2:USER_SGPR: 2
; COMPUTE_PGM_RSRC2:TRAP_HANDLER: 0
; COMPUTE_PGM_RSRC2:TGID_X_EN: 1
; COMPUTE_PGM_RSRC2:TGID_Y_EN: 0
; COMPUTE_PGM_RSRC2:TGID_Z_EN: 0
; COMPUTE_PGM_RSRC2:TIDIG_COMP_CNT: 0
	.section	.text._Z39paged_attention_ll4mi_QKV_mfma16_kernelI14__hip_bfloat16hLN4vllm18Fp8KVCacheDataTypeE1EhLi32ELi64ELi256ELb0ELi3EEvPKT_PKT0_S8_ifPKiSA_SA_iPKfiiiPfSD_PS3_PT2_iSC_SC_,"axG",@progbits,_Z39paged_attention_ll4mi_QKV_mfma16_kernelI14__hip_bfloat16hLN4vllm18Fp8KVCacheDataTypeE1EhLi32ELi64ELi256ELb0ELi3EEvPKT_PKT0_S8_ifPKiSA_SA_iPKfiiiPfSD_PS3_PT2_iSC_SC_,comdat
	.protected	_Z39paged_attention_ll4mi_QKV_mfma16_kernelI14__hip_bfloat16hLN4vllm18Fp8KVCacheDataTypeE1EhLi32ELi64ELi256ELb0ELi3EEvPKT_PKT0_S8_ifPKiSA_SA_iPKfiiiPfSD_PS3_PT2_iSC_SC_ ; -- Begin function _Z39paged_attention_ll4mi_QKV_mfma16_kernelI14__hip_bfloat16hLN4vllm18Fp8KVCacheDataTypeE1EhLi32ELi64ELi256ELb0ELi3EEvPKT_PKT0_S8_ifPKiSA_SA_iPKfiiiPfSD_PS3_PT2_iSC_SC_
	.globl	_Z39paged_attention_ll4mi_QKV_mfma16_kernelI14__hip_bfloat16hLN4vllm18Fp8KVCacheDataTypeE1EhLi32ELi64ELi256ELb0ELi3EEvPKT_PKT0_S8_ifPKiSA_SA_iPKfiiiPfSD_PS3_PT2_iSC_SC_
	.p2align	8
	.type	_Z39paged_attention_ll4mi_QKV_mfma16_kernelI14__hip_bfloat16hLN4vllm18Fp8KVCacheDataTypeE1EhLi32ELi64ELi256ELb0ELi3EEvPKT_PKT0_S8_ifPKiSA_SA_iPKfiiiPfSD_PS3_PT2_iSC_SC_,@function
_Z39paged_attention_ll4mi_QKV_mfma16_kernelI14__hip_bfloat16hLN4vllm18Fp8KVCacheDataTypeE1EhLi32ELi64ELi256ELb0ELi3EEvPKT_PKT0_S8_ifPKiSA_SA_iPKfiiiPfSD_PS3_PT2_iSC_SC_: ; @_Z39paged_attention_ll4mi_QKV_mfma16_kernelI14__hip_bfloat16hLN4vllm18Fp8KVCacheDataTypeE1EhLi32ELi64ELi256ELb0ELi3EEvPKT_PKT0_S8_ifPKiSA_SA_iPKfiiiPfSD_PS3_PT2_iSC_SC_
; %bb.0:
	s_get_pc_i64 s[2:3]
	s_add_nc_u64 s[2:3], s[2:3], __PRETTY_FUNCTION__._Z39paged_attention_ll4mi_QKV_mfma16_kernelI14__hip_bfloat16hLN4vllm18Fp8KVCacheDataTypeE1EhLi32ELi64ELi256ELb0ELi3EEvPKT_PKT0_S8_ifPKiSA_SA_iPKfiiiPfSD_PS3_PT2_iSC_SC_@rel64+4
	s_delay_alu instid0(SALU_CYCLE_1)
	v_dual_mov_b32 v0, 0xbb3 :: v_dual_mov_b32 v1, s2
	v_mov_b32_e32 v2, s3
	s_add_nc_u64 s[8:9], s[0:1], 0x90
	s_get_pc_i64 s[0:1]
	s_add_nc_u64 s[0:1], s[0:1], __assert_fail@rel64+4
	s_mov_b32 s32, 0
	s_swap_pc_i64 s[30:31], s[0:1]
	.section	.rodata,"a",@progbits
	.p2align	6, 0x0
	.amdhsa_kernel _Z39paged_attention_ll4mi_QKV_mfma16_kernelI14__hip_bfloat16hLN4vllm18Fp8KVCacheDataTypeE1EhLi32ELi64ELi256ELb0ELi3EEvPKT_PKT0_S8_ifPKiSA_SA_iPKfiiiPfSD_PS3_PT2_iSC_SC_
		.amdhsa_group_segment_fixed_size 0
		.amdhsa_private_segment_fixed_size 64
		.amdhsa_kernarg_size 400
		.amdhsa_user_sgpr_count 2
		.amdhsa_user_sgpr_dispatch_ptr 0
		.amdhsa_user_sgpr_queue_ptr 0
		.amdhsa_user_sgpr_kernarg_segment_ptr 1
		.amdhsa_user_sgpr_dispatch_id 0
		.amdhsa_user_sgpr_kernarg_preload_length 0
		.amdhsa_user_sgpr_kernarg_preload_offset 0
		.amdhsa_user_sgpr_private_segment_size 0
		.amdhsa_wavefront_size32 1
		.amdhsa_uses_dynamic_stack 0
		.amdhsa_enable_private_segment 1
		.amdhsa_system_sgpr_workgroup_id_x 1
		.amdhsa_system_sgpr_workgroup_id_y 0
		.amdhsa_system_sgpr_workgroup_id_z 0
		.amdhsa_system_sgpr_workgroup_info 0
		.amdhsa_system_vgpr_workitem_id 0
		.amdhsa_next_free_vgpr 51
		.amdhsa_next_free_sgpr 34
		.amdhsa_named_barrier_count 0
		.amdhsa_reserve_vcc 1
		.amdhsa_float_round_mode_32 0
		.amdhsa_float_round_mode_16_64 0
		.amdhsa_float_denorm_mode_32 3
		.amdhsa_float_denorm_mode_16_64 3
		.amdhsa_fp16_overflow 0
		.amdhsa_memory_ordered 1
		.amdhsa_forward_progress 1
		.amdhsa_inst_pref_size 1
		.amdhsa_round_robin_scheduling 0
		.amdhsa_exception_fp_ieee_invalid_op 0
		.amdhsa_exception_fp_denorm_src 0
		.amdhsa_exception_fp_ieee_div_zero 0
		.amdhsa_exception_fp_ieee_overflow 0
		.amdhsa_exception_fp_ieee_underflow 0
		.amdhsa_exception_fp_ieee_inexact 0
		.amdhsa_exception_int_div_zero 0
	.end_amdhsa_kernel
	.section	.text._Z39paged_attention_ll4mi_QKV_mfma16_kernelI14__hip_bfloat16hLN4vllm18Fp8KVCacheDataTypeE1EhLi32ELi64ELi256ELb0ELi3EEvPKT_PKT0_S8_ifPKiSA_SA_iPKfiiiPfSD_PS3_PT2_iSC_SC_,"axG",@progbits,_Z39paged_attention_ll4mi_QKV_mfma16_kernelI14__hip_bfloat16hLN4vllm18Fp8KVCacheDataTypeE1EhLi32ELi64ELi256ELb0ELi3EEvPKT_PKT0_S8_ifPKiSA_SA_iPKfiiiPfSD_PS3_PT2_iSC_SC_,comdat
.Lfunc_end1208:
	.size	_Z39paged_attention_ll4mi_QKV_mfma16_kernelI14__hip_bfloat16hLN4vllm18Fp8KVCacheDataTypeE1EhLi32ELi64ELi256ELb0ELi3EEvPKT_PKT0_S8_ifPKiSA_SA_iPKfiiiPfSD_PS3_PT2_iSC_SC_, .Lfunc_end1208-_Z39paged_attention_ll4mi_QKV_mfma16_kernelI14__hip_bfloat16hLN4vllm18Fp8KVCacheDataTypeE1EhLi32ELi64ELi256ELb0ELi3EEvPKT_PKT0_S8_ifPKiSA_SA_iPKfiiiPfSD_PS3_PT2_iSC_SC_
                                        ; -- End function
	.set _Z39paged_attention_ll4mi_QKV_mfma16_kernelI14__hip_bfloat16hLN4vllm18Fp8KVCacheDataTypeE1EhLi32ELi64ELi256ELb0ELi3EEvPKT_PKT0_S8_ifPKiSA_SA_iPKfiiiPfSD_PS3_PT2_iSC_SC_.num_vgpr, max(3, .L__assert_fail.num_vgpr)
	.set _Z39paged_attention_ll4mi_QKV_mfma16_kernelI14__hip_bfloat16hLN4vllm18Fp8KVCacheDataTypeE1EhLi32ELi64ELi256ELb0ELi3EEvPKT_PKT0_S8_ifPKiSA_SA_iPKfiiiPfSD_PS3_PT2_iSC_SC_.num_agpr, max(0, .L__assert_fail.num_agpr)
	.set _Z39paged_attention_ll4mi_QKV_mfma16_kernelI14__hip_bfloat16hLN4vllm18Fp8KVCacheDataTypeE1EhLi32ELi64ELi256ELb0ELi3EEvPKT_PKT0_S8_ifPKiSA_SA_iPKfiiiPfSD_PS3_PT2_iSC_SC_.numbered_sgpr, max(33, .L__assert_fail.numbered_sgpr)
	.set _Z39paged_attention_ll4mi_QKV_mfma16_kernelI14__hip_bfloat16hLN4vllm18Fp8KVCacheDataTypeE1EhLi32ELi64ELi256ELb0ELi3EEvPKT_PKT0_S8_ifPKiSA_SA_iPKfiiiPfSD_PS3_PT2_iSC_SC_.num_named_barrier, max(0, .L__assert_fail.num_named_barrier)
	.set _Z39paged_attention_ll4mi_QKV_mfma16_kernelI14__hip_bfloat16hLN4vllm18Fp8KVCacheDataTypeE1EhLi32ELi64ELi256ELb0ELi3EEvPKT_PKT0_S8_ifPKiSA_SA_iPKfiiiPfSD_PS3_PT2_iSC_SC_.private_seg_size, 0+max(.L__assert_fail.private_seg_size)
	.set _Z39paged_attention_ll4mi_QKV_mfma16_kernelI14__hip_bfloat16hLN4vllm18Fp8KVCacheDataTypeE1EhLi32ELi64ELi256ELb0ELi3EEvPKT_PKT0_S8_ifPKiSA_SA_iPKfiiiPfSD_PS3_PT2_iSC_SC_.uses_vcc, or(1, .L__assert_fail.uses_vcc)
	.set _Z39paged_attention_ll4mi_QKV_mfma16_kernelI14__hip_bfloat16hLN4vllm18Fp8KVCacheDataTypeE1EhLi32ELi64ELi256ELb0ELi3EEvPKT_PKT0_S8_ifPKiSA_SA_iPKfiiiPfSD_PS3_PT2_iSC_SC_.uses_flat_scratch, or(0, .L__assert_fail.uses_flat_scratch)
	.set _Z39paged_attention_ll4mi_QKV_mfma16_kernelI14__hip_bfloat16hLN4vllm18Fp8KVCacheDataTypeE1EhLi32ELi64ELi256ELb0ELi3EEvPKT_PKT0_S8_ifPKiSA_SA_iPKfiiiPfSD_PS3_PT2_iSC_SC_.has_dyn_sized_stack, or(0, .L__assert_fail.has_dyn_sized_stack)
	.set _Z39paged_attention_ll4mi_QKV_mfma16_kernelI14__hip_bfloat16hLN4vllm18Fp8KVCacheDataTypeE1EhLi32ELi64ELi256ELb0ELi3EEvPKT_PKT0_S8_ifPKiSA_SA_iPKfiiiPfSD_PS3_PT2_iSC_SC_.has_recursion, or(0, .L__assert_fail.has_recursion)
	.set _Z39paged_attention_ll4mi_QKV_mfma16_kernelI14__hip_bfloat16hLN4vllm18Fp8KVCacheDataTypeE1EhLi32ELi64ELi256ELb0ELi3EEvPKT_PKT0_S8_ifPKiSA_SA_iPKfiiiPfSD_PS3_PT2_iSC_SC_.has_indirect_call, or(0, .L__assert_fail.has_indirect_call)
	.section	.AMDGPU.csdata,"",@progbits
; Kernel info:
; codeLenInByte = 68
; TotalNumSgprs: 36
; NumVgprs: 51
; ScratchSize: 64
; MemoryBound: 0
; FloatMode: 240
; IeeeMode: 1
; LDSByteSize: 0 bytes/workgroup (compile time only)
; SGPRBlocks: 0
; VGPRBlocks: 3
; NumSGPRsForWavesPerEU: 36
; NumVGPRsForWavesPerEU: 51
; NamedBarCnt: 0
; Occupancy: 16
; WaveLimiterHint : 1
; COMPUTE_PGM_RSRC2:SCRATCH_EN: 1
; COMPUTE_PGM_RSRC2:USER_SGPR: 2
; COMPUTE_PGM_RSRC2:TRAP_HANDLER: 0
; COMPUTE_PGM_RSRC2:TGID_X_EN: 1
; COMPUTE_PGM_RSRC2:TGID_Y_EN: 0
; COMPUTE_PGM_RSRC2:TGID_Z_EN: 0
; COMPUTE_PGM_RSRC2:TIDIG_COMP_CNT: 0
	.section	.text._Z39paged_attention_ll4mi_QKV_mfma16_kernelI14__hip_bfloat16hLN4vllm18Fp8KVCacheDataTypeE1EhLi32ELi64ELi256ELb0ELi4EEvPKT_PKT0_S8_ifPKiSA_SA_iPKfiiiPfSD_PS3_PT2_iSC_SC_,"axG",@progbits,_Z39paged_attention_ll4mi_QKV_mfma16_kernelI14__hip_bfloat16hLN4vllm18Fp8KVCacheDataTypeE1EhLi32ELi64ELi256ELb0ELi4EEvPKT_PKT0_S8_ifPKiSA_SA_iPKfiiiPfSD_PS3_PT2_iSC_SC_,comdat
	.protected	_Z39paged_attention_ll4mi_QKV_mfma16_kernelI14__hip_bfloat16hLN4vllm18Fp8KVCacheDataTypeE1EhLi32ELi64ELi256ELb0ELi4EEvPKT_PKT0_S8_ifPKiSA_SA_iPKfiiiPfSD_PS3_PT2_iSC_SC_ ; -- Begin function _Z39paged_attention_ll4mi_QKV_mfma16_kernelI14__hip_bfloat16hLN4vllm18Fp8KVCacheDataTypeE1EhLi32ELi64ELi256ELb0ELi4EEvPKT_PKT0_S8_ifPKiSA_SA_iPKfiiiPfSD_PS3_PT2_iSC_SC_
	.globl	_Z39paged_attention_ll4mi_QKV_mfma16_kernelI14__hip_bfloat16hLN4vllm18Fp8KVCacheDataTypeE1EhLi32ELi64ELi256ELb0ELi4EEvPKT_PKT0_S8_ifPKiSA_SA_iPKfiiiPfSD_PS3_PT2_iSC_SC_
	.p2align	8
	.type	_Z39paged_attention_ll4mi_QKV_mfma16_kernelI14__hip_bfloat16hLN4vllm18Fp8KVCacheDataTypeE1EhLi32ELi64ELi256ELb0ELi4EEvPKT_PKT0_S8_ifPKiSA_SA_iPKfiiiPfSD_PS3_PT2_iSC_SC_,@function
_Z39paged_attention_ll4mi_QKV_mfma16_kernelI14__hip_bfloat16hLN4vllm18Fp8KVCacheDataTypeE1EhLi32ELi64ELi256ELb0ELi4EEvPKT_PKT0_S8_ifPKiSA_SA_iPKfiiiPfSD_PS3_PT2_iSC_SC_: ; @_Z39paged_attention_ll4mi_QKV_mfma16_kernelI14__hip_bfloat16hLN4vllm18Fp8KVCacheDataTypeE1EhLi32ELi64ELi256ELb0ELi4EEvPKT_PKT0_S8_ifPKiSA_SA_iPKfiiiPfSD_PS3_PT2_iSC_SC_
; %bb.0:
	s_get_pc_i64 s[2:3]
	s_add_nc_u64 s[2:3], s[2:3], __PRETTY_FUNCTION__._Z39paged_attention_ll4mi_QKV_mfma16_kernelI14__hip_bfloat16hLN4vllm18Fp8KVCacheDataTypeE1EhLi32ELi64ELi256ELb0ELi4EEvPKT_PKT0_S8_ifPKiSA_SA_iPKfiiiPfSD_PS3_PT2_iSC_SC_@rel64+4
	s_delay_alu instid0(SALU_CYCLE_1)
	v_dual_mov_b32 v0, 0xbb3 :: v_dual_mov_b32 v1, s2
	v_mov_b32_e32 v2, s3
	s_add_nc_u64 s[8:9], s[0:1], 0x90
	s_get_pc_i64 s[0:1]
	s_add_nc_u64 s[0:1], s[0:1], __assert_fail@rel64+4
	s_mov_b32 s32, 0
	s_swap_pc_i64 s[30:31], s[0:1]
	.section	.rodata,"a",@progbits
	.p2align	6, 0x0
	.amdhsa_kernel _Z39paged_attention_ll4mi_QKV_mfma16_kernelI14__hip_bfloat16hLN4vllm18Fp8KVCacheDataTypeE1EhLi32ELi64ELi256ELb0ELi4EEvPKT_PKT0_S8_ifPKiSA_SA_iPKfiiiPfSD_PS3_PT2_iSC_SC_
		.amdhsa_group_segment_fixed_size 0
		.amdhsa_private_segment_fixed_size 64
		.amdhsa_kernarg_size 400
		.amdhsa_user_sgpr_count 2
		.amdhsa_user_sgpr_dispatch_ptr 0
		.amdhsa_user_sgpr_queue_ptr 0
		.amdhsa_user_sgpr_kernarg_segment_ptr 1
		.amdhsa_user_sgpr_dispatch_id 0
		.amdhsa_user_sgpr_kernarg_preload_length 0
		.amdhsa_user_sgpr_kernarg_preload_offset 0
		.amdhsa_user_sgpr_private_segment_size 0
		.amdhsa_wavefront_size32 1
		.amdhsa_uses_dynamic_stack 0
		.amdhsa_enable_private_segment 1
		.amdhsa_system_sgpr_workgroup_id_x 1
		.amdhsa_system_sgpr_workgroup_id_y 0
		.amdhsa_system_sgpr_workgroup_id_z 0
		.amdhsa_system_sgpr_workgroup_info 0
		.amdhsa_system_vgpr_workitem_id 0
		.amdhsa_next_free_vgpr 51
		.amdhsa_next_free_sgpr 34
		.amdhsa_named_barrier_count 0
		.amdhsa_reserve_vcc 1
		.amdhsa_float_round_mode_32 0
		.amdhsa_float_round_mode_16_64 0
		.amdhsa_float_denorm_mode_32 3
		.amdhsa_float_denorm_mode_16_64 3
		.amdhsa_fp16_overflow 0
		.amdhsa_memory_ordered 1
		.amdhsa_forward_progress 1
		.amdhsa_inst_pref_size 1
		.amdhsa_round_robin_scheduling 0
		.amdhsa_exception_fp_ieee_invalid_op 0
		.amdhsa_exception_fp_denorm_src 0
		.amdhsa_exception_fp_ieee_div_zero 0
		.amdhsa_exception_fp_ieee_overflow 0
		.amdhsa_exception_fp_ieee_underflow 0
		.amdhsa_exception_fp_ieee_inexact 0
		.amdhsa_exception_int_div_zero 0
	.end_amdhsa_kernel
	.section	.text._Z39paged_attention_ll4mi_QKV_mfma16_kernelI14__hip_bfloat16hLN4vllm18Fp8KVCacheDataTypeE1EhLi32ELi64ELi256ELb0ELi4EEvPKT_PKT0_S8_ifPKiSA_SA_iPKfiiiPfSD_PS3_PT2_iSC_SC_,"axG",@progbits,_Z39paged_attention_ll4mi_QKV_mfma16_kernelI14__hip_bfloat16hLN4vllm18Fp8KVCacheDataTypeE1EhLi32ELi64ELi256ELb0ELi4EEvPKT_PKT0_S8_ifPKiSA_SA_iPKfiiiPfSD_PS3_PT2_iSC_SC_,comdat
.Lfunc_end1209:
	.size	_Z39paged_attention_ll4mi_QKV_mfma16_kernelI14__hip_bfloat16hLN4vllm18Fp8KVCacheDataTypeE1EhLi32ELi64ELi256ELb0ELi4EEvPKT_PKT0_S8_ifPKiSA_SA_iPKfiiiPfSD_PS3_PT2_iSC_SC_, .Lfunc_end1209-_Z39paged_attention_ll4mi_QKV_mfma16_kernelI14__hip_bfloat16hLN4vllm18Fp8KVCacheDataTypeE1EhLi32ELi64ELi256ELb0ELi4EEvPKT_PKT0_S8_ifPKiSA_SA_iPKfiiiPfSD_PS3_PT2_iSC_SC_
                                        ; -- End function
	.set _Z39paged_attention_ll4mi_QKV_mfma16_kernelI14__hip_bfloat16hLN4vllm18Fp8KVCacheDataTypeE1EhLi32ELi64ELi256ELb0ELi4EEvPKT_PKT0_S8_ifPKiSA_SA_iPKfiiiPfSD_PS3_PT2_iSC_SC_.num_vgpr, max(3, .L__assert_fail.num_vgpr)
	.set _Z39paged_attention_ll4mi_QKV_mfma16_kernelI14__hip_bfloat16hLN4vllm18Fp8KVCacheDataTypeE1EhLi32ELi64ELi256ELb0ELi4EEvPKT_PKT0_S8_ifPKiSA_SA_iPKfiiiPfSD_PS3_PT2_iSC_SC_.num_agpr, max(0, .L__assert_fail.num_agpr)
	.set _Z39paged_attention_ll4mi_QKV_mfma16_kernelI14__hip_bfloat16hLN4vllm18Fp8KVCacheDataTypeE1EhLi32ELi64ELi256ELb0ELi4EEvPKT_PKT0_S8_ifPKiSA_SA_iPKfiiiPfSD_PS3_PT2_iSC_SC_.numbered_sgpr, max(33, .L__assert_fail.numbered_sgpr)
	.set _Z39paged_attention_ll4mi_QKV_mfma16_kernelI14__hip_bfloat16hLN4vllm18Fp8KVCacheDataTypeE1EhLi32ELi64ELi256ELb0ELi4EEvPKT_PKT0_S8_ifPKiSA_SA_iPKfiiiPfSD_PS3_PT2_iSC_SC_.num_named_barrier, max(0, .L__assert_fail.num_named_barrier)
	.set _Z39paged_attention_ll4mi_QKV_mfma16_kernelI14__hip_bfloat16hLN4vllm18Fp8KVCacheDataTypeE1EhLi32ELi64ELi256ELb0ELi4EEvPKT_PKT0_S8_ifPKiSA_SA_iPKfiiiPfSD_PS3_PT2_iSC_SC_.private_seg_size, 0+max(.L__assert_fail.private_seg_size)
	.set _Z39paged_attention_ll4mi_QKV_mfma16_kernelI14__hip_bfloat16hLN4vllm18Fp8KVCacheDataTypeE1EhLi32ELi64ELi256ELb0ELi4EEvPKT_PKT0_S8_ifPKiSA_SA_iPKfiiiPfSD_PS3_PT2_iSC_SC_.uses_vcc, or(1, .L__assert_fail.uses_vcc)
	.set _Z39paged_attention_ll4mi_QKV_mfma16_kernelI14__hip_bfloat16hLN4vllm18Fp8KVCacheDataTypeE1EhLi32ELi64ELi256ELb0ELi4EEvPKT_PKT0_S8_ifPKiSA_SA_iPKfiiiPfSD_PS3_PT2_iSC_SC_.uses_flat_scratch, or(0, .L__assert_fail.uses_flat_scratch)
	.set _Z39paged_attention_ll4mi_QKV_mfma16_kernelI14__hip_bfloat16hLN4vllm18Fp8KVCacheDataTypeE1EhLi32ELi64ELi256ELb0ELi4EEvPKT_PKT0_S8_ifPKiSA_SA_iPKfiiiPfSD_PS3_PT2_iSC_SC_.has_dyn_sized_stack, or(0, .L__assert_fail.has_dyn_sized_stack)
	.set _Z39paged_attention_ll4mi_QKV_mfma16_kernelI14__hip_bfloat16hLN4vllm18Fp8KVCacheDataTypeE1EhLi32ELi64ELi256ELb0ELi4EEvPKT_PKT0_S8_ifPKiSA_SA_iPKfiiiPfSD_PS3_PT2_iSC_SC_.has_recursion, or(0, .L__assert_fail.has_recursion)
	.set _Z39paged_attention_ll4mi_QKV_mfma16_kernelI14__hip_bfloat16hLN4vllm18Fp8KVCacheDataTypeE1EhLi32ELi64ELi256ELb0ELi4EEvPKT_PKT0_S8_ifPKiSA_SA_iPKfiiiPfSD_PS3_PT2_iSC_SC_.has_indirect_call, or(0, .L__assert_fail.has_indirect_call)
	.section	.AMDGPU.csdata,"",@progbits
; Kernel info:
; codeLenInByte = 68
; TotalNumSgprs: 36
; NumVgprs: 51
; ScratchSize: 64
; MemoryBound: 0
; FloatMode: 240
; IeeeMode: 1
; LDSByteSize: 0 bytes/workgroup (compile time only)
; SGPRBlocks: 0
; VGPRBlocks: 3
; NumSGPRsForWavesPerEU: 36
; NumVGPRsForWavesPerEU: 51
; NamedBarCnt: 0
; Occupancy: 16
; WaveLimiterHint : 1
; COMPUTE_PGM_RSRC2:SCRATCH_EN: 1
; COMPUTE_PGM_RSRC2:USER_SGPR: 2
; COMPUTE_PGM_RSRC2:TRAP_HANDLER: 0
; COMPUTE_PGM_RSRC2:TGID_X_EN: 1
; COMPUTE_PGM_RSRC2:TGID_Y_EN: 0
; COMPUTE_PGM_RSRC2:TGID_Z_EN: 0
; COMPUTE_PGM_RSRC2:TIDIG_COMP_CNT: 0
	.section	.text._Z38paged_attention_ll4mi_QKV_mfma4_kernelI14__hip_bfloat16hLN4vllm18Fp8KVCacheDataTypeE1ES0_Li32ELi64ELi256ELb1ELi1EEvPKT_PKT0_S8_ifPKiSA_SA_iPKfiiiPfSD_PS3_PT2_iSC_SC_,"axG",@progbits,_Z38paged_attention_ll4mi_QKV_mfma4_kernelI14__hip_bfloat16hLN4vllm18Fp8KVCacheDataTypeE1ES0_Li32ELi64ELi256ELb1ELi1EEvPKT_PKT0_S8_ifPKiSA_SA_iPKfiiiPfSD_PS3_PT2_iSC_SC_,comdat
	.protected	_Z38paged_attention_ll4mi_QKV_mfma4_kernelI14__hip_bfloat16hLN4vllm18Fp8KVCacheDataTypeE1ES0_Li32ELi64ELi256ELb1ELi1EEvPKT_PKT0_S8_ifPKiSA_SA_iPKfiiiPfSD_PS3_PT2_iSC_SC_ ; -- Begin function _Z38paged_attention_ll4mi_QKV_mfma4_kernelI14__hip_bfloat16hLN4vllm18Fp8KVCacheDataTypeE1ES0_Li32ELi64ELi256ELb1ELi1EEvPKT_PKT0_S8_ifPKiSA_SA_iPKfiiiPfSD_PS3_PT2_iSC_SC_
	.globl	_Z38paged_attention_ll4mi_QKV_mfma4_kernelI14__hip_bfloat16hLN4vllm18Fp8KVCacheDataTypeE1ES0_Li32ELi64ELi256ELb1ELi1EEvPKT_PKT0_S8_ifPKiSA_SA_iPKfiiiPfSD_PS3_PT2_iSC_SC_
	.p2align	8
	.type	_Z38paged_attention_ll4mi_QKV_mfma4_kernelI14__hip_bfloat16hLN4vllm18Fp8KVCacheDataTypeE1ES0_Li32ELi64ELi256ELb1ELi1EEvPKT_PKT0_S8_ifPKiSA_SA_iPKfiiiPfSD_PS3_PT2_iSC_SC_,@function
_Z38paged_attention_ll4mi_QKV_mfma4_kernelI14__hip_bfloat16hLN4vllm18Fp8KVCacheDataTypeE1ES0_Li32ELi64ELi256ELb1ELi1EEvPKT_PKT0_S8_ifPKiSA_SA_iPKfiiiPfSD_PS3_PT2_iSC_SC_: ; @_Z38paged_attention_ll4mi_QKV_mfma4_kernelI14__hip_bfloat16hLN4vllm18Fp8KVCacheDataTypeE1ES0_Li32ELi64ELi256ELb1ELi1EEvPKT_PKT0_S8_ifPKiSA_SA_iPKfiiiPfSD_PS3_PT2_iSC_SC_
; %bb.0:
	s_get_pc_i64 s[2:3]
	s_add_nc_u64 s[2:3], s[2:3], __PRETTY_FUNCTION__._Z38paged_attention_ll4mi_QKV_mfma4_kernelI14__hip_bfloat16hLN4vllm18Fp8KVCacheDataTypeE1ES0_Li32ELi64ELi256ELb1ELi1EEvPKT_PKT0_S8_ifPKiSA_SA_iPKfiiiPfSD_PS3_PT2_iSC_SC_@rel64+4
	s_delay_alu instid0(SALU_CYCLE_1)
	v_dual_mov_b32 v0, 0xbce :: v_dual_mov_b32 v1, s2
	v_mov_b32_e32 v2, s3
	s_add_nc_u64 s[8:9], s[0:1], 0x90
	s_get_pc_i64 s[0:1]
	s_add_nc_u64 s[0:1], s[0:1], __assert_fail@rel64+4
	s_mov_b32 s32, 0
	s_swap_pc_i64 s[30:31], s[0:1]
	.section	.rodata,"a",@progbits
	.p2align	6, 0x0
	.amdhsa_kernel _Z38paged_attention_ll4mi_QKV_mfma4_kernelI14__hip_bfloat16hLN4vllm18Fp8KVCacheDataTypeE1ES0_Li32ELi64ELi256ELb1ELi1EEvPKT_PKT0_S8_ifPKiSA_SA_iPKfiiiPfSD_PS3_PT2_iSC_SC_
		.amdhsa_group_segment_fixed_size 0
		.amdhsa_private_segment_fixed_size 64
		.amdhsa_kernarg_size 400
		.amdhsa_user_sgpr_count 2
		.amdhsa_user_sgpr_dispatch_ptr 0
		.amdhsa_user_sgpr_queue_ptr 0
		.amdhsa_user_sgpr_kernarg_segment_ptr 1
		.amdhsa_user_sgpr_dispatch_id 0
		.amdhsa_user_sgpr_kernarg_preload_length 0
		.amdhsa_user_sgpr_kernarg_preload_offset 0
		.amdhsa_user_sgpr_private_segment_size 0
		.amdhsa_wavefront_size32 1
		.amdhsa_uses_dynamic_stack 0
		.amdhsa_enable_private_segment 1
		.amdhsa_system_sgpr_workgroup_id_x 1
		.amdhsa_system_sgpr_workgroup_id_y 0
		.amdhsa_system_sgpr_workgroup_id_z 0
		.amdhsa_system_sgpr_workgroup_info 0
		.amdhsa_system_vgpr_workitem_id 0
		.amdhsa_next_free_vgpr 51
		.amdhsa_next_free_sgpr 34
		.amdhsa_named_barrier_count 0
		.amdhsa_reserve_vcc 1
		.amdhsa_float_round_mode_32 0
		.amdhsa_float_round_mode_16_64 0
		.amdhsa_float_denorm_mode_32 3
		.amdhsa_float_denorm_mode_16_64 3
		.amdhsa_fp16_overflow 0
		.amdhsa_memory_ordered 1
		.amdhsa_forward_progress 1
		.amdhsa_inst_pref_size 1
		.amdhsa_round_robin_scheduling 0
		.amdhsa_exception_fp_ieee_invalid_op 0
		.amdhsa_exception_fp_denorm_src 0
		.amdhsa_exception_fp_ieee_div_zero 0
		.amdhsa_exception_fp_ieee_overflow 0
		.amdhsa_exception_fp_ieee_underflow 0
		.amdhsa_exception_fp_ieee_inexact 0
		.amdhsa_exception_int_div_zero 0
	.end_amdhsa_kernel
	.section	.text._Z38paged_attention_ll4mi_QKV_mfma4_kernelI14__hip_bfloat16hLN4vllm18Fp8KVCacheDataTypeE1ES0_Li32ELi64ELi256ELb1ELi1EEvPKT_PKT0_S8_ifPKiSA_SA_iPKfiiiPfSD_PS3_PT2_iSC_SC_,"axG",@progbits,_Z38paged_attention_ll4mi_QKV_mfma4_kernelI14__hip_bfloat16hLN4vllm18Fp8KVCacheDataTypeE1ES0_Li32ELi64ELi256ELb1ELi1EEvPKT_PKT0_S8_ifPKiSA_SA_iPKfiiiPfSD_PS3_PT2_iSC_SC_,comdat
.Lfunc_end1210:
	.size	_Z38paged_attention_ll4mi_QKV_mfma4_kernelI14__hip_bfloat16hLN4vllm18Fp8KVCacheDataTypeE1ES0_Li32ELi64ELi256ELb1ELi1EEvPKT_PKT0_S8_ifPKiSA_SA_iPKfiiiPfSD_PS3_PT2_iSC_SC_, .Lfunc_end1210-_Z38paged_attention_ll4mi_QKV_mfma4_kernelI14__hip_bfloat16hLN4vllm18Fp8KVCacheDataTypeE1ES0_Li32ELi64ELi256ELb1ELi1EEvPKT_PKT0_S8_ifPKiSA_SA_iPKfiiiPfSD_PS3_PT2_iSC_SC_
                                        ; -- End function
	.set _Z38paged_attention_ll4mi_QKV_mfma4_kernelI14__hip_bfloat16hLN4vllm18Fp8KVCacheDataTypeE1ES0_Li32ELi64ELi256ELb1ELi1EEvPKT_PKT0_S8_ifPKiSA_SA_iPKfiiiPfSD_PS3_PT2_iSC_SC_.num_vgpr, max(3, .L__assert_fail.num_vgpr)
	.set _Z38paged_attention_ll4mi_QKV_mfma4_kernelI14__hip_bfloat16hLN4vllm18Fp8KVCacheDataTypeE1ES0_Li32ELi64ELi256ELb1ELi1EEvPKT_PKT0_S8_ifPKiSA_SA_iPKfiiiPfSD_PS3_PT2_iSC_SC_.num_agpr, max(0, .L__assert_fail.num_agpr)
	.set _Z38paged_attention_ll4mi_QKV_mfma4_kernelI14__hip_bfloat16hLN4vllm18Fp8KVCacheDataTypeE1ES0_Li32ELi64ELi256ELb1ELi1EEvPKT_PKT0_S8_ifPKiSA_SA_iPKfiiiPfSD_PS3_PT2_iSC_SC_.numbered_sgpr, max(33, .L__assert_fail.numbered_sgpr)
	.set _Z38paged_attention_ll4mi_QKV_mfma4_kernelI14__hip_bfloat16hLN4vllm18Fp8KVCacheDataTypeE1ES0_Li32ELi64ELi256ELb1ELi1EEvPKT_PKT0_S8_ifPKiSA_SA_iPKfiiiPfSD_PS3_PT2_iSC_SC_.num_named_barrier, max(0, .L__assert_fail.num_named_barrier)
	.set _Z38paged_attention_ll4mi_QKV_mfma4_kernelI14__hip_bfloat16hLN4vllm18Fp8KVCacheDataTypeE1ES0_Li32ELi64ELi256ELb1ELi1EEvPKT_PKT0_S8_ifPKiSA_SA_iPKfiiiPfSD_PS3_PT2_iSC_SC_.private_seg_size, 0+max(.L__assert_fail.private_seg_size)
	.set _Z38paged_attention_ll4mi_QKV_mfma4_kernelI14__hip_bfloat16hLN4vllm18Fp8KVCacheDataTypeE1ES0_Li32ELi64ELi256ELb1ELi1EEvPKT_PKT0_S8_ifPKiSA_SA_iPKfiiiPfSD_PS3_PT2_iSC_SC_.uses_vcc, or(1, .L__assert_fail.uses_vcc)
	.set _Z38paged_attention_ll4mi_QKV_mfma4_kernelI14__hip_bfloat16hLN4vllm18Fp8KVCacheDataTypeE1ES0_Li32ELi64ELi256ELb1ELi1EEvPKT_PKT0_S8_ifPKiSA_SA_iPKfiiiPfSD_PS3_PT2_iSC_SC_.uses_flat_scratch, or(0, .L__assert_fail.uses_flat_scratch)
	.set _Z38paged_attention_ll4mi_QKV_mfma4_kernelI14__hip_bfloat16hLN4vllm18Fp8KVCacheDataTypeE1ES0_Li32ELi64ELi256ELb1ELi1EEvPKT_PKT0_S8_ifPKiSA_SA_iPKfiiiPfSD_PS3_PT2_iSC_SC_.has_dyn_sized_stack, or(0, .L__assert_fail.has_dyn_sized_stack)
	.set _Z38paged_attention_ll4mi_QKV_mfma4_kernelI14__hip_bfloat16hLN4vllm18Fp8KVCacheDataTypeE1ES0_Li32ELi64ELi256ELb1ELi1EEvPKT_PKT0_S8_ifPKiSA_SA_iPKfiiiPfSD_PS3_PT2_iSC_SC_.has_recursion, or(0, .L__assert_fail.has_recursion)
	.set _Z38paged_attention_ll4mi_QKV_mfma4_kernelI14__hip_bfloat16hLN4vllm18Fp8KVCacheDataTypeE1ES0_Li32ELi64ELi256ELb1ELi1EEvPKT_PKT0_S8_ifPKiSA_SA_iPKfiiiPfSD_PS3_PT2_iSC_SC_.has_indirect_call, or(0, .L__assert_fail.has_indirect_call)
	.section	.AMDGPU.csdata,"",@progbits
; Kernel info:
; codeLenInByte = 68
; TotalNumSgprs: 36
; NumVgprs: 51
; ScratchSize: 64
; MemoryBound: 0
; FloatMode: 240
; IeeeMode: 1
; LDSByteSize: 0 bytes/workgroup (compile time only)
; SGPRBlocks: 0
; VGPRBlocks: 3
; NumSGPRsForWavesPerEU: 36
; NumVGPRsForWavesPerEU: 51
; NamedBarCnt: 0
; Occupancy: 16
; WaveLimiterHint : 1
; COMPUTE_PGM_RSRC2:SCRATCH_EN: 1
; COMPUTE_PGM_RSRC2:USER_SGPR: 2
; COMPUTE_PGM_RSRC2:TRAP_HANDLER: 0
; COMPUTE_PGM_RSRC2:TGID_X_EN: 1
; COMPUTE_PGM_RSRC2:TGID_Y_EN: 0
; COMPUTE_PGM_RSRC2:TGID_Z_EN: 0
; COMPUTE_PGM_RSRC2:TIDIG_COMP_CNT: 0
	.section	.text._Z38paged_attention_ll4mi_QKV_mfma4_kernelI14__hip_bfloat16hLN4vllm18Fp8KVCacheDataTypeE1ES0_Li32ELi64ELi256ELb1ELi2EEvPKT_PKT0_S8_ifPKiSA_SA_iPKfiiiPfSD_PS3_PT2_iSC_SC_,"axG",@progbits,_Z38paged_attention_ll4mi_QKV_mfma4_kernelI14__hip_bfloat16hLN4vllm18Fp8KVCacheDataTypeE1ES0_Li32ELi64ELi256ELb1ELi2EEvPKT_PKT0_S8_ifPKiSA_SA_iPKfiiiPfSD_PS3_PT2_iSC_SC_,comdat
	.protected	_Z38paged_attention_ll4mi_QKV_mfma4_kernelI14__hip_bfloat16hLN4vllm18Fp8KVCacheDataTypeE1ES0_Li32ELi64ELi256ELb1ELi2EEvPKT_PKT0_S8_ifPKiSA_SA_iPKfiiiPfSD_PS3_PT2_iSC_SC_ ; -- Begin function _Z38paged_attention_ll4mi_QKV_mfma4_kernelI14__hip_bfloat16hLN4vllm18Fp8KVCacheDataTypeE1ES0_Li32ELi64ELi256ELb1ELi2EEvPKT_PKT0_S8_ifPKiSA_SA_iPKfiiiPfSD_PS3_PT2_iSC_SC_
	.globl	_Z38paged_attention_ll4mi_QKV_mfma4_kernelI14__hip_bfloat16hLN4vllm18Fp8KVCacheDataTypeE1ES0_Li32ELi64ELi256ELb1ELi2EEvPKT_PKT0_S8_ifPKiSA_SA_iPKfiiiPfSD_PS3_PT2_iSC_SC_
	.p2align	8
	.type	_Z38paged_attention_ll4mi_QKV_mfma4_kernelI14__hip_bfloat16hLN4vllm18Fp8KVCacheDataTypeE1ES0_Li32ELi64ELi256ELb1ELi2EEvPKT_PKT0_S8_ifPKiSA_SA_iPKfiiiPfSD_PS3_PT2_iSC_SC_,@function
_Z38paged_attention_ll4mi_QKV_mfma4_kernelI14__hip_bfloat16hLN4vllm18Fp8KVCacheDataTypeE1ES0_Li32ELi64ELi256ELb1ELi2EEvPKT_PKT0_S8_ifPKiSA_SA_iPKfiiiPfSD_PS3_PT2_iSC_SC_: ; @_Z38paged_attention_ll4mi_QKV_mfma4_kernelI14__hip_bfloat16hLN4vllm18Fp8KVCacheDataTypeE1ES0_Li32ELi64ELi256ELb1ELi2EEvPKT_PKT0_S8_ifPKiSA_SA_iPKfiiiPfSD_PS3_PT2_iSC_SC_
; %bb.0:
	s_get_pc_i64 s[2:3]
	s_add_nc_u64 s[2:3], s[2:3], __PRETTY_FUNCTION__._Z38paged_attention_ll4mi_QKV_mfma4_kernelI14__hip_bfloat16hLN4vllm18Fp8KVCacheDataTypeE1ES0_Li32ELi64ELi256ELb1ELi2EEvPKT_PKT0_S8_ifPKiSA_SA_iPKfiiiPfSD_PS3_PT2_iSC_SC_@rel64+4
	s_delay_alu instid0(SALU_CYCLE_1)
	v_dual_mov_b32 v0, 0xbce :: v_dual_mov_b32 v1, s2
	v_mov_b32_e32 v2, s3
	s_add_nc_u64 s[8:9], s[0:1], 0x90
	s_get_pc_i64 s[0:1]
	s_add_nc_u64 s[0:1], s[0:1], __assert_fail@rel64+4
	s_mov_b32 s32, 0
	s_swap_pc_i64 s[30:31], s[0:1]
	.section	.rodata,"a",@progbits
	.p2align	6, 0x0
	.amdhsa_kernel _Z38paged_attention_ll4mi_QKV_mfma4_kernelI14__hip_bfloat16hLN4vllm18Fp8KVCacheDataTypeE1ES0_Li32ELi64ELi256ELb1ELi2EEvPKT_PKT0_S8_ifPKiSA_SA_iPKfiiiPfSD_PS3_PT2_iSC_SC_
		.amdhsa_group_segment_fixed_size 0
		.amdhsa_private_segment_fixed_size 64
		.amdhsa_kernarg_size 400
		.amdhsa_user_sgpr_count 2
		.amdhsa_user_sgpr_dispatch_ptr 0
		.amdhsa_user_sgpr_queue_ptr 0
		.amdhsa_user_sgpr_kernarg_segment_ptr 1
		.amdhsa_user_sgpr_dispatch_id 0
		.amdhsa_user_sgpr_kernarg_preload_length 0
		.amdhsa_user_sgpr_kernarg_preload_offset 0
		.amdhsa_user_sgpr_private_segment_size 0
		.amdhsa_wavefront_size32 1
		.amdhsa_uses_dynamic_stack 0
		.amdhsa_enable_private_segment 1
		.amdhsa_system_sgpr_workgroup_id_x 1
		.amdhsa_system_sgpr_workgroup_id_y 0
		.amdhsa_system_sgpr_workgroup_id_z 0
		.amdhsa_system_sgpr_workgroup_info 0
		.amdhsa_system_vgpr_workitem_id 0
		.amdhsa_next_free_vgpr 51
		.amdhsa_next_free_sgpr 34
		.amdhsa_named_barrier_count 0
		.amdhsa_reserve_vcc 1
		.amdhsa_float_round_mode_32 0
		.amdhsa_float_round_mode_16_64 0
		.amdhsa_float_denorm_mode_32 3
		.amdhsa_float_denorm_mode_16_64 3
		.amdhsa_fp16_overflow 0
		.amdhsa_memory_ordered 1
		.amdhsa_forward_progress 1
		.amdhsa_inst_pref_size 1
		.amdhsa_round_robin_scheduling 0
		.amdhsa_exception_fp_ieee_invalid_op 0
		.amdhsa_exception_fp_denorm_src 0
		.amdhsa_exception_fp_ieee_div_zero 0
		.amdhsa_exception_fp_ieee_overflow 0
		.amdhsa_exception_fp_ieee_underflow 0
		.amdhsa_exception_fp_ieee_inexact 0
		.amdhsa_exception_int_div_zero 0
	.end_amdhsa_kernel
	.section	.text._Z38paged_attention_ll4mi_QKV_mfma4_kernelI14__hip_bfloat16hLN4vllm18Fp8KVCacheDataTypeE1ES0_Li32ELi64ELi256ELb1ELi2EEvPKT_PKT0_S8_ifPKiSA_SA_iPKfiiiPfSD_PS3_PT2_iSC_SC_,"axG",@progbits,_Z38paged_attention_ll4mi_QKV_mfma4_kernelI14__hip_bfloat16hLN4vllm18Fp8KVCacheDataTypeE1ES0_Li32ELi64ELi256ELb1ELi2EEvPKT_PKT0_S8_ifPKiSA_SA_iPKfiiiPfSD_PS3_PT2_iSC_SC_,comdat
.Lfunc_end1211:
	.size	_Z38paged_attention_ll4mi_QKV_mfma4_kernelI14__hip_bfloat16hLN4vllm18Fp8KVCacheDataTypeE1ES0_Li32ELi64ELi256ELb1ELi2EEvPKT_PKT0_S8_ifPKiSA_SA_iPKfiiiPfSD_PS3_PT2_iSC_SC_, .Lfunc_end1211-_Z38paged_attention_ll4mi_QKV_mfma4_kernelI14__hip_bfloat16hLN4vllm18Fp8KVCacheDataTypeE1ES0_Li32ELi64ELi256ELb1ELi2EEvPKT_PKT0_S8_ifPKiSA_SA_iPKfiiiPfSD_PS3_PT2_iSC_SC_
                                        ; -- End function
	.set _Z38paged_attention_ll4mi_QKV_mfma4_kernelI14__hip_bfloat16hLN4vllm18Fp8KVCacheDataTypeE1ES0_Li32ELi64ELi256ELb1ELi2EEvPKT_PKT0_S8_ifPKiSA_SA_iPKfiiiPfSD_PS3_PT2_iSC_SC_.num_vgpr, max(3, .L__assert_fail.num_vgpr)
	.set _Z38paged_attention_ll4mi_QKV_mfma4_kernelI14__hip_bfloat16hLN4vllm18Fp8KVCacheDataTypeE1ES0_Li32ELi64ELi256ELb1ELi2EEvPKT_PKT0_S8_ifPKiSA_SA_iPKfiiiPfSD_PS3_PT2_iSC_SC_.num_agpr, max(0, .L__assert_fail.num_agpr)
	.set _Z38paged_attention_ll4mi_QKV_mfma4_kernelI14__hip_bfloat16hLN4vllm18Fp8KVCacheDataTypeE1ES0_Li32ELi64ELi256ELb1ELi2EEvPKT_PKT0_S8_ifPKiSA_SA_iPKfiiiPfSD_PS3_PT2_iSC_SC_.numbered_sgpr, max(33, .L__assert_fail.numbered_sgpr)
	.set _Z38paged_attention_ll4mi_QKV_mfma4_kernelI14__hip_bfloat16hLN4vllm18Fp8KVCacheDataTypeE1ES0_Li32ELi64ELi256ELb1ELi2EEvPKT_PKT0_S8_ifPKiSA_SA_iPKfiiiPfSD_PS3_PT2_iSC_SC_.num_named_barrier, max(0, .L__assert_fail.num_named_barrier)
	.set _Z38paged_attention_ll4mi_QKV_mfma4_kernelI14__hip_bfloat16hLN4vllm18Fp8KVCacheDataTypeE1ES0_Li32ELi64ELi256ELb1ELi2EEvPKT_PKT0_S8_ifPKiSA_SA_iPKfiiiPfSD_PS3_PT2_iSC_SC_.private_seg_size, 0+max(.L__assert_fail.private_seg_size)
	.set _Z38paged_attention_ll4mi_QKV_mfma4_kernelI14__hip_bfloat16hLN4vllm18Fp8KVCacheDataTypeE1ES0_Li32ELi64ELi256ELb1ELi2EEvPKT_PKT0_S8_ifPKiSA_SA_iPKfiiiPfSD_PS3_PT2_iSC_SC_.uses_vcc, or(1, .L__assert_fail.uses_vcc)
	.set _Z38paged_attention_ll4mi_QKV_mfma4_kernelI14__hip_bfloat16hLN4vllm18Fp8KVCacheDataTypeE1ES0_Li32ELi64ELi256ELb1ELi2EEvPKT_PKT0_S8_ifPKiSA_SA_iPKfiiiPfSD_PS3_PT2_iSC_SC_.uses_flat_scratch, or(0, .L__assert_fail.uses_flat_scratch)
	.set _Z38paged_attention_ll4mi_QKV_mfma4_kernelI14__hip_bfloat16hLN4vllm18Fp8KVCacheDataTypeE1ES0_Li32ELi64ELi256ELb1ELi2EEvPKT_PKT0_S8_ifPKiSA_SA_iPKfiiiPfSD_PS3_PT2_iSC_SC_.has_dyn_sized_stack, or(0, .L__assert_fail.has_dyn_sized_stack)
	.set _Z38paged_attention_ll4mi_QKV_mfma4_kernelI14__hip_bfloat16hLN4vllm18Fp8KVCacheDataTypeE1ES0_Li32ELi64ELi256ELb1ELi2EEvPKT_PKT0_S8_ifPKiSA_SA_iPKfiiiPfSD_PS3_PT2_iSC_SC_.has_recursion, or(0, .L__assert_fail.has_recursion)
	.set _Z38paged_attention_ll4mi_QKV_mfma4_kernelI14__hip_bfloat16hLN4vllm18Fp8KVCacheDataTypeE1ES0_Li32ELi64ELi256ELb1ELi2EEvPKT_PKT0_S8_ifPKiSA_SA_iPKfiiiPfSD_PS3_PT2_iSC_SC_.has_indirect_call, or(0, .L__assert_fail.has_indirect_call)
	.section	.AMDGPU.csdata,"",@progbits
; Kernel info:
; codeLenInByte = 68
; TotalNumSgprs: 36
; NumVgprs: 51
; ScratchSize: 64
; MemoryBound: 0
; FloatMode: 240
; IeeeMode: 1
; LDSByteSize: 0 bytes/workgroup (compile time only)
; SGPRBlocks: 0
; VGPRBlocks: 3
; NumSGPRsForWavesPerEU: 36
; NumVGPRsForWavesPerEU: 51
; NamedBarCnt: 0
; Occupancy: 16
; WaveLimiterHint : 1
; COMPUTE_PGM_RSRC2:SCRATCH_EN: 1
; COMPUTE_PGM_RSRC2:USER_SGPR: 2
; COMPUTE_PGM_RSRC2:TRAP_HANDLER: 0
; COMPUTE_PGM_RSRC2:TGID_X_EN: 1
; COMPUTE_PGM_RSRC2:TGID_Y_EN: 0
; COMPUTE_PGM_RSRC2:TGID_Z_EN: 0
; COMPUTE_PGM_RSRC2:TIDIG_COMP_CNT: 0
	.section	.text._Z38paged_attention_ll4mi_QKV_mfma4_kernelI14__hip_bfloat16hLN4vllm18Fp8KVCacheDataTypeE1ES0_Li32ELi64ELi256ELb1ELi3EEvPKT_PKT0_S8_ifPKiSA_SA_iPKfiiiPfSD_PS3_PT2_iSC_SC_,"axG",@progbits,_Z38paged_attention_ll4mi_QKV_mfma4_kernelI14__hip_bfloat16hLN4vllm18Fp8KVCacheDataTypeE1ES0_Li32ELi64ELi256ELb1ELi3EEvPKT_PKT0_S8_ifPKiSA_SA_iPKfiiiPfSD_PS3_PT2_iSC_SC_,comdat
	.protected	_Z38paged_attention_ll4mi_QKV_mfma4_kernelI14__hip_bfloat16hLN4vllm18Fp8KVCacheDataTypeE1ES0_Li32ELi64ELi256ELb1ELi3EEvPKT_PKT0_S8_ifPKiSA_SA_iPKfiiiPfSD_PS3_PT2_iSC_SC_ ; -- Begin function _Z38paged_attention_ll4mi_QKV_mfma4_kernelI14__hip_bfloat16hLN4vllm18Fp8KVCacheDataTypeE1ES0_Li32ELi64ELi256ELb1ELi3EEvPKT_PKT0_S8_ifPKiSA_SA_iPKfiiiPfSD_PS3_PT2_iSC_SC_
	.globl	_Z38paged_attention_ll4mi_QKV_mfma4_kernelI14__hip_bfloat16hLN4vllm18Fp8KVCacheDataTypeE1ES0_Li32ELi64ELi256ELb1ELi3EEvPKT_PKT0_S8_ifPKiSA_SA_iPKfiiiPfSD_PS3_PT2_iSC_SC_
	.p2align	8
	.type	_Z38paged_attention_ll4mi_QKV_mfma4_kernelI14__hip_bfloat16hLN4vllm18Fp8KVCacheDataTypeE1ES0_Li32ELi64ELi256ELb1ELi3EEvPKT_PKT0_S8_ifPKiSA_SA_iPKfiiiPfSD_PS3_PT2_iSC_SC_,@function
_Z38paged_attention_ll4mi_QKV_mfma4_kernelI14__hip_bfloat16hLN4vllm18Fp8KVCacheDataTypeE1ES0_Li32ELi64ELi256ELb1ELi3EEvPKT_PKT0_S8_ifPKiSA_SA_iPKfiiiPfSD_PS3_PT2_iSC_SC_: ; @_Z38paged_attention_ll4mi_QKV_mfma4_kernelI14__hip_bfloat16hLN4vllm18Fp8KVCacheDataTypeE1ES0_Li32ELi64ELi256ELb1ELi3EEvPKT_PKT0_S8_ifPKiSA_SA_iPKfiiiPfSD_PS3_PT2_iSC_SC_
; %bb.0:
	s_get_pc_i64 s[2:3]
	s_add_nc_u64 s[2:3], s[2:3], __PRETTY_FUNCTION__._Z38paged_attention_ll4mi_QKV_mfma4_kernelI14__hip_bfloat16hLN4vllm18Fp8KVCacheDataTypeE1ES0_Li32ELi64ELi256ELb1ELi3EEvPKT_PKT0_S8_ifPKiSA_SA_iPKfiiiPfSD_PS3_PT2_iSC_SC_@rel64+4
	s_delay_alu instid0(SALU_CYCLE_1)
	v_dual_mov_b32 v0, 0xbce :: v_dual_mov_b32 v1, s2
	v_mov_b32_e32 v2, s3
	s_add_nc_u64 s[8:9], s[0:1], 0x90
	s_get_pc_i64 s[0:1]
	s_add_nc_u64 s[0:1], s[0:1], __assert_fail@rel64+4
	s_mov_b32 s32, 0
	s_swap_pc_i64 s[30:31], s[0:1]
	.section	.rodata,"a",@progbits
	.p2align	6, 0x0
	.amdhsa_kernel _Z38paged_attention_ll4mi_QKV_mfma4_kernelI14__hip_bfloat16hLN4vllm18Fp8KVCacheDataTypeE1ES0_Li32ELi64ELi256ELb1ELi3EEvPKT_PKT0_S8_ifPKiSA_SA_iPKfiiiPfSD_PS3_PT2_iSC_SC_
		.amdhsa_group_segment_fixed_size 0
		.amdhsa_private_segment_fixed_size 64
		.amdhsa_kernarg_size 400
		.amdhsa_user_sgpr_count 2
		.amdhsa_user_sgpr_dispatch_ptr 0
		.amdhsa_user_sgpr_queue_ptr 0
		.amdhsa_user_sgpr_kernarg_segment_ptr 1
		.amdhsa_user_sgpr_dispatch_id 0
		.amdhsa_user_sgpr_kernarg_preload_length 0
		.amdhsa_user_sgpr_kernarg_preload_offset 0
		.amdhsa_user_sgpr_private_segment_size 0
		.amdhsa_wavefront_size32 1
		.amdhsa_uses_dynamic_stack 0
		.amdhsa_enable_private_segment 1
		.amdhsa_system_sgpr_workgroup_id_x 1
		.amdhsa_system_sgpr_workgroup_id_y 0
		.amdhsa_system_sgpr_workgroup_id_z 0
		.amdhsa_system_sgpr_workgroup_info 0
		.amdhsa_system_vgpr_workitem_id 0
		.amdhsa_next_free_vgpr 51
		.amdhsa_next_free_sgpr 34
		.amdhsa_named_barrier_count 0
		.amdhsa_reserve_vcc 1
		.amdhsa_float_round_mode_32 0
		.amdhsa_float_round_mode_16_64 0
		.amdhsa_float_denorm_mode_32 3
		.amdhsa_float_denorm_mode_16_64 3
		.amdhsa_fp16_overflow 0
		.amdhsa_memory_ordered 1
		.amdhsa_forward_progress 1
		.amdhsa_inst_pref_size 1
		.amdhsa_round_robin_scheduling 0
		.amdhsa_exception_fp_ieee_invalid_op 0
		.amdhsa_exception_fp_denorm_src 0
		.amdhsa_exception_fp_ieee_div_zero 0
		.amdhsa_exception_fp_ieee_overflow 0
		.amdhsa_exception_fp_ieee_underflow 0
		.amdhsa_exception_fp_ieee_inexact 0
		.amdhsa_exception_int_div_zero 0
	.end_amdhsa_kernel
	.section	.text._Z38paged_attention_ll4mi_QKV_mfma4_kernelI14__hip_bfloat16hLN4vllm18Fp8KVCacheDataTypeE1ES0_Li32ELi64ELi256ELb1ELi3EEvPKT_PKT0_S8_ifPKiSA_SA_iPKfiiiPfSD_PS3_PT2_iSC_SC_,"axG",@progbits,_Z38paged_attention_ll4mi_QKV_mfma4_kernelI14__hip_bfloat16hLN4vllm18Fp8KVCacheDataTypeE1ES0_Li32ELi64ELi256ELb1ELi3EEvPKT_PKT0_S8_ifPKiSA_SA_iPKfiiiPfSD_PS3_PT2_iSC_SC_,comdat
.Lfunc_end1212:
	.size	_Z38paged_attention_ll4mi_QKV_mfma4_kernelI14__hip_bfloat16hLN4vllm18Fp8KVCacheDataTypeE1ES0_Li32ELi64ELi256ELb1ELi3EEvPKT_PKT0_S8_ifPKiSA_SA_iPKfiiiPfSD_PS3_PT2_iSC_SC_, .Lfunc_end1212-_Z38paged_attention_ll4mi_QKV_mfma4_kernelI14__hip_bfloat16hLN4vllm18Fp8KVCacheDataTypeE1ES0_Li32ELi64ELi256ELb1ELi3EEvPKT_PKT0_S8_ifPKiSA_SA_iPKfiiiPfSD_PS3_PT2_iSC_SC_
                                        ; -- End function
	.set _Z38paged_attention_ll4mi_QKV_mfma4_kernelI14__hip_bfloat16hLN4vllm18Fp8KVCacheDataTypeE1ES0_Li32ELi64ELi256ELb1ELi3EEvPKT_PKT0_S8_ifPKiSA_SA_iPKfiiiPfSD_PS3_PT2_iSC_SC_.num_vgpr, max(3, .L__assert_fail.num_vgpr)
	.set _Z38paged_attention_ll4mi_QKV_mfma4_kernelI14__hip_bfloat16hLN4vllm18Fp8KVCacheDataTypeE1ES0_Li32ELi64ELi256ELb1ELi3EEvPKT_PKT0_S8_ifPKiSA_SA_iPKfiiiPfSD_PS3_PT2_iSC_SC_.num_agpr, max(0, .L__assert_fail.num_agpr)
	.set _Z38paged_attention_ll4mi_QKV_mfma4_kernelI14__hip_bfloat16hLN4vllm18Fp8KVCacheDataTypeE1ES0_Li32ELi64ELi256ELb1ELi3EEvPKT_PKT0_S8_ifPKiSA_SA_iPKfiiiPfSD_PS3_PT2_iSC_SC_.numbered_sgpr, max(33, .L__assert_fail.numbered_sgpr)
	.set _Z38paged_attention_ll4mi_QKV_mfma4_kernelI14__hip_bfloat16hLN4vllm18Fp8KVCacheDataTypeE1ES0_Li32ELi64ELi256ELb1ELi3EEvPKT_PKT0_S8_ifPKiSA_SA_iPKfiiiPfSD_PS3_PT2_iSC_SC_.num_named_barrier, max(0, .L__assert_fail.num_named_barrier)
	.set _Z38paged_attention_ll4mi_QKV_mfma4_kernelI14__hip_bfloat16hLN4vllm18Fp8KVCacheDataTypeE1ES0_Li32ELi64ELi256ELb1ELi3EEvPKT_PKT0_S8_ifPKiSA_SA_iPKfiiiPfSD_PS3_PT2_iSC_SC_.private_seg_size, 0+max(.L__assert_fail.private_seg_size)
	.set _Z38paged_attention_ll4mi_QKV_mfma4_kernelI14__hip_bfloat16hLN4vllm18Fp8KVCacheDataTypeE1ES0_Li32ELi64ELi256ELb1ELi3EEvPKT_PKT0_S8_ifPKiSA_SA_iPKfiiiPfSD_PS3_PT2_iSC_SC_.uses_vcc, or(1, .L__assert_fail.uses_vcc)
	.set _Z38paged_attention_ll4mi_QKV_mfma4_kernelI14__hip_bfloat16hLN4vllm18Fp8KVCacheDataTypeE1ES0_Li32ELi64ELi256ELb1ELi3EEvPKT_PKT0_S8_ifPKiSA_SA_iPKfiiiPfSD_PS3_PT2_iSC_SC_.uses_flat_scratch, or(0, .L__assert_fail.uses_flat_scratch)
	.set _Z38paged_attention_ll4mi_QKV_mfma4_kernelI14__hip_bfloat16hLN4vllm18Fp8KVCacheDataTypeE1ES0_Li32ELi64ELi256ELb1ELi3EEvPKT_PKT0_S8_ifPKiSA_SA_iPKfiiiPfSD_PS3_PT2_iSC_SC_.has_dyn_sized_stack, or(0, .L__assert_fail.has_dyn_sized_stack)
	.set _Z38paged_attention_ll4mi_QKV_mfma4_kernelI14__hip_bfloat16hLN4vllm18Fp8KVCacheDataTypeE1ES0_Li32ELi64ELi256ELb1ELi3EEvPKT_PKT0_S8_ifPKiSA_SA_iPKfiiiPfSD_PS3_PT2_iSC_SC_.has_recursion, or(0, .L__assert_fail.has_recursion)
	.set _Z38paged_attention_ll4mi_QKV_mfma4_kernelI14__hip_bfloat16hLN4vllm18Fp8KVCacheDataTypeE1ES0_Li32ELi64ELi256ELb1ELi3EEvPKT_PKT0_S8_ifPKiSA_SA_iPKfiiiPfSD_PS3_PT2_iSC_SC_.has_indirect_call, or(0, .L__assert_fail.has_indirect_call)
	.section	.AMDGPU.csdata,"",@progbits
; Kernel info:
; codeLenInByte = 68
; TotalNumSgprs: 36
; NumVgprs: 51
; ScratchSize: 64
; MemoryBound: 0
; FloatMode: 240
; IeeeMode: 1
; LDSByteSize: 0 bytes/workgroup (compile time only)
; SGPRBlocks: 0
; VGPRBlocks: 3
; NumSGPRsForWavesPerEU: 36
; NumVGPRsForWavesPerEU: 51
; NamedBarCnt: 0
; Occupancy: 16
; WaveLimiterHint : 1
; COMPUTE_PGM_RSRC2:SCRATCH_EN: 1
; COMPUTE_PGM_RSRC2:USER_SGPR: 2
; COMPUTE_PGM_RSRC2:TRAP_HANDLER: 0
; COMPUTE_PGM_RSRC2:TGID_X_EN: 1
; COMPUTE_PGM_RSRC2:TGID_Y_EN: 0
; COMPUTE_PGM_RSRC2:TGID_Z_EN: 0
; COMPUTE_PGM_RSRC2:TIDIG_COMP_CNT: 0
	.section	.text._Z38paged_attention_ll4mi_QKV_mfma4_kernelI14__hip_bfloat16hLN4vllm18Fp8KVCacheDataTypeE1ES0_Li32ELi64ELi256ELb1ELi4EEvPKT_PKT0_S8_ifPKiSA_SA_iPKfiiiPfSD_PS3_PT2_iSC_SC_,"axG",@progbits,_Z38paged_attention_ll4mi_QKV_mfma4_kernelI14__hip_bfloat16hLN4vllm18Fp8KVCacheDataTypeE1ES0_Li32ELi64ELi256ELb1ELi4EEvPKT_PKT0_S8_ifPKiSA_SA_iPKfiiiPfSD_PS3_PT2_iSC_SC_,comdat
	.protected	_Z38paged_attention_ll4mi_QKV_mfma4_kernelI14__hip_bfloat16hLN4vllm18Fp8KVCacheDataTypeE1ES0_Li32ELi64ELi256ELb1ELi4EEvPKT_PKT0_S8_ifPKiSA_SA_iPKfiiiPfSD_PS3_PT2_iSC_SC_ ; -- Begin function _Z38paged_attention_ll4mi_QKV_mfma4_kernelI14__hip_bfloat16hLN4vllm18Fp8KVCacheDataTypeE1ES0_Li32ELi64ELi256ELb1ELi4EEvPKT_PKT0_S8_ifPKiSA_SA_iPKfiiiPfSD_PS3_PT2_iSC_SC_
	.globl	_Z38paged_attention_ll4mi_QKV_mfma4_kernelI14__hip_bfloat16hLN4vllm18Fp8KVCacheDataTypeE1ES0_Li32ELi64ELi256ELb1ELi4EEvPKT_PKT0_S8_ifPKiSA_SA_iPKfiiiPfSD_PS3_PT2_iSC_SC_
	.p2align	8
	.type	_Z38paged_attention_ll4mi_QKV_mfma4_kernelI14__hip_bfloat16hLN4vllm18Fp8KVCacheDataTypeE1ES0_Li32ELi64ELi256ELb1ELi4EEvPKT_PKT0_S8_ifPKiSA_SA_iPKfiiiPfSD_PS3_PT2_iSC_SC_,@function
_Z38paged_attention_ll4mi_QKV_mfma4_kernelI14__hip_bfloat16hLN4vllm18Fp8KVCacheDataTypeE1ES0_Li32ELi64ELi256ELb1ELi4EEvPKT_PKT0_S8_ifPKiSA_SA_iPKfiiiPfSD_PS3_PT2_iSC_SC_: ; @_Z38paged_attention_ll4mi_QKV_mfma4_kernelI14__hip_bfloat16hLN4vllm18Fp8KVCacheDataTypeE1ES0_Li32ELi64ELi256ELb1ELi4EEvPKT_PKT0_S8_ifPKiSA_SA_iPKfiiiPfSD_PS3_PT2_iSC_SC_
; %bb.0:
	s_get_pc_i64 s[2:3]
	s_add_nc_u64 s[2:3], s[2:3], __PRETTY_FUNCTION__._Z38paged_attention_ll4mi_QKV_mfma4_kernelI14__hip_bfloat16hLN4vllm18Fp8KVCacheDataTypeE1ES0_Li32ELi64ELi256ELb1ELi4EEvPKT_PKT0_S8_ifPKiSA_SA_iPKfiiiPfSD_PS3_PT2_iSC_SC_@rel64+4
	s_delay_alu instid0(SALU_CYCLE_1)
	v_dual_mov_b32 v0, 0xbce :: v_dual_mov_b32 v1, s2
	v_mov_b32_e32 v2, s3
	s_add_nc_u64 s[8:9], s[0:1], 0x90
	s_get_pc_i64 s[0:1]
	s_add_nc_u64 s[0:1], s[0:1], __assert_fail@rel64+4
	s_mov_b32 s32, 0
	s_swap_pc_i64 s[30:31], s[0:1]
	.section	.rodata,"a",@progbits
	.p2align	6, 0x0
	.amdhsa_kernel _Z38paged_attention_ll4mi_QKV_mfma4_kernelI14__hip_bfloat16hLN4vllm18Fp8KVCacheDataTypeE1ES0_Li32ELi64ELi256ELb1ELi4EEvPKT_PKT0_S8_ifPKiSA_SA_iPKfiiiPfSD_PS3_PT2_iSC_SC_
		.amdhsa_group_segment_fixed_size 0
		.amdhsa_private_segment_fixed_size 64
		.amdhsa_kernarg_size 400
		.amdhsa_user_sgpr_count 2
		.amdhsa_user_sgpr_dispatch_ptr 0
		.amdhsa_user_sgpr_queue_ptr 0
		.amdhsa_user_sgpr_kernarg_segment_ptr 1
		.amdhsa_user_sgpr_dispatch_id 0
		.amdhsa_user_sgpr_kernarg_preload_length 0
		.amdhsa_user_sgpr_kernarg_preload_offset 0
		.amdhsa_user_sgpr_private_segment_size 0
		.amdhsa_wavefront_size32 1
		.amdhsa_uses_dynamic_stack 0
		.amdhsa_enable_private_segment 1
		.amdhsa_system_sgpr_workgroup_id_x 1
		.amdhsa_system_sgpr_workgroup_id_y 0
		.amdhsa_system_sgpr_workgroup_id_z 0
		.amdhsa_system_sgpr_workgroup_info 0
		.amdhsa_system_vgpr_workitem_id 0
		.amdhsa_next_free_vgpr 51
		.amdhsa_next_free_sgpr 34
		.amdhsa_named_barrier_count 0
		.amdhsa_reserve_vcc 1
		.amdhsa_float_round_mode_32 0
		.amdhsa_float_round_mode_16_64 0
		.amdhsa_float_denorm_mode_32 3
		.amdhsa_float_denorm_mode_16_64 3
		.amdhsa_fp16_overflow 0
		.amdhsa_memory_ordered 1
		.amdhsa_forward_progress 1
		.amdhsa_inst_pref_size 1
		.amdhsa_round_robin_scheduling 0
		.amdhsa_exception_fp_ieee_invalid_op 0
		.amdhsa_exception_fp_denorm_src 0
		.amdhsa_exception_fp_ieee_div_zero 0
		.amdhsa_exception_fp_ieee_overflow 0
		.amdhsa_exception_fp_ieee_underflow 0
		.amdhsa_exception_fp_ieee_inexact 0
		.amdhsa_exception_int_div_zero 0
	.end_amdhsa_kernel
	.section	.text._Z38paged_attention_ll4mi_QKV_mfma4_kernelI14__hip_bfloat16hLN4vllm18Fp8KVCacheDataTypeE1ES0_Li32ELi64ELi256ELb1ELi4EEvPKT_PKT0_S8_ifPKiSA_SA_iPKfiiiPfSD_PS3_PT2_iSC_SC_,"axG",@progbits,_Z38paged_attention_ll4mi_QKV_mfma4_kernelI14__hip_bfloat16hLN4vllm18Fp8KVCacheDataTypeE1ES0_Li32ELi64ELi256ELb1ELi4EEvPKT_PKT0_S8_ifPKiSA_SA_iPKfiiiPfSD_PS3_PT2_iSC_SC_,comdat
.Lfunc_end1213:
	.size	_Z38paged_attention_ll4mi_QKV_mfma4_kernelI14__hip_bfloat16hLN4vllm18Fp8KVCacheDataTypeE1ES0_Li32ELi64ELi256ELb1ELi4EEvPKT_PKT0_S8_ifPKiSA_SA_iPKfiiiPfSD_PS3_PT2_iSC_SC_, .Lfunc_end1213-_Z38paged_attention_ll4mi_QKV_mfma4_kernelI14__hip_bfloat16hLN4vllm18Fp8KVCacheDataTypeE1ES0_Li32ELi64ELi256ELb1ELi4EEvPKT_PKT0_S8_ifPKiSA_SA_iPKfiiiPfSD_PS3_PT2_iSC_SC_
                                        ; -- End function
	.set _Z38paged_attention_ll4mi_QKV_mfma4_kernelI14__hip_bfloat16hLN4vllm18Fp8KVCacheDataTypeE1ES0_Li32ELi64ELi256ELb1ELi4EEvPKT_PKT0_S8_ifPKiSA_SA_iPKfiiiPfSD_PS3_PT2_iSC_SC_.num_vgpr, max(3, .L__assert_fail.num_vgpr)
	.set _Z38paged_attention_ll4mi_QKV_mfma4_kernelI14__hip_bfloat16hLN4vllm18Fp8KVCacheDataTypeE1ES0_Li32ELi64ELi256ELb1ELi4EEvPKT_PKT0_S8_ifPKiSA_SA_iPKfiiiPfSD_PS3_PT2_iSC_SC_.num_agpr, max(0, .L__assert_fail.num_agpr)
	.set _Z38paged_attention_ll4mi_QKV_mfma4_kernelI14__hip_bfloat16hLN4vllm18Fp8KVCacheDataTypeE1ES0_Li32ELi64ELi256ELb1ELi4EEvPKT_PKT0_S8_ifPKiSA_SA_iPKfiiiPfSD_PS3_PT2_iSC_SC_.numbered_sgpr, max(33, .L__assert_fail.numbered_sgpr)
	.set _Z38paged_attention_ll4mi_QKV_mfma4_kernelI14__hip_bfloat16hLN4vllm18Fp8KVCacheDataTypeE1ES0_Li32ELi64ELi256ELb1ELi4EEvPKT_PKT0_S8_ifPKiSA_SA_iPKfiiiPfSD_PS3_PT2_iSC_SC_.num_named_barrier, max(0, .L__assert_fail.num_named_barrier)
	.set _Z38paged_attention_ll4mi_QKV_mfma4_kernelI14__hip_bfloat16hLN4vllm18Fp8KVCacheDataTypeE1ES0_Li32ELi64ELi256ELb1ELi4EEvPKT_PKT0_S8_ifPKiSA_SA_iPKfiiiPfSD_PS3_PT2_iSC_SC_.private_seg_size, 0+max(.L__assert_fail.private_seg_size)
	.set _Z38paged_attention_ll4mi_QKV_mfma4_kernelI14__hip_bfloat16hLN4vllm18Fp8KVCacheDataTypeE1ES0_Li32ELi64ELi256ELb1ELi4EEvPKT_PKT0_S8_ifPKiSA_SA_iPKfiiiPfSD_PS3_PT2_iSC_SC_.uses_vcc, or(1, .L__assert_fail.uses_vcc)
	.set _Z38paged_attention_ll4mi_QKV_mfma4_kernelI14__hip_bfloat16hLN4vllm18Fp8KVCacheDataTypeE1ES0_Li32ELi64ELi256ELb1ELi4EEvPKT_PKT0_S8_ifPKiSA_SA_iPKfiiiPfSD_PS3_PT2_iSC_SC_.uses_flat_scratch, or(0, .L__assert_fail.uses_flat_scratch)
	.set _Z38paged_attention_ll4mi_QKV_mfma4_kernelI14__hip_bfloat16hLN4vllm18Fp8KVCacheDataTypeE1ES0_Li32ELi64ELi256ELb1ELi4EEvPKT_PKT0_S8_ifPKiSA_SA_iPKfiiiPfSD_PS3_PT2_iSC_SC_.has_dyn_sized_stack, or(0, .L__assert_fail.has_dyn_sized_stack)
	.set _Z38paged_attention_ll4mi_QKV_mfma4_kernelI14__hip_bfloat16hLN4vllm18Fp8KVCacheDataTypeE1ES0_Li32ELi64ELi256ELb1ELi4EEvPKT_PKT0_S8_ifPKiSA_SA_iPKfiiiPfSD_PS3_PT2_iSC_SC_.has_recursion, or(0, .L__assert_fail.has_recursion)
	.set _Z38paged_attention_ll4mi_QKV_mfma4_kernelI14__hip_bfloat16hLN4vllm18Fp8KVCacheDataTypeE1ES0_Li32ELi64ELi256ELb1ELi4EEvPKT_PKT0_S8_ifPKiSA_SA_iPKfiiiPfSD_PS3_PT2_iSC_SC_.has_indirect_call, or(0, .L__assert_fail.has_indirect_call)
	.section	.AMDGPU.csdata,"",@progbits
; Kernel info:
; codeLenInByte = 68
; TotalNumSgprs: 36
; NumVgprs: 51
; ScratchSize: 64
; MemoryBound: 0
; FloatMode: 240
; IeeeMode: 1
; LDSByteSize: 0 bytes/workgroup (compile time only)
; SGPRBlocks: 0
; VGPRBlocks: 3
; NumSGPRsForWavesPerEU: 36
; NumVGPRsForWavesPerEU: 51
; NamedBarCnt: 0
; Occupancy: 16
; WaveLimiterHint : 1
; COMPUTE_PGM_RSRC2:SCRATCH_EN: 1
; COMPUTE_PGM_RSRC2:USER_SGPR: 2
; COMPUTE_PGM_RSRC2:TRAP_HANDLER: 0
; COMPUTE_PGM_RSRC2:TGID_X_EN: 1
; COMPUTE_PGM_RSRC2:TGID_Y_EN: 0
; COMPUTE_PGM_RSRC2:TGID_Z_EN: 0
; COMPUTE_PGM_RSRC2:TIDIG_COMP_CNT: 0
	.section	.text._Z39paged_attention_ll4mi_QKV_mfma16_kernelI14__hip_bfloat16hLN4vllm18Fp8KVCacheDataTypeE1ES0_Li32ELi64ELi256ELb1ELi5EEvPKT_PKT0_S8_ifPKiSA_SA_iPKfiiiPfSD_PS3_PT2_iSC_SC_,"axG",@progbits,_Z39paged_attention_ll4mi_QKV_mfma16_kernelI14__hip_bfloat16hLN4vllm18Fp8KVCacheDataTypeE1ES0_Li32ELi64ELi256ELb1ELi5EEvPKT_PKT0_S8_ifPKiSA_SA_iPKfiiiPfSD_PS3_PT2_iSC_SC_,comdat
	.protected	_Z39paged_attention_ll4mi_QKV_mfma16_kernelI14__hip_bfloat16hLN4vllm18Fp8KVCacheDataTypeE1ES0_Li32ELi64ELi256ELb1ELi5EEvPKT_PKT0_S8_ifPKiSA_SA_iPKfiiiPfSD_PS3_PT2_iSC_SC_ ; -- Begin function _Z39paged_attention_ll4mi_QKV_mfma16_kernelI14__hip_bfloat16hLN4vllm18Fp8KVCacheDataTypeE1ES0_Li32ELi64ELi256ELb1ELi5EEvPKT_PKT0_S8_ifPKiSA_SA_iPKfiiiPfSD_PS3_PT2_iSC_SC_
	.globl	_Z39paged_attention_ll4mi_QKV_mfma16_kernelI14__hip_bfloat16hLN4vllm18Fp8KVCacheDataTypeE1ES0_Li32ELi64ELi256ELb1ELi5EEvPKT_PKT0_S8_ifPKiSA_SA_iPKfiiiPfSD_PS3_PT2_iSC_SC_
	.p2align	8
	.type	_Z39paged_attention_ll4mi_QKV_mfma16_kernelI14__hip_bfloat16hLN4vllm18Fp8KVCacheDataTypeE1ES0_Li32ELi64ELi256ELb1ELi5EEvPKT_PKT0_S8_ifPKiSA_SA_iPKfiiiPfSD_PS3_PT2_iSC_SC_,@function
_Z39paged_attention_ll4mi_QKV_mfma16_kernelI14__hip_bfloat16hLN4vllm18Fp8KVCacheDataTypeE1ES0_Li32ELi64ELi256ELb1ELi5EEvPKT_PKT0_S8_ifPKiSA_SA_iPKfiiiPfSD_PS3_PT2_iSC_SC_: ; @_Z39paged_attention_ll4mi_QKV_mfma16_kernelI14__hip_bfloat16hLN4vllm18Fp8KVCacheDataTypeE1ES0_Li32ELi64ELi256ELb1ELi5EEvPKT_PKT0_S8_ifPKiSA_SA_iPKfiiiPfSD_PS3_PT2_iSC_SC_
; %bb.0:
	s_get_pc_i64 s[2:3]
	s_add_nc_u64 s[2:3], s[2:3], __PRETTY_FUNCTION__._Z39paged_attention_ll4mi_QKV_mfma16_kernelI14__hip_bfloat16hLN4vllm18Fp8KVCacheDataTypeE1ES0_Li32ELi64ELi256ELb1ELi5EEvPKT_PKT0_S8_ifPKiSA_SA_iPKfiiiPfSD_PS3_PT2_iSC_SC_@rel64+4
	s_delay_alu instid0(SALU_CYCLE_1)
	v_dual_mov_b32 v0, 0xbb3 :: v_dual_mov_b32 v1, s2
	v_mov_b32_e32 v2, s3
	s_add_nc_u64 s[8:9], s[0:1], 0x90
	s_get_pc_i64 s[0:1]
	s_add_nc_u64 s[0:1], s[0:1], __assert_fail@rel64+4
	s_mov_b32 s32, 0
	s_swap_pc_i64 s[30:31], s[0:1]
	.section	.rodata,"a",@progbits
	.p2align	6, 0x0
	.amdhsa_kernel _Z39paged_attention_ll4mi_QKV_mfma16_kernelI14__hip_bfloat16hLN4vllm18Fp8KVCacheDataTypeE1ES0_Li32ELi64ELi256ELb1ELi5EEvPKT_PKT0_S8_ifPKiSA_SA_iPKfiiiPfSD_PS3_PT2_iSC_SC_
		.amdhsa_group_segment_fixed_size 0
		.amdhsa_private_segment_fixed_size 64
		.amdhsa_kernarg_size 400
		.amdhsa_user_sgpr_count 2
		.amdhsa_user_sgpr_dispatch_ptr 0
		.amdhsa_user_sgpr_queue_ptr 0
		.amdhsa_user_sgpr_kernarg_segment_ptr 1
		.amdhsa_user_sgpr_dispatch_id 0
		.amdhsa_user_sgpr_kernarg_preload_length 0
		.amdhsa_user_sgpr_kernarg_preload_offset 0
		.amdhsa_user_sgpr_private_segment_size 0
		.amdhsa_wavefront_size32 1
		.amdhsa_uses_dynamic_stack 0
		.amdhsa_enable_private_segment 1
		.amdhsa_system_sgpr_workgroup_id_x 1
		.amdhsa_system_sgpr_workgroup_id_y 0
		.amdhsa_system_sgpr_workgroup_id_z 0
		.amdhsa_system_sgpr_workgroup_info 0
		.amdhsa_system_vgpr_workitem_id 0
		.amdhsa_next_free_vgpr 51
		.amdhsa_next_free_sgpr 34
		.amdhsa_named_barrier_count 0
		.amdhsa_reserve_vcc 1
		.amdhsa_float_round_mode_32 0
		.amdhsa_float_round_mode_16_64 0
		.amdhsa_float_denorm_mode_32 3
		.amdhsa_float_denorm_mode_16_64 3
		.amdhsa_fp16_overflow 0
		.amdhsa_memory_ordered 1
		.amdhsa_forward_progress 1
		.amdhsa_inst_pref_size 1
		.amdhsa_round_robin_scheduling 0
		.amdhsa_exception_fp_ieee_invalid_op 0
		.amdhsa_exception_fp_denorm_src 0
		.amdhsa_exception_fp_ieee_div_zero 0
		.amdhsa_exception_fp_ieee_overflow 0
		.amdhsa_exception_fp_ieee_underflow 0
		.amdhsa_exception_fp_ieee_inexact 0
		.amdhsa_exception_int_div_zero 0
	.end_amdhsa_kernel
	.section	.text._Z39paged_attention_ll4mi_QKV_mfma16_kernelI14__hip_bfloat16hLN4vllm18Fp8KVCacheDataTypeE1ES0_Li32ELi64ELi256ELb1ELi5EEvPKT_PKT0_S8_ifPKiSA_SA_iPKfiiiPfSD_PS3_PT2_iSC_SC_,"axG",@progbits,_Z39paged_attention_ll4mi_QKV_mfma16_kernelI14__hip_bfloat16hLN4vllm18Fp8KVCacheDataTypeE1ES0_Li32ELi64ELi256ELb1ELi5EEvPKT_PKT0_S8_ifPKiSA_SA_iPKfiiiPfSD_PS3_PT2_iSC_SC_,comdat
.Lfunc_end1214:
	.size	_Z39paged_attention_ll4mi_QKV_mfma16_kernelI14__hip_bfloat16hLN4vllm18Fp8KVCacheDataTypeE1ES0_Li32ELi64ELi256ELb1ELi5EEvPKT_PKT0_S8_ifPKiSA_SA_iPKfiiiPfSD_PS3_PT2_iSC_SC_, .Lfunc_end1214-_Z39paged_attention_ll4mi_QKV_mfma16_kernelI14__hip_bfloat16hLN4vllm18Fp8KVCacheDataTypeE1ES0_Li32ELi64ELi256ELb1ELi5EEvPKT_PKT0_S8_ifPKiSA_SA_iPKfiiiPfSD_PS3_PT2_iSC_SC_
                                        ; -- End function
	.set _Z39paged_attention_ll4mi_QKV_mfma16_kernelI14__hip_bfloat16hLN4vllm18Fp8KVCacheDataTypeE1ES0_Li32ELi64ELi256ELb1ELi5EEvPKT_PKT0_S8_ifPKiSA_SA_iPKfiiiPfSD_PS3_PT2_iSC_SC_.num_vgpr, max(3, .L__assert_fail.num_vgpr)
	.set _Z39paged_attention_ll4mi_QKV_mfma16_kernelI14__hip_bfloat16hLN4vllm18Fp8KVCacheDataTypeE1ES0_Li32ELi64ELi256ELb1ELi5EEvPKT_PKT0_S8_ifPKiSA_SA_iPKfiiiPfSD_PS3_PT2_iSC_SC_.num_agpr, max(0, .L__assert_fail.num_agpr)
	.set _Z39paged_attention_ll4mi_QKV_mfma16_kernelI14__hip_bfloat16hLN4vllm18Fp8KVCacheDataTypeE1ES0_Li32ELi64ELi256ELb1ELi5EEvPKT_PKT0_S8_ifPKiSA_SA_iPKfiiiPfSD_PS3_PT2_iSC_SC_.numbered_sgpr, max(33, .L__assert_fail.numbered_sgpr)
	.set _Z39paged_attention_ll4mi_QKV_mfma16_kernelI14__hip_bfloat16hLN4vllm18Fp8KVCacheDataTypeE1ES0_Li32ELi64ELi256ELb1ELi5EEvPKT_PKT0_S8_ifPKiSA_SA_iPKfiiiPfSD_PS3_PT2_iSC_SC_.num_named_barrier, max(0, .L__assert_fail.num_named_barrier)
	.set _Z39paged_attention_ll4mi_QKV_mfma16_kernelI14__hip_bfloat16hLN4vllm18Fp8KVCacheDataTypeE1ES0_Li32ELi64ELi256ELb1ELi5EEvPKT_PKT0_S8_ifPKiSA_SA_iPKfiiiPfSD_PS3_PT2_iSC_SC_.private_seg_size, 0+max(.L__assert_fail.private_seg_size)
	.set _Z39paged_attention_ll4mi_QKV_mfma16_kernelI14__hip_bfloat16hLN4vllm18Fp8KVCacheDataTypeE1ES0_Li32ELi64ELi256ELb1ELi5EEvPKT_PKT0_S8_ifPKiSA_SA_iPKfiiiPfSD_PS3_PT2_iSC_SC_.uses_vcc, or(1, .L__assert_fail.uses_vcc)
	.set _Z39paged_attention_ll4mi_QKV_mfma16_kernelI14__hip_bfloat16hLN4vllm18Fp8KVCacheDataTypeE1ES0_Li32ELi64ELi256ELb1ELi5EEvPKT_PKT0_S8_ifPKiSA_SA_iPKfiiiPfSD_PS3_PT2_iSC_SC_.uses_flat_scratch, or(0, .L__assert_fail.uses_flat_scratch)
	.set _Z39paged_attention_ll4mi_QKV_mfma16_kernelI14__hip_bfloat16hLN4vllm18Fp8KVCacheDataTypeE1ES0_Li32ELi64ELi256ELb1ELi5EEvPKT_PKT0_S8_ifPKiSA_SA_iPKfiiiPfSD_PS3_PT2_iSC_SC_.has_dyn_sized_stack, or(0, .L__assert_fail.has_dyn_sized_stack)
	.set _Z39paged_attention_ll4mi_QKV_mfma16_kernelI14__hip_bfloat16hLN4vllm18Fp8KVCacheDataTypeE1ES0_Li32ELi64ELi256ELb1ELi5EEvPKT_PKT0_S8_ifPKiSA_SA_iPKfiiiPfSD_PS3_PT2_iSC_SC_.has_recursion, or(0, .L__assert_fail.has_recursion)
	.set _Z39paged_attention_ll4mi_QKV_mfma16_kernelI14__hip_bfloat16hLN4vllm18Fp8KVCacheDataTypeE1ES0_Li32ELi64ELi256ELb1ELi5EEvPKT_PKT0_S8_ifPKiSA_SA_iPKfiiiPfSD_PS3_PT2_iSC_SC_.has_indirect_call, or(0, .L__assert_fail.has_indirect_call)
	.section	.AMDGPU.csdata,"",@progbits
; Kernel info:
; codeLenInByte = 68
; TotalNumSgprs: 36
; NumVgprs: 51
; ScratchSize: 64
; MemoryBound: 0
; FloatMode: 240
; IeeeMode: 1
; LDSByteSize: 0 bytes/workgroup (compile time only)
; SGPRBlocks: 0
; VGPRBlocks: 3
; NumSGPRsForWavesPerEU: 36
; NumVGPRsForWavesPerEU: 51
; NamedBarCnt: 0
; Occupancy: 16
; WaveLimiterHint : 1
; COMPUTE_PGM_RSRC2:SCRATCH_EN: 1
; COMPUTE_PGM_RSRC2:USER_SGPR: 2
; COMPUTE_PGM_RSRC2:TRAP_HANDLER: 0
; COMPUTE_PGM_RSRC2:TGID_X_EN: 1
; COMPUTE_PGM_RSRC2:TGID_Y_EN: 0
; COMPUTE_PGM_RSRC2:TGID_Z_EN: 0
; COMPUTE_PGM_RSRC2:TIDIG_COMP_CNT: 0
	.section	.text._Z39paged_attention_ll4mi_QKV_mfma16_kernelI14__hip_bfloat16hLN4vllm18Fp8KVCacheDataTypeE1ES0_Li32ELi64ELi256ELb1ELi6EEvPKT_PKT0_S8_ifPKiSA_SA_iPKfiiiPfSD_PS3_PT2_iSC_SC_,"axG",@progbits,_Z39paged_attention_ll4mi_QKV_mfma16_kernelI14__hip_bfloat16hLN4vllm18Fp8KVCacheDataTypeE1ES0_Li32ELi64ELi256ELb1ELi6EEvPKT_PKT0_S8_ifPKiSA_SA_iPKfiiiPfSD_PS3_PT2_iSC_SC_,comdat
	.protected	_Z39paged_attention_ll4mi_QKV_mfma16_kernelI14__hip_bfloat16hLN4vllm18Fp8KVCacheDataTypeE1ES0_Li32ELi64ELi256ELb1ELi6EEvPKT_PKT0_S8_ifPKiSA_SA_iPKfiiiPfSD_PS3_PT2_iSC_SC_ ; -- Begin function _Z39paged_attention_ll4mi_QKV_mfma16_kernelI14__hip_bfloat16hLN4vllm18Fp8KVCacheDataTypeE1ES0_Li32ELi64ELi256ELb1ELi6EEvPKT_PKT0_S8_ifPKiSA_SA_iPKfiiiPfSD_PS3_PT2_iSC_SC_
	.globl	_Z39paged_attention_ll4mi_QKV_mfma16_kernelI14__hip_bfloat16hLN4vllm18Fp8KVCacheDataTypeE1ES0_Li32ELi64ELi256ELb1ELi6EEvPKT_PKT0_S8_ifPKiSA_SA_iPKfiiiPfSD_PS3_PT2_iSC_SC_
	.p2align	8
	.type	_Z39paged_attention_ll4mi_QKV_mfma16_kernelI14__hip_bfloat16hLN4vllm18Fp8KVCacheDataTypeE1ES0_Li32ELi64ELi256ELb1ELi6EEvPKT_PKT0_S8_ifPKiSA_SA_iPKfiiiPfSD_PS3_PT2_iSC_SC_,@function
_Z39paged_attention_ll4mi_QKV_mfma16_kernelI14__hip_bfloat16hLN4vllm18Fp8KVCacheDataTypeE1ES0_Li32ELi64ELi256ELb1ELi6EEvPKT_PKT0_S8_ifPKiSA_SA_iPKfiiiPfSD_PS3_PT2_iSC_SC_: ; @_Z39paged_attention_ll4mi_QKV_mfma16_kernelI14__hip_bfloat16hLN4vllm18Fp8KVCacheDataTypeE1ES0_Li32ELi64ELi256ELb1ELi6EEvPKT_PKT0_S8_ifPKiSA_SA_iPKfiiiPfSD_PS3_PT2_iSC_SC_
; %bb.0:
	s_get_pc_i64 s[2:3]
	s_add_nc_u64 s[2:3], s[2:3], __PRETTY_FUNCTION__._Z39paged_attention_ll4mi_QKV_mfma16_kernelI14__hip_bfloat16hLN4vllm18Fp8KVCacheDataTypeE1ES0_Li32ELi64ELi256ELb1ELi6EEvPKT_PKT0_S8_ifPKiSA_SA_iPKfiiiPfSD_PS3_PT2_iSC_SC_@rel64+4
	s_delay_alu instid0(SALU_CYCLE_1)
	v_dual_mov_b32 v0, 0xbb3 :: v_dual_mov_b32 v1, s2
	v_mov_b32_e32 v2, s3
	s_add_nc_u64 s[8:9], s[0:1], 0x90
	s_get_pc_i64 s[0:1]
	s_add_nc_u64 s[0:1], s[0:1], __assert_fail@rel64+4
	s_mov_b32 s32, 0
	s_swap_pc_i64 s[30:31], s[0:1]
	.section	.rodata,"a",@progbits
	.p2align	6, 0x0
	.amdhsa_kernel _Z39paged_attention_ll4mi_QKV_mfma16_kernelI14__hip_bfloat16hLN4vllm18Fp8KVCacheDataTypeE1ES0_Li32ELi64ELi256ELb1ELi6EEvPKT_PKT0_S8_ifPKiSA_SA_iPKfiiiPfSD_PS3_PT2_iSC_SC_
		.amdhsa_group_segment_fixed_size 0
		.amdhsa_private_segment_fixed_size 64
		.amdhsa_kernarg_size 400
		.amdhsa_user_sgpr_count 2
		.amdhsa_user_sgpr_dispatch_ptr 0
		.amdhsa_user_sgpr_queue_ptr 0
		.amdhsa_user_sgpr_kernarg_segment_ptr 1
		.amdhsa_user_sgpr_dispatch_id 0
		.amdhsa_user_sgpr_kernarg_preload_length 0
		.amdhsa_user_sgpr_kernarg_preload_offset 0
		.amdhsa_user_sgpr_private_segment_size 0
		.amdhsa_wavefront_size32 1
		.amdhsa_uses_dynamic_stack 0
		.amdhsa_enable_private_segment 1
		.amdhsa_system_sgpr_workgroup_id_x 1
		.amdhsa_system_sgpr_workgroup_id_y 0
		.amdhsa_system_sgpr_workgroup_id_z 0
		.amdhsa_system_sgpr_workgroup_info 0
		.amdhsa_system_vgpr_workitem_id 0
		.amdhsa_next_free_vgpr 51
		.amdhsa_next_free_sgpr 34
		.amdhsa_named_barrier_count 0
		.amdhsa_reserve_vcc 1
		.amdhsa_float_round_mode_32 0
		.amdhsa_float_round_mode_16_64 0
		.amdhsa_float_denorm_mode_32 3
		.amdhsa_float_denorm_mode_16_64 3
		.amdhsa_fp16_overflow 0
		.amdhsa_memory_ordered 1
		.amdhsa_forward_progress 1
		.amdhsa_inst_pref_size 1
		.amdhsa_round_robin_scheduling 0
		.amdhsa_exception_fp_ieee_invalid_op 0
		.amdhsa_exception_fp_denorm_src 0
		.amdhsa_exception_fp_ieee_div_zero 0
		.amdhsa_exception_fp_ieee_overflow 0
		.amdhsa_exception_fp_ieee_underflow 0
		.amdhsa_exception_fp_ieee_inexact 0
		.amdhsa_exception_int_div_zero 0
	.end_amdhsa_kernel
	.section	.text._Z39paged_attention_ll4mi_QKV_mfma16_kernelI14__hip_bfloat16hLN4vllm18Fp8KVCacheDataTypeE1ES0_Li32ELi64ELi256ELb1ELi6EEvPKT_PKT0_S8_ifPKiSA_SA_iPKfiiiPfSD_PS3_PT2_iSC_SC_,"axG",@progbits,_Z39paged_attention_ll4mi_QKV_mfma16_kernelI14__hip_bfloat16hLN4vllm18Fp8KVCacheDataTypeE1ES0_Li32ELi64ELi256ELb1ELi6EEvPKT_PKT0_S8_ifPKiSA_SA_iPKfiiiPfSD_PS3_PT2_iSC_SC_,comdat
.Lfunc_end1215:
	.size	_Z39paged_attention_ll4mi_QKV_mfma16_kernelI14__hip_bfloat16hLN4vllm18Fp8KVCacheDataTypeE1ES0_Li32ELi64ELi256ELb1ELi6EEvPKT_PKT0_S8_ifPKiSA_SA_iPKfiiiPfSD_PS3_PT2_iSC_SC_, .Lfunc_end1215-_Z39paged_attention_ll4mi_QKV_mfma16_kernelI14__hip_bfloat16hLN4vllm18Fp8KVCacheDataTypeE1ES0_Li32ELi64ELi256ELb1ELi6EEvPKT_PKT0_S8_ifPKiSA_SA_iPKfiiiPfSD_PS3_PT2_iSC_SC_
                                        ; -- End function
	.set _Z39paged_attention_ll4mi_QKV_mfma16_kernelI14__hip_bfloat16hLN4vllm18Fp8KVCacheDataTypeE1ES0_Li32ELi64ELi256ELb1ELi6EEvPKT_PKT0_S8_ifPKiSA_SA_iPKfiiiPfSD_PS3_PT2_iSC_SC_.num_vgpr, max(3, .L__assert_fail.num_vgpr)
	.set _Z39paged_attention_ll4mi_QKV_mfma16_kernelI14__hip_bfloat16hLN4vllm18Fp8KVCacheDataTypeE1ES0_Li32ELi64ELi256ELb1ELi6EEvPKT_PKT0_S8_ifPKiSA_SA_iPKfiiiPfSD_PS3_PT2_iSC_SC_.num_agpr, max(0, .L__assert_fail.num_agpr)
	.set _Z39paged_attention_ll4mi_QKV_mfma16_kernelI14__hip_bfloat16hLN4vllm18Fp8KVCacheDataTypeE1ES0_Li32ELi64ELi256ELb1ELi6EEvPKT_PKT0_S8_ifPKiSA_SA_iPKfiiiPfSD_PS3_PT2_iSC_SC_.numbered_sgpr, max(33, .L__assert_fail.numbered_sgpr)
	.set _Z39paged_attention_ll4mi_QKV_mfma16_kernelI14__hip_bfloat16hLN4vllm18Fp8KVCacheDataTypeE1ES0_Li32ELi64ELi256ELb1ELi6EEvPKT_PKT0_S8_ifPKiSA_SA_iPKfiiiPfSD_PS3_PT2_iSC_SC_.num_named_barrier, max(0, .L__assert_fail.num_named_barrier)
	.set _Z39paged_attention_ll4mi_QKV_mfma16_kernelI14__hip_bfloat16hLN4vllm18Fp8KVCacheDataTypeE1ES0_Li32ELi64ELi256ELb1ELi6EEvPKT_PKT0_S8_ifPKiSA_SA_iPKfiiiPfSD_PS3_PT2_iSC_SC_.private_seg_size, 0+max(.L__assert_fail.private_seg_size)
	.set _Z39paged_attention_ll4mi_QKV_mfma16_kernelI14__hip_bfloat16hLN4vllm18Fp8KVCacheDataTypeE1ES0_Li32ELi64ELi256ELb1ELi6EEvPKT_PKT0_S8_ifPKiSA_SA_iPKfiiiPfSD_PS3_PT2_iSC_SC_.uses_vcc, or(1, .L__assert_fail.uses_vcc)
	.set _Z39paged_attention_ll4mi_QKV_mfma16_kernelI14__hip_bfloat16hLN4vllm18Fp8KVCacheDataTypeE1ES0_Li32ELi64ELi256ELb1ELi6EEvPKT_PKT0_S8_ifPKiSA_SA_iPKfiiiPfSD_PS3_PT2_iSC_SC_.uses_flat_scratch, or(0, .L__assert_fail.uses_flat_scratch)
	.set _Z39paged_attention_ll4mi_QKV_mfma16_kernelI14__hip_bfloat16hLN4vllm18Fp8KVCacheDataTypeE1ES0_Li32ELi64ELi256ELb1ELi6EEvPKT_PKT0_S8_ifPKiSA_SA_iPKfiiiPfSD_PS3_PT2_iSC_SC_.has_dyn_sized_stack, or(0, .L__assert_fail.has_dyn_sized_stack)
	.set _Z39paged_attention_ll4mi_QKV_mfma16_kernelI14__hip_bfloat16hLN4vllm18Fp8KVCacheDataTypeE1ES0_Li32ELi64ELi256ELb1ELi6EEvPKT_PKT0_S8_ifPKiSA_SA_iPKfiiiPfSD_PS3_PT2_iSC_SC_.has_recursion, or(0, .L__assert_fail.has_recursion)
	.set _Z39paged_attention_ll4mi_QKV_mfma16_kernelI14__hip_bfloat16hLN4vllm18Fp8KVCacheDataTypeE1ES0_Li32ELi64ELi256ELb1ELi6EEvPKT_PKT0_S8_ifPKiSA_SA_iPKfiiiPfSD_PS3_PT2_iSC_SC_.has_indirect_call, or(0, .L__assert_fail.has_indirect_call)
	.section	.AMDGPU.csdata,"",@progbits
; Kernel info:
; codeLenInByte = 68
; TotalNumSgprs: 36
; NumVgprs: 51
; ScratchSize: 64
; MemoryBound: 0
; FloatMode: 240
; IeeeMode: 1
; LDSByteSize: 0 bytes/workgroup (compile time only)
; SGPRBlocks: 0
; VGPRBlocks: 3
; NumSGPRsForWavesPerEU: 36
; NumVGPRsForWavesPerEU: 51
; NamedBarCnt: 0
; Occupancy: 16
; WaveLimiterHint : 1
; COMPUTE_PGM_RSRC2:SCRATCH_EN: 1
; COMPUTE_PGM_RSRC2:USER_SGPR: 2
; COMPUTE_PGM_RSRC2:TRAP_HANDLER: 0
; COMPUTE_PGM_RSRC2:TGID_X_EN: 1
; COMPUTE_PGM_RSRC2:TGID_Y_EN: 0
; COMPUTE_PGM_RSRC2:TGID_Z_EN: 0
; COMPUTE_PGM_RSRC2:TIDIG_COMP_CNT: 0
	.section	.text._Z39paged_attention_ll4mi_QKV_mfma16_kernelI14__hip_bfloat16hLN4vllm18Fp8KVCacheDataTypeE1ES0_Li32ELi64ELi256ELb1ELi7EEvPKT_PKT0_S8_ifPKiSA_SA_iPKfiiiPfSD_PS3_PT2_iSC_SC_,"axG",@progbits,_Z39paged_attention_ll4mi_QKV_mfma16_kernelI14__hip_bfloat16hLN4vllm18Fp8KVCacheDataTypeE1ES0_Li32ELi64ELi256ELb1ELi7EEvPKT_PKT0_S8_ifPKiSA_SA_iPKfiiiPfSD_PS3_PT2_iSC_SC_,comdat
	.protected	_Z39paged_attention_ll4mi_QKV_mfma16_kernelI14__hip_bfloat16hLN4vllm18Fp8KVCacheDataTypeE1ES0_Li32ELi64ELi256ELb1ELi7EEvPKT_PKT0_S8_ifPKiSA_SA_iPKfiiiPfSD_PS3_PT2_iSC_SC_ ; -- Begin function _Z39paged_attention_ll4mi_QKV_mfma16_kernelI14__hip_bfloat16hLN4vllm18Fp8KVCacheDataTypeE1ES0_Li32ELi64ELi256ELb1ELi7EEvPKT_PKT0_S8_ifPKiSA_SA_iPKfiiiPfSD_PS3_PT2_iSC_SC_
	.globl	_Z39paged_attention_ll4mi_QKV_mfma16_kernelI14__hip_bfloat16hLN4vllm18Fp8KVCacheDataTypeE1ES0_Li32ELi64ELi256ELb1ELi7EEvPKT_PKT0_S8_ifPKiSA_SA_iPKfiiiPfSD_PS3_PT2_iSC_SC_
	.p2align	8
	.type	_Z39paged_attention_ll4mi_QKV_mfma16_kernelI14__hip_bfloat16hLN4vllm18Fp8KVCacheDataTypeE1ES0_Li32ELi64ELi256ELb1ELi7EEvPKT_PKT0_S8_ifPKiSA_SA_iPKfiiiPfSD_PS3_PT2_iSC_SC_,@function
_Z39paged_attention_ll4mi_QKV_mfma16_kernelI14__hip_bfloat16hLN4vllm18Fp8KVCacheDataTypeE1ES0_Li32ELi64ELi256ELb1ELi7EEvPKT_PKT0_S8_ifPKiSA_SA_iPKfiiiPfSD_PS3_PT2_iSC_SC_: ; @_Z39paged_attention_ll4mi_QKV_mfma16_kernelI14__hip_bfloat16hLN4vllm18Fp8KVCacheDataTypeE1ES0_Li32ELi64ELi256ELb1ELi7EEvPKT_PKT0_S8_ifPKiSA_SA_iPKfiiiPfSD_PS3_PT2_iSC_SC_
; %bb.0:
	s_get_pc_i64 s[2:3]
	s_add_nc_u64 s[2:3], s[2:3], __PRETTY_FUNCTION__._Z39paged_attention_ll4mi_QKV_mfma16_kernelI14__hip_bfloat16hLN4vllm18Fp8KVCacheDataTypeE1ES0_Li32ELi64ELi256ELb1ELi7EEvPKT_PKT0_S8_ifPKiSA_SA_iPKfiiiPfSD_PS3_PT2_iSC_SC_@rel64+4
	s_delay_alu instid0(SALU_CYCLE_1)
	v_dual_mov_b32 v0, 0xbb3 :: v_dual_mov_b32 v1, s2
	v_mov_b32_e32 v2, s3
	s_add_nc_u64 s[8:9], s[0:1], 0x90
	s_get_pc_i64 s[0:1]
	s_add_nc_u64 s[0:1], s[0:1], __assert_fail@rel64+4
	s_mov_b32 s32, 0
	s_swap_pc_i64 s[30:31], s[0:1]
	.section	.rodata,"a",@progbits
	.p2align	6, 0x0
	.amdhsa_kernel _Z39paged_attention_ll4mi_QKV_mfma16_kernelI14__hip_bfloat16hLN4vllm18Fp8KVCacheDataTypeE1ES0_Li32ELi64ELi256ELb1ELi7EEvPKT_PKT0_S8_ifPKiSA_SA_iPKfiiiPfSD_PS3_PT2_iSC_SC_
		.amdhsa_group_segment_fixed_size 0
		.amdhsa_private_segment_fixed_size 64
		.amdhsa_kernarg_size 400
		.amdhsa_user_sgpr_count 2
		.amdhsa_user_sgpr_dispatch_ptr 0
		.amdhsa_user_sgpr_queue_ptr 0
		.amdhsa_user_sgpr_kernarg_segment_ptr 1
		.amdhsa_user_sgpr_dispatch_id 0
		.amdhsa_user_sgpr_kernarg_preload_length 0
		.amdhsa_user_sgpr_kernarg_preload_offset 0
		.amdhsa_user_sgpr_private_segment_size 0
		.amdhsa_wavefront_size32 1
		.amdhsa_uses_dynamic_stack 0
		.amdhsa_enable_private_segment 1
		.amdhsa_system_sgpr_workgroup_id_x 1
		.amdhsa_system_sgpr_workgroup_id_y 0
		.amdhsa_system_sgpr_workgroup_id_z 0
		.amdhsa_system_sgpr_workgroup_info 0
		.amdhsa_system_vgpr_workitem_id 0
		.amdhsa_next_free_vgpr 51
		.amdhsa_next_free_sgpr 34
		.amdhsa_named_barrier_count 0
		.amdhsa_reserve_vcc 1
		.amdhsa_float_round_mode_32 0
		.amdhsa_float_round_mode_16_64 0
		.amdhsa_float_denorm_mode_32 3
		.amdhsa_float_denorm_mode_16_64 3
		.amdhsa_fp16_overflow 0
		.amdhsa_memory_ordered 1
		.amdhsa_forward_progress 1
		.amdhsa_inst_pref_size 1
		.amdhsa_round_robin_scheduling 0
		.amdhsa_exception_fp_ieee_invalid_op 0
		.amdhsa_exception_fp_denorm_src 0
		.amdhsa_exception_fp_ieee_div_zero 0
		.amdhsa_exception_fp_ieee_overflow 0
		.amdhsa_exception_fp_ieee_underflow 0
		.amdhsa_exception_fp_ieee_inexact 0
		.amdhsa_exception_int_div_zero 0
	.end_amdhsa_kernel
	.section	.text._Z39paged_attention_ll4mi_QKV_mfma16_kernelI14__hip_bfloat16hLN4vllm18Fp8KVCacheDataTypeE1ES0_Li32ELi64ELi256ELb1ELi7EEvPKT_PKT0_S8_ifPKiSA_SA_iPKfiiiPfSD_PS3_PT2_iSC_SC_,"axG",@progbits,_Z39paged_attention_ll4mi_QKV_mfma16_kernelI14__hip_bfloat16hLN4vllm18Fp8KVCacheDataTypeE1ES0_Li32ELi64ELi256ELb1ELi7EEvPKT_PKT0_S8_ifPKiSA_SA_iPKfiiiPfSD_PS3_PT2_iSC_SC_,comdat
.Lfunc_end1216:
	.size	_Z39paged_attention_ll4mi_QKV_mfma16_kernelI14__hip_bfloat16hLN4vllm18Fp8KVCacheDataTypeE1ES0_Li32ELi64ELi256ELb1ELi7EEvPKT_PKT0_S8_ifPKiSA_SA_iPKfiiiPfSD_PS3_PT2_iSC_SC_, .Lfunc_end1216-_Z39paged_attention_ll4mi_QKV_mfma16_kernelI14__hip_bfloat16hLN4vllm18Fp8KVCacheDataTypeE1ES0_Li32ELi64ELi256ELb1ELi7EEvPKT_PKT0_S8_ifPKiSA_SA_iPKfiiiPfSD_PS3_PT2_iSC_SC_
                                        ; -- End function
	.set _Z39paged_attention_ll4mi_QKV_mfma16_kernelI14__hip_bfloat16hLN4vllm18Fp8KVCacheDataTypeE1ES0_Li32ELi64ELi256ELb1ELi7EEvPKT_PKT0_S8_ifPKiSA_SA_iPKfiiiPfSD_PS3_PT2_iSC_SC_.num_vgpr, max(3, .L__assert_fail.num_vgpr)
	.set _Z39paged_attention_ll4mi_QKV_mfma16_kernelI14__hip_bfloat16hLN4vllm18Fp8KVCacheDataTypeE1ES0_Li32ELi64ELi256ELb1ELi7EEvPKT_PKT0_S8_ifPKiSA_SA_iPKfiiiPfSD_PS3_PT2_iSC_SC_.num_agpr, max(0, .L__assert_fail.num_agpr)
	.set _Z39paged_attention_ll4mi_QKV_mfma16_kernelI14__hip_bfloat16hLN4vllm18Fp8KVCacheDataTypeE1ES0_Li32ELi64ELi256ELb1ELi7EEvPKT_PKT0_S8_ifPKiSA_SA_iPKfiiiPfSD_PS3_PT2_iSC_SC_.numbered_sgpr, max(33, .L__assert_fail.numbered_sgpr)
	.set _Z39paged_attention_ll4mi_QKV_mfma16_kernelI14__hip_bfloat16hLN4vllm18Fp8KVCacheDataTypeE1ES0_Li32ELi64ELi256ELb1ELi7EEvPKT_PKT0_S8_ifPKiSA_SA_iPKfiiiPfSD_PS3_PT2_iSC_SC_.num_named_barrier, max(0, .L__assert_fail.num_named_barrier)
	.set _Z39paged_attention_ll4mi_QKV_mfma16_kernelI14__hip_bfloat16hLN4vllm18Fp8KVCacheDataTypeE1ES0_Li32ELi64ELi256ELb1ELi7EEvPKT_PKT0_S8_ifPKiSA_SA_iPKfiiiPfSD_PS3_PT2_iSC_SC_.private_seg_size, 0+max(.L__assert_fail.private_seg_size)
	.set _Z39paged_attention_ll4mi_QKV_mfma16_kernelI14__hip_bfloat16hLN4vllm18Fp8KVCacheDataTypeE1ES0_Li32ELi64ELi256ELb1ELi7EEvPKT_PKT0_S8_ifPKiSA_SA_iPKfiiiPfSD_PS3_PT2_iSC_SC_.uses_vcc, or(1, .L__assert_fail.uses_vcc)
	.set _Z39paged_attention_ll4mi_QKV_mfma16_kernelI14__hip_bfloat16hLN4vllm18Fp8KVCacheDataTypeE1ES0_Li32ELi64ELi256ELb1ELi7EEvPKT_PKT0_S8_ifPKiSA_SA_iPKfiiiPfSD_PS3_PT2_iSC_SC_.uses_flat_scratch, or(0, .L__assert_fail.uses_flat_scratch)
	.set _Z39paged_attention_ll4mi_QKV_mfma16_kernelI14__hip_bfloat16hLN4vllm18Fp8KVCacheDataTypeE1ES0_Li32ELi64ELi256ELb1ELi7EEvPKT_PKT0_S8_ifPKiSA_SA_iPKfiiiPfSD_PS3_PT2_iSC_SC_.has_dyn_sized_stack, or(0, .L__assert_fail.has_dyn_sized_stack)
	.set _Z39paged_attention_ll4mi_QKV_mfma16_kernelI14__hip_bfloat16hLN4vllm18Fp8KVCacheDataTypeE1ES0_Li32ELi64ELi256ELb1ELi7EEvPKT_PKT0_S8_ifPKiSA_SA_iPKfiiiPfSD_PS3_PT2_iSC_SC_.has_recursion, or(0, .L__assert_fail.has_recursion)
	.set _Z39paged_attention_ll4mi_QKV_mfma16_kernelI14__hip_bfloat16hLN4vllm18Fp8KVCacheDataTypeE1ES0_Li32ELi64ELi256ELb1ELi7EEvPKT_PKT0_S8_ifPKiSA_SA_iPKfiiiPfSD_PS3_PT2_iSC_SC_.has_indirect_call, or(0, .L__assert_fail.has_indirect_call)
	.section	.AMDGPU.csdata,"",@progbits
; Kernel info:
; codeLenInByte = 68
; TotalNumSgprs: 36
; NumVgprs: 51
; ScratchSize: 64
; MemoryBound: 0
; FloatMode: 240
; IeeeMode: 1
; LDSByteSize: 0 bytes/workgroup (compile time only)
; SGPRBlocks: 0
; VGPRBlocks: 3
; NumSGPRsForWavesPerEU: 36
; NumVGPRsForWavesPerEU: 51
; NamedBarCnt: 0
; Occupancy: 16
; WaveLimiterHint : 1
; COMPUTE_PGM_RSRC2:SCRATCH_EN: 1
; COMPUTE_PGM_RSRC2:USER_SGPR: 2
; COMPUTE_PGM_RSRC2:TRAP_HANDLER: 0
; COMPUTE_PGM_RSRC2:TGID_X_EN: 1
; COMPUTE_PGM_RSRC2:TGID_Y_EN: 0
; COMPUTE_PGM_RSRC2:TGID_Z_EN: 0
; COMPUTE_PGM_RSRC2:TIDIG_COMP_CNT: 0
	.section	.text._Z39paged_attention_ll4mi_QKV_mfma16_kernelI14__hip_bfloat16hLN4vllm18Fp8KVCacheDataTypeE1ES0_Li32ELi64ELi256ELb1ELi8EEvPKT_PKT0_S8_ifPKiSA_SA_iPKfiiiPfSD_PS3_PT2_iSC_SC_,"axG",@progbits,_Z39paged_attention_ll4mi_QKV_mfma16_kernelI14__hip_bfloat16hLN4vllm18Fp8KVCacheDataTypeE1ES0_Li32ELi64ELi256ELb1ELi8EEvPKT_PKT0_S8_ifPKiSA_SA_iPKfiiiPfSD_PS3_PT2_iSC_SC_,comdat
	.protected	_Z39paged_attention_ll4mi_QKV_mfma16_kernelI14__hip_bfloat16hLN4vllm18Fp8KVCacheDataTypeE1ES0_Li32ELi64ELi256ELb1ELi8EEvPKT_PKT0_S8_ifPKiSA_SA_iPKfiiiPfSD_PS3_PT2_iSC_SC_ ; -- Begin function _Z39paged_attention_ll4mi_QKV_mfma16_kernelI14__hip_bfloat16hLN4vllm18Fp8KVCacheDataTypeE1ES0_Li32ELi64ELi256ELb1ELi8EEvPKT_PKT0_S8_ifPKiSA_SA_iPKfiiiPfSD_PS3_PT2_iSC_SC_
	.globl	_Z39paged_attention_ll4mi_QKV_mfma16_kernelI14__hip_bfloat16hLN4vllm18Fp8KVCacheDataTypeE1ES0_Li32ELi64ELi256ELb1ELi8EEvPKT_PKT0_S8_ifPKiSA_SA_iPKfiiiPfSD_PS3_PT2_iSC_SC_
	.p2align	8
	.type	_Z39paged_attention_ll4mi_QKV_mfma16_kernelI14__hip_bfloat16hLN4vllm18Fp8KVCacheDataTypeE1ES0_Li32ELi64ELi256ELb1ELi8EEvPKT_PKT0_S8_ifPKiSA_SA_iPKfiiiPfSD_PS3_PT2_iSC_SC_,@function
_Z39paged_attention_ll4mi_QKV_mfma16_kernelI14__hip_bfloat16hLN4vllm18Fp8KVCacheDataTypeE1ES0_Li32ELi64ELi256ELb1ELi8EEvPKT_PKT0_S8_ifPKiSA_SA_iPKfiiiPfSD_PS3_PT2_iSC_SC_: ; @_Z39paged_attention_ll4mi_QKV_mfma16_kernelI14__hip_bfloat16hLN4vllm18Fp8KVCacheDataTypeE1ES0_Li32ELi64ELi256ELb1ELi8EEvPKT_PKT0_S8_ifPKiSA_SA_iPKfiiiPfSD_PS3_PT2_iSC_SC_
; %bb.0:
	s_get_pc_i64 s[2:3]
	s_add_nc_u64 s[2:3], s[2:3], __PRETTY_FUNCTION__._Z39paged_attention_ll4mi_QKV_mfma16_kernelI14__hip_bfloat16hLN4vllm18Fp8KVCacheDataTypeE1ES0_Li32ELi64ELi256ELb1ELi8EEvPKT_PKT0_S8_ifPKiSA_SA_iPKfiiiPfSD_PS3_PT2_iSC_SC_@rel64+4
	s_delay_alu instid0(SALU_CYCLE_1)
	v_dual_mov_b32 v0, 0xbb3 :: v_dual_mov_b32 v1, s2
	v_mov_b32_e32 v2, s3
	s_add_nc_u64 s[8:9], s[0:1], 0x90
	s_get_pc_i64 s[0:1]
	s_add_nc_u64 s[0:1], s[0:1], __assert_fail@rel64+4
	s_mov_b32 s32, 0
	s_swap_pc_i64 s[30:31], s[0:1]
	.section	.rodata,"a",@progbits
	.p2align	6, 0x0
	.amdhsa_kernel _Z39paged_attention_ll4mi_QKV_mfma16_kernelI14__hip_bfloat16hLN4vllm18Fp8KVCacheDataTypeE1ES0_Li32ELi64ELi256ELb1ELi8EEvPKT_PKT0_S8_ifPKiSA_SA_iPKfiiiPfSD_PS3_PT2_iSC_SC_
		.amdhsa_group_segment_fixed_size 0
		.amdhsa_private_segment_fixed_size 64
		.amdhsa_kernarg_size 400
		.amdhsa_user_sgpr_count 2
		.amdhsa_user_sgpr_dispatch_ptr 0
		.amdhsa_user_sgpr_queue_ptr 0
		.amdhsa_user_sgpr_kernarg_segment_ptr 1
		.amdhsa_user_sgpr_dispatch_id 0
		.amdhsa_user_sgpr_kernarg_preload_length 0
		.amdhsa_user_sgpr_kernarg_preload_offset 0
		.amdhsa_user_sgpr_private_segment_size 0
		.amdhsa_wavefront_size32 1
		.amdhsa_uses_dynamic_stack 0
		.amdhsa_enable_private_segment 1
		.amdhsa_system_sgpr_workgroup_id_x 1
		.amdhsa_system_sgpr_workgroup_id_y 0
		.amdhsa_system_sgpr_workgroup_id_z 0
		.amdhsa_system_sgpr_workgroup_info 0
		.amdhsa_system_vgpr_workitem_id 0
		.amdhsa_next_free_vgpr 51
		.amdhsa_next_free_sgpr 34
		.amdhsa_named_barrier_count 0
		.amdhsa_reserve_vcc 1
		.amdhsa_float_round_mode_32 0
		.amdhsa_float_round_mode_16_64 0
		.amdhsa_float_denorm_mode_32 3
		.amdhsa_float_denorm_mode_16_64 3
		.amdhsa_fp16_overflow 0
		.amdhsa_memory_ordered 1
		.amdhsa_forward_progress 1
		.amdhsa_inst_pref_size 1
		.amdhsa_round_robin_scheduling 0
		.amdhsa_exception_fp_ieee_invalid_op 0
		.amdhsa_exception_fp_denorm_src 0
		.amdhsa_exception_fp_ieee_div_zero 0
		.amdhsa_exception_fp_ieee_overflow 0
		.amdhsa_exception_fp_ieee_underflow 0
		.amdhsa_exception_fp_ieee_inexact 0
		.amdhsa_exception_int_div_zero 0
	.end_amdhsa_kernel
	.section	.text._Z39paged_attention_ll4mi_QKV_mfma16_kernelI14__hip_bfloat16hLN4vllm18Fp8KVCacheDataTypeE1ES0_Li32ELi64ELi256ELb1ELi8EEvPKT_PKT0_S8_ifPKiSA_SA_iPKfiiiPfSD_PS3_PT2_iSC_SC_,"axG",@progbits,_Z39paged_attention_ll4mi_QKV_mfma16_kernelI14__hip_bfloat16hLN4vllm18Fp8KVCacheDataTypeE1ES0_Li32ELi64ELi256ELb1ELi8EEvPKT_PKT0_S8_ifPKiSA_SA_iPKfiiiPfSD_PS3_PT2_iSC_SC_,comdat
.Lfunc_end1217:
	.size	_Z39paged_attention_ll4mi_QKV_mfma16_kernelI14__hip_bfloat16hLN4vllm18Fp8KVCacheDataTypeE1ES0_Li32ELi64ELi256ELb1ELi8EEvPKT_PKT0_S8_ifPKiSA_SA_iPKfiiiPfSD_PS3_PT2_iSC_SC_, .Lfunc_end1217-_Z39paged_attention_ll4mi_QKV_mfma16_kernelI14__hip_bfloat16hLN4vllm18Fp8KVCacheDataTypeE1ES0_Li32ELi64ELi256ELb1ELi8EEvPKT_PKT0_S8_ifPKiSA_SA_iPKfiiiPfSD_PS3_PT2_iSC_SC_
                                        ; -- End function
	.set _Z39paged_attention_ll4mi_QKV_mfma16_kernelI14__hip_bfloat16hLN4vllm18Fp8KVCacheDataTypeE1ES0_Li32ELi64ELi256ELb1ELi8EEvPKT_PKT0_S8_ifPKiSA_SA_iPKfiiiPfSD_PS3_PT2_iSC_SC_.num_vgpr, max(3, .L__assert_fail.num_vgpr)
	.set _Z39paged_attention_ll4mi_QKV_mfma16_kernelI14__hip_bfloat16hLN4vllm18Fp8KVCacheDataTypeE1ES0_Li32ELi64ELi256ELb1ELi8EEvPKT_PKT0_S8_ifPKiSA_SA_iPKfiiiPfSD_PS3_PT2_iSC_SC_.num_agpr, max(0, .L__assert_fail.num_agpr)
	.set _Z39paged_attention_ll4mi_QKV_mfma16_kernelI14__hip_bfloat16hLN4vllm18Fp8KVCacheDataTypeE1ES0_Li32ELi64ELi256ELb1ELi8EEvPKT_PKT0_S8_ifPKiSA_SA_iPKfiiiPfSD_PS3_PT2_iSC_SC_.numbered_sgpr, max(33, .L__assert_fail.numbered_sgpr)
	.set _Z39paged_attention_ll4mi_QKV_mfma16_kernelI14__hip_bfloat16hLN4vllm18Fp8KVCacheDataTypeE1ES0_Li32ELi64ELi256ELb1ELi8EEvPKT_PKT0_S8_ifPKiSA_SA_iPKfiiiPfSD_PS3_PT2_iSC_SC_.num_named_barrier, max(0, .L__assert_fail.num_named_barrier)
	.set _Z39paged_attention_ll4mi_QKV_mfma16_kernelI14__hip_bfloat16hLN4vllm18Fp8KVCacheDataTypeE1ES0_Li32ELi64ELi256ELb1ELi8EEvPKT_PKT0_S8_ifPKiSA_SA_iPKfiiiPfSD_PS3_PT2_iSC_SC_.private_seg_size, 0+max(.L__assert_fail.private_seg_size)
	.set _Z39paged_attention_ll4mi_QKV_mfma16_kernelI14__hip_bfloat16hLN4vllm18Fp8KVCacheDataTypeE1ES0_Li32ELi64ELi256ELb1ELi8EEvPKT_PKT0_S8_ifPKiSA_SA_iPKfiiiPfSD_PS3_PT2_iSC_SC_.uses_vcc, or(1, .L__assert_fail.uses_vcc)
	.set _Z39paged_attention_ll4mi_QKV_mfma16_kernelI14__hip_bfloat16hLN4vllm18Fp8KVCacheDataTypeE1ES0_Li32ELi64ELi256ELb1ELi8EEvPKT_PKT0_S8_ifPKiSA_SA_iPKfiiiPfSD_PS3_PT2_iSC_SC_.uses_flat_scratch, or(0, .L__assert_fail.uses_flat_scratch)
	.set _Z39paged_attention_ll4mi_QKV_mfma16_kernelI14__hip_bfloat16hLN4vllm18Fp8KVCacheDataTypeE1ES0_Li32ELi64ELi256ELb1ELi8EEvPKT_PKT0_S8_ifPKiSA_SA_iPKfiiiPfSD_PS3_PT2_iSC_SC_.has_dyn_sized_stack, or(0, .L__assert_fail.has_dyn_sized_stack)
	.set _Z39paged_attention_ll4mi_QKV_mfma16_kernelI14__hip_bfloat16hLN4vllm18Fp8KVCacheDataTypeE1ES0_Li32ELi64ELi256ELb1ELi8EEvPKT_PKT0_S8_ifPKiSA_SA_iPKfiiiPfSD_PS3_PT2_iSC_SC_.has_recursion, or(0, .L__assert_fail.has_recursion)
	.set _Z39paged_attention_ll4mi_QKV_mfma16_kernelI14__hip_bfloat16hLN4vllm18Fp8KVCacheDataTypeE1ES0_Li32ELi64ELi256ELb1ELi8EEvPKT_PKT0_S8_ifPKiSA_SA_iPKfiiiPfSD_PS3_PT2_iSC_SC_.has_indirect_call, or(0, .L__assert_fail.has_indirect_call)
	.section	.AMDGPU.csdata,"",@progbits
; Kernel info:
; codeLenInByte = 68
; TotalNumSgprs: 36
; NumVgprs: 51
; ScratchSize: 64
; MemoryBound: 0
; FloatMode: 240
; IeeeMode: 1
; LDSByteSize: 0 bytes/workgroup (compile time only)
; SGPRBlocks: 0
; VGPRBlocks: 3
; NumSGPRsForWavesPerEU: 36
; NumVGPRsForWavesPerEU: 51
; NamedBarCnt: 0
; Occupancy: 16
; WaveLimiterHint : 1
; COMPUTE_PGM_RSRC2:SCRATCH_EN: 1
; COMPUTE_PGM_RSRC2:USER_SGPR: 2
; COMPUTE_PGM_RSRC2:TRAP_HANDLER: 0
; COMPUTE_PGM_RSRC2:TGID_X_EN: 1
; COMPUTE_PGM_RSRC2:TGID_Y_EN: 0
; COMPUTE_PGM_RSRC2:TGID_Z_EN: 0
; COMPUTE_PGM_RSRC2:TIDIG_COMP_CNT: 0
	.section	.text._Z39paged_attention_ll4mi_QKV_mfma16_kernelI14__hip_bfloat16hLN4vllm18Fp8KVCacheDataTypeE1ES0_Li32ELi64ELi256ELb1ELi9EEvPKT_PKT0_S8_ifPKiSA_SA_iPKfiiiPfSD_PS3_PT2_iSC_SC_,"axG",@progbits,_Z39paged_attention_ll4mi_QKV_mfma16_kernelI14__hip_bfloat16hLN4vllm18Fp8KVCacheDataTypeE1ES0_Li32ELi64ELi256ELb1ELi9EEvPKT_PKT0_S8_ifPKiSA_SA_iPKfiiiPfSD_PS3_PT2_iSC_SC_,comdat
	.protected	_Z39paged_attention_ll4mi_QKV_mfma16_kernelI14__hip_bfloat16hLN4vllm18Fp8KVCacheDataTypeE1ES0_Li32ELi64ELi256ELb1ELi9EEvPKT_PKT0_S8_ifPKiSA_SA_iPKfiiiPfSD_PS3_PT2_iSC_SC_ ; -- Begin function _Z39paged_attention_ll4mi_QKV_mfma16_kernelI14__hip_bfloat16hLN4vllm18Fp8KVCacheDataTypeE1ES0_Li32ELi64ELi256ELb1ELi9EEvPKT_PKT0_S8_ifPKiSA_SA_iPKfiiiPfSD_PS3_PT2_iSC_SC_
	.globl	_Z39paged_attention_ll4mi_QKV_mfma16_kernelI14__hip_bfloat16hLN4vllm18Fp8KVCacheDataTypeE1ES0_Li32ELi64ELi256ELb1ELi9EEvPKT_PKT0_S8_ifPKiSA_SA_iPKfiiiPfSD_PS3_PT2_iSC_SC_
	.p2align	8
	.type	_Z39paged_attention_ll4mi_QKV_mfma16_kernelI14__hip_bfloat16hLN4vllm18Fp8KVCacheDataTypeE1ES0_Li32ELi64ELi256ELb1ELi9EEvPKT_PKT0_S8_ifPKiSA_SA_iPKfiiiPfSD_PS3_PT2_iSC_SC_,@function
_Z39paged_attention_ll4mi_QKV_mfma16_kernelI14__hip_bfloat16hLN4vllm18Fp8KVCacheDataTypeE1ES0_Li32ELi64ELi256ELb1ELi9EEvPKT_PKT0_S8_ifPKiSA_SA_iPKfiiiPfSD_PS3_PT2_iSC_SC_: ; @_Z39paged_attention_ll4mi_QKV_mfma16_kernelI14__hip_bfloat16hLN4vllm18Fp8KVCacheDataTypeE1ES0_Li32ELi64ELi256ELb1ELi9EEvPKT_PKT0_S8_ifPKiSA_SA_iPKfiiiPfSD_PS3_PT2_iSC_SC_
; %bb.0:
	s_get_pc_i64 s[2:3]
	s_add_nc_u64 s[2:3], s[2:3], __PRETTY_FUNCTION__._Z39paged_attention_ll4mi_QKV_mfma16_kernelI14__hip_bfloat16hLN4vllm18Fp8KVCacheDataTypeE1ES0_Li32ELi64ELi256ELb1ELi9EEvPKT_PKT0_S8_ifPKiSA_SA_iPKfiiiPfSD_PS3_PT2_iSC_SC_@rel64+4
	s_delay_alu instid0(SALU_CYCLE_1)
	v_dual_mov_b32 v0, 0xbb3 :: v_dual_mov_b32 v1, s2
	v_mov_b32_e32 v2, s3
	s_add_nc_u64 s[8:9], s[0:1], 0x90
	s_get_pc_i64 s[0:1]
	s_add_nc_u64 s[0:1], s[0:1], __assert_fail@rel64+4
	s_mov_b32 s32, 0
	s_swap_pc_i64 s[30:31], s[0:1]
	.section	.rodata,"a",@progbits
	.p2align	6, 0x0
	.amdhsa_kernel _Z39paged_attention_ll4mi_QKV_mfma16_kernelI14__hip_bfloat16hLN4vllm18Fp8KVCacheDataTypeE1ES0_Li32ELi64ELi256ELb1ELi9EEvPKT_PKT0_S8_ifPKiSA_SA_iPKfiiiPfSD_PS3_PT2_iSC_SC_
		.amdhsa_group_segment_fixed_size 0
		.amdhsa_private_segment_fixed_size 64
		.amdhsa_kernarg_size 400
		.amdhsa_user_sgpr_count 2
		.amdhsa_user_sgpr_dispatch_ptr 0
		.amdhsa_user_sgpr_queue_ptr 0
		.amdhsa_user_sgpr_kernarg_segment_ptr 1
		.amdhsa_user_sgpr_dispatch_id 0
		.amdhsa_user_sgpr_kernarg_preload_length 0
		.amdhsa_user_sgpr_kernarg_preload_offset 0
		.amdhsa_user_sgpr_private_segment_size 0
		.amdhsa_wavefront_size32 1
		.amdhsa_uses_dynamic_stack 0
		.amdhsa_enable_private_segment 1
		.amdhsa_system_sgpr_workgroup_id_x 1
		.amdhsa_system_sgpr_workgroup_id_y 0
		.amdhsa_system_sgpr_workgroup_id_z 0
		.amdhsa_system_sgpr_workgroup_info 0
		.amdhsa_system_vgpr_workitem_id 0
		.amdhsa_next_free_vgpr 51
		.amdhsa_next_free_sgpr 34
		.amdhsa_named_barrier_count 0
		.amdhsa_reserve_vcc 1
		.amdhsa_float_round_mode_32 0
		.amdhsa_float_round_mode_16_64 0
		.amdhsa_float_denorm_mode_32 3
		.amdhsa_float_denorm_mode_16_64 3
		.amdhsa_fp16_overflow 0
		.amdhsa_memory_ordered 1
		.amdhsa_forward_progress 1
		.amdhsa_inst_pref_size 1
		.amdhsa_round_robin_scheduling 0
		.amdhsa_exception_fp_ieee_invalid_op 0
		.amdhsa_exception_fp_denorm_src 0
		.amdhsa_exception_fp_ieee_div_zero 0
		.amdhsa_exception_fp_ieee_overflow 0
		.amdhsa_exception_fp_ieee_underflow 0
		.amdhsa_exception_fp_ieee_inexact 0
		.amdhsa_exception_int_div_zero 0
	.end_amdhsa_kernel
	.section	.text._Z39paged_attention_ll4mi_QKV_mfma16_kernelI14__hip_bfloat16hLN4vllm18Fp8KVCacheDataTypeE1ES0_Li32ELi64ELi256ELb1ELi9EEvPKT_PKT0_S8_ifPKiSA_SA_iPKfiiiPfSD_PS3_PT2_iSC_SC_,"axG",@progbits,_Z39paged_attention_ll4mi_QKV_mfma16_kernelI14__hip_bfloat16hLN4vllm18Fp8KVCacheDataTypeE1ES0_Li32ELi64ELi256ELb1ELi9EEvPKT_PKT0_S8_ifPKiSA_SA_iPKfiiiPfSD_PS3_PT2_iSC_SC_,comdat
.Lfunc_end1218:
	.size	_Z39paged_attention_ll4mi_QKV_mfma16_kernelI14__hip_bfloat16hLN4vllm18Fp8KVCacheDataTypeE1ES0_Li32ELi64ELi256ELb1ELi9EEvPKT_PKT0_S8_ifPKiSA_SA_iPKfiiiPfSD_PS3_PT2_iSC_SC_, .Lfunc_end1218-_Z39paged_attention_ll4mi_QKV_mfma16_kernelI14__hip_bfloat16hLN4vllm18Fp8KVCacheDataTypeE1ES0_Li32ELi64ELi256ELb1ELi9EEvPKT_PKT0_S8_ifPKiSA_SA_iPKfiiiPfSD_PS3_PT2_iSC_SC_
                                        ; -- End function
	.set _Z39paged_attention_ll4mi_QKV_mfma16_kernelI14__hip_bfloat16hLN4vllm18Fp8KVCacheDataTypeE1ES0_Li32ELi64ELi256ELb1ELi9EEvPKT_PKT0_S8_ifPKiSA_SA_iPKfiiiPfSD_PS3_PT2_iSC_SC_.num_vgpr, max(3, .L__assert_fail.num_vgpr)
	.set _Z39paged_attention_ll4mi_QKV_mfma16_kernelI14__hip_bfloat16hLN4vllm18Fp8KVCacheDataTypeE1ES0_Li32ELi64ELi256ELb1ELi9EEvPKT_PKT0_S8_ifPKiSA_SA_iPKfiiiPfSD_PS3_PT2_iSC_SC_.num_agpr, max(0, .L__assert_fail.num_agpr)
	.set _Z39paged_attention_ll4mi_QKV_mfma16_kernelI14__hip_bfloat16hLN4vllm18Fp8KVCacheDataTypeE1ES0_Li32ELi64ELi256ELb1ELi9EEvPKT_PKT0_S8_ifPKiSA_SA_iPKfiiiPfSD_PS3_PT2_iSC_SC_.numbered_sgpr, max(33, .L__assert_fail.numbered_sgpr)
	.set _Z39paged_attention_ll4mi_QKV_mfma16_kernelI14__hip_bfloat16hLN4vllm18Fp8KVCacheDataTypeE1ES0_Li32ELi64ELi256ELb1ELi9EEvPKT_PKT0_S8_ifPKiSA_SA_iPKfiiiPfSD_PS3_PT2_iSC_SC_.num_named_barrier, max(0, .L__assert_fail.num_named_barrier)
	.set _Z39paged_attention_ll4mi_QKV_mfma16_kernelI14__hip_bfloat16hLN4vllm18Fp8KVCacheDataTypeE1ES0_Li32ELi64ELi256ELb1ELi9EEvPKT_PKT0_S8_ifPKiSA_SA_iPKfiiiPfSD_PS3_PT2_iSC_SC_.private_seg_size, 0+max(.L__assert_fail.private_seg_size)
	.set _Z39paged_attention_ll4mi_QKV_mfma16_kernelI14__hip_bfloat16hLN4vllm18Fp8KVCacheDataTypeE1ES0_Li32ELi64ELi256ELb1ELi9EEvPKT_PKT0_S8_ifPKiSA_SA_iPKfiiiPfSD_PS3_PT2_iSC_SC_.uses_vcc, or(1, .L__assert_fail.uses_vcc)
	.set _Z39paged_attention_ll4mi_QKV_mfma16_kernelI14__hip_bfloat16hLN4vllm18Fp8KVCacheDataTypeE1ES0_Li32ELi64ELi256ELb1ELi9EEvPKT_PKT0_S8_ifPKiSA_SA_iPKfiiiPfSD_PS3_PT2_iSC_SC_.uses_flat_scratch, or(0, .L__assert_fail.uses_flat_scratch)
	.set _Z39paged_attention_ll4mi_QKV_mfma16_kernelI14__hip_bfloat16hLN4vllm18Fp8KVCacheDataTypeE1ES0_Li32ELi64ELi256ELb1ELi9EEvPKT_PKT0_S8_ifPKiSA_SA_iPKfiiiPfSD_PS3_PT2_iSC_SC_.has_dyn_sized_stack, or(0, .L__assert_fail.has_dyn_sized_stack)
	.set _Z39paged_attention_ll4mi_QKV_mfma16_kernelI14__hip_bfloat16hLN4vllm18Fp8KVCacheDataTypeE1ES0_Li32ELi64ELi256ELb1ELi9EEvPKT_PKT0_S8_ifPKiSA_SA_iPKfiiiPfSD_PS3_PT2_iSC_SC_.has_recursion, or(0, .L__assert_fail.has_recursion)
	.set _Z39paged_attention_ll4mi_QKV_mfma16_kernelI14__hip_bfloat16hLN4vllm18Fp8KVCacheDataTypeE1ES0_Li32ELi64ELi256ELb1ELi9EEvPKT_PKT0_S8_ifPKiSA_SA_iPKfiiiPfSD_PS3_PT2_iSC_SC_.has_indirect_call, or(0, .L__assert_fail.has_indirect_call)
	.section	.AMDGPU.csdata,"",@progbits
; Kernel info:
; codeLenInByte = 68
; TotalNumSgprs: 36
; NumVgprs: 51
; ScratchSize: 64
; MemoryBound: 0
; FloatMode: 240
; IeeeMode: 1
; LDSByteSize: 0 bytes/workgroup (compile time only)
; SGPRBlocks: 0
; VGPRBlocks: 3
; NumSGPRsForWavesPerEU: 36
; NumVGPRsForWavesPerEU: 51
; NamedBarCnt: 0
; Occupancy: 16
; WaveLimiterHint : 1
; COMPUTE_PGM_RSRC2:SCRATCH_EN: 1
; COMPUTE_PGM_RSRC2:USER_SGPR: 2
; COMPUTE_PGM_RSRC2:TRAP_HANDLER: 0
; COMPUTE_PGM_RSRC2:TGID_X_EN: 1
; COMPUTE_PGM_RSRC2:TGID_Y_EN: 0
; COMPUTE_PGM_RSRC2:TGID_Z_EN: 0
; COMPUTE_PGM_RSRC2:TIDIG_COMP_CNT: 0
	.section	.text._Z39paged_attention_ll4mi_QKV_mfma16_kernelI14__hip_bfloat16hLN4vllm18Fp8KVCacheDataTypeE1ES0_Li32ELi64ELi256ELb1ELi10EEvPKT_PKT0_S8_ifPKiSA_SA_iPKfiiiPfSD_PS3_PT2_iSC_SC_,"axG",@progbits,_Z39paged_attention_ll4mi_QKV_mfma16_kernelI14__hip_bfloat16hLN4vllm18Fp8KVCacheDataTypeE1ES0_Li32ELi64ELi256ELb1ELi10EEvPKT_PKT0_S8_ifPKiSA_SA_iPKfiiiPfSD_PS3_PT2_iSC_SC_,comdat
	.protected	_Z39paged_attention_ll4mi_QKV_mfma16_kernelI14__hip_bfloat16hLN4vllm18Fp8KVCacheDataTypeE1ES0_Li32ELi64ELi256ELb1ELi10EEvPKT_PKT0_S8_ifPKiSA_SA_iPKfiiiPfSD_PS3_PT2_iSC_SC_ ; -- Begin function _Z39paged_attention_ll4mi_QKV_mfma16_kernelI14__hip_bfloat16hLN4vllm18Fp8KVCacheDataTypeE1ES0_Li32ELi64ELi256ELb1ELi10EEvPKT_PKT0_S8_ifPKiSA_SA_iPKfiiiPfSD_PS3_PT2_iSC_SC_
	.globl	_Z39paged_attention_ll4mi_QKV_mfma16_kernelI14__hip_bfloat16hLN4vllm18Fp8KVCacheDataTypeE1ES0_Li32ELi64ELi256ELb1ELi10EEvPKT_PKT0_S8_ifPKiSA_SA_iPKfiiiPfSD_PS3_PT2_iSC_SC_
	.p2align	8
	.type	_Z39paged_attention_ll4mi_QKV_mfma16_kernelI14__hip_bfloat16hLN4vllm18Fp8KVCacheDataTypeE1ES0_Li32ELi64ELi256ELb1ELi10EEvPKT_PKT0_S8_ifPKiSA_SA_iPKfiiiPfSD_PS3_PT2_iSC_SC_,@function
_Z39paged_attention_ll4mi_QKV_mfma16_kernelI14__hip_bfloat16hLN4vllm18Fp8KVCacheDataTypeE1ES0_Li32ELi64ELi256ELb1ELi10EEvPKT_PKT0_S8_ifPKiSA_SA_iPKfiiiPfSD_PS3_PT2_iSC_SC_: ; @_Z39paged_attention_ll4mi_QKV_mfma16_kernelI14__hip_bfloat16hLN4vllm18Fp8KVCacheDataTypeE1ES0_Li32ELi64ELi256ELb1ELi10EEvPKT_PKT0_S8_ifPKiSA_SA_iPKfiiiPfSD_PS3_PT2_iSC_SC_
; %bb.0:
	s_get_pc_i64 s[2:3]
	s_add_nc_u64 s[2:3], s[2:3], __PRETTY_FUNCTION__._Z39paged_attention_ll4mi_QKV_mfma16_kernelI14__hip_bfloat16hLN4vllm18Fp8KVCacheDataTypeE1ES0_Li32ELi64ELi256ELb1ELi10EEvPKT_PKT0_S8_ifPKiSA_SA_iPKfiiiPfSD_PS3_PT2_iSC_SC_@rel64+4
	s_delay_alu instid0(SALU_CYCLE_1)
	v_dual_mov_b32 v0, 0xbb3 :: v_dual_mov_b32 v1, s2
	v_mov_b32_e32 v2, s3
	s_add_nc_u64 s[8:9], s[0:1], 0x90
	s_get_pc_i64 s[0:1]
	s_add_nc_u64 s[0:1], s[0:1], __assert_fail@rel64+4
	s_mov_b32 s32, 0
	s_swap_pc_i64 s[30:31], s[0:1]
	.section	.rodata,"a",@progbits
	.p2align	6, 0x0
	.amdhsa_kernel _Z39paged_attention_ll4mi_QKV_mfma16_kernelI14__hip_bfloat16hLN4vllm18Fp8KVCacheDataTypeE1ES0_Li32ELi64ELi256ELb1ELi10EEvPKT_PKT0_S8_ifPKiSA_SA_iPKfiiiPfSD_PS3_PT2_iSC_SC_
		.amdhsa_group_segment_fixed_size 0
		.amdhsa_private_segment_fixed_size 64
		.amdhsa_kernarg_size 400
		.amdhsa_user_sgpr_count 2
		.amdhsa_user_sgpr_dispatch_ptr 0
		.amdhsa_user_sgpr_queue_ptr 0
		.amdhsa_user_sgpr_kernarg_segment_ptr 1
		.amdhsa_user_sgpr_dispatch_id 0
		.amdhsa_user_sgpr_kernarg_preload_length 0
		.amdhsa_user_sgpr_kernarg_preload_offset 0
		.amdhsa_user_sgpr_private_segment_size 0
		.amdhsa_wavefront_size32 1
		.amdhsa_uses_dynamic_stack 0
		.amdhsa_enable_private_segment 1
		.amdhsa_system_sgpr_workgroup_id_x 1
		.amdhsa_system_sgpr_workgroup_id_y 0
		.amdhsa_system_sgpr_workgroup_id_z 0
		.amdhsa_system_sgpr_workgroup_info 0
		.amdhsa_system_vgpr_workitem_id 0
		.amdhsa_next_free_vgpr 51
		.amdhsa_next_free_sgpr 34
		.amdhsa_named_barrier_count 0
		.amdhsa_reserve_vcc 1
		.amdhsa_float_round_mode_32 0
		.amdhsa_float_round_mode_16_64 0
		.amdhsa_float_denorm_mode_32 3
		.amdhsa_float_denorm_mode_16_64 3
		.amdhsa_fp16_overflow 0
		.amdhsa_memory_ordered 1
		.amdhsa_forward_progress 1
		.amdhsa_inst_pref_size 1
		.amdhsa_round_robin_scheduling 0
		.amdhsa_exception_fp_ieee_invalid_op 0
		.amdhsa_exception_fp_denorm_src 0
		.amdhsa_exception_fp_ieee_div_zero 0
		.amdhsa_exception_fp_ieee_overflow 0
		.amdhsa_exception_fp_ieee_underflow 0
		.amdhsa_exception_fp_ieee_inexact 0
		.amdhsa_exception_int_div_zero 0
	.end_amdhsa_kernel
	.section	.text._Z39paged_attention_ll4mi_QKV_mfma16_kernelI14__hip_bfloat16hLN4vllm18Fp8KVCacheDataTypeE1ES0_Li32ELi64ELi256ELb1ELi10EEvPKT_PKT0_S8_ifPKiSA_SA_iPKfiiiPfSD_PS3_PT2_iSC_SC_,"axG",@progbits,_Z39paged_attention_ll4mi_QKV_mfma16_kernelI14__hip_bfloat16hLN4vllm18Fp8KVCacheDataTypeE1ES0_Li32ELi64ELi256ELb1ELi10EEvPKT_PKT0_S8_ifPKiSA_SA_iPKfiiiPfSD_PS3_PT2_iSC_SC_,comdat
.Lfunc_end1219:
	.size	_Z39paged_attention_ll4mi_QKV_mfma16_kernelI14__hip_bfloat16hLN4vllm18Fp8KVCacheDataTypeE1ES0_Li32ELi64ELi256ELb1ELi10EEvPKT_PKT0_S8_ifPKiSA_SA_iPKfiiiPfSD_PS3_PT2_iSC_SC_, .Lfunc_end1219-_Z39paged_attention_ll4mi_QKV_mfma16_kernelI14__hip_bfloat16hLN4vllm18Fp8KVCacheDataTypeE1ES0_Li32ELi64ELi256ELb1ELi10EEvPKT_PKT0_S8_ifPKiSA_SA_iPKfiiiPfSD_PS3_PT2_iSC_SC_
                                        ; -- End function
	.set _Z39paged_attention_ll4mi_QKV_mfma16_kernelI14__hip_bfloat16hLN4vllm18Fp8KVCacheDataTypeE1ES0_Li32ELi64ELi256ELb1ELi10EEvPKT_PKT0_S8_ifPKiSA_SA_iPKfiiiPfSD_PS3_PT2_iSC_SC_.num_vgpr, max(3, .L__assert_fail.num_vgpr)
	.set _Z39paged_attention_ll4mi_QKV_mfma16_kernelI14__hip_bfloat16hLN4vllm18Fp8KVCacheDataTypeE1ES0_Li32ELi64ELi256ELb1ELi10EEvPKT_PKT0_S8_ifPKiSA_SA_iPKfiiiPfSD_PS3_PT2_iSC_SC_.num_agpr, max(0, .L__assert_fail.num_agpr)
	.set _Z39paged_attention_ll4mi_QKV_mfma16_kernelI14__hip_bfloat16hLN4vllm18Fp8KVCacheDataTypeE1ES0_Li32ELi64ELi256ELb1ELi10EEvPKT_PKT0_S8_ifPKiSA_SA_iPKfiiiPfSD_PS3_PT2_iSC_SC_.numbered_sgpr, max(33, .L__assert_fail.numbered_sgpr)
	.set _Z39paged_attention_ll4mi_QKV_mfma16_kernelI14__hip_bfloat16hLN4vllm18Fp8KVCacheDataTypeE1ES0_Li32ELi64ELi256ELb1ELi10EEvPKT_PKT0_S8_ifPKiSA_SA_iPKfiiiPfSD_PS3_PT2_iSC_SC_.num_named_barrier, max(0, .L__assert_fail.num_named_barrier)
	.set _Z39paged_attention_ll4mi_QKV_mfma16_kernelI14__hip_bfloat16hLN4vllm18Fp8KVCacheDataTypeE1ES0_Li32ELi64ELi256ELb1ELi10EEvPKT_PKT0_S8_ifPKiSA_SA_iPKfiiiPfSD_PS3_PT2_iSC_SC_.private_seg_size, 0+max(.L__assert_fail.private_seg_size)
	.set _Z39paged_attention_ll4mi_QKV_mfma16_kernelI14__hip_bfloat16hLN4vllm18Fp8KVCacheDataTypeE1ES0_Li32ELi64ELi256ELb1ELi10EEvPKT_PKT0_S8_ifPKiSA_SA_iPKfiiiPfSD_PS3_PT2_iSC_SC_.uses_vcc, or(1, .L__assert_fail.uses_vcc)
	.set _Z39paged_attention_ll4mi_QKV_mfma16_kernelI14__hip_bfloat16hLN4vllm18Fp8KVCacheDataTypeE1ES0_Li32ELi64ELi256ELb1ELi10EEvPKT_PKT0_S8_ifPKiSA_SA_iPKfiiiPfSD_PS3_PT2_iSC_SC_.uses_flat_scratch, or(0, .L__assert_fail.uses_flat_scratch)
	.set _Z39paged_attention_ll4mi_QKV_mfma16_kernelI14__hip_bfloat16hLN4vllm18Fp8KVCacheDataTypeE1ES0_Li32ELi64ELi256ELb1ELi10EEvPKT_PKT0_S8_ifPKiSA_SA_iPKfiiiPfSD_PS3_PT2_iSC_SC_.has_dyn_sized_stack, or(0, .L__assert_fail.has_dyn_sized_stack)
	.set _Z39paged_attention_ll4mi_QKV_mfma16_kernelI14__hip_bfloat16hLN4vllm18Fp8KVCacheDataTypeE1ES0_Li32ELi64ELi256ELb1ELi10EEvPKT_PKT0_S8_ifPKiSA_SA_iPKfiiiPfSD_PS3_PT2_iSC_SC_.has_recursion, or(0, .L__assert_fail.has_recursion)
	.set _Z39paged_attention_ll4mi_QKV_mfma16_kernelI14__hip_bfloat16hLN4vllm18Fp8KVCacheDataTypeE1ES0_Li32ELi64ELi256ELb1ELi10EEvPKT_PKT0_S8_ifPKiSA_SA_iPKfiiiPfSD_PS3_PT2_iSC_SC_.has_indirect_call, or(0, .L__assert_fail.has_indirect_call)
	.section	.AMDGPU.csdata,"",@progbits
; Kernel info:
; codeLenInByte = 68
; TotalNumSgprs: 36
; NumVgprs: 51
; ScratchSize: 64
; MemoryBound: 0
; FloatMode: 240
; IeeeMode: 1
; LDSByteSize: 0 bytes/workgroup (compile time only)
; SGPRBlocks: 0
; VGPRBlocks: 3
; NumSGPRsForWavesPerEU: 36
; NumVGPRsForWavesPerEU: 51
; NamedBarCnt: 0
; Occupancy: 16
; WaveLimiterHint : 1
; COMPUTE_PGM_RSRC2:SCRATCH_EN: 1
; COMPUTE_PGM_RSRC2:USER_SGPR: 2
; COMPUTE_PGM_RSRC2:TRAP_HANDLER: 0
; COMPUTE_PGM_RSRC2:TGID_X_EN: 1
; COMPUTE_PGM_RSRC2:TGID_Y_EN: 0
; COMPUTE_PGM_RSRC2:TGID_Z_EN: 0
; COMPUTE_PGM_RSRC2:TIDIG_COMP_CNT: 0
	.section	.text._Z39paged_attention_ll4mi_QKV_mfma16_kernelI14__hip_bfloat16hLN4vllm18Fp8KVCacheDataTypeE1ES0_Li32ELi64ELi256ELb1ELi11EEvPKT_PKT0_S8_ifPKiSA_SA_iPKfiiiPfSD_PS3_PT2_iSC_SC_,"axG",@progbits,_Z39paged_attention_ll4mi_QKV_mfma16_kernelI14__hip_bfloat16hLN4vllm18Fp8KVCacheDataTypeE1ES0_Li32ELi64ELi256ELb1ELi11EEvPKT_PKT0_S8_ifPKiSA_SA_iPKfiiiPfSD_PS3_PT2_iSC_SC_,comdat
	.protected	_Z39paged_attention_ll4mi_QKV_mfma16_kernelI14__hip_bfloat16hLN4vllm18Fp8KVCacheDataTypeE1ES0_Li32ELi64ELi256ELb1ELi11EEvPKT_PKT0_S8_ifPKiSA_SA_iPKfiiiPfSD_PS3_PT2_iSC_SC_ ; -- Begin function _Z39paged_attention_ll4mi_QKV_mfma16_kernelI14__hip_bfloat16hLN4vllm18Fp8KVCacheDataTypeE1ES0_Li32ELi64ELi256ELb1ELi11EEvPKT_PKT0_S8_ifPKiSA_SA_iPKfiiiPfSD_PS3_PT2_iSC_SC_
	.globl	_Z39paged_attention_ll4mi_QKV_mfma16_kernelI14__hip_bfloat16hLN4vllm18Fp8KVCacheDataTypeE1ES0_Li32ELi64ELi256ELb1ELi11EEvPKT_PKT0_S8_ifPKiSA_SA_iPKfiiiPfSD_PS3_PT2_iSC_SC_
	.p2align	8
	.type	_Z39paged_attention_ll4mi_QKV_mfma16_kernelI14__hip_bfloat16hLN4vllm18Fp8KVCacheDataTypeE1ES0_Li32ELi64ELi256ELb1ELi11EEvPKT_PKT0_S8_ifPKiSA_SA_iPKfiiiPfSD_PS3_PT2_iSC_SC_,@function
_Z39paged_attention_ll4mi_QKV_mfma16_kernelI14__hip_bfloat16hLN4vllm18Fp8KVCacheDataTypeE1ES0_Li32ELi64ELi256ELb1ELi11EEvPKT_PKT0_S8_ifPKiSA_SA_iPKfiiiPfSD_PS3_PT2_iSC_SC_: ; @_Z39paged_attention_ll4mi_QKV_mfma16_kernelI14__hip_bfloat16hLN4vllm18Fp8KVCacheDataTypeE1ES0_Li32ELi64ELi256ELb1ELi11EEvPKT_PKT0_S8_ifPKiSA_SA_iPKfiiiPfSD_PS3_PT2_iSC_SC_
; %bb.0:
	s_get_pc_i64 s[2:3]
	s_add_nc_u64 s[2:3], s[2:3], __PRETTY_FUNCTION__._Z39paged_attention_ll4mi_QKV_mfma16_kernelI14__hip_bfloat16hLN4vllm18Fp8KVCacheDataTypeE1ES0_Li32ELi64ELi256ELb1ELi11EEvPKT_PKT0_S8_ifPKiSA_SA_iPKfiiiPfSD_PS3_PT2_iSC_SC_@rel64+4
	s_delay_alu instid0(SALU_CYCLE_1)
	v_dual_mov_b32 v0, 0xbb3 :: v_dual_mov_b32 v1, s2
	v_mov_b32_e32 v2, s3
	s_add_nc_u64 s[8:9], s[0:1], 0x90
	s_get_pc_i64 s[0:1]
	s_add_nc_u64 s[0:1], s[0:1], __assert_fail@rel64+4
	s_mov_b32 s32, 0
	s_swap_pc_i64 s[30:31], s[0:1]
	.section	.rodata,"a",@progbits
	.p2align	6, 0x0
	.amdhsa_kernel _Z39paged_attention_ll4mi_QKV_mfma16_kernelI14__hip_bfloat16hLN4vllm18Fp8KVCacheDataTypeE1ES0_Li32ELi64ELi256ELb1ELi11EEvPKT_PKT0_S8_ifPKiSA_SA_iPKfiiiPfSD_PS3_PT2_iSC_SC_
		.amdhsa_group_segment_fixed_size 0
		.amdhsa_private_segment_fixed_size 64
		.amdhsa_kernarg_size 400
		.amdhsa_user_sgpr_count 2
		.amdhsa_user_sgpr_dispatch_ptr 0
		.amdhsa_user_sgpr_queue_ptr 0
		.amdhsa_user_sgpr_kernarg_segment_ptr 1
		.amdhsa_user_sgpr_dispatch_id 0
		.amdhsa_user_sgpr_kernarg_preload_length 0
		.amdhsa_user_sgpr_kernarg_preload_offset 0
		.amdhsa_user_sgpr_private_segment_size 0
		.amdhsa_wavefront_size32 1
		.amdhsa_uses_dynamic_stack 0
		.amdhsa_enable_private_segment 1
		.amdhsa_system_sgpr_workgroup_id_x 1
		.amdhsa_system_sgpr_workgroup_id_y 0
		.amdhsa_system_sgpr_workgroup_id_z 0
		.amdhsa_system_sgpr_workgroup_info 0
		.amdhsa_system_vgpr_workitem_id 0
		.amdhsa_next_free_vgpr 51
		.amdhsa_next_free_sgpr 34
		.amdhsa_named_barrier_count 0
		.amdhsa_reserve_vcc 1
		.amdhsa_float_round_mode_32 0
		.amdhsa_float_round_mode_16_64 0
		.amdhsa_float_denorm_mode_32 3
		.amdhsa_float_denorm_mode_16_64 3
		.amdhsa_fp16_overflow 0
		.amdhsa_memory_ordered 1
		.amdhsa_forward_progress 1
		.amdhsa_inst_pref_size 1
		.amdhsa_round_robin_scheduling 0
		.amdhsa_exception_fp_ieee_invalid_op 0
		.amdhsa_exception_fp_denorm_src 0
		.amdhsa_exception_fp_ieee_div_zero 0
		.amdhsa_exception_fp_ieee_overflow 0
		.amdhsa_exception_fp_ieee_underflow 0
		.amdhsa_exception_fp_ieee_inexact 0
		.amdhsa_exception_int_div_zero 0
	.end_amdhsa_kernel
	.section	.text._Z39paged_attention_ll4mi_QKV_mfma16_kernelI14__hip_bfloat16hLN4vllm18Fp8KVCacheDataTypeE1ES0_Li32ELi64ELi256ELb1ELi11EEvPKT_PKT0_S8_ifPKiSA_SA_iPKfiiiPfSD_PS3_PT2_iSC_SC_,"axG",@progbits,_Z39paged_attention_ll4mi_QKV_mfma16_kernelI14__hip_bfloat16hLN4vllm18Fp8KVCacheDataTypeE1ES0_Li32ELi64ELi256ELb1ELi11EEvPKT_PKT0_S8_ifPKiSA_SA_iPKfiiiPfSD_PS3_PT2_iSC_SC_,comdat
.Lfunc_end1220:
	.size	_Z39paged_attention_ll4mi_QKV_mfma16_kernelI14__hip_bfloat16hLN4vllm18Fp8KVCacheDataTypeE1ES0_Li32ELi64ELi256ELb1ELi11EEvPKT_PKT0_S8_ifPKiSA_SA_iPKfiiiPfSD_PS3_PT2_iSC_SC_, .Lfunc_end1220-_Z39paged_attention_ll4mi_QKV_mfma16_kernelI14__hip_bfloat16hLN4vllm18Fp8KVCacheDataTypeE1ES0_Li32ELi64ELi256ELb1ELi11EEvPKT_PKT0_S8_ifPKiSA_SA_iPKfiiiPfSD_PS3_PT2_iSC_SC_
                                        ; -- End function
	.set _Z39paged_attention_ll4mi_QKV_mfma16_kernelI14__hip_bfloat16hLN4vllm18Fp8KVCacheDataTypeE1ES0_Li32ELi64ELi256ELb1ELi11EEvPKT_PKT0_S8_ifPKiSA_SA_iPKfiiiPfSD_PS3_PT2_iSC_SC_.num_vgpr, max(3, .L__assert_fail.num_vgpr)
	.set _Z39paged_attention_ll4mi_QKV_mfma16_kernelI14__hip_bfloat16hLN4vllm18Fp8KVCacheDataTypeE1ES0_Li32ELi64ELi256ELb1ELi11EEvPKT_PKT0_S8_ifPKiSA_SA_iPKfiiiPfSD_PS3_PT2_iSC_SC_.num_agpr, max(0, .L__assert_fail.num_agpr)
	.set _Z39paged_attention_ll4mi_QKV_mfma16_kernelI14__hip_bfloat16hLN4vllm18Fp8KVCacheDataTypeE1ES0_Li32ELi64ELi256ELb1ELi11EEvPKT_PKT0_S8_ifPKiSA_SA_iPKfiiiPfSD_PS3_PT2_iSC_SC_.numbered_sgpr, max(33, .L__assert_fail.numbered_sgpr)
	.set _Z39paged_attention_ll4mi_QKV_mfma16_kernelI14__hip_bfloat16hLN4vllm18Fp8KVCacheDataTypeE1ES0_Li32ELi64ELi256ELb1ELi11EEvPKT_PKT0_S8_ifPKiSA_SA_iPKfiiiPfSD_PS3_PT2_iSC_SC_.num_named_barrier, max(0, .L__assert_fail.num_named_barrier)
	.set _Z39paged_attention_ll4mi_QKV_mfma16_kernelI14__hip_bfloat16hLN4vllm18Fp8KVCacheDataTypeE1ES0_Li32ELi64ELi256ELb1ELi11EEvPKT_PKT0_S8_ifPKiSA_SA_iPKfiiiPfSD_PS3_PT2_iSC_SC_.private_seg_size, 0+max(.L__assert_fail.private_seg_size)
	.set _Z39paged_attention_ll4mi_QKV_mfma16_kernelI14__hip_bfloat16hLN4vllm18Fp8KVCacheDataTypeE1ES0_Li32ELi64ELi256ELb1ELi11EEvPKT_PKT0_S8_ifPKiSA_SA_iPKfiiiPfSD_PS3_PT2_iSC_SC_.uses_vcc, or(1, .L__assert_fail.uses_vcc)
	.set _Z39paged_attention_ll4mi_QKV_mfma16_kernelI14__hip_bfloat16hLN4vllm18Fp8KVCacheDataTypeE1ES0_Li32ELi64ELi256ELb1ELi11EEvPKT_PKT0_S8_ifPKiSA_SA_iPKfiiiPfSD_PS3_PT2_iSC_SC_.uses_flat_scratch, or(0, .L__assert_fail.uses_flat_scratch)
	.set _Z39paged_attention_ll4mi_QKV_mfma16_kernelI14__hip_bfloat16hLN4vllm18Fp8KVCacheDataTypeE1ES0_Li32ELi64ELi256ELb1ELi11EEvPKT_PKT0_S8_ifPKiSA_SA_iPKfiiiPfSD_PS3_PT2_iSC_SC_.has_dyn_sized_stack, or(0, .L__assert_fail.has_dyn_sized_stack)
	.set _Z39paged_attention_ll4mi_QKV_mfma16_kernelI14__hip_bfloat16hLN4vllm18Fp8KVCacheDataTypeE1ES0_Li32ELi64ELi256ELb1ELi11EEvPKT_PKT0_S8_ifPKiSA_SA_iPKfiiiPfSD_PS3_PT2_iSC_SC_.has_recursion, or(0, .L__assert_fail.has_recursion)
	.set _Z39paged_attention_ll4mi_QKV_mfma16_kernelI14__hip_bfloat16hLN4vllm18Fp8KVCacheDataTypeE1ES0_Li32ELi64ELi256ELb1ELi11EEvPKT_PKT0_S8_ifPKiSA_SA_iPKfiiiPfSD_PS3_PT2_iSC_SC_.has_indirect_call, or(0, .L__assert_fail.has_indirect_call)
	.section	.AMDGPU.csdata,"",@progbits
; Kernel info:
; codeLenInByte = 68
; TotalNumSgprs: 36
; NumVgprs: 51
; ScratchSize: 64
; MemoryBound: 0
; FloatMode: 240
; IeeeMode: 1
; LDSByteSize: 0 bytes/workgroup (compile time only)
; SGPRBlocks: 0
; VGPRBlocks: 3
; NumSGPRsForWavesPerEU: 36
; NumVGPRsForWavesPerEU: 51
; NamedBarCnt: 0
; Occupancy: 16
; WaveLimiterHint : 1
; COMPUTE_PGM_RSRC2:SCRATCH_EN: 1
; COMPUTE_PGM_RSRC2:USER_SGPR: 2
; COMPUTE_PGM_RSRC2:TRAP_HANDLER: 0
; COMPUTE_PGM_RSRC2:TGID_X_EN: 1
; COMPUTE_PGM_RSRC2:TGID_Y_EN: 0
; COMPUTE_PGM_RSRC2:TGID_Z_EN: 0
; COMPUTE_PGM_RSRC2:TIDIG_COMP_CNT: 0
	.section	.text._Z39paged_attention_ll4mi_QKV_mfma16_kernelI14__hip_bfloat16hLN4vllm18Fp8KVCacheDataTypeE1ES0_Li32ELi64ELi256ELb1ELi12EEvPKT_PKT0_S8_ifPKiSA_SA_iPKfiiiPfSD_PS3_PT2_iSC_SC_,"axG",@progbits,_Z39paged_attention_ll4mi_QKV_mfma16_kernelI14__hip_bfloat16hLN4vllm18Fp8KVCacheDataTypeE1ES0_Li32ELi64ELi256ELb1ELi12EEvPKT_PKT0_S8_ifPKiSA_SA_iPKfiiiPfSD_PS3_PT2_iSC_SC_,comdat
	.protected	_Z39paged_attention_ll4mi_QKV_mfma16_kernelI14__hip_bfloat16hLN4vllm18Fp8KVCacheDataTypeE1ES0_Li32ELi64ELi256ELb1ELi12EEvPKT_PKT0_S8_ifPKiSA_SA_iPKfiiiPfSD_PS3_PT2_iSC_SC_ ; -- Begin function _Z39paged_attention_ll4mi_QKV_mfma16_kernelI14__hip_bfloat16hLN4vllm18Fp8KVCacheDataTypeE1ES0_Li32ELi64ELi256ELb1ELi12EEvPKT_PKT0_S8_ifPKiSA_SA_iPKfiiiPfSD_PS3_PT2_iSC_SC_
	.globl	_Z39paged_attention_ll4mi_QKV_mfma16_kernelI14__hip_bfloat16hLN4vllm18Fp8KVCacheDataTypeE1ES0_Li32ELi64ELi256ELb1ELi12EEvPKT_PKT0_S8_ifPKiSA_SA_iPKfiiiPfSD_PS3_PT2_iSC_SC_
	.p2align	8
	.type	_Z39paged_attention_ll4mi_QKV_mfma16_kernelI14__hip_bfloat16hLN4vllm18Fp8KVCacheDataTypeE1ES0_Li32ELi64ELi256ELb1ELi12EEvPKT_PKT0_S8_ifPKiSA_SA_iPKfiiiPfSD_PS3_PT2_iSC_SC_,@function
_Z39paged_attention_ll4mi_QKV_mfma16_kernelI14__hip_bfloat16hLN4vllm18Fp8KVCacheDataTypeE1ES0_Li32ELi64ELi256ELb1ELi12EEvPKT_PKT0_S8_ifPKiSA_SA_iPKfiiiPfSD_PS3_PT2_iSC_SC_: ; @_Z39paged_attention_ll4mi_QKV_mfma16_kernelI14__hip_bfloat16hLN4vllm18Fp8KVCacheDataTypeE1ES0_Li32ELi64ELi256ELb1ELi12EEvPKT_PKT0_S8_ifPKiSA_SA_iPKfiiiPfSD_PS3_PT2_iSC_SC_
; %bb.0:
	s_get_pc_i64 s[2:3]
	s_add_nc_u64 s[2:3], s[2:3], __PRETTY_FUNCTION__._Z39paged_attention_ll4mi_QKV_mfma16_kernelI14__hip_bfloat16hLN4vllm18Fp8KVCacheDataTypeE1ES0_Li32ELi64ELi256ELb1ELi12EEvPKT_PKT0_S8_ifPKiSA_SA_iPKfiiiPfSD_PS3_PT2_iSC_SC_@rel64+4
	s_delay_alu instid0(SALU_CYCLE_1)
	v_dual_mov_b32 v0, 0xbb3 :: v_dual_mov_b32 v1, s2
	v_mov_b32_e32 v2, s3
	s_add_nc_u64 s[8:9], s[0:1], 0x90
	s_get_pc_i64 s[0:1]
	s_add_nc_u64 s[0:1], s[0:1], __assert_fail@rel64+4
	s_mov_b32 s32, 0
	s_swap_pc_i64 s[30:31], s[0:1]
	.section	.rodata,"a",@progbits
	.p2align	6, 0x0
	.amdhsa_kernel _Z39paged_attention_ll4mi_QKV_mfma16_kernelI14__hip_bfloat16hLN4vllm18Fp8KVCacheDataTypeE1ES0_Li32ELi64ELi256ELb1ELi12EEvPKT_PKT0_S8_ifPKiSA_SA_iPKfiiiPfSD_PS3_PT2_iSC_SC_
		.amdhsa_group_segment_fixed_size 0
		.amdhsa_private_segment_fixed_size 64
		.amdhsa_kernarg_size 400
		.amdhsa_user_sgpr_count 2
		.amdhsa_user_sgpr_dispatch_ptr 0
		.amdhsa_user_sgpr_queue_ptr 0
		.amdhsa_user_sgpr_kernarg_segment_ptr 1
		.amdhsa_user_sgpr_dispatch_id 0
		.amdhsa_user_sgpr_kernarg_preload_length 0
		.amdhsa_user_sgpr_kernarg_preload_offset 0
		.amdhsa_user_sgpr_private_segment_size 0
		.amdhsa_wavefront_size32 1
		.amdhsa_uses_dynamic_stack 0
		.amdhsa_enable_private_segment 1
		.amdhsa_system_sgpr_workgroup_id_x 1
		.amdhsa_system_sgpr_workgroup_id_y 0
		.amdhsa_system_sgpr_workgroup_id_z 0
		.amdhsa_system_sgpr_workgroup_info 0
		.amdhsa_system_vgpr_workitem_id 0
		.amdhsa_next_free_vgpr 51
		.amdhsa_next_free_sgpr 34
		.amdhsa_named_barrier_count 0
		.amdhsa_reserve_vcc 1
		.amdhsa_float_round_mode_32 0
		.amdhsa_float_round_mode_16_64 0
		.amdhsa_float_denorm_mode_32 3
		.amdhsa_float_denorm_mode_16_64 3
		.amdhsa_fp16_overflow 0
		.amdhsa_memory_ordered 1
		.amdhsa_forward_progress 1
		.amdhsa_inst_pref_size 1
		.amdhsa_round_robin_scheduling 0
		.amdhsa_exception_fp_ieee_invalid_op 0
		.amdhsa_exception_fp_denorm_src 0
		.amdhsa_exception_fp_ieee_div_zero 0
		.amdhsa_exception_fp_ieee_overflow 0
		.amdhsa_exception_fp_ieee_underflow 0
		.amdhsa_exception_fp_ieee_inexact 0
		.amdhsa_exception_int_div_zero 0
	.end_amdhsa_kernel
	.section	.text._Z39paged_attention_ll4mi_QKV_mfma16_kernelI14__hip_bfloat16hLN4vllm18Fp8KVCacheDataTypeE1ES0_Li32ELi64ELi256ELb1ELi12EEvPKT_PKT0_S8_ifPKiSA_SA_iPKfiiiPfSD_PS3_PT2_iSC_SC_,"axG",@progbits,_Z39paged_attention_ll4mi_QKV_mfma16_kernelI14__hip_bfloat16hLN4vllm18Fp8KVCacheDataTypeE1ES0_Li32ELi64ELi256ELb1ELi12EEvPKT_PKT0_S8_ifPKiSA_SA_iPKfiiiPfSD_PS3_PT2_iSC_SC_,comdat
.Lfunc_end1221:
	.size	_Z39paged_attention_ll4mi_QKV_mfma16_kernelI14__hip_bfloat16hLN4vllm18Fp8KVCacheDataTypeE1ES0_Li32ELi64ELi256ELb1ELi12EEvPKT_PKT0_S8_ifPKiSA_SA_iPKfiiiPfSD_PS3_PT2_iSC_SC_, .Lfunc_end1221-_Z39paged_attention_ll4mi_QKV_mfma16_kernelI14__hip_bfloat16hLN4vllm18Fp8KVCacheDataTypeE1ES0_Li32ELi64ELi256ELb1ELi12EEvPKT_PKT0_S8_ifPKiSA_SA_iPKfiiiPfSD_PS3_PT2_iSC_SC_
                                        ; -- End function
	.set _Z39paged_attention_ll4mi_QKV_mfma16_kernelI14__hip_bfloat16hLN4vllm18Fp8KVCacheDataTypeE1ES0_Li32ELi64ELi256ELb1ELi12EEvPKT_PKT0_S8_ifPKiSA_SA_iPKfiiiPfSD_PS3_PT2_iSC_SC_.num_vgpr, max(3, .L__assert_fail.num_vgpr)
	.set _Z39paged_attention_ll4mi_QKV_mfma16_kernelI14__hip_bfloat16hLN4vllm18Fp8KVCacheDataTypeE1ES0_Li32ELi64ELi256ELb1ELi12EEvPKT_PKT0_S8_ifPKiSA_SA_iPKfiiiPfSD_PS3_PT2_iSC_SC_.num_agpr, max(0, .L__assert_fail.num_agpr)
	.set _Z39paged_attention_ll4mi_QKV_mfma16_kernelI14__hip_bfloat16hLN4vllm18Fp8KVCacheDataTypeE1ES0_Li32ELi64ELi256ELb1ELi12EEvPKT_PKT0_S8_ifPKiSA_SA_iPKfiiiPfSD_PS3_PT2_iSC_SC_.numbered_sgpr, max(33, .L__assert_fail.numbered_sgpr)
	.set _Z39paged_attention_ll4mi_QKV_mfma16_kernelI14__hip_bfloat16hLN4vllm18Fp8KVCacheDataTypeE1ES0_Li32ELi64ELi256ELb1ELi12EEvPKT_PKT0_S8_ifPKiSA_SA_iPKfiiiPfSD_PS3_PT2_iSC_SC_.num_named_barrier, max(0, .L__assert_fail.num_named_barrier)
	.set _Z39paged_attention_ll4mi_QKV_mfma16_kernelI14__hip_bfloat16hLN4vllm18Fp8KVCacheDataTypeE1ES0_Li32ELi64ELi256ELb1ELi12EEvPKT_PKT0_S8_ifPKiSA_SA_iPKfiiiPfSD_PS3_PT2_iSC_SC_.private_seg_size, 0+max(.L__assert_fail.private_seg_size)
	.set _Z39paged_attention_ll4mi_QKV_mfma16_kernelI14__hip_bfloat16hLN4vllm18Fp8KVCacheDataTypeE1ES0_Li32ELi64ELi256ELb1ELi12EEvPKT_PKT0_S8_ifPKiSA_SA_iPKfiiiPfSD_PS3_PT2_iSC_SC_.uses_vcc, or(1, .L__assert_fail.uses_vcc)
	.set _Z39paged_attention_ll4mi_QKV_mfma16_kernelI14__hip_bfloat16hLN4vllm18Fp8KVCacheDataTypeE1ES0_Li32ELi64ELi256ELb1ELi12EEvPKT_PKT0_S8_ifPKiSA_SA_iPKfiiiPfSD_PS3_PT2_iSC_SC_.uses_flat_scratch, or(0, .L__assert_fail.uses_flat_scratch)
	.set _Z39paged_attention_ll4mi_QKV_mfma16_kernelI14__hip_bfloat16hLN4vllm18Fp8KVCacheDataTypeE1ES0_Li32ELi64ELi256ELb1ELi12EEvPKT_PKT0_S8_ifPKiSA_SA_iPKfiiiPfSD_PS3_PT2_iSC_SC_.has_dyn_sized_stack, or(0, .L__assert_fail.has_dyn_sized_stack)
	.set _Z39paged_attention_ll4mi_QKV_mfma16_kernelI14__hip_bfloat16hLN4vllm18Fp8KVCacheDataTypeE1ES0_Li32ELi64ELi256ELb1ELi12EEvPKT_PKT0_S8_ifPKiSA_SA_iPKfiiiPfSD_PS3_PT2_iSC_SC_.has_recursion, or(0, .L__assert_fail.has_recursion)
	.set _Z39paged_attention_ll4mi_QKV_mfma16_kernelI14__hip_bfloat16hLN4vllm18Fp8KVCacheDataTypeE1ES0_Li32ELi64ELi256ELb1ELi12EEvPKT_PKT0_S8_ifPKiSA_SA_iPKfiiiPfSD_PS3_PT2_iSC_SC_.has_indirect_call, or(0, .L__assert_fail.has_indirect_call)
	.section	.AMDGPU.csdata,"",@progbits
; Kernel info:
; codeLenInByte = 68
; TotalNumSgprs: 36
; NumVgprs: 51
; ScratchSize: 64
; MemoryBound: 0
; FloatMode: 240
; IeeeMode: 1
; LDSByteSize: 0 bytes/workgroup (compile time only)
; SGPRBlocks: 0
; VGPRBlocks: 3
; NumSGPRsForWavesPerEU: 36
; NumVGPRsForWavesPerEU: 51
; NamedBarCnt: 0
; Occupancy: 16
; WaveLimiterHint : 1
; COMPUTE_PGM_RSRC2:SCRATCH_EN: 1
; COMPUTE_PGM_RSRC2:USER_SGPR: 2
; COMPUTE_PGM_RSRC2:TRAP_HANDLER: 0
; COMPUTE_PGM_RSRC2:TGID_X_EN: 1
; COMPUTE_PGM_RSRC2:TGID_Y_EN: 0
; COMPUTE_PGM_RSRC2:TGID_Z_EN: 0
; COMPUTE_PGM_RSRC2:TIDIG_COMP_CNT: 0
	.section	.text._Z39paged_attention_ll4mi_QKV_mfma16_kernelI14__hip_bfloat16hLN4vllm18Fp8KVCacheDataTypeE1ES0_Li32ELi64ELi256ELb1ELi13EEvPKT_PKT0_S8_ifPKiSA_SA_iPKfiiiPfSD_PS3_PT2_iSC_SC_,"axG",@progbits,_Z39paged_attention_ll4mi_QKV_mfma16_kernelI14__hip_bfloat16hLN4vllm18Fp8KVCacheDataTypeE1ES0_Li32ELi64ELi256ELb1ELi13EEvPKT_PKT0_S8_ifPKiSA_SA_iPKfiiiPfSD_PS3_PT2_iSC_SC_,comdat
	.protected	_Z39paged_attention_ll4mi_QKV_mfma16_kernelI14__hip_bfloat16hLN4vllm18Fp8KVCacheDataTypeE1ES0_Li32ELi64ELi256ELb1ELi13EEvPKT_PKT0_S8_ifPKiSA_SA_iPKfiiiPfSD_PS3_PT2_iSC_SC_ ; -- Begin function _Z39paged_attention_ll4mi_QKV_mfma16_kernelI14__hip_bfloat16hLN4vllm18Fp8KVCacheDataTypeE1ES0_Li32ELi64ELi256ELb1ELi13EEvPKT_PKT0_S8_ifPKiSA_SA_iPKfiiiPfSD_PS3_PT2_iSC_SC_
	.globl	_Z39paged_attention_ll4mi_QKV_mfma16_kernelI14__hip_bfloat16hLN4vllm18Fp8KVCacheDataTypeE1ES0_Li32ELi64ELi256ELb1ELi13EEvPKT_PKT0_S8_ifPKiSA_SA_iPKfiiiPfSD_PS3_PT2_iSC_SC_
	.p2align	8
	.type	_Z39paged_attention_ll4mi_QKV_mfma16_kernelI14__hip_bfloat16hLN4vllm18Fp8KVCacheDataTypeE1ES0_Li32ELi64ELi256ELb1ELi13EEvPKT_PKT0_S8_ifPKiSA_SA_iPKfiiiPfSD_PS3_PT2_iSC_SC_,@function
_Z39paged_attention_ll4mi_QKV_mfma16_kernelI14__hip_bfloat16hLN4vllm18Fp8KVCacheDataTypeE1ES0_Li32ELi64ELi256ELb1ELi13EEvPKT_PKT0_S8_ifPKiSA_SA_iPKfiiiPfSD_PS3_PT2_iSC_SC_: ; @_Z39paged_attention_ll4mi_QKV_mfma16_kernelI14__hip_bfloat16hLN4vllm18Fp8KVCacheDataTypeE1ES0_Li32ELi64ELi256ELb1ELi13EEvPKT_PKT0_S8_ifPKiSA_SA_iPKfiiiPfSD_PS3_PT2_iSC_SC_
; %bb.0:
	s_get_pc_i64 s[2:3]
	s_add_nc_u64 s[2:3], s[2:3], __PRETTY_FUNCTION__._Z39paged_attention_ll4mi_QKV_mfma16_kernelI14__hip_bfloat16hLN4vllm18Fp8KVCacheDataTypeE1ES0_Li32ELi64ELi256ELb1ELi13EEvPKT_PKT0_S8_ifPKiSA_SA_iPKfiiiPfSD_PS3_PT2_iSC_SC_@rel64+4
	s_delay_alu instid0(SALU_CYCLE_1)
	v_dual_mov_b32 v0, 0xbb3 :: v_dual_mov_b32 v1, s2
	v_mov_b32_e32 v2, s3
	s_add_nc_u64 s[8:9], s[0:1], 0x90
	s_get_pc_i64 s[0:1]
	s_add_nc_u64 s[0:1], s[0:1], __assert_fail@rel64+4
	s_mov_b32 s32, 0
	s_swap_pc_i64 s[30:31], s[0:1]
	.section	.rodata,"a",@progbits
	.p2align	6, 0x0
	.amdhsa_kernel _Z39paged_attention_ll4mi_QKV_mfma16_kernelI14__hip_bfloat16hLN4vllm18Fp8KVCacheDataTypeE1ES0_Li32ELi64ELi256ELb1ELi13EEvPKT_PKT0_S8_ifPKiSA_SA_iPKfiiiPfSD_PS3_PT2_iSC_SC_
		.amdhsa_group_segment_fixed_size 0
		.amdhsa_private_segment_fixed_size 64
		.amdhsa_kernarg_size 400
		.amdhsa_user_sgpr_count 2
		.amdhsa_user_sgpr_dispatch_ptr 0
		.amdhsa_user_sgpr_queue_ptr 0
		.amdhsa_user_sgpr_kernarg_segment_ptr 1
		.amdhsa_user_sgpr_dispatch_id 0
		.amdhsa_user_sgpr_kernarg_preload_length 0
		.amdhsa_user_sgpr_kernarg_preload_offset 0
		.amdhsa_user_sgpr_private_segment_size 0
		.amdhsa_wavefront_size32 1
		.amdhsa_uses_dynamic_stack 0
		.amdhsa_enable_private_segment 1
		.amdhsa_system_sgpr_workgroup_id_x 1
		.amdhsa_system_sgpr_workgroup_id_y 0
		.amdhsa_system_sgpr_workgroup_id_z 0
		.amdhsa_system_sgpr_workgroup_info 0
		.amdhsa_system_vgpr_workitem_id 0
		.amdhsa_next_free_vgpr 51
		.amdhsa_next_free_sgpr 34
		.amdhsa_named_barrier_count 0
		.amdhsa_reserve_vcc 1
		.amdhsa_float_round_mode_32 0
		.amdhsa_float_round_mode_16_64 0
		.amdhsa_float_denorm_mode_32 3
		.amdhsa_float_denorm_mode_16_64 3
		.amdhsa_fp16_overflow 0
		.amdhsa_memory_ordered 1
		.amdhsa_forward_progress 1
		.amdhsa_inst_pref_size 1
		.amdhsa_round_robin_scheduling 0
		.amdhsa_exception_fp_ieee_invalid_op 0
		.amdhsa_exception_fp_denorm_src 0
		.amdhsa_exception_fp_ieee_div_zero 0
		.amdhsa_exception_fp_ieee_overflow 0
		.amdhsa_exception_fp_ieee_underflow 0
		.amdhsa_exception_fp_ieee_inexact 0
		.amdhsa_exception_int_div_zero 0
	.end_amdhsa_kernel
	.section	.text._Z39paged_attention_ll4mi_QKV_mfma16_kernelI14__hip_bfloat16hLN4vllm18Fp8KVCacheDataTypeE1ES0_Li32ELi64ELi256ELb1ELi13EEvPKT_PKT0_S8_ifPKiSA_SA_iPKfiiiPfSD_PS3_PT2_iSC_SC_,"axG",@progbits,_Z39paged_attention_ll4mi_QKV_mfma16_kernelI14__hip_bfloat16hLN4vllm18Fp8KVCacheDataTypeE1ES0_Li32ELi64ELi256ELb1ELi13EEvPKT_PKT0_S8_ifPKiSA_SA_iPKfiiiPfSD_PS3_PT2_iSC_SC_,comdat
.Lfunc_end1222:
	.size	_Z39paged_attention_ll4mi_QKV_mfma16_kernelI14__hip_bfloat16hLN4vllm18Fp8KVCacheDataTypeE1ES0_Li32ELi64ELi256ELb1ELi13EEvPKT_PKT0_S8_ifPKiSA_SA_iPKfiiiPfSD_PS3_PT2_iSC_SC_, .Lfunc_end1222-_Z39paged_attention_ll4mi_QKV_mfma16_kernelI14__hip_bfloat16hLN4vllm18Fp8KVCacheDataTypeE1ES0_Li32ELi64ELi256ELb1ELi13EEvPKT_PKT0_S8_ifPKiSA_SA_iPKfiiiPfSD_PS3_PT2_iSC_SC_
                                        ; -- End function
	.set _Z39paged_attention_ll4mi_QKV_mfma16_kernelI14__hip_bfloat16hLN4vllm18Fp8KVCacheDataTypeE1ES0_Li32ELi64ELi256ELb1ELi13EEvPKT_PKT0_S8_ifPKiSA_SA_iPKfiiiPfSD_PS3_PT2_iSC_SC_.num_vgpr, max(3, .L__assert_fail.num_vgpr)
	.set _Z39paged_attention_ll4mi_QKV_mfma16_kernelI14__hip_bfloat16hLN4vllm18Fp8KVCacheDataTypeE1ES0_Li32ELi64ELi256ELb1ELi13EEvPKT_PKT0_S8_ifPKiSA_SA_iPKfiiiPfSD_PS3_PT2_iSC_SC_.num_agpr, max(0, .L__assert_fail.num_agpr)
	.set _Z39paged_attention_ll4mi_QKV_mfma16_kernelI14__hip_bfloat16hLN4vllm18Fp8KVCacheDataTypeE1ES0_Li32ELi64ELi256ELb1ELi13EEvPKT_PKT0_S8_ifPKiSA_SA_iPKfiiiPfSD_PS3_PT2_iSC_SC_.numbered_sgpr, max(33, .L__assert_fail.numbered_sgpr)
	.set _Z39paged_attention_ll4mi_QKV_mfma16_kernelI14__hip_bfloat16hLN4vllm18Fp8KVCacheDataTypeE1ES0_Li32ELi64ELi256ELb1ELi13EEvPKT_PKT0_S8_ifPKiSA_SA_iPKfiiiPfSD_PS3_PT2_iSC_SC_.num_named_barrier, max(0, .L__assert_fail.num_named_barrier)
	.set _Z39paged_attention_ll4mi_QKV_mfma16_kernelI14__hip_bfloat16hLN4vllm18Fp8KVCacheDataTypeE1ES0_Li32ELi64ELi256ELb1ELi13EEvPKT_PKT0_S8_ifPKiSA_SA_iPKfiiiPfSD_PS3_PT2_iSC_SC_.private_seg_size, 0+max(.L__assert_fail.private_seg_size)
	.set _Z39paged_attention_ll4mi_QKV_mfma16_kernelI14__hip_bfloat16hLN4vllm18Fp8KVCacheDataTypeE1ES0_Li32ELi64ELi256ELb1ELi13EEvPKT_PKT0_S8_ifPKiSA_SA_iPKfiiiPfSD_PS3_PT2_iSC_SC_.uses_vcc, or(1, .L__assert_fail.uses_vcc)
	.set _Z39paged_attention_ll4mi_QKV_mfma16_kernelI14__hip_bfloat16hLN4vllm18Fp8KVCacheDataTypeE1ES0_Li32ELi64ELi256ELb1ELi13EEvPKT_PKT0_S8_ifPKiSA_SA_iPKfiiiPfSD_PS3_PT2_iSC_SC_.uses_flat_scratch, or(0, .L__assert_fail.uses_flat_scratch)
	.set _Z39paged_attention_ll4mi_QKV_mfma16_kernelI14__hip_bfloat16hLN4vllm18Fp8KVCacheDataTypeE1ES0_Li32ELi64ELi256ELb1ELi13EEvPKT_PKT0_S8_ifPKiSA_SA_iPKfiiiPfSD_PS3_PT2_iSC_SC_.has_dyn_sized_stack, or(0, .L__assert_fail.has_dyn_sized_stack)
	.set _Z39paged_attention_ll4mi_QKV_mfma16_kernelI14__hip_bfloat16hLN4vllm18Fp8KVCacheDataTypeE1ES0_Li32ELi64ELi256ELb1ELi13EEvPKT_PKT0_S8_ifPKiSA_SA_iPKfiiiPfSD_PS3_PT2_iSC_SC_.has_recursion, or(0, .L__assert_fail.has_recursion)
	.set _Z39paged_attention_ll4mi_QKV_mfma16_kernelI14__hip_bfloat16hLN4vllm18Fp8KVCacheDataTypeE1ES0_Li32ELi64ELi256ELb1ELi13EEvPKT_PKT0_S8_ifPKiSA_SA_iPKfiiiPfSD_PS3_PT2_iSC_SC_.has_indirect_call, or(0, .L__assert_fail.has_indirect_call)
	.section	.AMDGPU.csdata,"",@progbits
; Kernel info:
; codeLenInByte = 68
; TotalNumSgprs: 36
; NumVgprs: 51
; ScratchSize: 64
; MemoryBound: 0
; FloatMode: 240
; IeeeMode: 1
; LDSByteSize: 0 bytes/workgroup (compile time only)
; SGPRBlocks: 0
; VGPRBlocks: 3
; NumSGPRsForWavesPerEU: 36
; NumVGPRsForWavesPerEU: 51
; NamedBarCnt: 0
; Occupancy: 16
; WaveLimiterHint : 1
; COMPUTE_PGM_RSRC2:SCRATCH_EN: 1
; COMPUTE_PGM_RSRC2:USER_SGPR: 2
; COMPUTE_PGM_RSRC2:TRAP_HANDLER: 0
; COMPUTE_PGM_RSRC2:TGID_X_EN: 1
; COMPUTE_PGM_RSRC2:TGID_Y_EN: 0
; COMPUTE_PGM_RSRC2:TGID_Z_EN: 0
; COMPUTE_PGM_RSRC2:TIDIG_COMP_CNT: 0
	.section	.text._Z39paged_attention_ll4mi_QKV_mfma16_kernelI14__hip_bfloat16hLN4vllm18Fp8KVCacheDataTypeE1ES0_Li32ELi64ELi256ELb1ELi14EEvPKT_PKT0_S8_ifPKiSA_SA_iPKfiiiPfSD_PS3_PT2_iSC_SC_,"axG",@progbits,_Z39paged_attention_ll4mi_QKV_mfma16_kernelI14__hip_bfloat16hLN4vllm18Fp8KVCacheDataTypeE1ES0_Li32ELi64ELi256ELb1ELi14EEvPKT_PKT0_S8_ifPKiSA_SA_iPKfiiiPfSD_PS3_PT2_iSC_SC_,comdat
	.protected	_Z39paged_attention_ll4mi_QKV_mfma16_kernelI14__hip_bfloat16hLN4vllm18Fp8KVCacheDataTypeE1ES0_Li32ELi64ELi256ELb1ELi14EEvPKT_PKT0_S8_ifPKiSA_SA_iPKfiiiPfSD_PS3_PT2_iSC_SC_ ; -- Begin function _Z39paged_attention_ll4mi_QKV_mfma16_kernelI14__hip_bfloat16hLN4vllm18Fp8KVCacheDataTypeE1ES0_Li32ELi64ELi256ELb1ELi14EEvPKT_PKT0_S8_ifPKiSA_SA_iPKfiiiPfSD_PS3_PT2_iSC_SC_
	.globl	_Z39paged_attention_ll4mi_QKV_mfma16_kernelI14__hip_bfloat16hLN4vllm18Fp8KVCacheDataTypeE1ES0_Li32ELi64ELi256ELb1ELi14EEvPKT_PKT0_S8_ifPKiSA_SA_iPKfiiiPfSD_PS3_PT2_iSC_SC_
	.p2align	8
	.type	_Z39paged_attention_ll4mi_QKV_mfma16_kernelI14__hip_bfloat16hLN4vllm18Fp8KVCacheDataTypeE1ES0_Li32ELi64ELi256ELb1ELi14EEvPKT_PKT0_S8_ifPKiSA_SA_iPKfiiiPfSD_PS3_PT2_iSC_SC_,@function
_Z39paged_attention_ll4mi_QKV_mfma16_kernelI14__hip_bfloat16hLN4vllm18Fp8KVCacheDataTypeE1ES0_Li32ELi64ELi256ELb1ELi14EEvPKT_PKT0_S8_ifPKiSA_SA_iPKfiiiPfSD_PS3_PT2_iSC_SC_: ; @_Z39paged_attention_ll4mi_QKV_mfma16_kernelI14__hip_bfloat16hLN4vllm18Fp8KVCacheDataTypeE1ES0_Li32ELi64ELi256ELb1ELi14EEvPKT_PKT0_S8_ifPKiSA_SA_iPKfiiiPfSD_PS3_PT2_iSC_SC_
; %bb.0:
	s_get_pc_i64 s[2:3]
	s_add_nc_u64 s[2:3], s[2:3], __PRETTY_FUNCTION__._Z39paged_attention_ll4mi_QKV_mfma16_kernelI14__hip_bfloat16hLN4vllm18Fp8KVCacheDataTypeE1ES0_Li32ELi64ELi256ELb1ELi14EEvPKT_PKT0_S8_ifPKiSA_SA_iPKfiiiPfSD_PS3_PT2_iSC_SC_@rel64+4
	s_delay_alu instid0(SALU_CYCLE_1)
	v_dual_mov_b32 v0, 0xbb3 :: v_dual_mov_b32 v1, s2
	v_mov_b32_e32 v2, s3
	s_add_nc_u64 s[8:9], s[0:1], 0x90
	s_get_pc_i64 s[0:1]
	s_add_nc_u64 s[0:1], s[0:1], __assert_fail@rel64+4
	s_mov_b32 s32, 0
	s_swap_pc_i64 s[30:31], s[0:1]
	.section	.rodata,"a",@progbits
	.p2align	6, 0x0
	.amdhsa_kernel _Z39paged_attention_ll4mi_QKV_mfma16_kernelI14__hip_bfloat16hLN4vllm18Fp8KVCacheDataTypeE1ES0_Li32ELi64ELi256ELb1ELi14EEvPKT_PKT0_S8_ifPKiSA_SA_iPKfiiiPfSD_PS3_PT2_iSC_SC_
		.amdhsa_group_segment_fixed_size 0
		.amdhsa_private_segment_fixed_size 64
		.amdhsa_kernarg_size 400
		.amdhsa_user_sgpr_count 2
		.amdhsa_user_sgpr_dispatch_ptr 0
		.amdhsa_user_sgpr_queue_ptr 0
		.amdhsa_user_sgpr_kernarg_segment_ptr 1
		.amdhsa_user_sgpr_dispatch_id 0
		.amdhsa_user_sgpr_kernarg_preload_length 0
		.amdhsa_user_sgpr_kernarg_preload_offset 0
		.amdhsa_user_sgpr_private_segment_size 0
		.amdhsa_wavefront_size32 1
		.amdhsa_uses_dynamic_stack 0
		.amdhsa_enable_private_segment 1
		.amdhsa_system_sgpr_workgroup_id_x 1
		.amdhsa_system_sgpr_workgroup_id_y 0
		.amdhsa_system_sgpr_workgroup_id_z 0
		.amdhsa_system_sgpr_workgroup_info 0
		.amdhsa_system_vgpr_workitem_id 0
		.amdhsa_next_free_vgpr 51
		.amdhsa_next_free_sgpr 34
		.amdhsa_named_barrier_count 0
		.amdhsa_reserve_vcc 1
		.amdhsa_float_round_mode_32 0
		.amdhsa_float_round_mode_16_64 0
		.amdhsa_float_denorm_mode_32 3
		.amdhsa_float_denorm_mode_16_64 3
		.amdhsa_fp16_overflow 0
		.amdhsa_memory_ordered 1
		.amdhsa_forward_progress 1
		.amdhsa_inst_pref_size 1
		.amdhsa_round_robin_scheduling 0
		.amdhsa_exception_fp_ieee_invalid_op 0
		.amdhsa_exception_fp_denorm_src 0
		.amdhsa_exception_fp_ieee_div_zero 0
		.amdhsa_exception_fp_ieee_overflow 0
		.amdhsa_exception_fp_ieee_underflow 0
		.amdhsa_exception_fp_ieee_inexact 0
		.amdhsa_exception_int_div_zero 0
	.end_amdhsa_kernel
	.section	.text._Z39paged_attention_ll4mi_QKV_mfma16_kernelI14__hip_bfloat16hLN4vllm18Fp8KVCacheDataTypeE1ES0_Li32ELi64ELi256ELb1ELi14EEvPKT_PKT0_S8_ifPKiSA_SA_iPKfiiiPfSD_PS3_PT2_iSC_SC_,"axG",@progbits,_Z39paged_attention_ll4mi_QKV_mfma16_kernelI14__hip_bfloat16hLN4vllm18Fp8KVCacheDataTypeE1ES0_Li32ELi64ELi256ELb1ELi14EEvPKT_PKT0_S8_ifPKiSA_SA_iPKfiiiPfSD_PS3_PT2_iSC_SC_,comdat
.Lfunc_end1223:
	.size	_Z39paged_attention_ll4mi_QKV_mfma16_kernelI14__hip_bfloat16hLN4vllm18Fp8KVCacheDataTypeE1ES0_Li32ELi64ELi256ELb1ELi14EEvPKT_PKT0_S8_ifPKiSA_SA_iPKfiiiPfSD_PS3_PT2_iSC_SC_, .Lfunc_end1223-_Z39paged_attention_ll4mi_QKV_mfma16_kernelI14__hip_bfloat16hLN4vllm18Fp8KVCacheDataTypeE1ES0_Li32ELi64ELi256ELb1ELi14EEvPKT_PKT0_S8_ifPKiSA_SA_iPKfiiiPfSD_PS3_PT2_iSC_SC_
                                        ; -- End function
	.set _Z39paged_attention_ll4mi_QKV_mfma16_kernelI14__hip_bfloat16hLN4vllm18Fp8KVCacheDataTypeE1ES0_Li32ELi64ELi256ELb1ELi14EEvPKT_PKT0_S8_ifPKiSA_SA_iPKfiiiPfSD_PS3_PT2_iSC_SC_.num_vgpr, max(3, .L__assert_fail.num_vgpr)
	.set _Z39paged_attention_ll4mi_QKV_mfma16_kernelI14__hip_bfloat16hLN4vllm18Fp8KVCacheDataTypeE1ES0_Li32ELi64ELi256ELb1ELi14EEvPKT_PKT0_S8_ifPKiSA_SA_iPKfiiiPfSD_PS3_PT2_iSC_SC_.num_agpr, max(0, .L__assert_fail.num_agpr)
	.set _Z39paged_attention_ll4mi_QKV_mfma16_kernelI14__hip_bfloat16hLN4vllm18Fp8KVCacheDataTypeE1ES0_Li32ELi64ELi256ELb1ELi14EEvPKT_PKT0_S8_ifPKiSA_SA_iPKfiiiPfSD_PS3_PT2_iSC_SC_.numbered_sgpr, max(33, .L__assert_fail.numbered_sgpr)
	.set _Z39paged_attention_ll4mi_QKV_mfma16_kernelI14__hip_bfloat16hLN4vllm18Fp8KVCacheDataTypeE1ES0_Li32ELi64ELi256ELb1ELi14EEvPKT_PKT0_S8_ifPKiSA_SA_iPKfiiiPfSD_PS3_PT2_iSC_SC_.num_named_barrier, max(0, .L__assert_fail.num_named_barrier)
	.set _Z39paged_attention_ll4mi_QKV_mfma16_kernelI14__hip_bfloat16hLN4vllm18Fp8KVCacheDataTypeE1ES0_Li32ELi64ELi256ELb1ELi14EEvPKT_PKT0_S8_ifPKiSA_SA_iPKfiiiPfSD_PS3_PT2_iSC_SC_.private_seg_size, 0+max(.L__assert_fail.private_seg_size)
	.set _Z39paged_attention_ll4mi_QKV_mfma16_kernelI14__hip_bfloat16hLN4vllm18Fp8KVCacheDataTypeE1ES0_Li32ELi64ELi256ELb1ELi14EEvPKT_PKT0_S8_ifPKiSA_SA_iPKfiiiPfSD_PS3_PT2_iSC_SC_.uses_vcc, or(1, .L__assert_fail.uses_vcc)
	.set _Z39paged_attention_ll4mi_QKV_mfma16_kernelI14__hip_bfloat16hLN4vllm18Fp8KVCacheDataTypeE1ES0_Li32ELi64ELi256ELb1ELi14EEvPKT_PKT0_S8_ifPKiSA_SA_iPKfiiiPfSD_PS3_PT2_iSC_SC_.uses_flat_scratch, or(0, .L__assert_fail.uses_flat_scratch)
	.set _Z39paged_attention_ll4mi_QKV_mfma16_kernelI14__hip_bfloat16hLN4vllm18Fp8KVCacheDataTypeE1ES0_Li32ELi64ELi256ELb1ELi14EEvPKT_PKT0_S8_ifPKiSA_SA_iPKfiiiPfSD_PS3_PT2_iSC_SC_.has_dyn_sized_stack, or(0, .L__assert_fail.has_dyn_sized_stack)
	.set _Z39paged_attention_ll4mi_QKV_mfma16_kernelI14__hip_bfloat16hLN4vllm18Fp8KVCacheDataTypeE1ES0_Li32ELi64ELi256ELb1ELi14EEvPKT_PKT0_S8_ifPKiSA_SA_iPKfiiiPfSD_PS3_PT2_iSC_SC_.has_recursion, or(0, .L__assert_fail.has_recursion)
	.set _Z39paged_attention_ll4mi_QKV_mfma16_kernelI14__hip_bfloat16hLN4vllm18Fp8KVCacheDataTypeE1ES0_Li32ELi64ELi256ELb1ELi14EEvPKT_PKT0_S8_ifPKiSA_SA_iPKfiiiPfSD_PS3_PT2_iSC_SC_.has_indirect_call, or(0, .L__assert_fail.has_indirect_call)
	.section	.AMDGPU.csdata,"",@progbits
; Kernel info:
; codeLenInByte = 68
; TotalNumSgprs: 36
; NumVgprs: 51
; ScratchSize: 64
; MemoryBound: 0
; FloatMode: 240
; IeeeMode: 1
; LDSByteSize: 0 bytes/workgroup (compile time only)
; SGPRBlocks: 0
; VGPRBlocks: 3
; NumSGPRsForWavesPerEU: 36
; NumVGPRsForWavesPerEU: 51
; NamedBarCnt: 0
; Occupancy: 16
; WaveLimiterHint : 1
; COMPUTE_PGM_RSRC2:SCRATCH_EN: 1
; COMPUTE_PGM_RSRC2:USER_SGPR: 2
; COMPUTE_PGM_RSRC2:TRAP_HANDLER: 0
; COMPUTE_PGM_RSRC2:TGID_X_EN: 1
; COMPUTE_PGM_RSRC2:TGID_Y_EN: 0
; COMPUTE_PGM_RSRC2:TGID_Z_EN: 0
; COMPUTE_PGM_RSRC2:TIDIG_COMP_CNT: 0
	.section	.text._Z39paged_attention_ll4mi_QKV_mfma16_kernelI14__hip_bfloat16hLN4vllm18Fp8KVCacheDataTypeE1ES0_Li32ELi64ELi256ELb1ELi15EEvPKT_PKT0_S8_ifPKiSA_SA_iPKfiiiPfSD_PS3_PT2_iSC_SC_,"axG",@progbits,_Z39paged_attention_ll4mi_QKV_mfma16_kernelI14__hip_bfloat16hLN4vllm18Fp8KVCacheDataTypeE1ES0_Li32ELi64ELi256ELb1ELi15EEvPKT_PKT0_S8_ifPKiSA_SA_iPKfiiiPfSD_PS3_PT2_iSC_SC_,comdat
	.protected	_Z39paged_attention_ll4mi_QKV_mfma16_kernelI14__hip_bfloat16hLN4vllm18Fp8KVCacheDataTypeE1ES0_Li32ELi64ELi256ELb1ELi15EEvPKT_PKT0_S8_ifPKiSA_SA_iPKfiiiPfSD_PS3_PT2_iSC_SC_ ; -- Begin function _Z39paged_attention_ll4mi_QKV_mfma16_kernelI14__hip_bfloat16hLN4vllm18Fp8KVCacheDataTypeE1ES0_Li32ELi64ELi256ELb1ELi15EEvPKT_PKT0_S8_ifPKiSA_SA_iPKfiiiPfSD_PS3_PT2_iSC_SC_
	.globl	_Z39paged_attention_ll4mi_QKV_mfma16_kernelI14__hip_bfloat16hLN4vllm18Fp8KVCacheDataTypeE1ES0_Li32ELi64ELi256ELb1ELi15EEvPKT_PKT0_S8_ifPKiSA_SA_iPKfiiiPfSD_PS3_PT2_iSC_SC_
	.p2align	8
	.type	_Z39paged_attention_ll4mi_QKV_mfma16_kernelI14__hip_bfloat16hLN4vllm18Fp8KVCacheDataTypeE1ES0_Li32ELi64ELi256ELb1ELi15EEvPKT_PKT0_S8_ifPKiSA_SA_iPKfiiiPfSD_PS3_PT2_iSC_SC_,@function
_Z39paged_attention_ll4mi_QKV_mfma16_kernelI14__hip_bfloat16hLN4vllm18Fp8KVCacheDataTypeE1ES0_Li32ELi64ELi256ELb1ELi15EEvPKT_PKT0_S8_ifPKiSA_SA_iPKfiiiPfSD_PS3_PT2_iSC_SC_: ; @_Z39paged_attention_ll4mi_QKV_mfma16_kernelI14__hip_bfloat16hLN4vllm18Fp8KVCacheDataTypeE1ES0_Li32ELi64ELi256ELb1ELi15EEvPKT_PKT0_S8_ifPKiSA_SA_iPKfiiiPfSD_PS3_PT2_iSC_SC_
; %bb.0:
	s_get_pc_i64 s[2:3]
	s_add_nc_u64 s[2:3], s[2:3], __PRETTY_FUNCTION__._Z39paged_attention_ll4mi_QKV_mfma16_kernelI14__hip_bfloat16hLN4vllm18Fp8KVCacheDataTypeE1ES0_Li32ELi64ELi256ELb1ELi15EEvPKT_PKT0_S8_ifPKiSA_SA_iPKfiiiPfSD_PS3_PT2_iSC_SC_@rel64+4
	s_delay_alu instid0(SALU_CYCLE_1)
	v_dual_mov_b32 v0, 0xbb3 :: v_dual_mov_b32 v1, s2
	v_mov_b32_e32 v2, s3
	s_add_nc_u64 s[8:9], s[0:1], 0x90
	s_get_pc_i64 s[0:1]
	s_add_nc_u64 s[0:1], s[0:1], __assert_fail@rel64+4
	s_mov_b32 s32, 0
	s_swap_pc_i64 s[30:31], s[0:1]
	.section	.rodata,"a",@progbits
	.p2align	6, 0x0
	.amdhsa_kernel _Z39paged_attention_ll4mi_QKV_mfma16_kernelI14__hip_bfloat16hLN4vllm18Fp8KVCacheDataTypeE1ES0_Li32ELi64ELi256ELb1ELi15EEvPKT_PKT0_S8_ifPKiSA_SA_iPKfiiiPfSD_PS3_PT2_iSC_SC_
		.amdhsa_group_segment_fixed_size 0
		.amdhsa_private_segment_fixed_size 64
		.amdhsa_kernarg_size 400
		.amdhsa_user_sgpr_count 2
		.amdhsa_user_sgpr_dispatch_ptr 0
		.amdhsa_user_sgpr_queue_ptr 0
		.amdhsa_user_sgpr_kernarg_segment_ptr 1
		.amdhsa_user_sgpr_dispatch_id 0
		.amdhsa_user_sgpr_kernarg_preload_length 0
		.amdhsa_user_sgpr_kernarg_preload_offset 0
		.amdhsa_user_sgpr_private_segment_size 0
		.amdhsa_wavefront_size32 1
		.amdhsa_uses_dynamic_stack 0
		.amdhsa_enable_private_segment 1
		.amdhsa_system_sgpr_workgroup_id_x 1
		.amdhsa_system_sgpr_workgroup_id_y 0
		.amdhsa_system_sgpr_workgroup_id_z 0
		.amdhsa_system_sgpr_workgroup_info 0
		.amdhsa_system_vgpr_workitem_id 0
		.amdhsa_next_free_vgpr 51
		.amdhsa_next_free_sgpr 34
		.amdhsa_named_barrier_count 0
		.amdhsa_reserve_vcc 1
		.amdhsa_float_round_mode_32 0
		.amdhsa_float_round_mode_16_64 0
		.amdhsa_float_denorm_mode_32 3
		.amdhsa_float_denorm_mode_16_64 3
		.amdhsa_fp16_overflow 0
		.amdhsa_memory_ordered 1
		.amdhsa_forward_progress 1
		.amdhsa_inst_pref_size 1
		.amdhsa_round_robin_scheduling 0
		.amdhsa_exception_fp_ieee_invalid_op 0
		.amdhsa_exception_fp_denorm_src 0
		.amdhsa_exception_fp_ieee_div_zero 0
		.amdhsa_exception_fp_ieee_overflow 0
		.amdhsa_exception_fp_ieee_underflow 0
		.amdhsa_exception_fp_ieee_inexact 0
		.amdhsa_exception_int_div_zero 0
	.end_amdhsa_kernel
	.section	.text._Z39paged_attention_ll4mi_QKV_mfma16_kernelI14__hip_bfloat16hLN4vllm18Fp8KVCacheDataTypeE1ES0_Li32ELi64ELi256ELb1ELi15EEvPKT_PKT0_S8_ifPKiSA_SA_iPKfiiiPfSD_PS3_PT2_iSC_SC_,"axG",@progbits,_Z39paged_attention_ll4mi_QKV_mfma16_kernelI14__hip_bfloat16hLN4vllm18Fp8KVCacheDataTypeE1ES0_Li32ELi64ELi256ELb1ELi15EEvPKT_PKT0_S8_ifPKiSA_SA_iPKfiiiPfSD_PS3_PT2_iSC_SC_,comdat
.Lfunc_end1224:
	.size	_Z39paged_attention_ll4mi_QKV_mfma16_kernelI14__hip_bfloat16hLN4vllm18Fp8KVCacheDataTypeE1ES0_Li32ELi64ELi256ELb1ELi15EEvPKT_PKT0_S8_ifPKiSA_SA_iPKfiiiPfSD_PS3_PT2_iSC_SC_, .Lfunc_end1224-_Z39paged_attention_ll4mi_QKV_mfma16_kernelI14__hip_bfloat16hLN4vllm18Fp8KVCacheDataTypeE1ES0_Li32ELi64ELi256ELb1ELi15EEvPKT_PKT0_S8_ifPKiSA_SA_iPKfiiiPfSD_PS3_PT2_iSC_SC_
                                        ; -- End function
	.set _Z39paged_attention_ll4mi_QKV_mfma16_kernelI14__hip_bfloat16hLN4vllm18Fp8KVCacheDataTypeE1ES0_Li32ELi64ELi256ELb1ELi15EEvPKT_PKT0_S8_ifPKiSA_SA_iPKfiiiPfSD_PS3_PT2_iSC_SC_.num_vgpr, max(3, .L__assert_fail.num_vgpr)
	.set _Z39paged_attention_ll4mi_QKV_mfma16_kernelI14__hip_bfloat16hLN4vllm18Fp8KVCacheDataTypeE1ES0_Li32ELi64ELi256ELb1ELi15EEvPKT_PKT0_S8_ifPKiSA_SA_iPKfiiiPfSD_PS3_PT2_iSC_SC_.num_agpr, max(0, .L__assert_fail.num_agpr)
	.set _Z39paged_attention_ll4mi_QKV_mfma16_kernelI14__hip_bfloat16hLN4vllm18Fp8KVCacheDataTypeE1ES0_Li32ELi64ELi256ELb1ELi15EEvPKT_PKT0_S8_ifPKiSA_SA_iPKfiiiPfSD_PS3_PT2_iSC_SC_.numbered_sgpr, max(33, .L__assert_fail.numbered_sgpr)
	.set _Z39paged_attention_ll4mi_QKV_mfma16_kernelI14__hip_bfloat16hLN4vllm18Fp8KVCacheDataTypeE1ES0_Li32ELi64ELi256ELb1ELi15EEvPKT_PKT0_S8_ifPKiSA_SA_iPKfiiiPfSD_PS3_PT2_iSC_SC_.num_named_barrier, max(0, .L__assert_fail.num_named_barrier)
	.set _Z39paged_attention_ll4mi_QKV_mfma16_kernelI14__hip_bfloat16hLN4vllm18Fp8KVCacheDataTypeE1ES0_Li32ELi64ELi256ELb1ELi15EEvPKT_PKT0_S8_ifPKiSA_SA_iPKfiiiPfSD_PS3_PT2_iSC_SC_.private_seg_size, 0+max(.L__assert_fail.private_seg_size)
	.set _Z39paged_attention_ll4mi_QKV_mfma16_kernelI14__hip_bfloat16hLN4vllm18Fp8KVCacheDataTypeE1ES0_Li32ELi64ELi256ELb1ELi15EEvPKT_PKT0_S8_ifPKiSA_SA_iPKfiiiPfSD_PS3_PT2_iSC_SC_.uses_vcc, or(1, .L__assert_fail.uses_vcc)
	.set _Z39paged_attention_ll4mi_QKV_mfma16_kernelI14__hip_bfloat16hLN4vllm18Fp8KVCacheDataTypeE1ES0_Li32ELi64ELi256ELb1ELi15EEvPKT_PKT0_S8_ifPKiSA_SA_iPKfiiiPfSD_PS3_PT2_iSC_SC_.uses_flat_scratch, or(0, .L__assert_fail.uses_flat_scratch)
	.set _Z39paged_attention_ll4mi_QKV_mfma16_kernelI14__hip_bfloat16hLN4vllm18Fp8KVCacheDataTypeE1ES0_Li32ELi64ELi256ELb1ELi15EEvPKT_PKT0_S8_ifPKiSA_SA_iPKfiiiPfSD_PS3_PT2_iSC_SC_.has_dyn_sized_stack, or(0, .L__assert_fail.has_dyn_sized_stack)
	.set _Z39paged_attention_ll4mi_QKV_mfma16_kernelI14__hip_bfloat16hLN4vllm18Fp8KVCacheDataTypeE1ES0_Li32ELi64ELi256ELb1ELi15EEvPKT_PKT0_S8_ifPKiSA_SA_iPKfiiiPfSD_PS3_PT2_iSC_SC_.has_recursion, or(0, .L__assert_fail.has_recursion)
	.set _Z39paged_attention_ll4mi_QKV_mfma16_kernelI14__hip_bfloat16hLN4vllm18Fp8KVCacheDataTypeE1ES0_Li32ELi64ELi256ELb1ELi15EEvPKT_PKT0_S8_ifPKiSA_SA_iPKfiiiPfSD_PS3_PT2_iSC_SC_.has_indirect_call, or(0, .L__assert_fail.has_indirect_call)
	.section	.AMDGPU.csdata,"",@progbits
; Kernel info:
; codeLenInByte = 68
; TotalNumSgprs: 36
; NumVgprs: 51
; ScratchSize: 64
; MemoryBound: 0
; FloatMode: 240
; IeeeMode: 1
; LDSByteSize: 0 bytes/workgroup (compile time only)
; SGPRBlocks: 0
; VGPRBlocks: 3
; NumSGPRsForWavesPerEU: 36
; NumVGPRsForWavesPerEU: 51
; NamedBarCnt: 0
; Occupancy: 16
; WaveLimiterHint : 1
; COMPUTE_PGM_RSRC2:SCRATCH_EN: 1
; COMPUTE_PGM_RSRC2:USER_SGPR: 2
; COMPUTE_PGM_RSRC2:TRAP_HANDLER: 0
; COMPUTE_PGM_RSRC2:TGID_X_EN: 1
; COMPUTE_PGM_RSRC2:TGID_Y_EN: 0
; COMPUTE_PGM_RSRC2:TGID_Z_EN: 0
; COMPUTE_PGM_RSRC2:TIDIG_COMP_CNT: 0
	.section	.text._Z39paged_attention_ll4mi_QKV_mfma16_kernelI14__hip_bfloat16hLN4vllm18Fp8KVCacheDataTypeE1ES0_Li32ELi64ELi256ELb1ELi16EEvPKT_PKT0_S8_ifPKiSA_SA_iPKfiiiPfSD_PS3_PT2_iSC_SC_,"axG",@progbits,_Z39paged_attention_ll4mi_QKV_mfma16_kernelI14__hip_bfloat16hLN4vllm18Fp8KVCacheDataTypeE1ES0_Li32ELi64ELi256ELb1ELi16EEvPKT_PKT0_S8_ifPKiSA_SA_iPKfiiiPfSD_PS3_PT2_iSC_SC_,comdat
	.protected	_Z39paged_attention_ll4mi_QKV_mfma16_kernelI14__hip_bfloat16hLN4vllm18Fp8KVCacheDataTypeE1ES0_Li32ELi64ELi256ELb1ELi16EEvPKT_PKT0_S8_ifPKiSA_SA_iPKfiiiPfSD_PS3_PT2_iSC_SC_ ; -- Begin function _Z39paged_attention_ll4mi_QKV_mfma16_kernelI14__hip_bfloat16hLN4vllm18Fp8KVCacheDataTypeE1ES0_Li32ELi64ELi256ELb1ELi16EEvPKT_PKT0_S8_ifPKiSA_SA_iPKfiiiPfSD_PS3_PT2_iSC_SC_
	.globl	_Z39paged_attention_ll4mi_QKV_mfma16_kernelI14__hip_bfloat16hLN4vllm18Fp8KVCacheDataTypeE1ES0_Li32ELi64ELi256ELb1ELi16EEvPKT_PKT0_S8_ifPKiSA_SA_iPKfiiiPfSD_PS3_PT2_iSC_SC_
	.p2align	8
	.type	_Z39paged_attention_ll4mi_QKV_mfma16_kernelI14__hip_bfloat16hLN4vllm18Fp8KVCacheDataTypeE1ES0_Li32ELi64ELi256ELb1ELi16EEvPKT_PKT0_S8_ifPKiSA_SA_iPKfiiiPfSD_PS3_PT2_iSC_SC_,@function
_Z39paged_attention_ll4mi_QKV_mfma16_kernelI14__hip_bfloat16hLN4vllm18Fp8KVCacheDataTypeE1ES0_Li32ELi64ELi256ELb1ELi16EEvPKT_PKT0_S8_ifPKiSA_SA_iPKfiiiPfSD_PS3_PT2_iSC_SC_: ; @_Z39paged_attention_ll4mi_QKV_mfma16_kernelI14__hip_bfloat16hLN4vllm18Fp8KVCacheDataTypeE1ES0_Li32ELi64ELi256ELb1ELi16EEvPKT_PKT0_S8_ifPKiSA_SA_iPKfiiiPfSD_PS3_PT2_iSC_SC_
; %bb.0:
	s_get_pc_i64 s[2:3]
	s_add_nc_u64 s[2:3], s[2:3], __PRETTY_FUNCTION__._Z39paged_attention_ll4mi_QKV_mfma16_kernelI14__hip_bfloat16hLN4vllm18Fp8KVCacheDataTypeE1ES0_Li32ELi64ELi256ELb1ELi16EEvPKT_PKT0_S8_ifPKiSA_SA_iPKfiiiPfSD_PS3_PT2_iSC_SC_@rel64+4
	s_delay_alu instid0(SALU_CYCLE_1)
	v_dual_mov_b32 v0, 0xbb3 :: v_dual_mov_b32 v1, s2
	v_mov_b32_e32 v2, s3
	s_add_nc_u64 s[8:9], s[0:1], 0x90
	s_get_pc_i64 s[0:1]
	s_add_nc_u64 s[0:1], s[0:1], __assert_fail@rel64+4
	s_mov_b32 s32, 0
	s_swap_pc_i64 s[30:31], s[0:1]
	.section	.rodata,"a",@progbits
	.p2align	6, 0x0
	.amdhsa_kernel _Z39paged_attention_ll4mi_QKV_mfma16_kernelI14__hip_bfloat16hLN4vllm18Fp8KVCacheDataTypeE1ES0_Li32ELi64ELi256ELb1ELi16EEvPKT_PKT0_S8_ifPKiSA_SA_iPKfiiiPfSD_PS3_PT2_iSC_SC_
		.amdhsa_group_segment_fixed_size 0
		.amdhsa_private_segment_fixed_size 64
		.amdhsa_kernarg_size 400
		.amdhsa_user_sgpr_count 2
		.amdhsa_user_sgpr_dispatch_ptr 0
		.amdhsa_user_sgpr_queue_ptr 0
		.amdhsa_user_sgpr_kernarg_segment_ptr 1
		.amdhsa_user_sgpr_dispatch_id 0
		.amdhsa_user_sgpr_kernarg_preload_length 0
		.amdhsa_user_sgpr_kernarg_preload_offset 0
		.amdhsa_user_sgpr_private_segment_size 0
		.amdhsa_wavefront_size32 1
		.amdhsa_uses_dynamic_stack 0
		.amdhsa_enable_private_segment 1
		.amdhsa_system_sgpr_workgroup_id_x 1
		.amdhsa_system_sgpr_workgroup_id_y 0
		.amdhsa_system_sgpr_workgroup_id_z 0
		.amdhsa_system_sgpr_workgroup_info 0
		.amdhsa_system_vgpr_workitem_id 0
		.amdhsa_next_free_vgpr 51
		.amdhsa_next_free_sgpr 34
		.amdhsa_named_barrier_count 0
		.amdhsa_reserve_vcc 1
		.amdhsa_float_round_mode_32 0
		.amdhsa_float_round_mode_16_64 0
		.amdhsa_float_denorm_mode_32 3
		.amdhsa_float_denorm_mode_16_64 3
		.amdhsa_fp16_overflow 0
		.amdhsa_memory_ordered 1
		.amdhsa_forward_progress 1
		.amdhsa_inst_pref_size 1
		.amdhsa_round_robin_scheduling 0
		.amdhsa_exception_fp_ieee_invalid_op 0
		.amdhsa_exception_fp_denorm_src 0
		.amdhsa_exception_fp_ieee_div_zero 0
		.amdhsa_exception_fp_ieee_overflow 0
		.amdhsa_exception_fp_ieee_underflow 0
		.amdhsa_exception_fp_ieee_inexact 0
		.amdhsa_exception_int_div_zero 0
	.end_amdhsa_kernel
	.section	.text._Z39paged_attention_ll4mi_QKV_mfma16_kernelI14__hip_bfloat16hLN4vllm18Fp8KVCacheDataTypeE1ES0_Li32ELi64ELi256ELb1ELi16EEvPKT_PKT0_S8_ifPKiSA_SA_iPKfiiiPfSD_PS3_PT2_iSC_SC_,"axG",@progbits,_Z39paged_attention_ll4mi_QKV_mfma16_kernelI14__hip_bfloat16hLN4vllm18Fp8KVCacheDataTypeE1ES0_Li32ELi64ELi256ELb1ELi16EEvPKT_PKT0_S8_ifPKiSA_SA_iPKfiiiPfSD_PS3_PT2_iSC_SC_,comdat
.Lfunc_end1225:
	.size	_Z39paged_attention_ll4mi_QKV_mfma16_kernelI14__hip_bfloat16hLN4vllm18Fp8KVCacheDataTypeE1ES0_Li32ELi64ELi256ELb1ELi16EEvPKT_PKT0_S8_ifPKiSA_SA_iPKfiiiPfSD_PS3_PT2_iSC_SC_, .Lfunc_end1225-_Z39paged_attention_ll4mi_QKV_mfma16_kernelI14__hip_bfloat16hLN4vllm18Fp8KVCacheDataTypeE1ES0_Li32ELi64ELi256ELb1ELi16EEvPKT_PKT0_S8_ifPKiSA_SA_iPKfiiiPfSD_PS3_PT2_iSC_SC_
                                        ; -- End function
	.set _Z39paged_attention_ll4mi_QKV_mfma16_kernelI14__hip_bfloat16hLN4vllm18Fp8KVCacheDataTypeE1ES0_Li32ELi64ELi256ELb1ELi16EEvPKT_PKT0_S8_ifPKiSA_SA_iPKfiiiPfSD_PS3_PT2_iSC_SC_.num_vgpr, max(3, .L__assert_fail.num_vgpr)
	.set _Z39paged_attention_ll4mi_QKV_mfma16_kernelI14__hip_bfloat16hLN4vllm18Fp8KVCacheDataTypeE1ES0_Li32ELi64ELi256ELb1ELi16EEvPKT_PKT0_S8_ifPKiSA_SA_iPKfiiiPfSD_PS3_PT2_iSC_SC_.num_agpr, max(0, .L__assert_fail.num_agpr)
	.set _Z39paged_attention_ll4mi_QKV_mfma16_kernelI14__hip_bfloat16hLN4vllm18Fp8KVCacheDataTypeE1ES0_Li32ELi64ELi256ELb1ELi16EEvPKT_PKT0_S8_ifPKiSA_SA_iPKfiiiPfSD_PS3_PT2_iSC_SC_.numbered_sgpr, max(33, .L__assert_fail.numbered_sgpr)
	.set _Z39paged_attention_ll4mi_QKV_mfma16_kernelI14__hip_bfloat16hLN4vllm18Fp8KVCacheDataTypeE1ES0_Li32ELi64ELi256ELb1ELi16EEvPKT_PKT0_S8_ifPKiSA_SA_iPKfiiiPfSD_PS3_PT2_iSC_SC_.num_named_barrier, max(0, .L__assert_fail.num_named_barrier)
	.set _Z39paged_attention_ll4mi_QKV_mfma16_kernelI14__hip_bfloat16hLN4vllm18Fp8KVCacheDataTypeE1ES0_Li32ELi64ELi256ELb1ELi16EEvPKT_PKT0_S8_ifPKiSA_SA_iPKfiiiPfSD_PS3_PT2_iSC_SC_.private_seg_size, 0+max(.L__assert_fail.private_seg_size)
	.set _Z39paged_attention_ll4mi_QKV_mfma16_kernelI14__hip_bfloat16hLN4vllm18Fp8KVCacheDataTypeE1ES0_Li32ELi64ELi256ELb1ELi16EEvPKT_PKT0_S8_ifPKiSA_SA_iPKfiiiPfSD_PS3_PT2_iSC_SC_.uses_vcc, or(1, .L__assert_fail.uses_vcc)
	.set _Z39paged_attention_ll4mi_QKV_mfma16_kernelI14__hip_bfloat16hLN4vllm18Fp8KVCacheDataTypeE1ES0_Li32ELi64ELi256ELb1ELi16EEvPKT_PKT0_S8_ifPKiSA_SA_iPKfiiiPfSD_PS3_PT2_iSC_SC_.uses_flat_scratch, or(0, .L__assert_fail.uses_flat_scratch)
	.set _Z39paged_attention_ll4mi_QKV_mfma16_kernelI14__hip_bfloat16hLN4vllm18Fp8KVCacheDataTypeE1ES0_Li32ELi64ELi256ELb1ELi16EEvPKT_PKT0_S8_ifPKiSA_SA_iPKfiiiPfSD_PS3_PT2_iSC_SC_.has_dyn_sized_stack, or(0, .L__assert_fail.has_dyn_sized_stack)
	.set _Z39paged_attention_ll4mi_QKV_mfma16_kernelI14__hip_bfloat16hLN4vllm18Fp8KVCacheDataTypeE1ES0_Li32ELi64ELi256ELb1ELi16EEvPKT_PKT0_S8_ifPKiSA_SA_iPKfiiiPfSD_PS3_PT2_iSC_SC_.has_recursion, or(0, .L__assert_fail.has_recursion)
	.set _Z39paged_attention_ll4mi_QKV_mfma16_kernelI14__hip_bfloat16hLN4vllm18Fp8KVCacheDataTypeE1ES0_Li32ELi64ELi256ELb1ELi16EEvPKT_PKT0_S8_ifPKiSA_SA_iPKfiiiPfSD_PS3_PT2_iSC_SC_.has_indirect_call, or(0, .L__assert_fail.has_indirect_call)
	.section	.AMDGPU.csdata,"",@progbits
; Kernel info:
; codeLenInByte = 68
; TotalNumSgprs: 36
; NumVgprs: 51
; ScratchSize: 64
; MemoryBound: 0
; FloatMode: 240
; IeeeMode: 1
; LDSByteSize: 0 bytes/workgroup (compile time only)
; SGPRBlocks: 0
; VGPRBlocks: 3
; NumSGPRsForWavesPerEU: 36
; NumVGPRsForWavesPerEU: 51
; NamedBarCnt: 0
; Occupancy: 16
; WaveLimiterHint : 1
; COMPUTE_PGM_RSRC2:SCRATCH_EN: 1
; COMPUTE_PGM_RSRC2:USER_SGPR: 2
; COMPUTE_PGM_RSRC2:TRAP_HANDLER: 0
; COMPUTE_PGM_RSRC2:TGID_X_EN: 1
; COMPUTE_PGM_RSRC2:TGID_Y_EN: 0
; COMPUTE_PGM_RSRC2:TGID_Z_EN: 0
; COMPUTE_PGM_RSRC2:TIDIG_COMP_CNT: 0
	.section	.text._Z39paged_attention_ll4mi_QKV_mfma16_kernelI14__hip_bfloat16hLN4vllm18Fp8KVCacheDataTypeE1ES0_Li32ELi64ELi256ELb1ELi1EEvPKT_PKT0_S8_ifPKiSA_SA_iPKfiiiPfSD_PS3_PT2_iSC_SC_,"axG",@progbits,_Z39paged_attention_ll4mi_QKV_mfma16_kernelI14__hip_bfloat16hLN4vllm18Fp8KVCacheDataTypeE1ES0_Li32ELi64ELi256ELb1ELi1EEvPKT_PKT0_S8_ifPKiSA_SA_iPKfiiiPfSD_PS3_PT2_iSC_SC_,comdat
	.protected	_Z39paged_attention_ll4mi_QKV_mfma16_kernelI14__hip_bfloat16hLN4vllm18Fp8KVCacheDataTypeE1ES0_Li32ELi64ELi256ELb1ELi1EEvPKT_PKT0_S8_ifPKiSA_SA_iPKfiiiPfSD_PS3_PT2_iSC_SC_ ; -- Begin function _Z39paged_attention_ll4mi_QKV_mfma16_kernelI14__hip_bfloat16hLN4vllm18Fp8KVCacheDataTypeE1ES0_Li32ELi64ELi256ELb1ELi1EEvPKT_PKT0_S8_ifPKiSA_SA_iPKfiiiPfSD_PS3_PT2_iSC_SC_
	.globl	_Z39paged_attention_ll4mi_QKV_mfma16_kernelI14__hip_bfloat16hLN4vllm18Fp8KVCacheDataTypeE1ES0_Li32ELi64ELi256ELb1ELi1EEvPKT_PKT0_S8_ifPKiSA_SA_iPKfiiiPfSD_PS3_PT2_iSC_SC_
	.p2align	8
	.type	_Z39paged_attention_ll4mi_QKV_mfma16_kernelI14__hip_bfloat16hLN4vllm18Fp8KVCacheDataTypeE1ES0_Li32ELi64ELi256ELb1ELi1EEvPKT_PKT0_S8_ifPKiSA_SA_iPKfiiiPfSD_PS3_PT2_iSC_SC_,@function
_Z39paged_attention_ll4mi_QKV_mfma16_kernelI14__hip_bfloat16hLN4vllm18Fp8KVCacheDataTypeE1ES0_Li32ELi64ELi256ELb1ELi1EEvPKT_PKT0_S8_ifPKiSA_SA_iPKfiiiPfSD_PS3_PT2_iSC_SC_: ; @_Z39paged_attention_ll4mi_QKV_mfma16_kernelI14__hip_bfloat16hLN4vllm18Fp8KVCacheDataTypeE1ES0_Li32ELi64ELi256ELb1ELi1EEvPKT_PKT0_S8_ifPKiSA_SA_iPKfiiiPfSD_PS3_PT2_iSC_SC_
; %bb.0:
	s_get_pc_i64 s[2:3]
	s_add_nc_u64 s[2:3], s[2:3], __PRETTY_FUNCTION__._Z39paged_attention_ll4mi_QKV_mfma16_kernelI14__hip_bfloat16hLN4vllm18Fp8KVCacheDataTypeE1ES0_Li32ELi64ELi256ELb1ELi1EEvPKT_PKT0_S8_ifPKiSA_SA_iPKfiiiPfSD_PS3_PT2_iSC_SC_@rel64+4
	s_delay_alu instid0(SALU_CYCLE_1)
	v_dual_mov_b32 v0, 0xbb3 :: v_dual_mov_b32 v1, s2
	v_mov_b32_e32 v2, s3
	s_add_nc_u64 s[8:9], s[0:1], 0x90
	s_get_pc_i64 s[0:1]
	s_add_nc_u64 s[0:1], s[0:1], __assert_fail@rel64+4
	s_mov_b32 s32, 0
	s_swap_pc_i64 s[30:31], s[0:1]
	.section	.rodata,"a",@progbits
	.p2align	6, 0x0
	.amdhsa_kernel _Z39paged_attention_ll4mi_QKV_mfma16_kernelI14__hip_bfloat16hLN4vllm18Fp8KVCacheDataTypeE1ES0_Li32ELi64ELi256ELb1ELi1EEvPKT_PKT0_S8_ifPKiSA_SA_iPKfiiiPfSD_PS3_PT2_iSC_SC_
		.amdhsa_group_segment_fixed_size 0
		.amdhsa_private_segment_fixed_size 64
		.amdhsa_kernarg_size 400
		.amdhsa_user_sgpr_count 2
		.amdhsa_user_sgpr_dispatch_ptr 0
		.amdhsa_user_sgpr_queue_ptr 0
		.amdhsa_user_sgpr_kernarg_segment_ptr 1
		.amdhsa_user_sgpr_dispatch_id 0
		.amdhsa_user_sgpr_kernarg_preload_length 0
		.amdhsa_user_sgpr_kernarg_preload_offset 0
		.amdhsa_user_sgpr_private_segment_size 0
		.amdhsa_wavefront_size32 1
		.amdhsa_uses_dynamic_stack 0
		.amdhsa_enable_private_segment 1
		.amdhsa_system_sgpr_workgroup_id_x 1
		.amdhsa_system_sgpr_workgroup_id_y 0
		.amdhsa_system_sgpr_workgroup_id_z 0
		.amdhsa_system_sgpr_workgroup_info 0
		.amdhsa_system_vgpr_workitem_id 0
		.amdhsa_next_free_vgpr 51
		.amdhsa_next_free_sgpr 34
		.amdhsa_named_barrier_count 0
		.amdhsa_reserve_vcc 1
		.amdhsa_float_round_mode_32 0
		.amdhsa_float_round_mode_16_64 0
		.amdhsa_float_denorm_mode_32 3
		.amdhsa_float_denorm_mode_16_64 3
		.amdhsa_fp16_overflow 0
		.amdhsa_memory_ordered 1
		.amdhsa_forward_progress 1
		.amdhsa_inst_pref_size 1
		.amdhsa_round_robin_scheduling 0
		.amdhsa_exception_fp_ieee_invalid_op 0
		.amdhsa_exception_fp_denorm_src 0
		.amdhsa_exception_fp_ieee_div_zero 0
		.amdhsa_exception_fp_ieee_overflow 0
		.amdhsa_exception_fp_ieee_underflow 0
		.amdhsa_exception_fp_ieee_inexact 0
		.amdhsa_exception_int_div_zero 0
	.end_amdhsa_kernel
	.section	.text._Z39paged_attention_ll4mi_QKV_mfma16_kernelI14__hip_bfloat16hLN4vllm18Fp8KVCacheDataTypeE1ES0_Li32ELi64ELi256ELb1ELi1EEvPKT_PKT0_S8_ifPKiSA_SA_iPKfiiiPfSD_PS3_PT2_iSC_SC_,"axG",@progbits,_Z39paged_attention_ll4mi_QKV_mfma16_kernelI14__hip_bfloat16hLN4vllm18Fp8KVCacheDataTypeE1ES0_Li32ELi64ELi256ELb1ELi1EEvPKT_PKT0_S8_ifPKiSA_SA_iPKfiiiPfSD_PS3_PT2_iSC_SC_,comdat
.Lfunc_end1226:
	.size	_Z39paged_attention_ll4mi_QKV_mfma16_kernelI14__hip_bfloat16hLN4vllm18Fp8KVCacheDataTypeE1ES0_Li32ELi64ELi256ELb1ELi1EEvPKT_PKT0_S8_ifPKiSA_SA_iPKfiiiPfSD_PS3_PT2_iSC_SC_, .Lfunc_end1226-_Z39paged_attention_ll4mi_QKV_mfma16_kernelI14__hip_bfloat16hLN4vllm18Fp8KVCacheDataTypeE1ES0_Li32ELi64ELi256ELb1ELi1EEvPKT_PKT0_S8_ifPKiSA_SA_iPKfiiiPfSD_PS3_PT2_iSC_SC_
                                        ; -- End function
	.set _Z39paged_attention_ll4mi_QKV_mfma16_kernelI14__hip_bfloat16hLN4vllm18Fp8KVCacheDataTypeE1ES0_Li32ELi64ELi256ELb1ELi1EEvPKT_PKT0_S8_ifPKiSA_SA_iPKfiiiPfSD_PS3_PT2_iSC_SC_.num_vgpr, max(3, .L__assert_fail.num_vgpr)
	.set _Z39paged_attention_ll4mi_QKV_mfma16_kernelI14__hip_bfloat16hLN4vllm18Fp8KVCacheDataTypeE1ES0_Li32ELi64ELi256ELb1ELi1EEvPKT_PKT0_S8_ifPKiSA_SA_iPKfiiiPfSD_PS3_PT2_iSC_SC_.num_agpr, max(0, .L__assert_fail.num_agpr)
	.set _Z39paged_attention_ll4mi_QKV_mfma16_kernelI14__hip_bfloat16hLN4vllm18Fp8KVCacheDataTypeE1ES0_Li32ELi64ELi256ELb1ELi1EEvPKT_PKT0_S8_ifPKiSA_SA_iPKfiiiPfSD_PS3_PT2_iSC_SC_.numbered_sgpr, max(33, .L__assert_fail.numbered_sgpr)
	.set _Z39paged_attention_ll4mi_QKV_mfma16_kernelI14__hip_bfloat16hLN4vllm18Fp8KVCacheDataTypeE1ES0_Li32ELi64ELi256ELb1ELi1EEvPKT_PKT0_S8_ifPKiSA_SA_iPKfiiiPfSD_PS3_PT2_iSC_SC_.num_named_barrier, max(0, .L__assert_fail.num_named_barrier)
	.set _Z39paged_attention_ll4mi_QKV_mfma16_kernelI14__hip_bfloat16hLN4vllm18Fp8KVCacheDataTypeE1ES0_Li32ELi64ELi256ELb1ELi1EEvPKT_PKT0_S8_ifPKiSA_SA_iPKfiiiPfSD_PS3_PT2_iSC_SC_.private_seg_size, 0+max(.L__assert_fail.private_seg_size)
	.set _Z39paged_attention_ll4mi_QKV_mfma16_kernelI14__hip_bfloat16hLN4vllm18Fp8KVCacheDataTypeE1ES0_Li32ELi64ELi256ELb1ELi1EEvPKT_PKT0_S8_ifPKiSA_SA_iPKfiiiPfSD_PS3_PT2_iSC_SC_.uses_vcc, or(1, .L__assert_fail.uses_vcc)
	.set _Z39paged_attention_ll4mi_QKV_mfma16_kernelI14__hip_bfloat16hLN4vllm18Fp8KVCacheDataTypeE1ES0_Li32ELi64ELi256ELb1ELi1EEvPKT_PKT0_S8_ifPKiSA_SA_iPKfiiiPfSD_PS3_PT2_iSC_SC_.uses_flat_scratch, or(0, .L__assert_fail.uses_flat_scratch)
	.set _Z39paged_attention_ll4mi_QKV_mfma16_kernelI14__hip_bfloat16hLN4vllm18Fp8KVCacheDataTypeE1ES0_Li32ELi64ELi256ELb1ELi1EEvPKT_PKT0_S8_ifPKiSA_SA_iPKfiiiPfSD_PS3_PT2_iSC_SC_.has_dyn_sized_stack, or(0, .L__assert_fail.has_dyn_sized_stack)
	.set _Z39paged_attention_ll4mi_QKV_mfma16_kernelI14__hip_bfloat16hLN4vllm18Fp8KVCacheDataTypeE1ES0_Li32ELi64ELi256ELb1ELi1EEvPKT_PKT0_S8_ifPKiSA_SA_iPKfiiiPfSD_PS3_PT2_iSC_SC_.has_recursion, or(0, .L__assert_fail.has_recursion)
	.set _Z39paged_attention_ll4mi_QKV_mfma16_kernelI14__hip_bfloat16hLN4vllm18Fp8KVCacheDataTypeE1ES0_Li32ELi64ELi256ELb1ELi1EEvPKT_PKT0_S8_ifPKiSA_SA_iPKfiiiPfSD_PS3_PT2_iSC_SC_.has_indirect_call, or(0, .L__assert_fail.has_indirect_call)
	.section	.AMDGPU.csdata,"",@progbits
; Kernel info:
; codeLenInByte = 68
; TotalNumSgprs: 36
; NumVgprs: 51
; ScratchSize: 64
; MemoryBound: 0
; FloatMode: 240
; IeeeMode: 1
; LDSByteSize: 0 bytes/workgroup (compile time only)
; SGPRBlocks: 0
; VGPRBlocks: 3
; NumSGPRsForWavesPerEU: 36
; NumVGPRsForWavesPerEU: 51
; NamedBarCnt: 0
; Occupancy: 16
; WaveLimiterHint : 1
; COMPUTE_PGM_RSRC2:SCRATCH_EN: 1
; COMPUTE_PGM_RSRC2:USER_SGPR: 2
; COMPUTE_PGM_RSRC2:TRAP_HANDLER: 0
; COMPUTE_PGM_RSRC2:TGID_X_EN: 1
; COMPUTE_PGM_RSRC2:TGID_Y_EN: 0
; COMPUTE_PGM_RSRC2:TGID_Z_EN: 0
; COMPUTE_PGM_RSRC2:TIDIG_COMP_CNT: 0
	.section	.text._Z39paged_attention_ll4mi_QKV_mfma16_kernelI14__hip_bfloat16hLN4vllm18Fp8KVCacheDataTypeE1ES0_Li32ELi64ELi256ELb1ELi2EEvPKT_PKT0_S8_ifPKiSA_SA_iPKfiiiPfSD_PS3_PT2_iSC_SC_,"axG",@progbits,_Z39paged_attention_ll4mi_QKV_mfma16_kernelI14__hip_bfloat16hLN4vllm18Fp8KVCacheDataTypeE1ES0_Li32ELi64ELi256ELb1ELi2EEvPKT_PKT0_S8_ifPKiSA_SA_iPKfiiiPfSD_PS3_PT2_iSC_SC_,comdat
	.protected	_Z39paged_attention_ll4mi_QKV_mfma16_kernelI14__hip_bfloat16hLN4vllm18Fp8KVCacheDataTypeE1ES0_Li32ELi64ELi256ELb1ELi2EEvPKT_PKT0_S8_ifPKiSA_SA_iPKfiiiPfSD_PS3_PT2_iSC_SC_ ; -- Begin function _Z39paged_attention_ll4mi_QKV_mfma16_kernelI14__hip_bfloat16hLN4vllm18Fp8KVCacheDataTypeE1ES0_Li32ELi64ELi256ELb1ELi2EEvPKT_PKT0_S8_ifPKiSA_SA_iPKfiiiPfSD_PS3_PT2_iSC_SC_
	.globl	_Z39paged_attention_ll4mi_QKV_mfma16_kernelI14__hip_bfloat16hLN4vllm18Fp8KVCacheDataTypeE1ES0_Li32ELi64ELi256ELb1ELi2EEvPKT_PKT0_S8_ifPKiSA_SA_iPKfiiiPfSD_PS3_PT2_iSC_SC_
	.p2align	8
	.type	_Z39paged_attention_ll4mi_QKV_mfma16_kernelI14__hip_bfloat16hLN4vllm18Fp8KVCacheDataTypeE1ES0_Li32ELi64ELi256ELb1ELi2EEvPKT_PKT0_S8_ifPKiSA_SA_iPKfiiiPfSD_PS3_PT2_iSC_SC_,@function
_Z39paged_attention_ll4mi_QKV_mfma16_kernelI14__hip_bfloat16hLN4vllm18Fp8KVCacheDataTypeE1ES0_Li32ELi64ELi256ELb1ELi2EEvPKT_PKT0_S8_ifPKiSA_SA_iPKfiiiPfSD_PS3_PT2_iSC_SC_: ; @_Z39paged_attention_ll4mi_QKV_mfma16_kernelI14__hip_bfloat16hLN4vllm18Fp8KVCacheDataTypeE1ES0_Li32ELi64ELi256ELb1ELi2EEvPKT_PKT0_S8_ifPKiSA_SA_iPKfiiiPfSD_PS3_PT2_iSC_SC_
; %bb.0:
	s_get_pc_i64 s[2:3]
	s_add_nc_u64 s[2:3], s[2:3], __PRETTY_FUNCTION__._Z39paged_attention_ll4mi_QKV_mfma16_kernelI14__hip_bfloat16hLN4vllm18Fp8KVCacheDataTypeE1ES0_Li32ELi64ELi256ELb1ELi2EEvPKT_PKT0_S8_ifPKiSA_SA_iPKfiiiPfSD_PS3_PT2_iSC_SC_@rel64+4
	s_delay_alu instid0(SALU_CYCLE_1)
	v_dual_mov_b32 v0, 0xbb3 :: v_dual_mov_b32 v1, s2
	v_mov_b32_e32 v2, s3
	s_add_nc_u64 s[8:9], s[0:1], 0x90
	s_get_pc_i64 s[0:1]
	s_add_nc_u64 s[0:1], s[0:1], __assert_fail@rel64+4
	s_mov_b32 s32, 0
	s_swap_pc_i64 s[30:31], s[0:1]
	.section	.rodata,"a",@progbits
	.p2align	6, 0x0
	.amdhsa_kernel _Z39paged_attention_ll4mi_QKV_mfma16_kernelI14__hip_bfloat16hLN4vllm18Fp8KVCacheDataTypeE1ES0_Li32ELi64ELi256ELb1ELi2EEvPKT_PKT0_S8_ifPKiSA_SA_iPKfiiiPfSD_PS3_PT2_iSC_SC_
		.amdhsa_group_segment_fixed_size 0
		.amdhsa_private_segment_fixed_size 64
		.amdhsa_kernarg_size 400
		.amdhsa_user_sgpr_count 2
		.amdhsa_user_sgpr_dispatch_ptr 0
		.amdhsa_user_sgpr_queue_ptr 0
		.amdhsa_user_sgpr_kernarg_segment_ptr 1
		.amdhsa_user_sgpr_dispatch_id 0
		.amdhsa_user_sgpr_kernarg_preload_length 0
		.amdhsa_user_sgpr_kernarg_preload_offset 0
		.amdhsa_user_sgpr_private_segment_size 0
		.amdhsa_wavefront_size32 1
		.amdhsa_uses_dynamic_stack 0
		.amdhsa_enable_private_segment 1
		.amdhsa_system_sgpr_workgroup_id_x 1
		.amdhsa_system_sgpr_workgroup_id_y 0
		.amdhsa_system_sgpr_workgroup_id_z 0
		.amdhsa_system_sgpr_workgroup_info 0
		.amdhsa_system_vgpr_workitem_id 0
		.amdhsa_next_free_vgpr 51
		.amdhsa_next_free_sgpr 34
		.amdhsa_named_barrier_count 0
		.amdhsa_reserve_vcc 1
		.amdhsa_float_round_mode_32 0
		.amdhsa_float_round_mode_16_64 0
		.amdhsa_float_denorm_mode_32 3
		.amdhsa_float_denorm_mode_16_64 3
		.amdhsa_fp16_overflow 0
		.amdhsa_memory_ordered 1
		.amdhsa_forward_progress 1
		.amdhsa_inst_pref_size 1
		.amdhsa_round_robin_scheduling 0
		.amdhsa_exception_fp_ieee_invalid_op 0
		.amdhsa_exception_fp_denorm_src 0
		.amdhsa_exception_fp_ieee_div_zero 0
		.amdhsa_exception_fp_ieee_overflow 0
		.amdhsa_exception_fp_ieee_underflow 0
		.amdhsa_exception_fp_ieee_inexact 0
		.amdhsa_exception_int_div_zero 0
	.end_amdhsa_kernel
	.section	.text._Z39paged_attention_ll4mi_QKV_mfma16_kernelI14__hip_bfloat16hLN4vllm18Fp8KVCacheDataTypeE1ES0_Li32ELi64ELi256ELb1ELi2EEvPKT_PKT0_S8_ifPKiSA_SA_iPKfiiiPfSD_PS3_PT2_iSC_SC_,"axG",@progbits,_Z39paged_attention_ll4mi_QKV_mfma16_kernelI14__hip_bfloat16hLN4vllm18Fp8KVCacheDataTypeE1ES0_Li32ELi64ELi256ELb1ELi2EEvPKT_PKT0_S8_ifPKiSA_SA_iPKfiiiPfSD_PS3_PT2_iSC_SC_,comdat
.Lfunc_end1227:
	.size	_Z39paged_attention_ll4mi_QKV_mfma16_kernelI14__hip_bfloat16hLN4vllm18Fp8KVCacheDataTypeE1ES0_Li32ELi64ELi256ELb1ELi2EEvPKT_PKT0_S8_ifPKiSA_SA_iPKfiiiPfSD_PS3_PT2_iSC_SC_, .Lfunc_end1227-_Z39paged_attention_ll4mi_QKV_mfma16_kernelI14__hip_bfloat16hLN4vllm18Fp8KVCacheDataTypeE1ES0_Li32ELi64ELi256ELb1ELi2EEvPKT_PKT0_S8_ifPKiSA_SA_iPKfiiiPfSD_PS3_PT2_iSC_SC_
                                        ; -- End function
	.set _Z39paged_attention_ll4mi_QKV_mfma16_kernelI14__hip_bfloat16hLN4vllm18Fp8KVCacheDataTypeE1ES0_Li32ELi64ELi256ELb1ELi2EEvPKT_PKT0_S8_ifPKiSA_SA_iPKfiiiPfSD_PS3_PT2_iSC_SC_.num_vgpr, max(3, .L__assert_fail.num_vgpr)
	.set _Z39paged_attention_ll4mi_QKV_mfma16_kernelI14__hip_bfloat16hLN4vllm18Fp8KVCacheDataTypeE1ES0_Li32ELi64ELi256ELb1ELi2EEvPKT_PKT0_S8_ifPKiSA_SA_iPKfiiiPfSD_PS3_PT2_iSC_SC_.num_agpr, max(0, .L__assert_fail.num_agpr)
	.set _Z39paged_attention_ll4mi_QKV_mfma16_kernelI14__hip_bfloat16hLN4vllm18Fp8KVCacheDataTypeE1ES0_Li32ELi64ELi256ELb1ELi2EEvPKT_PKT0_S8_ifPKiSA_SA_iPKfiiiPfSD_PS3_PT2_iSC_SC_.numbered_sgpr, max(33, .L__assert_fail.numbered_sgpr)
	.set _Z39paged_attention_ll4mi_QKV_mfma16_kernelI14__hip_bfloat16hLN4vllm18Fp8KVCacheDataTypeE1ES0_Li32ELi64ELi256ELb1ELi2EEvPKT_PKT0_S8_ifPKiSA_SA_iPKfiiiPfSD_PS3_PT2_iSC_SC_.num_named_barrier, max(0, .L__assert_fail.num_named_barrier)
	.set _Z39paged_attention_ll4mi_QKV_mfma16_kernelI14__hip_bfloat16hLN4vllm18Fp8KVCacheDataTypeE1ES0_Li32ELi64ELi256ELb1ELi2EEvPKT_PKT0_S8_ifPKiSA_SA_iPKfiiiPfSD_PS3_PT2_iSC_SC_.private_seg_size, 0+max(.L__assert_fail.private_seg_size)
	.set _Z39paged_attention_ll4mi_QKV_mfma16_kernelI14__hip_bfloat16hLN4vllm18Fp8KVCacheDataTypeE1ES0_Li32ELi64ELi256ELb1ELi2EEvPKT_PKT0_S8_ifPKiSA_SA_iPKfiiiPfSD_PS3_PT2_iSC_SC_.uses_vcc, or(1, .L__assert_fail.uses_vcc)
	.set _Z39paged_attention_ll4mi_QKV_mfma16_kernelI14__hip_bfloat16hLN4vllm18Fp8KVCacheDataTypeE1ES0_Li32ELi64ELi256ELb1ELi2EEvPKT_PKT0_S8_ifPKiSA_SA_iPKfiiiPfSD_PS3_PT2_iSC_SC_.uses_flat_scratch, or(0, .L__assert_fail.uses_flat_scratch)
	.set _Z39paged_attention_ll4mi_QKV_mfma16_kernelI14__hip_bfloat16hLN4vllm18Fp8KVCacheDataTypeE1ES0_Li32ELi64ELi256ELb1ELi2EEvPKT_PKT0_S8_ifPKiSA_SA_iPKfiiiPfSD_PS3_PT2_iSC_SC_.has_dyn_sized_stack, or(0, .L__assert_fail.has_dyn_sized_stack)
	.set _Z39paged_attention_ll4mi_QKV_mfma16_kernelI14__hip_bfloat16hLN4vllm18Fp8KVCacheDataTypeE1ES0_Li32ELi64ELi256ELb1ELi2EEvPKT_PKT0_S8_ifPKiSA_SA_iPKfiiiPfSD_PS3_PT2_iSC_SC_.has_recursion, or(0, .L__assert_fail.has_recursion)
	.set _Z39paged_attention_ll4mi_QKV_mfma16_kernelI14__hip_bfloat16hLN4vllm18Fp8KVCacheDataTypeE1ES0_Li32ELi64ELi256ELb1ELi2EEvPKT_PKT0_S8_ifPKiSA_SA_iPKfiiiPfSD_PS3_PT2_iSC_SC_.has_indirect_call, or(0, .L__assert_fail.has_indirect_call)
	.section	.AMDGPU.csdata,"",@progbits
; Kernel info:
; codeLenInByte = 68
; TotalNumSgprs: 36
; NumVgprs: 51
; ScratchSize: 64
; MemoryBound: 0
; FloatMode: 240
; IeeeMode: 1
; LDSByteSize: 0 bytes/workgroup (compile time only)
; SGPRBlocks: 0
; VGPRBlocks: 3
; NumSGPRsForWavesPerEU: 36
; NumVGPRsForWavesPerEU: 51
; NamedBarCnt: 0
; Occupancy: 16
; WaveLimiterHint : 1
; COMPUTE_PGM_RSRC2:SCRATCH_EN: 1
; COMPUTE_PGM_RSRC2:USER_SGPR: 2
; COMPUTE_PGM_RSRC2:TRAP_HANDLER: 0
; COMPUTE_PGM_RSRC2:TGID_X_EN: 1
; COMPUTE_PGM_RSRC2:TGID_Y_EN: 0
; COMPUTE_PGM_RSRC2:TGID_Z_EN: 0
; COMPUTE_PGM_RSRC2:TIDIG_COMP_CNT: 0
	.section	.text._Z39paged_attention_ll4mi_QKV_mfma16_kernelI14__hip_bfloat16hLN4vllm18Fp8KVCacheDataTypeE1ES0_Li32ELi64ELi256ELb1ELi3EEvPKT_PKT0_S8_ifPKiSA_SA_iPKfiiiPfSD_PS3_PT2_iSC_SC_,"axG",@progbits,_Z39paged_attention_ll4mi_QKV_mfma16_kernelI14__hip_bfloat16hLN4vllm18Fp8KVCacheDataTypeE1ES0_Li32ELi64ELi256ELb1ELi3EEvPKT_PKT0_S8_ifPKiSA_SA_iPKfiiiPfSD_PS3_PT2_iSC_SC_,comdat
	.protected	_Z39paged_attention_ll4mi_QKV_mfma16_kernelI14__hip_bfloat16hLN4vllm18Fp8KVCacheDataTypeE1ES0_Li32ELi64ELi256ELb1ELi3EEvPKT_PKT0_S8_ifPKiSA_SA_iPKfiiiPfSD_PS3_PT2_iSC_SC_ ; -- Begin function _Z39paged_attention_ll4mi_QKV_mfma16_kernelI14__hip_bfloat16hLN4vllm18Fp8KVCacheDataTypeE1ES0_Li32ELi64ELi256ELb1ELi3EEvPKT_PKT0_S8_ifPKiSA_SA_iPKfiiiPfSD_PS3_PT2_iSC_SC_
	.globl	_Z39paged_attention_ll4mi_QKV_mfma16_kernelI14__hip_bfloat16hLN4vllm18Fp8KVCacheDataTypeE1ES0_Li32ELi64ELi256ELb1ELi3EEvPKT_PKT0_S8_ifPKiSA_SA_iPKfiiiPfSD_PS3_PT2_iSC_SC_
	.p2align	8
	.type	_Z39paged_attention_ll4mi_QKV_mfma16_kernelI14__hip_bfloat16hLN4vllm18Fp8KVCacheDataTypeE1ES0_Li32ELi64ELi256ELb1ELi3EEvPKT_PKT0_S8_ifPKiSA_SA_iPKfiiiPfSD_PS3_PT2_iSC_SC_,@function
_Z39paged_attention_ll4mi_QKV_mfma16_kernelI14__hip_bfloat16hLN4vllm18Fp8KVCacheDataTypeE1ES0_Li32ELi64ELi256ELb1ELi3EEvPKT_PKT0_S8_ifPKiSA_SA_iPKfiiiPfSD_PS3_PT2_iSC_SC_: ; @_Z39paged_attention_ll4mi_QKV_mfma16_kernelI14__hip_bfloat16hLN4vllm18Fp8KVCacheDataTypeE1ES0_Li32ELi64ELi256ELb1ELi3EEvPKT_PKT0_S8_ifPKiSA_SA_iPKfiiiPfSD_PS3_PT2_iSC_SC_
; %bb.0:
	s_get_pc_i64 s[2:3]
	s_add_nc_u64 s[2:3], s[2:3], __PRETTY_FUNCTION__._Z39paged_attention_ll4mi_QKV_mfma16_kernelI14__hip_bfloat16hLN4vllm18Fp8KVCacheDataTypeE1ES0_Li32ELi64ELi256ELb1ELi3EEvPKT_PKT0_S8_ifPKiSA_SA_iPKfiiiPfSD_PS3_PT2_iSC_SC_@rel64+4
	s_delay_alu instid0(SALU_CYCLE_1)
	v_dual_mov_b32 v0, 0xbb3 :: v_dual_mov_b32 v1, s2
	v_mov_b32_e32 v2, s3
	s_add_nc_u64 s[8:9], s[0:1], 0x90
	s_get_pc_i64 s[0:1]
	s_add_nc_u64 s[0:1], s[0:1], __assert_fail@rel64+4
	s_mov_b32 s32, 0
	s_swap_pc_i64 s[30:31], s[0:1]
	.section	.rodata,"a",@progbits
	.p2align	6, 0x0
	.amdhsa_kernel _Z39paged_attention_ll4mi_QKV_mfma16_kernelI14__hip_bfloat16hLN4vllm18Fp8KVCacheDataTypeE1ES0_Li32ELi64ELi256ELb1ELi3EEvPKT_PKT0_S8_ifPKiSA_SA_iPKfiiiPfSD_PS3_PT2_iSC_SC_
		.amdhsa_group_segment_fixed_size 0
		.amdhsa_private_segment_fixed_size 64
		.amdhsa_kernarg_size 400
		.amdhsa_user_sgpr_count 2
		.amdhsa_user_sgpr_dispatch_ptr 0
		.amdhsa_user_sgpr_queue_ptr 0
		.amdhsa_user_sgpr_kernarg_segment_ptr 1
		.amdhsa_user_sgpr_dispatch_id 0
		.amdhsa_user_sgpr_kernarg_preload_length 0
		.amdhsa_user_sgpr_kernarg_preload_offset 0
		.amdhsa_user_sgpr_private_segment_size 0
		.amdhsa_wavefront_size32 1
		.amdhsa_uses_dynamic_stack 0
		.amdhsa_enable_private_segment 1
		.amdhsa_system_sgpr_workgroup_id_x 1
		.amdhsa_system_sgpr_workgroup_id_y 0
		.amdhsa_system_sgpr_workgroup_id_z 0
		.amdhsa_system_sgpr_workgroup_info 0
		.amdhsa_system_vgpr_workitem_id 0
		.amdhsa_next_free_vgpr 51
		.amdhsa_next_free_sgpr 34
		.amdhsa_named_barrier_count 0
		.amdhsa_reserve_vcc 1
		.amdhsa_float_round_mode_32 0
		.amdhsa_float_round_mode_16_64 0
		.amdhsa_float_denorm_mode_32 3
		.amdhsa_float_denorm_mode_16_64 3
		.amdhsa_fp16_overflow 0
		.amdhsa_memory_ordered 1
		.amdhsa_forward_progress 1
		.amdhsa_inst_pref_size 1
		.amdhsa_round_robin_scheduling 0
		.amdhsa_exception_fp_ieee_invalid_op 0
		.amdhsa_exception_fp_denorm_src 0
		.amdhsa_exception_fp_ieee_div_zero 0
		.amdhsa_exception_fp_ieee_overflow 0
		.amdhsa_exception_fp_ieee_underflow 0
		.amdhsa_exception_fp_ieee_inexact 0
		.amdhsa_exception_int_div_zero 0
	.end_amdhsa_kernel
	.section	.text._Z39paged_attention_ll4mi_QKV_mfma16_kernelI14__hip_bfloat16hLN4vllm18Fp8KVCacheDataTypeE1ES0_Li32ELi64ELi256ELb1ELi3EEvPKT_PKT0_S8_ifPKiSA_SA_iPKfiiiPfSD_PS3_PT2_iSC_SC_,"axG",@progbits,_Z39paged_attention_ll4mi_QKV_mfma16_kernelI14__hip_bfloat16hLN4vllm18Fp8KVCacheDataTypeE1ES0_Li32ELi64ELi256ELb1ELi3EEvPKT_PKT0_S8_ifPKiSA_SA_iPKfiiiPfSD_PS3_PT2_iSC_SC_,comdat
.Lfunc_end1228:
	.size	_Z39paged_attention_ll4mi_QKV_mfma16_kernelI14__hip_bfloat16hLN4vllm18Fp8KVCacheDataTypeE1ES0_Li32ELi64ELi256ELb1ELi3EEvPKT_PKT0_S8_ifPKiSA_SA_iPKfiiiPfSD_PS3_PT2_iSC_SC_, .Lfunc_end1228-_Z39paged_attention_ll4mi_QKV_mfma16_kernelI14__hip_bfloat16hLN4vllm18Fp8KVCacheDataTypeE1ES0_Li32ELi64ELi256ELb1ELi3EEvPKT_PKT0_S8_ifPKiSA_SA_iPKfiiiPfSD_PS3_PT2_iSC_SC_
                                        ; -- End function
	.set _Z39paged_attention_ll4mi_QKV_mfma16_kernelI14__hip_bfloat16hLN4vllm18Fp8KVCacheDataTypeE1ES0_Li32ELi64ELi256ELb1ELi3EEvPKT_PKT0_S8_ifPKiSA_SA_iPKfiiiPfSD_PS3_PT2_iSC_SC_.num_vgpr, max(3, .L__assert_fail.num_vgpr)
	.set _Z39paged_attention_ll4mi_QKV_mfma16_kernelI14__hip_bfloat16hLN4vllm18Fp8KVCacheDataTypeE1ES0_Li32ELi64ELi256ELb1ELi3EEvPKT_PKT0_S8_ifPKiSA_SA_iPKfiiiPfSD_PS3_PT2_iSC_SC_.num_agpr, max(0, .L__assert_fail.num_agpr)
	.set _Z39paged_attention_ll4mi_QKV_mfma16_kernelI14__hip_bfloat16hLN4vllm18Fp8KVCacheDataTypeE1ES0_Li32ELi64ELi256ELb1ELi3EEvPKT_PKT0_S8_ifPKiSA_SA_iPKfiiiPfSD_PS3_PT2_iSC_SC_.numbered_sgpr, max(33, .L__assert_fail.numbered_sgpr)
	.set _Z39paged_attention_ll4mi_QKV_mfma16_kernelI14__hip_bfloat16hLN4vllm18Fp8KVCacheDataTypeE1ES0_Li32ELi64ELi256ELb1ELi3EEvPKT_PKT0_S8_ifPKiSA_SA_iPKfiiiPfSD_PS3_PT2_iSC_SC_.num_named_barrier, max(0, .L__assert_fail.num_named_barrier)
	.set _Z39paged_attention_ll4mi_QKV_mfma16_kernelI14__hip_bfloat16hLN4vllm18Fp8KVCacheDataTypeE1ES0_Li32ELi64ELi256ELb1ELi3EEvPKT_PKT0_S8_ifPKiSA_SA_iPKfiiiPfSD_PS3_PT2_iSC_SC_.private_seg_size, 0+max(.L__assert_fail.private_seg_size)
	.set _Z39paged_attention_ll4mi_QKV_mfma16_kernelI14__hip_bfloat16hLN4vllm18Fp8KVCacheDataTypeE1ES0_Li32ELi64ELi256ELb1ELi3EEvPKT_PKT0_S8_ifPKiSA_SA_iPKfiiiPfSD_PS3_PT2_iSC_SC_.uses_vcc, or(1, .L__assert_fail.uses_vcc)
	.set _Z39paged_attention_ll4mi_QKV_mfma16_kernelI14__hip_bfloat16hLN4vllm18Fp8KVCacheDataTypeE1ES0_Li32ELi64ELi256ELb1ELi3EEvPKT_PKT0_S8_ifPKiSA_SA_iPKfiiiPfSD_PS3_PT2_iSC_SC_.uses_flat_scratch, or(0, .L__assert_fail.uses_flat_scratch)
	.set _Z39paged_attention_ll4mi_QKV_mfma16_kernelI14__hip_bfloat16hLN4vllm18Fp8KVCacheDataTypeE1ES0_Li32ELi64ELi256ELb1ELi3EEvPKT_PKT0_S8_ifPKiSA_SA_iPKfiiiPfSD_PS3_PT2_iSC_SC_.has_dyn_sized_stack, or(0, .L__assert_fail.has_dyn_sized_stack)
	.set _Z39paged_attention_ll4mi_QKV_mfma16_kernelI14__hip_bfloat16hLN4vllm18Fp8KVCacheDataTypeE1ES0_Li32ELi64ELi256ELb1ELi3EEvPKT_PKT0_S8_ifPKiSA_SA_iPKfiiiPfSD_PS3_PT2_iSC_SC_.has_recursion, or(0, .L__assert_fail.has_recursion)
	.set _Z39paged_attention_ll4mi_QKV_mfma16_kernelI14__hip_bfloat16hLN4vllm18Fp8KVCacheDataTypeE1ES0_Li32ELi64ELi256ELb1ELi3EEvPKT_PKT0_S8_ifPKiSA_SA_iPKfiiiPfSD_PS3_PT2_iSC_SC_.has_indirect_call, or(0, .L__assert_fail.has_indirect_call)
	.section	.AMDGPU.csdata,"",@progbits
; Kernel info:
; codeLenInByte = 68
; TotalNumSgprs: 36
; NumVgprs: 51
; ScratchSize: 64
; MemoryBound: 0
; FloatMode: 240
; IeeeMode: 1
; LDSByteSize: 0 bytes/workgroup (compile time only)
; SGPRBlocks: 0
; VGPRBlocks: 3
; NumSGPRsForWavesPerEU: 36
; NumVGPRsForWavesPerEU: 51
; NamedBarCnt: 0
; Occupancy: 16
; WaveLimiterHint : 1
; COMPUTE_PGM_RSRC2:SCRATCH_EN: 1
; COMPUTE_PGM_RSRC2:USER_SGPR: 2
; COMPUTE_PGM_RSRC2:TRAP_HANDLER: 0
; COMPUTE_PGM_RSRC2:TGID_X_EN: 1
; COMPUTE_PGM_RSRC2:TGID_Y_EN: 0
; COMPUTE_PGM_RSRC2:TGID_Z_EN: 0
; COMPUTE_PGM_RSRC2:TIDIG_COMP_CNT: 0
	.section	.text._Z39paged_attention_ll4mi_QKV_mfma16_kernelI14__hip_bfloat16hLN4vllm18Fp8KVCacheDataTypeE1ES0_Li32ELi64ELi256ELb1ELi4EEvPKT_PKT0_S8_ifPKiSA_SA_iPKfiiiPfSD_PS3_PT2_iSC_SC_,"axG",@progbits,_Z39paged_attention_ll4mi_QKV_mfma16_kernelI14__hip_bfloat16hLN4vllm18Fp8KVCacheDataTypeE1ES0_Li32ELi64ELi256ELb1ELi4EEvPKT_PKT0_S8_ifPKiSA_SA_iPKfiiiPfSD_PS3_PT2_iSC_SC_,comdat
	.protected	_Z39paged_attention_ll4mi_QKV_mfma16_kernelI14__hip_bfloat16hLN4vllm18Fp8KVCacheDataTypeE1ES0_Li32ELi64ELi256ELb1ELi4EEvPKT_PKT0_S8_ifPKiSA_SA_iPKfiiiPfSD_PS3_PT2_iSC_SC_ ; -- Begin function _Z39paged_attention_ll4mi_QKV_mfma16_kernelI14__hip_bfloat16hLN4vllm18Fp8KVCacheDataTypeE1ES0_Li32ELi64ELi256ELb1ELi4EEvPKT_PKT0_S8_ifPKiSA_SA_iPKfiiiPfSD_PS3_PT2_iSC_SC_
	.globl	_Z39paged_attention_ll4mi_QKV_mfma16_kernelI14__hip_bfloat16hLN4vllm18Fp8KVCacheDataTypeE1ES0_Li32ELi64ELi256ELb1ELi4EEvPKT_PKT0_S8_ifPKiSA_SA_iPKfiiiPfSD_PS3_PT2_iSC_SC_
	.p2align	8
	.type	_Z39paged_attention_ll4mi_QKV_mfma16_kernelI14__hip_bfloat16hLN4vllm18Fp8KVCacheDataTypeE1ES0_Li32ELi64ELi256ELb1ELi4EEvPKT_PKT0_S8_ifPKiSA_SA_iPKfiiiPfSD_PS3_PT2_iSC_SC_,@function
_Z39paged_attention_ll4mi_QKV_mfma16_kernelI14__hip_bfloat16hLN4vllm18Fp8KVCacheDataTypeE1ES0_Li32ELi64ELi256ELb1ELi4EEvPKT_PKT0_S8_ifPKiSA_SA_iPKfiiiPfSD_PS3_PT2_iSC_SC_: ; @_Z39paged_attention_ll4mi_QKV_mfma16_kernelI14__hip_bfloat16hLN4vllm18Fp8KVCacheDataTypeE1ES0_Li32ELi64ELi256ELb1ELi4EEvPKT_PKT0_S8_ifPKiSA_SA_iPKfiiiPfSD_PS3_PT2_iSC_SC_
; %bb.0:
	s_get_pc_i64 s[2:3]
	s_add_nc_u64 s[2:3], s[2:3], __PRETTY_FUNCTION__._Z39paged_attention_ll4mi_QKV_mfma16_kernelI14__hip_bfloat16hLN4vllm18Fp8KVCacheDataTypeE1ES0_Li32ELi64ELi256ELb1ELi4EEvPKT_PKT0_S8_ifPKiSA_SA_iPKfiiiPfSD_PS3_PT2_iSC_SC_@rel64+4
	s_delay_alu instid0(SALU_CYCLE_1)
	v_dual_mov_b32 v0, 0xbb3 :: v_dual_mov_b32 v1, s2
	v_mov_b32_e32 v2, s3
	s_add_nc_u64 s[8:9], s[0:1], 0x90
	s_get_pc_i64 s[0:1]
	s_add_nc_u64 s[0:1], s[0:1], __assert_fail@rel64+4
	s_mov_b32 s32, 0
	s_swap_pc_i64 s[30:31], s[0:1]
	.section	.rodata,"a",@progbits
	.p2align	6, 0x0
	.amdhsa_kernel _Z39paged_attention_ll4mi_QKV_mfma16_kernelI14__hip_bfloat16hLN4vllm18Fp8KVCacheDataTypeE1ES0_Li32ELi64ELi256ELb1ELi4EEvPKT_PKT0_S8_ifPKiSA_SA_iPKfiiiPfSD_PS3_PT2_iSC_SC_
		.amdhsa_group_segment_fixed_size 0
		.amdhsa_private_segment_fixed_size 64
		.amdhsa_kernarg_size 400
		.amdhsa_user_sgpr_count 2
		.amdhsa_user_sgpr_dispatch_ptr 0
		.amdhsa_user_sgpr_queue_ptr 0
		.amdhsa_user_sgpr_kernarg_segment_ptr 1
		.amdhsa_user_sgpr_dispatch_id 0
		.amdhsa_user_sgpr_kernarg_preload_length 0
		.amdhsa_user_sgpr_kernarg_preload_offset 0
		.amdhsa_user_sgpr_private_segment_size 0
		.amdhsa_wavefront_size32 1
		.amdhsa_uses_dynamic_stack 0
		.amdhsa_enable_private_segment 1
		.amdhsa_system_sgpr_workgroup_id_x 1
		.amdhsa_system_sgpr_workgroup_id_y 0
		.amdhsa_system_sgpr_workgroup_id_z 0
		.amdhsa_system_sgpr_workgroup_info 0
		.amdhsa_system_vgpr_workitem_id 0
		.amdhsa_next_free_vgpr 51
		.amdhsa_next_free_sgpr 34
		.amdhsa_named_barrier_count 0
		.amdhsa_reserve_vcc 1
		.amdhsa_float_round_mode_32 0
		.amdhsa_float_round_mode_16_64 0
		.amdhsa_float_denorm_mode_32 3
		.amdhsa_float_denorm_mode_16_64 3
		.amdhsa_fp16_overflow 0
		.amdhsa_memory_ordered 1
		.amdhsa_forward_progress 1
		.amdhsa_inst_pref_size 1
		.amdhsa_round_robin_scheduling 0
		.amdhsa_exception_fp_ieee_invalid_op 0
		.amdhsa_exception_fp_denorm_src 0
		.amdhsa_exception_fp_ieee_div_zero 0
		.amdhsa_exception_fp_ieee_overflow 0
		.amdhsa_exception_fp_ieee_underflow 0
		.amdhsa_exception_fp_ieee_inexact 0
		.amdhsa_exception_int_div_zero 0
	.end_amdhsa_kernel
	.section	.text._Z39paged_attention_ll4mi_QKV_mfma16_kernelI14__hip_bfloat16hLN4vllm18Fp8KVCacheDataTypeE1ES0_Li32ELi64ELi256ELb1ELi4EEvPKT_PKT0_S8_ifPKiSA_SA_iPKfiiiPfSD_PS3_PT2_iSC_SC_,"axG",@progbits,_Z39paged_attention_ll4mi_QKV_mfma16_kernelI14__hip_bfloat16hLN4vllm18Fp8KVCacheDataTypeE1ES0_Li32ELi64ELi256ELb1ELi4EEvPKT_PKT0_S8_ifPKiSA_SA_iPKfiiiPfSD_PS3_PT2_iSC_SC_,comdat
.Lfunc_end1229:
	.size	_Z39paged_attention_ll4mi_QKV_mfma16_kernelI14__hip_bfloat16hLN4vllm18Fp8KVCacheDataTypeE1ES0_Li32ELi64ELi256ELb1ELi4EEvPKT_PKT0_S8_ifPKiSA_SA_iPKfiiiPfSD_PS3_PT2_iSC_SC_, .Lfunc_end1229-_Z39paged_attention_ll4mi_QKV_mfma16_kernelI14__hip_bfloat16hLN4vllm18Fp8KVCacheDataTypeE1ES0_Li32ELi64ELi256ELb1ELi4EEvPKT_PKT0_S8_ifPKiSA_SA_iPKfiiiPfSD_PS3_PT2_iSC_SC_
                                        ; -- End function
	.set _Z39paged_attention_ll4mi_QKV_mfma16_kernelI14__hip_bfloat16hLN4vllm18Fp8KVCacheDataTypeE1ES0_Li32ELi64ELi256ELb1ELi4EEvPKT_PKT0_S8_ifPKiSA_SA_iPKfiiiPfSD_PS3_PT2_iSC_SC_.num_vgpr, max(3, .L__assert_fail.num_vgpr)
	.set _Z39paged_attention_ll4mi_QKV_mfma16_kernelI14__hip_bfloat16hLN4vllm18Fp8KVCacheDataTypeE1ES0_Li32ELi64ELi256ELb1ELi4EEvPKT_PKT0_S8_ifPKiSA_SA_iPKfiiiPfSD_PS3_PT2_iSC_SC_.num_agpr, max(0, .L__assert_fail.num_agpr)
	.set _Z39paged_attention_ll4mi_QKV_mfma16_kernelI14__hip_bfloat16hLN4vllm18Fp8KVCacheDataTypeE1ES0_Li32ELi64ELi256ELb1ELi4EEvPKT_PKT0_S8_ifPKiSA_SA_iPKfiiiPfSD_PS3_PT2_iSC_SC_.numbered_sgpr, max(33, .L__assert_fail.numbered_sgpr)
	.set _Z39paged_attention_ll4mi_QKV_mfma16_kernelI14__hip_bfloat16hLN4vllm18Fp8KVCacheDataTypeE1ES0_Li32ELi64ELi256ELb1ELi4EEvPKT_PKT0_S8_ifPKiSA_SA_iPKfiiiPfSD_PS3_PT2_iSC_SC_.num_named_barrier, max(0, .L__assert_fail.num_named_barrier)
	.set _Z39paged_attention_ll4mi_QKV_mfma16_kernelI14__hip_bfloat16hLN4vllm18Fp8KVCacheDataTypeE1ES0_Li32ELi64ELi256ELb1ELi4EEvPKT_PKT0_S8_ifPKiSA_SA_iPKfiiiPfSD_PS3_PT2_iSC_SC_.private_seg_size, 0+max(.L__assert_fail.private_seg_size)
	.set _Z39paged_attention_ll4mi_QKV_mfma16_kernelI14__hip_bfloat16hLN4vllm18Fp8KVCacheDataTypeE1ES0_Li32ELi64ELi256ELb1ELi4EEvPKT_PKT0_S8_ifPKiSA_SA_iPKfiiiPfSD_PS3_PT2_iSC_SC_.uses_vcc, or(1, .L__assert_fail.uses_vcc)
	.set _Z39paged_attention_ll4mi_QKV_mfma16_kernelI14__hip_bfloat16hLN4vllm18Fp8KVCacheDataTypeE1ES0_Li32ELi64ELi256ELb1ELi4EEvPKT_PKT0_S8_ifPKiSA_SA_iPKfiiiPfSD_PS3_PT2_iSC_SC_.uses_flat_scratch, or(0, .L__assert_fail.uses_flat_scratch)
	.set _Z39paged_attention_ll4mi_QKV_mfma16_kernelI14__hip_bfloat16hLN4vllm18Fp8KVCacheDataTypeE1ES0_Li32ELi64ELi256ELb1ELi4EEvPKT_PKT0_S8_ifPKiSA_SA_iPKfiiiPfSD_PS3_PT2_iSC_SC_.has_dyn_sized_stack, or(0, .L__assert_fail.has_dyn_sized_stack)
	.set _Z39paged_attention_ll4mi_QKV_mfma16_kernelI14__hip_bfloat16hLN4vllm18Fp8KVCacheDataTypeE1ES0_Li32ELi64ELi256ELb1ELi4EEvPKT_PKT0_S8_ifPKiSA_SA_iPKfiiiPfSD_PS3_PT2_iSC_SC_.has_recursion, or(0, .L__assert_fail.has_recursion)
	.set _Z39paged_attention_ll4mi_QKV_mfma16_kernelI14__hip_bfloat16hLN4vllm18Fp8KVCacheDataTypeE1ES0_Li32ELi64ELi256ELb1ELi4EEvPKT_PKT0_S8_ifPKiSA_SA_iPKfiiiPfSD_PS3_PT2_iSC_SC_.has_indirect_call, or(0, .L__assert_fail.has_indirect_call)
	.section	.AMDGPU.csdata,"",@progbits
; Kernel info:
; codeLenInByte = 68
; TotalNumSgprs: 36
; NumVgprs: 51
; ScratchSize: 64
; MemoryBound: 0
; FloatMode: 240
; IeeeMode: 1
; LDSByteSize: 0 bytes/workgroup (compile time only)
; SGPRBlocks: 0
; VGPRBlocks: 3
; NumSGPRsForWavesPerEU: 36
; NumVGPRsForWavesPerEU: 51
; NamedBarCnt: 0
; Occupancy: 16
; WaveLimiterHint : 1
; COMPUTE_PGM_RSRC2:SCRATCH_EN: 1
; COMPUTE_PGM_RSRC2:USER_SGPR: 2
; COMPUTE_PGM_RSRC2:TRAP_HANDLER: 0
; COMPUTE_PGM_RSRC2:TGID_X_EN: 1
; COMPUTE_PGM_RSRC2:TGID_Y_EN: 0
; COMPUTE_PGM_RSRC2:TGID_Z_EN: 0
; COMPUTE_PGM_RSRC2:TIDIG_COMP_CNT: 0
	.section	.text._Z38paged_attention_ll4mi_QKV_mfma4_kernelI14__hip_bfloat16hLN4vllm18Fp8KVCacheDataTypeE1ES0_Li32ELi64ELi256ELb0ELi1EEvPKT_PKT0_S8_ifPKiSA_SA_iPKfiiiPfSD_PS3_PT2_iSC_SC_,"axG",@progbits,_Z38paged_attention_ll4mi_QKV_mfma4_kernelI14__hip_bfloat16hLN4vllm18Fp8KVCacheDataTypeE1ES0_Li32ELi64ELi256ELb0ELi1EEvPKT_PKT0_S8_ifPKiSA_SA_iPKfiiiPfSD_PS3_PT2_iSC_SC_,comdat
	.protected	_Z38paged_attention_ll4mi_QKV_mfma4_kernelI14__hip_bfloat16hLN4vllm18Fp8KVCacheDataTypeE1ES0_Li32ELi64ELi256ELb0ELi1EEvPKT_PKT0_S8_ifPKiSA_SA_iPKfiiiPfSD_PS3_PT2_iSC_SC_ ; -- Begin function _Z38paged_attention_ll4mi_QKV_mfma4_kernelI14__hip_bfloat16hLN4vllm18Fp8KVCacheDataTypeE1ES0_Li32ELi64ELi256ELb0ELi1EEvPKT_PKT0_S8_ifPKiSA_SA_iPKfiiiPfSD_PS3_PT2_iSC_SC_
	.globl	_Z38paged_attention_ll4mi_QKV_mfma4_kernelI14__hip_bfloat16hLN4vllm18Fp8KVCacheDataTypeE1ES0_Li32ELi64ELi256ELb0ELi1EEvPKT_PKT0_S8_ifPKiSA_SA_iPKfiiiPfSD_PS3_PT2_iSC_SC_
	.p2align	8
	.type	_Z38paged_attention_ll4mi_QKV_mfma4_kernelI14__hip_bfloat16hLN4vllm18Fp8KVCacheDataTypeE1ES0_Li32ELi64ELi256ELb0ELi1EEvPKT_PKT0_S8_ifPKiSA_SA_iPKfiiiPfSD_PS3_PT2_iSC_SC_,@function
_Z38paged_attention_ll4mi_QKV_mfma4_kernelI14__hip_bfloat16hLN4vllm18Fp8KVCacheDataTypeE1ES0_Li32ELi64ELi256ELb0ELi1EEvPKT_PKT0_S8_ifPKiSA_SA_iPKfiiiPfSD_PS3_PT2_iSC_SC_: ; @_Z38paged_attention_ll4mi_QKV_mfma4_kernelI14__hip_bfloat16hLN4vllm18Fp8KVCacheDataTypeE1ES0_Li32ELi64ELi256ELb0ELi1EEvPKT_PKT0_S8_ifPKiSA_SA_iPKfiiiPfSD_PS3_PT2_iSC_SC_
; %bb.0:
	s_get_pc_i64 s[2:3]
	s_add_nc_u64 s[2:3], s[2:3], __PRETTY_FUNCTION__._Z38paged_attention_ll4mi_QKV_mfma4_kernelI14__hip_bfloat16hLN4vllm18Fp8KVCacheDataTypeE1ES0_Li32ELi64ELi256ELb0ELi1EEvPKT_PKT0_S8_ifPKiSA_SA_iPKfiiiPfSD_PS3_PT2_iSC_SC_@rel64+4
	s_delay_alu instid0(SALU_CYCLE_1)
	v_dual_mov_b32 v0, 0xbce :: v_dual_mov_b32 v1, s2
	v_mov_b32_e32 v2, s3
	s_add_nc_u64 s[8:9], s[0:1], 0x90
	s_get_pc_i64 s[0:1]
	s_add_nc_u64 s[0:1], s[0:1], __assert_fail@rel64+4
	s_mov_b32 s32, 0
	s_swap_pc_i64 s[30:31], s[0:1]
	.section	.rodata,"a",@progbits
	.p2align	6, 0x0
	.amdhsa_kernel _Z38paged_attention_ll4mi_QKV_mfma4_kernelI14__hip_bfloat16hLN4vllm18Fp8KVCacheDataTypeE1ES0_Li32ELi64ELi256ELb0ELi1EEvPKT_PKT0_S8_ifPKiSA_SA_iPKfiiiPfSD_PS3_PT2_iSC_SC_
		.amdhsa_group_segment_fixed_size 0
		.amdhsa_private_segment_fixed_size 64
		.amdhsa_kernarg_size 400
		.amdhsa_user_sgpr_count 2
		.amdhsa_user_sgpr_dispatch_ptr 0
		.amdhsa_user_sgpr_queue_ptr 0
		.amdhsa_user_sgpr_kernarg_segment_ptr 1
		.amdhsa_user_sgpr_dispatch_id 0
		.amdhsa_user_sgpr_kernarg_preload_length 0
		.amdhsa_user_sgpr_kernarg_preload_offset 0
		.amdhsa_user_sgpr_private_segment_size 0
		.amdhsa_wavefront_size32 1
		.amdhsa_uses_dynamic_stack 0
		.amdhsa_enable_private_segment 1
		.amdhsa_system_sgpr_workgroup_id_x 1
		.amdhsa_system_sgpr_workgroup_id_y 0
		.amdhsa_system_sgpr_workgroup_id_z 0
		.amdhsa_system_sgpr_workgroup_info 0
		.amdhsa_system_vgpr_workitem_id 0
		.amdhsa_next_free_vgpr 51
		.amdhsa_next_free_sgpr 34
		.amdhsa_named_barrier_count 0
		.amdhsa_reserve_vcc 1
		.amdhsa_float_round_mode_32 0
		.amdhsa_float_round_mode_16_64 0
		.amdhsa_float_denorm_mode_32 3
		.amdhsa_float_denorm_mode_16_64 3
		.amdhsa_fp16_overflow 0
		.amdhsa_memory_ordered 1
		.amdhsa_forward_progress 1
		.amdhsa_inst_pref_size 1
		.amdhsa_round_robin_scheduling 0
		.amdhsa_exception_fp_ieee_invalid_op 0
		.amdhsa_exception_fp_denorm_src 0
		.amdhsa_exception_fp_ieee_div_zero 0
		.amdhsa_exception_fp_ieee_overflow 0
		.amdhsa_exception_fp_ieee_underflow 0
		.amdhsa_exception_fp_ieee_inexact 0
		.amdhsa_exception_int_div_zero 0
	.end_amdhsa_kernel
	.section	.text._Z38paged_attention_ll4mi_QKV_mfma4_kernelI14__hip_bfloat16hLN4vllm18Fp8KVCacheDataTypeE1ES0_Li32ELi64ELi256ELb0ELi1EEvPKT_PKT0_S8_ifPKiSA_SA_iPKfiiiPfSD_PS3_PT2_iSC_SC_,"axG",@progbits,_Z38paged_attention_ll4mi_QKV_mfma4_kernelI14__hip_bfloat16hLN4vllm18Fp8KVCacheDataTypeE1ES0_Li32ELi64ELi256ELb0ELi1EEvPKT_PKT0_S8_ifPKiSA_SA_iPKfiiiPfSD_PS3_PT2_iSC_SC_,comdat
.Lfunc_end1230:
	.size	_Z38paged_attention_ll4mi_QKV_mfma4_kernelI14__hip_bfloat16hLN4vllm18Fp8KVCacheDataTypeE1ES0_Li32ELi64ELi256ELb0ELi1EEvPKT_PKT0_S8_ifPKiSA_SA_iPKfiiiPfSD_PS3_PT2_iSC_SC_, .Lfunc_end1230-_Z38paged_attention_ll4mi_QKV_mfma4_kernelI14__hip_bfloat16hLN4vllm18Fp8KVCacheDataTypeE1ES0_Li32ELi64ELi256ELb0ELi1EEvPKT_PKT0_S8_ifPKiSA_SA_iPKfiiiPfSD_PS3_PT2_iSC_SC_
                                        ; -- End function
	.set _Z38paged_attention_ll4mi_QKV_mfma4_kernelI14__hip_bfloat16hLN4vllm18Fp8KVCacheDataTypeE1ES0_Li32ELi64ELi256ELb0ELi1EEvPKT_PKT0_S8_ifPKiSA_SA_iPKfiiiPfSD_PS3_PT2_iSC_SC_.num_vgpr, max(3, .L__assert_fail.num_vgpr)
	.set _Z38paged_attention_ll4mi_QKV_mfma4_kernelI14__hip_bfloat16hLN4vllm18Fp8KVCacheDataTypeE1ES0_Li32ELi64ELi256ELb0ELi1EEvPKT_PKT0_S8_ifPKiSA_SA_iPKfiiiPfSD_PS3_PT2_iSC_SC_.num_agpr, max(0, .L__assert_fail.num_agpr)
	.set _Z38paged_attention_ll4mi_QKV_mfma4_kernelI14__hip_bfloat16hLN4vllm18Fp8KVCacheDataTypeE1ES0_Li32ELi64ELi256ELb0ELi1EEvPKT_PKT0_S8_ifPKiSA_SA_iPKfiiiPfSD_PS3_PT2_iSC_SC_.numbered_sgpr, max(33, .L__assert_fail.numbered_sgpr)
	.set _Z38paged_attention_ll4mi_QKV_mfma4_kernelI14__hip_bfloat16hLN4vllm18Fp8KVCacheDataTypeE1ES0_Li32ELi64ELi256ELb0ELi1EEvPKT_PKT0_S8_ifPKiSA_SA_iPKfiiiPfSD_PS3_PT2_iSC_SC_.num_named_barrier, max(0, .L__assert_fail.num_named_barrier)
	.set _Z38paged_attention_ll4mi_QKV_mfma4_kernelI14__hip_bfloat16hLN4vllm18Fp8KVCacheDataTypeE1ES0_Li32ELi64ELi256ELb0ELi1EEvPKT_PKT0_S8_ifPKiSA_SA_iPKfiiiPfSD_PS3_PT2_iSC_SC_.private_seg_size, 0+max(.L__assert_fail.private_seg_size)
	.set _Z38paged_attention_ll4mi_QKV_mfma4_kernelI14__hip_bfloat16hLN4vllm18Fp8KVCacheDataTypeE1ES0_Li32ELi64ELi256ELb0ELi1EEvPKT_PKT0_S8_ifPKiSA_SA_iPKfiiiPfSD_PS3_PT2_iSC_SC_.uses_vcc, or(1, .L__assert_fail.uses_vcc)
	.set _Z38paged_attention_ll4mi_QKV_mfma4_kernelI14__hip_bfloat16hLN4vllm18Fp8KVCacheDataTypeE1ES0_Li32ELi64ELi256ELb0ELi1EEvPKT_PKT0_S8_ifPKiSA_SA_iPKfiiiPfSD_PS3_PT2_iSC_SC_.uses_flat_scratch, or(0, .L__assert_fail.uses_flat_scratch)
	.set _Z38paged_attention_ll4mi_QKV_mfma4_kernelI14__hip_bfloat16hLN4vllm18Fp8KVCacheDataTypeE1ES0_Li32ELi64ELi256ELb0ELi1EEvPKT_PKT0_S8_ifPKiSA_SA_iPKfiiiPfSD_PS3_PT2_iSC_SC_.has_dyn_sized_stack, or(0, .L__assert_fail.has_dyn_sized_stack)
	.set _Z38paged_attention_ll4mi_QKV_mfma4_kernelI14__hip_bfloat16hLN4vllm18Fp8KVCacheDataTypeE1ES0_Li32ELi64ELi256ELb0ELi1EEvPKT_PKT0_S8_ifPKiSA_SA_iPKfiiiPfSD_PS3_PT2_iSC_SC_.has_recursion, or(0, .L__assert_fail.has_recursion)
	.set _Z38paged_attention_ll4mi_QKV_mfma4_kernelI14__hip_bfloat16hLN4vllm18Fp8KVCacheDataTypeE1ES0_Li32ELi64ELi256ELb0ELi1EEvPKT_PKT0_S8_ifPKiSA_SA_iPKfiiiPfSD_PS3_PT2_iSC_SC_.has_indirect_call, or(0, .L__assert_fail.has_indirect_call)
	.section	.AMDGPU.csdata,"",@progbits
; Kernel info:
; codeLenInByte = 68
; TotalNumSgprs: 36
; NumVgprs: 51
; ScratchSize: 64
; MemoryBound: 0
; FloatMode: 240
; IeeeMode: 1
; LDSByteSize: 0 bytes/workgroup (compile time only)
; SGPRBlocks: 0
; VGPRBlocks: 3
; NumSGPRsForWavesPerEU: 36
; NumVGPRsForWavesPerEU: 51
; NamedBarCnt: 0
; Occupancy: 16
; WaveLimiterHint : 1
; COMPUTE_PGM_RSRC2:SCRATCH_EN: 1
; COMPUTE_PGM_RSRC2:USER_SGPR: 2
; COMPUTE_PGM_RSRC2:TRAP_HANDLER: 0
; COMPUTE_PGM_RSRC2:TGID_X_EN: 1
; COMPUTE_PGM_RSRC2:TGID_Y_EN: 0
; COMPUTE_PGM_RSRC2:TGID_Z_EN: 0
; COMPUTE_PGM_RSRC2:TIDIG_COMP_CNT: 0
	.section	.text._Z38paged_attention_ll4mi_QKV_mfma4_kernelI14__hip_bfloat16hLN4vllm18Fp8KVCacheDataTypeE1ES0_Li32ELi64ELi256ELb0ELi2EEvPKT_PKT0_S8_ifPKiSA_SA_iPKfiiiPfSD_PS3_PT2_iSC_SC_,"axG",@progbits,_Z38paged_attention_ll4mi_QKV_mfma4_kernelI14__hip_bfloat16hLN4vllm18Fp8KVCacheDataTypeE1ES0_Li32ELi64ELi256ELb0ELi2EEvPKT_PKT0_S8_ifPKiSA_SA_iPKfiiiPfSD_PS3_PT2_iSC_SC_,comdat
	.protected	_Z38paged_attention_ll4mi_QKV_mfma4_kernelI14__hip_bfloat16hLN4vllm18Fp8KVCacheDataTypeE1ES0_Li32ELi64ELi256ELb0ELi2EEvPKT_PKT0_S8_ifPKiSA_SA_iPKfiiiPfSD_PS3_PT2_iSC_SC_ ; -- Begin function _Z38paged_attention_ll4mi_QKV_mfma4_kernelI14__hip_bfloat16hLN4vllm18Fp8KVCacheDataTypeE1ES0_Li32ELi64ELi256ELb0ELi2EEvPKT_PKT0_S8_ifPKiSA_SA_iPKfiiiPfSD_PS3_PT2_iSC_SC_
	.globl	_Z38paged_attention_ll4mi_QKV_mfma4_kernelI14__hip_bfloat16hLN4vllm18Fp8KVCacheDataTypeE1ES0_Li32ELi64ELi256ELb0ELi2EEvPKT_PKT0_S8_ifPKiSA_SA_iPKfiiiPfSD_PS3_PT2_iSC_SC_
	.p2align	8
	.type	_Z38paged_attention_ll4mi_QKV_mfma4_kernelI14__hip_bfloat16hLN4vllm18Fp8KVCacheDataTypeE1ES0_Li32ELi64ELi256ELb0ELi2EEvPKT_PKT0_S8_ifPKiSA_SA_iPKfiiiPfSD_PS3_PT2_iSC_SC_,@function
_Z38paged_attention_ll4mi_QKV_mfma4_kernelI14__hip_bfloat16hLN4vllm18Fp8KVCacheDataTypeE1ES0_Li32ELi64ELi256ELb0ELi2EEvPKT_PKT0_S8_ifPKiSA_SA_iPKfiiiPfSD_PS3_PT2_iSC_SC_: ; @_Z38paged_attention_ll4mi_QKV_mfma4_kernelI14__hip_bfloat16hLN4vllm18Fp8KVCacheDataTypeE1ES0_Li32ELi64ELi256ELb0ELi2EEvPKT_PKT0_S8_ifPKiSA_SA_iPKfiiiPfSD_PS3_PT2_iSC_SC_
; %bb.0:
	s_get_pc_i64 s[2:3]
	s_add_nc_u64 s[2:3], s[2:3], __PRETTY_FUNCTION__._Z38paged_attention_ll4mi_QKV_mfma4_kernelI14__hip_bfloat16hLN4vllm18Fp8KVCacheDataTypeE1ES0_Li32ELi64ELi256ELb0ELi2EEvPKT_PKT0_S8_ifPKiSA_SA_iPKfiiiPfSD_PS3_PT2_iSC_SC_@rel64+4
	s_delay_alu instid0(SALU_CYCLE_1)
	v_dual_mov_b32 v0, 0xbce :: v_dual_mov_b32 v1, s2
	v_mov_b32_e32 v2, s3
	s_add_nc_u64 s[8:9], s[0:1], 0x90
	s_get_pc_i64 s[0:1]
	s_add_nc_u64 s[0:1], s[0:1], __assert_fail@rel64+4
	s_mov_b32 s32, 0
	s_swap_pc_i64 s[30:31], s[0:1]
	.section	.rodata,"a",@progbits
	.p2align	6, 0x0
	.amdhsa_kernel _Z38paged_attention_ll4mi_QKV_mfma4_kernelI14__hip_bfloat16hLN4vllm18Fp8KVCacheDataTypeE1ES0_Li32ELi64ELi256ELb0ELi2EEvPKT_PKT0_S8_ifPKiSA_SA_iPKfiiiPfSD_PS3_PT2_iSC_SC_
		.amdhsa_group_segment_fixed_size 0
		.amdhsa_private_segment_fixed_size 64
		.amdhsa_kernarg_size 400
		.amdhsa_user_sgpr_count 2
		.amdhsa_user_sgpr_dispatch_ptr 0
		.amdhsa_user_sgpr_queue_ptr 0
		.amdhsa_user_sgpr_kernarg_segment_ptr 1
		.amdhsa_user_sgpr_dispatch_id 0
		.amdhsa_user_sgpr_kernarg_preload_length 0
		.amdhsa_user_sgpr_kernarg_preload_offset 0
		.amdhsa_user_sgpr_private_segment_size 0
		.amdhsa_wavefront_size32 1
		.amdhsa_uses_dynamic_stack 0
		.amdhsa_enable_private_segment 1
		.amdhsa_system_sgpr_workgroup_id_x 1
		.amdhsa_system_sgpr_workgroup_id_y 0
		.amdhsa_system_sgpr_workgroup_id_z 0
		.amdhsa_system_sgpr_workgroup_info 0
		.amdhsa_system_vgpr_workitem_id 0
		.amdhsa_next_free_vgpr 51
		.amdhsa_next_free_sgpr 34
		.amdhsa_named_barrier_count 0
		.amdhsa_reserve_vcc 1
		.amdhsa_float_round_mode_32 0
		.amdhsa_float_round_mode_16_64 0
		.amdhsa_float_denorm_mode_32 3
		.amdhsa_float_denorm_mode_16_64 3
		.amdhsa_fp16_overflow 0
		.amdhsa_memory_ordered 1
		.amdhsa_forward_progress 1
		.amdhsa_inst_pref_size 1
		.amdhsa_round_robin_scheduling 0
		.amdhsa_exception_fp_ieee_invalid_op 0
		.amdhsa_exception_fp_denorm_src 0
		.amdhsa_exception_fp_ieee_div_zero 0
		.amdhsa_exception_fp_ieee_overflow 0
		.amdhsa_exception_fp_ieee_underflow 0
		.amdhsa_exception_fp_ieee_inexact 0
		.amdhsa_exception_int_div_zero 0
	.end_amdhsa_kernel
	.section	.text._Z38paged_attention_ll4mi_QKV_mfma4_kernelI14__hip_bfloat16hLN4vllm18Fp8KVCacheDataTypeE1ES0_Li32ELi64ELi256ELb0ELi2EEvPKT_PKT0_S8_ifPKiSA_SA_iPKfiiiPfSD_PS3_PT2_iSC_SC_,"axG",@progbits,_Z38paged_attention_ll4mi_QKV_mfma4_kernelI14__hip_bfloat16hLN4vllm18Fp8KVCacheDataTypeE1ES0_Li32ELi64ELi256ELb0ELi2EEvPKT_PKT0_S8_ifPKiSA_SA_iPKfiiiPfSD_PS3_PT2_iSC_SC_,comdat
.Lfunc_end1231:
	.size	_Z38paged_attention_ll4mi_QKV_mfma4_kernelI14__hip_bfloat16hLN4vllm18Fp8KVCacheDataTypeE1ES0_Li32ELi64ELi256ELb0ELi2EEvPKT_PKT0_S8_ifPKiSA_SA_iPKfiiiPfSD_PS3_PT2_iSC_SC_, .Lfunc_end1231-_Z38paged_attention_ll4mi_QKV_mfma4_kernelI14__hip_bfloat16hLN4vllm18Fp8KVCacheDataTypeE1ES0_Li32ELi64ELi256ELb0ELi2EEvPKT_PKT0_S8_ifPKiSA_SA_iPKfiiiPfSD_PS3_PT2_iSC_SC_
                                        ; -- End function
	.set _Z38paged_attention_ll4mi_QKV_mfma4_kernelI14__hip_bfloat16hLN4vllm18Fp8KVCacheDataTypeE1ES0_Li32ELi64ELi256ELb0ELi2EEvPKT_PKT0_S8_ifPKiSA_SA_iPKfiiiPfSD_PS3_PT2_iSC_SC_.num_vgpr, max(3, .L__assert_fail.num_vgpr)
	.set _Z38paged_attention_ll4mi_QKV_mfma4_kernelI14__hip_bfloat16hLN4vllm18Fp8KVCacheDataTypeE1ES0_Li32ELi64ELi256ELb0ELi2EEvPKT_PKT0_S8_ifPKiSA_SA_iPKfiiiPfSD_PS3_PT2_iSC_SC_.num_agpr, max(0, .L__assert_fail.num_agpr)
	.set _Z38paged_attention_ll4mi_QKV_mfma4_kernelI14__hip_bfloat16hLN4vllm18Fp8KVCacheDataTypeE1ES0_Li32ELi64ELi256ELb0ELi2EEvPKT_PKT0_S8_ifPKiSA_SA_iPKfiiiPfSD_PS3_PT2_iSC_SC_.numbered_sgpr, max(33, .L__assert_fail.numbered_sgpr)
	.set _Z38paged_attention_ll4mi_QKV_mfma4_kernelI14__hip_bfloat16hLN4vllm18Fp8KVCacheDataTypeE1ES0_Li32ELi64ELi256ELb0ELi2EEvPKT_PKT0_S8_ifPKiSA_SA_iPKfiiiPfSD_PS3_PT2_iSC_SC_.num_named_barrier, max(0, .L__assert_fail.num_named_barrier)
	.set _Z38paged_attention_ll4mi_QKV_mfma4_kernelI14__hip_bfloat16hLN4vllm18Fp8KVCacheDataTypeE1ES0_Li32ELi64ELi256ELb0ELi2EEvPKT_PKT0_S8_ifPKiSA_SA_iPKfiiiPfSD_PS3_PT2_iSC_SC_.private_seg_size, 0+max(.L__assert_fail.private_seg_size)
	.set _Z38paged_attention_ll4mi_QKV_mfma4_kernelI14__hip_bfloat16hLN4vllm18Fp8KVCacheDataTypeE1ES0_Li32ELi64ELi256ELb0ELi2EEvPKT_PKT0_S8_ifPKiSA_SA_iPKfiiiPfSD_PS3_PT2_iSC_SC_.uses_vcc, or(1, .L__assert_fail.uses_vcc)
	.set _Z38paged_attention_ll4mi_QKV_mfma4_kernelI14__hip_bfloat16hLN4vllm18Fp8KVCacheDataTypeE1ES0_Li32ELi64ELi256ELb0ELi2EEvPKT_PKT0_S8_ifPKiSA_SA_iPKfiiiPfSD_PS3_PT2_iSC_SC_.uses_flat_scratch, or(0, .L__assert_fail.uses_flat_scratch)
	.set _Z38paged_attention_ll4mi_QKV_mfma4_kernelI14__hip_bfloat16hLN4vllm18Fp8KVCacheDataTypeE1ES0_Li32ELi64ELi256ELb0ELi2EEvPKT_PKT0_S8_ifPKiSA_SA_iPKfiiiPfSD_PS3_PT2_iSC_SC_.has_dyn_sized_stack, or(0, .L__assert_fail.has_dyn_sized_stack)
	.set _Z38paged_attention_ll4mi_QKV_mfma4_kernelI14__hip_bfloat16hLN4vllm18Fp8KVCacheDataTypeE1ES0_Li32ELi64ELi256ELb0ELi2EEvPKT_PKT0_S8_ifPKiSA_SA_iPKfiiiPfSD_PS3_PT2_iSC_SC_.has_recursion, or(0, .L__assert_fail.has_recursion)
	.set _Z38paged_attention_ll4mi_QKV_mfma4_kernelI14__hip_bfloat16hLN4vllm18Fp8KVCacheDataTypeE1ES0_Li32ELi64ELi256ELb0ELi2EEvPKT_PKT0_S8_ifPKiSA_SA_iPKfiiiPfSD_PS3_PT2_iSC_SC_.has_indirect_call, or(0, .L__assert_fail.has_indirect_call)
	.section	.AMDGPU.csdata,"",@progbits
; Kernel info:
; codeLenInByte = 68
; TotalNumSgprs: 36
; NumVgprs: 51
; ScratchSize: 64
; MemoryBound: 0
; FloatMode: 240
; IeeeMode: 1
; LDSByteSize: 0 bytes/workgroup (compile time only)
; SGPRBlocks: 0
; VGPRBlocks: 3
; NumSGPRsForWavesPerEU: 36
; NumVGPRsForWavesPerEU: 51
; NamedBarCnt: 0
; Occupancy: 16
; WaveLimiterHint : 1
; COMPUTE_PGM_RSRC2:SCRATCH_EN: 1
; COMPUTE_PGM_RSRC2:USER_SGPR: 2
; COMPUTE_PGM_RSRC2:TRAP_HANDLER: 0
; COMPUTE_PGM_RSRC2:TGID_X_EN: 1
; COMPUTE_PGM_RSRC2:TGID_Y_EN: 0
; COMPUTE_PGM_RSRC2:TGID_Z_EN: 0
; COMPUTE_PGM_RSRC2:TIDIG_COMP_CNT: 0
	.section	.text._Z38paged_attention_ll4mi_QKV_mfma4_kernelI14__hip_bfloat16hLN4vllm18Fp8KVCacheDataTypeE1ES0_Li32ELi64ELi256ELb0ELi3EEvPKT_PKT0_S8_ifPKiSA_SA_iPKfiiiPfSD_PS3_PT2_iSC_SC_,"axG",@progbits,_Z38paged_attention_ll4mi_QKV_mfma4_kernelI14__hip_bfloat16hLN4vllm18Fp8KVCacheDataTypeE1ES0_Li32ELi64ELi256ELb0ELi3EEvPKT_PKT0_S8_ifPKiSA_SA_iPKfiiiPfSD_PS3_PT2_iSC_SC_,comdat
	.protected	_Z38paged_attention_ll4mi_QKV_mfma4_kernelI14__hip_bfloat16hLN4vllm18Fp8KVCacheDataTypeE1ES0_Li32ELi64ELi256ELb0ELi3EEvPKT_PKT0_S8_ifPKiSA_SA_iPKfiiiPfSD_PS3_PT2_iSC_SC_ ; -- Begin function _Z38paged_attention_ll4mi_QKV_mfma4_kernelI14__hip_bfloat16hLN4vllm18Fp8KVCacheDataTypeE1ES0_Li32ELi64ELi256ELb0ELi3EEvPKT_PKT0_S8_ifPKiSA_SA_iPKfiiiPfSD_PS3_PT2_iSC_SC_
	.globl	_Z38paged_attention_ll4mi_QKV_mfma4_kernelI14__hip_bfloat16hLN4vllm18Fp8KVCacheDataTypeE1ES0_Li32ELi64ELi256ELb0ELi3EEvPKT_PKT0_S8_ifPKiSA_SA_iPKfiiiPfSD_PS3_PT2_iSC_SC_
	.p2align	8
	.type	_Z38paged_attention_ll4mi_QKV_mfma4_kernelI14__hip_bfloat16hLN4vllm18Fp8KVCacheDataTypeE1ES0_Li32ELi64ELi256ELb0ELi3EEvPKT_PKT0_S8_ifPKiSA_SA_iPKfiiiPfSD_PS3_PT2_iSC_SC_,@function
_Z38paged_attention_ll4mi_QKV_mfma4_kernelI14__hip_bfloat16hLN4vllm18Fp8KVCacheDataTypeE1ES0_Li32ELi64ELi256ELb0ELi3EEvPKT_PKT0_S8_ifPKiSA_SA_iPKfiiiPfSD_PS3_PT2_iSC_SC_: ; @_Z38paged_attention_ll4mi_QKV_mfma4_kernelI14__hip_bfloat16hLN4vllm18Fp8KVCacheDataTypeE1ES0_Li32ELi64ELi256ELb0ELi3EEvPKT_PKT0_S8_ifPKiSA_SA_iPKfiiiPfSD_PS3_PT2_iSC_SC_
; %bb.0:
	s_get_pc_i64 s[2:3]
	s_add_nc_u64 s[2:3], s[2:3], __PRETTY_FUNCTION__._Z38paged_attention_ll4mi_QKV_mfma4_kernelI14__hip_bfloat16hLN4vllm18Fp8KVCacheDataTypeE1ES0_Li32ELi64ELi256ELb0ELi3EEvPKT_PKT0_S8_ifPKiSA_SA_iPKfiiiPfSD_PS3_PT2_iSC_SC_@rel64+4
	s_delay_alu instid0(SALU_CYCLE_1)
	v_dual_mov_b32 v0, 0xbce :: v_dual_mov_b32 v1, s2
	v_mov_b32_e32 v2, s3
	s_add_nc_u64 s[8:9], s[0:1], 0x90
	s_get_pc_i64 s[0:1]
	s_add_nc_u64 s[0:1], s[0:1], __assert_fail@rel64+4
	s_mov_b32 s32, 0
	s_swap_pc_i64 s[30:31], s[0:1]
	.section	.rodata,"a",@progbits
	.p2align	6, 0x0
	.amdhsa_kernel _Z38paged_attention_ll4mi_QKV_mfma4_kernelI14__hip_bfloat16hLN4vllm18Fp8KVCacheDataTypeE1ES0_Li32ELi64ELi256ELb0ELi3EEvPKT_PKT0_S8_ifPKiSA_SA_iPKfiiiPfSD_PS3_PT2_iSC_SC_
		.amdhsa_group_segment_fixed_size 0
		.amdhsa_private_segment_fixed_size 64
		.amdhsa_kernarg_size 400
		.amdhsa_user_sgpr_count 2
		.amdhsa_user_sgpr_dispatch_ptr 0
		.amdhsa_user_sgpr_queue_ptr 0
		.amdhsa_user_sgpr_kernarg_segment_ptr 1
		.amdhsa_user_sgpr_dispatch_id 0
		.amdhsa_user_sgpr_kernarg_preload_length 0
		.amdhsa_user_sgpr_kernarg_preload_offset 0
		.amdhsa_user_sgpr_private_segment_size 0
		.amdhsa_wavefront_size32 1
		.amdhsa_uses_dynamic_stack 0
		.amdhsa_enable_private_segment 1
		.amdhsa_system_sgpr_workgroup_id_x 1
		.amdhsa_system_sgpr_workgroup_id_y 0
		.amdhsa_system_sgpr_workgroup_id_z 0
		.amdhsa_system_sgpr_workgroup_info 0
		.amdhsa_system_vgpr_workitem_id 0
		.amdhsa_next_free_vgpr 51
		.amdhsa_next_free_sgpr 34
		.amdhsa_named_barrier_count 0
		.amdhsa_reserve_vcc 1
		.amdhsa_float_round_mode_32 0
		.amdhsa_float_round_mode_16_64 0
		.amdhsa_float_denorm_mode_32 3
		.amdhsa_float_denorm_mode_16_64 3
		.amdhsa_fp16_overflow 0
		.amdhsa_memory_ordered 1
		.amdhsa_forward_progress 1
		.amdhsa_inst_pref_size 1
		.amdhsa_round_robin_scheduling 0
		.amdhsa_exception_fp_ieee_invalid_op 0
		.amdhsa_exception_fp_denorm_src 0
		.amdhsa_exception_fp_ieee_div_zero 0
		.amdhsa_exception_fp_ieee_overflow 0
		.amdhsa_exception_fp_ieee_underflow 0
		.amdhsa_exception_fp_ieee_inexact 0
		.amdhsa_exception_int_div_zero 0
	.end_amdhsa_kernel
	.section	.text._Z38paged_attention_ll4mi_QKV_mfma4_kernelI14__hip_bfloat16hLN4vllm18Fp8KVCacheDataTypeE1ES0_Li32ELi64ELi256ELb0ELi3EEvPKT_PKT0_S8_ifPKiSA_SA_iPKfiiiPfSD_PS3_PT2_iSC_SC_,"axG",@progbits,_Z38paged_attention_ll4mi_QKV_mfma4_kernelI14__hip_bfloat16hLN4vllm18Fp8KVCacheDataTypeE1ES0_Li32ELi64ELi256ELb0ELi3EEvPKT_PKT0_S8_ifPKiSA_SA_iPKfiiiPfSD_PS3_PT2_iSC_SC_,comdat
.Lfunc_end1232:
	.size	_Z38paged_attention_ll4mi_QKV_mfma4_kernelI14__hip_bfloat16hLN4vllm18Fp8KVCacheDataTypeE1ES0_Li32ELi64ELi256ELb0ELi3EEvPKT_PKT0_S8_ifPKiSA_SA_iPKfiiiPfSD_PS3_PT2_iSC_SC_, .Lfunc_end1232-_Z38paged_attention_ll4mi_QKV_mfma4_kernelI14__hip_bfloat16hLN4vllm18Fp8KVCacheDataTypeE1ES0_Li32ELi64ELi256ELb0ELi3EEvPKT_PKT0_S8_ifPKiSA_SA_iPKfiiiPfSD_PS3_PT2_iSC_SC_
                                        ; -- End function
	.set _Z38paged_attention_ll4mi_QKV_mfma4_kernelI14__hip_bfloat16hLN4vllm18Fp8KVCacheDataTypeE1ES0_Li32ELi64ELi256ELb0ELi3EEvPKT_PKT0_S8_ifPKiSA_SA_iPKfiiiPfSD_PS3_PT2_iSC_SC_.num_vgpr, max(3, .L__assert_fail.num_vgpr)
	.set _Z38paged_attention_ll4mi_QKV_mfma4_kernelI14__hip_bfloat16hLN4vllm18Fp8KVCacheDataTypeE1ES0_Li32ELi64ELi256ELb0ELi3EEvPKT_PKT0_S8_ifPKiSA_SA_iPKfiiiPfSD_PS3_PT2_iSC_SC_.num_agpr, max(0, .L__assert_fail.num_agpr)
	.set _Z38paged_attention_ll4mi_QKV_mfma4_kernelI14__hip_bfloat16hLN4vllm18Fp8KVCacheDataTypeE1ES0_Li32ELi64ELi256ELb0ELi3EEvPKT_PKT0_S8_ifPKiSA_SA_iPKfiiiPfSD_PS3_PT2_iSC_SC_.numbered_sgpr, max(33, .L__assert_fail.numbered_sgpr)
	.set _Z38paged_attention_ll4mi_QKV_mfma4_kernelI14__hip_bfloat16hLN4vllm18Fp8KVCacheDataTypeE1ES0_Li32ELi64ELi256ELb0ELi3EEvPKT_PKT0_S8_ifPKiSA_SA_iPKfiiiPfSD_PS3_PT2_iSC_SC_.num_named_barrier, max(0, .L__assert_fail.num_named_barrier)
	.set _Z38paged_attention_ll4mi_QKV_mfma4_kernelI14__hip_bfloat16hLN4vllm18Fp8KVCacheDataTypeE1ES0_Li32ELi64ELi256ELb0ELi3EEvPKT_PKT0_S8_ifPKiSA_SA_iPKfiiiPfSD_PS3_PT2_iSC_SC_.private_seg_size, 0+max(.L__assert_fail.private_seg_size)
	.set _Z38paged_attention_ll4mi_QKV_mfma4_kernelI14__hip_bfloat16hLN4vllm18Fp8KVCacheDataTypeE1ES0_Li32ELi64ELi256ELb0ELi3EEvPKT_PKT0_S8_ifPKiSA_SA_iPKfiiiPfSD_PS3_PT2_iSC_SC_.uses_vcc, or(1, .L__assert_fail.uses_vcc)
	.set _Z38paged_attention_ll4mi_QKV_mfma4_kernelI14__hip_bfloat16hLN4vllm18Fp8KVCacheDataTypeE1ES0_Li32ELi64ELi256ELb0ELi3EEvPKT_PKT0_S8_ifPKiSA_SA_iPKfiiiPfSD_PS3_PT2_iSC_SC_.uses_flat_scratch, or(0, .L__assert_fail.uses_flat_scratch)
	.set _Z38paged_attention_ll4mi_QKV_mfma4_kernelI14__hip_bfloat16hLN4vllm18Fp8KVCacheDataTypeE1ES0_Li32ELi64ELi256ELb0ELi3EEvPKT_PKT0_S8_ifPKiSA_SA_iPKfiiiPfSD_PS3_PT2_iSC_SC_.has_dyn_sized_stack, or(0, .L__assert_fail.has_dyn_sized_stack)
	.set _Z38paged_attention_ll4mi_QKV_mfma4_kernelI14__hip_bfloat16hLN4vllm18Fp8KVCacheDataTypeE1ES0_Li32ELi64ELi256ELb0ELi3EEvPKT_PKT0_S8_ifPKiSA_SA_iPKfiiiPfSD_PS3_PT2_iSC_SC_.has_recursion, or(0, .L__assert_fail.has_recursion)
	.set _Z38paged_attention_ll4mi_QKV_mfma4_kernelI14__hip_bfloat16hLN4vllm18Fp8KVCacheDataTypeE1ES0_Li32ELi64ELi256ELb0ELi3EEvPKT_PKT0_S8_ifPKiSA_SA_iPKfiiiPfSD_PS3_PT2_iSC_SC_.has_indirect_call, or(0, .L__assert_fail.has_indirect_call)
	.section	.AMDGPU.csdata,"",@progbits
; Kernel info:
; codeLenInByte = 68
; TotalNumSgprs: 36
; NumVgprs: 51
; ScratchSize: 64
; MemoryBound: 0
; FloatMode: 240
; IeeeMode: 1
; LDSByteSize: 0 bytes/workgroup (compile time only)
; SGPRBlocks: 0
; VGPRBlocks: 3
; NumSGPRsForWavesPerEU: 36
; NumVGPRsForWavesPerEU: 51
; NamedBarCnt: 0
; Occupancy: 16
; WaveLimiterHint : 1
; COMPUTE_PGM_RSRC2:SCRATCH_EN: 1
; COMPUTE_PGM_RSRC2:USER_SGPR: 2
; COMPUTE_PGM_RSRC2:TRAP_HANDLER: 0
; COMPUTE_PGM_RSRC2:TGID_X_EN: 1
; COMPUTE_PGM_RSRC2:TGID_Y_EN: 0
; COMPUTE_PGM_RSRC2:TGID_Z_EN: 0
; COMPUTE_PGM_RSRC2:TIDIG_COMP_CNT: 0
	.section	.text._Z38paged_attention_ll4mi_QKV_mfma4_kernelI14__hip_bfloat16hLN4vllm18Fp8KVCacheDataTypeE1ES0_Li32ELi64ELi256ELb0ELi4EEvPKT_PKT0_S8_ifPKiSA_SA_iPKfiiiPfSD_PS3_PT2_iSC_SC_,"axG",@progbits,_Z38paged_attention_ll4mi_QKV_mfma4_kernelI14__hip_bfloat16hLN4vllm18Fp8KVCacheDataTypeE1ES0_Li32ELi64ELi256ELb0ELi4EEvPKT_PKT0_S8_ifPKiSA_SA_iPKfiiiPfSD_PS3_PT2_iSC_SC_,comdat
	.protected	_Z38paged_attention_ll4mi_QKV_mfma4_kernelI14__hip_bfloat16hLN4vllm18Fp8KVCacheDataTypeE1ES0_Li32ELi64ELi256ELb0ELi4EEvPKT_PKT0_S8_ifPKiSA_SA_iPKfiiiPfSD_PS3_PT2_iSC_SC_ ; -- Begin function _Z38paged_attention_ll4mi_QKV_mfma4_kernelI14__hip_bfloat16hLN4vllm18Fp8KVCacheDataTypeE1ES0_Li32ELi64ELi256ELb0ELi4EEvPKT_PKT0_S8_ifPKiSA_SA_iPKfiiiPfSD_PS3_PT2_iSC_SC_
	.globl	_Z38paged_attention_ll4mi_QKV_mfma4_kernelI14__hip_bfloat16hLN4vllm18Fp8KVCacheDataTypeE1ES0_Li32ELi64ELi256ELb0ELi4EEvPKT_PKT0_S8_ifPKiSA_SA_iPKfiiiPfSD_PS3_PT2_iSC_SC_
	.p2align	8
	.type	_Z38paged_attention_ll4mi_QKV_mfma4_kernelI14__hip_bfloat16hLN4vllm18Fp8KVCacheDataTypeE1ES0_Li32ELi64ELi256ELb0ELi4EEvPKT_PKT0_S8_ifPKiSA_SA_iPKfiiiPfSD_PS3_PT2_iSC_SC_,@function
_Z38paged_attention_ll4mi_QKV_mfma4_kernelI14__hip_bfloat16hLN4vllm18Fp8KVCacheDataTypeE1ES0_Li32ELi64ELi256ELb0ELi4EEvPKT_PKT0_S8_ifPKiSA_SA_iPKfiiiPfSD_PS3_PT2_iSC_SC_: ; @_Z38paged_attention_ll4mi_QKV_mfma4_kernelI14__hip_bfloat16hLN4vllm18Fp8KVCacheDataTypeE1ES0_Li32ELi64ELi256ELb0ELi4EEvPKT_PKT0_S8_ifPKiSA_SA_iPKfiiiPfSD_PS3_PT2_iSC_SC_
; %bb.0:
	s_get_pc_i64 s[2:3]
	s_add_nc_u64 s[2:3], s[2:3], __PRETTY_FUNCTION__._Z38paged_attention_ll4mi_QKV_mfma4_kernelI14__hip_bfloat16hLN4vllm18Fp8KVCacheDataTypeE1ES0_Li32ELi64ELi256ELb0ELi4EEvPKT_PKT0_S8_ifPKiSA_SA_iPKfiiiPfSD_PS3_PT2_iSC_SC_@rel64+4
	s_delay_alu instid0(SALU_CYCLE_1)
	v_dual_mov_b32 v0, 0xbce :: v_dual_mov_b32 v1, s2
	v_mov_b32_e32 v2, s3
	s_add_nc_u64 s[8:9], s[0:1], 0x90
	s_get_pc_i64 s[0:1]
	s_add_nc_u64 s[0:1], s[0:1], __assert_fail@rel64+4
	s_mov_b32 s32, 0
	s_swap_pc_i64 s[30:31], s[0:1]
	.section	.rodata,"a",@progbits
	.p2align	6, 0x0
	.amdhsa_kernel _Z38paged_attention_ll4mi_QKV_mfma4_kernelI14__hip_bfloat16hLN4vllm18Fp8KVCacheDataTypeE1ES0_Li32ELi64ELi256ELb0ELi4EEvPKT_PKT0_S8_ifPKiSA_SA_iPKfiiiPfSD_PS3_PT2_iSC_SC_
		.amdhsa_group_segment_fixed_size 0
		.amdhsa_private_segment_fixed_size 64
		.amdhsa_kernarg_size 400
		.amdhsa_user_sgpr_count 2
		.amdhsa_user_sgpr_dispatch_ptr 0
		.amdhsa_user_sgpr_queue_ptr 0
		.amdhsa_user_sgpr_kernarg_segment_ptr 1
		.amdhsa_user_sgpr_dispatch_id 0
		.amdhsa_user_sgpr_kernarg_preload_length 0
		.amdhsa_user_sgpr_kernarg_preload_offset 0
		.amdhsa_user_sgpr_private_segment_size 0
		.amdhsa_wavefront_size32 1
		.amdhsa_uses_dynamic_stack 0
		.amdhsa_enable_private_segment 1
		.amdhsa_system_sgpr_workgroup_id_x 1
		.amdhsa_system_sgpr_workgroup_id_y 0
		.amdhsa_system_sgpr_workgroup_id_z 0
		.amdhsa_system_sgpr_workgroup_info 0
		.amdhsa_system_vgpr_workitem_id 0
		.amdhsa_next_free_vgpr 51
		.amdhsa_next_free_sgpr 34
		.amdhsa_named_barrier_count 0
		.amdhsa_reserve_vcc 1
		.amdhsa_float_round_mode_32 0
		.amdhsa_float_round_mode_16_64 0
		.amdhsa_float_denorm_mode_32 3
		.amdhsa_float_denorm_mode_16_64 3
		.amdhsa_fp16_overflow 0
		.amdhsa_memory_ordered 1
		.amdhsa_forward_progress 1
		.amdhsa_inst_pref_size 1
		.amdhsa_round_robin_scheduling 0
		.amdhsa_exception_fp_ieee_invalid_op 0
		.amdhsa_exception_fp_denorm_src 0
		.amdhsa_exception_fp_ieee_div_zero 0
		.amdhsa_exception_fp_ieee_overflow 0
		.amdhsa_exception_fp_ieee_underflow 0
		.amdhsa_exception_fp_ieee_inexact 0
		.amdhsa_exception_int_div_zero 0
	.end_amdhsa_kernel
	.section	.text._Z38paged_attention_ll4mi_QKV_mfma4_kernelI14__hip_bfloat16hLN4vllm18Fp8KVCacheDataTypeE1ES0_Li32ELi64ELi256ELb0ELi4EEvPKT_PKT0_S8_ifPKiSA_SA_iPKfiiiPfSD_PS3_PT2_iSC_SC_,"axG",@progbits,_Z38paged_attention_ll4mi_QKV_mfma4_kernelI14__hip_bfloat16hLN4vllm18Fp8KVCacheDataTypeE1ES0_Li32ELi64ELi256ELb0ELi4EEvPKT_PKT0_S8_ifPKiSA_SA_iPKfiiiPfSD_PS3_PT2_iSC_SC_,comdat
.Lfunc_end1233:
	.size	_Z38paged_attention_ll4mi_QKV_mfma4_kernelI14__hip_bfloat16hLN4vllm18Fp8KVCacheDataTypeE1ES0_Li32ELi64ELi256ELb0ELi4EEvPKT_PKT0_S8_ifPKiSA_SA_iPKfiiiPfSD_PS3_PT2_iSC_SC_, .Lfunc_end1233-_Z38paged_attention_ll4mi_QKV_mfma4_kernelI14__hip_bfloat16hLN4vllm18Fp8KVCacheDataTypeE1ES0_Li32ELi64ELi256ELb0ELi4EEvPKT_PKT0_S8_ifPKiSA_SA_iPKfiiiPfSD_PS3_PT2_iSC_SC_
                                        ; -- End function
	.set _Z38paged_attention_ll4mi_QKV_mfma4_kernelI14__hip_bfloat16hLN4vllm18Fp8KVCacheDataTypeE1ES0_Li32ELi64ELi256ELb0ELi4EEvPKT_PKT0_S8_ifPKiSA_SA_iPKfiiiPfSD_PS3_PT2_iSC_SC_.num_vgpr, max(3, .L__assert_fail.num_vgpr)
	.set _Z38paged_attention_ll4mi_QKV_mfma4_kernelI14__hip_bfloat16hLN4vllm18Fp8KVCacheDataTypeE1ES0_Li32ELi64ELi256ELb0ELi4EEvPKT_PKT0_S8_ifPKiSA_SA_iPKfiiiPfSD_PS3_PT2_iSC_SC_.num_agpr, max(0, .L__assert_fail.num_agpr)
	.set _Z38paged_attention_ll4mi_QKV_mfma4_kernelI14__hip_bfloat16hLN4vllm18Fp8KVCacheDataTypeE1ES0_Li32ELi64ELi256ELb0ELi4EEvPKT_PKT0_S8_ifPKiSA_SA_iPKfiiiPfSD_PS3_PT2_iSC_SC_.numbered_sgpr, max(33, .L__assert_fail.numbered_sgpr)
	.set _Z38paged_attention_ll4mi_QKV_mfma4_kernelI14__hip_bfloat16hLN4vllm18Fp8KVCacheDataTypeE1ES0_Li32ELi64ELi256ELb0ELi4EEvPKT_PKT0_S8_ifPKiSA_SA_iPKfiiiPfSD_PS3_PT2_iSC_SC_.num_named_barrier, max(0, .L__assert_fail.num_named_barrier)
	.set _Z38paged_attention_ll4mi_QKV_mfma4_kernelI14__hip_bfloat16hLN4vllm18Fp8KVCacheDataTypeE1ES0_Li32ELi64ELi256ELb0ELi4EEvPKT_PKT0_S8_ifPKiSA_SA_iPKfiiiPfSD_PS3_PT2_iSC_SC_.private_seg_size, 0+max(.L__assert_fail.private_seg_size)
	.set _Z38paged_attention_ll4mi_QKV_mfma4_kernelI14__hip_bfloat16hLN4vllm18Fp8KVCacheDataTypeE1ES0_Li32ELi64ELi256ELb0ELi4EEvPKT_PKT0_S8_ifPKiSA_SA_iPKfiiiPfSD_PS3_PT2_iSC_SC_.uses_vcc, or(1, .L__assert_fail.uses_vcc)
	.set _Z38paged_attention_ll4mi_QKV_mfma4_kernelI14__hip_bfloat16hLN4vllm18Fp8KVCacheDataTypeE1ES0_Li32ELi64ELi256ELb0ELi4EEvPKT_PKT0_S8_ifPKiSA_SA_iPKfiiiPfSD_PS3_PT2_iSC_SC_.uses_flat_scratch, or(0, .L__assert_fail.uses_flat_scratch)
	.set _Z38paged_attention_ll4mi_QKV_mfma4_kernelI14__hip_bfloat16hLN4vllm18Fp8KVCacheDataTypeE1ES0_Li32ELi64ELi256ELb0ELi4EEvPKT_PKT0_S8_ifPKiSA_SA_iPKfiiiPfSD_PS3_PT2_iSC_SC_.has_dyn_sized_stack, or(0, .L__assert_fail.has_dyn_sized_stack)
	.set _Z38paged_attention_ll4mi_QKV_mfma4_kernelI14__hip_bfloat16hLN4vllm18Fp8KVCacheDataTypeE1ES0_Li32ELi64ELi256ELb0ELi4EEvPKT_PKT0_S8_ifPKiSA_SA_iPKfiiiPfSD_PS3_PT2_iSC_SC_.has_recursion, or(0, .L__assert_fail.has_recursion)
	.set _Z38paged_attention_ll4mi_QKV_mfma4_kernelI14__hip_bfloat16hLN4vllm18Fp8KVCacheDataTypeE1ES0_Li32ELi64ELi256ELb0ELi4EEvPKT_PKT0_S8_ifPKiSA_SA_iPKfiiiPfSD_PS3_PT2_iSC_SC_.has_indirect_call, or(0, .L__assert_fail.has_indirect_call)
	.section	.AMDGPU.csdata,"",@progbits
; Kernel info:
; codeLenInByte = 68
; TotalNumSgprs: 36
; NumVgprs: 51
; ScratchSize: 64
; MemoryBound: 0
; FloatMode: 240
; IeeeMode: 1
; LDSByteSize: 0 bytes/workgroup (compile time only)
; SGPRBlocks: 0
; VGPRBlocks: 3
; NumSGPRsForWavesPerEU: 36
; NumVGPRsForWavesPerEU: 51
; NamedBarCnt: 0
; Occupancy: 16
; WaveLimiterHint : 1
; COMPUTE_PGM_RSRC2:SCRATCH_EN: 1
; COMPUTE_PGM_RSRC2:USER_SGPR: 2
; COMPUTE_PGM_RSRC2:TRAP_HANDLER: 0
; COMPUTE_PGM_RSRC2:TGID_X_EN: 1
; COMPUTE_PGM_RSRC2:TGID_Y_EN: 0
; COMPUTE_PGM_RSRC2:TGID_Z_EN: 0
; COMPUTE_PGM_RSRC2:TIDIG_COMP_CNT: 0
	.section	.text._Z39paged_attention_ll4mi_QKV_mfma16_kernelI14__hip_bfloat16hLN4vllm18Fp8KVCacheDataTypeE1ES0_Li32ELi64ELi256ELb0ELi5EEvPKT_PKT0_S8_ifPKiSA_SA_iPKfiiiPfSD_PS3_PT2_iSC_SC_,"axG",@progbits,_Z39paged_attention_ll4mi_QKV_mfma16_kernelI14__hip_bfloat16hLN4vllm18Fp8KVCacheDataTypeE1ES0_Li32ELi64ELi256ELb0ELi5EEvPKT_PKT0_S8_ifPKiSA_SA_iPKfiiiPfSD_PS3_PT2_iSC_SC_,comdat
	.protected	_Z39paged_attention_ll4mi_QKV_mfma16_kernelI14__hip_bfloat16hLN4vllm18Fp8KVCacheDataTypeE1ES0_Li32ELi64ELi256ELb0ELi5EEvPKT_PKT0_S8_ifPKiSA_SA_iPKfiiiPfSD_PS3_PT2_iSC_SC_ ; -- Begin function _Z39paged_attention_ll4mi_QKV_mfma16_kernelI14__hip_bfloat16hLN4vllm18Fp8KVCacheDataTypeE1ES0_Li32ELi64ELi256ELb0ELi5EEvPKT_PKT0_S8_ifPKiSA_SA_iPKfiiiPfSD_PS3_PT2_iSC_SC_
	.globl	_Z39paged_attention_ll4mi_QKV_mfma16_kernelI14__hip_bfloat16hLN4vllm18Fp8KVCacheDataTypeE1ES0_Li32ELi64ELi256ELb0ELi5EEvPKT_PKT0_S8_ifPKiSA_SA_iPKfiiiPfSD_PS3_PT2_iSC_SC_
	.p2align	8
	.type	_Z39paged_attention_ll4mi_QKV_mfma16_kernelI14__hip_bfloat16hLN4vllm18Fp8KVCacheDataTypeE1ES0_Li32ELi64ELi256ELb0ELi5EEvPKT_PKT0_S8_ifPKiSA_SA_iPKfiiiPfSD_PS3_PT2_iSC_SC_,@function
_Z39paged_attention_ll4mi_QKV_mfma16_kernelI14__hip_bfloat16hLN4vllm18Fp8KVCacheDataTypeE1ES0_Li32ELi64ELi256ELb0ELi5EEvPKT_PKT0_S8_ifPKiSA_SA_iPKfiiiPfSD_PS3_PT2_iSC_SC_: ; @_Z39paged_attention_ll4mi_QKV_mfma16_kernelI14__hip_bfloat16hLN4vllm18Fp8KVCacheDataTypeE1ES0_Li32ELi64ELi256ELb0ELi5EEvPKT_PKT0_S8_ifPKiSA_SA_iPKfiiiPfSD_PS3_PT2_iSC_SC_
; %bb.0:
	s_get_pc_i64 s[2:3]
	s_add_nc_u64 s[2:3], s[2:3], __PRETTY_FUNCTION__._Z39paged_attention_ll4mi_QKV_mfma16_kernelI14__hip_bfloat16hLN4vllm18Fp8KVCacheDataTypeE1ES0_Li32ELi64ELi256ELb0ELi5EEvPKT_PKT0_S8_ifPKiSA_SA_iPKfiiiPfSD_PS3_PT2_iSC_SC_@rel64+4
	s_delay_alu instid0(SALU_CYCLE_1)
	v_dual_mov_b32 v0, 0xbb3 :: v_dual_mov_b32 v1, s2
	v_mov_b32_e32 v2, s3
	s_add_nc_u64 s[8:9], s[0:1], 0x90
	s_get_pc_i64 s[0:1]
	s_add_nc_u64 s[0:1], s[0:1], __assert_fail@rel64+4
	s_mov_b32 s32, 0
	s_swap_pc_i64 s[30:31], s[0:1]
	.section	.rodata,"a",@progbits
	.p2align	6, 0x0
	.amdhsa_kernel _Z39paged_attention_ll4mi_QKV_mfma16_kernelI14__hip_bfloat16hLN4vllm18Fp8KVCacheDataTypeE1ES0_Li32ELi64ELi256ELb0ELi5EEvPKT_PKT0_S8_ifPKiSA_SA_iPKfiiiPfSD_PS3_PT2_iSC_SC_
		.amdhsa_group_segment_fixed_size 0
		.amdhsa_private_segment_fixed_size 64
		.amdhsa_kernarg_size 400
		.amdhsa_user_sgpr_count 2
		.amdhsa_user_sgpr_dispatch_ptr 0
		.amdhsa_user_sgpr_queue_ptr 0
		.amdhsa_user_sgpr_kernarg_segment_ptr 1
		.amdhsa_user_sgpr_dispatch_id 0
		.amdhsa_user_sgpr_kernarg_preload_length 0
		.amdhsa_user_sgpr_kernarg_preload_offset 0
		.amdhsa_user_sgpr_private_segment_size 0
		.amdhsa_wavefront_size32 1
		.amdhsa_uses_dynamic_stack 0
		.amdhsa_enable_private_segment 1
		.amdhsa_system_sgpr_workgroup_id_x 1
		.amdhsa_system_sgpr_workgroup_id_y 0
		.amdhsa_system_sgpr_workgroup_id_z 0
		.amdhsa_system_sgpr_workgroup_info 0
		.amdhsa_system_vgpr_workitem_id 0
		.amdhsa_next_free_vgpr 51
		.amdhsa_next_free_sgpr 34
		.amdhsa_named_barrier_count 0
		.amdhsa_reserve_vcc 1
		.amdhsa_float_round_mode_32 0
		.amdhsa_float_round_mode_16_64 0
		.amdhsa_float_denorm_mode_32 3
		.amdhsa_float_denorm_mode_16_64 3
		.amdhsa_fp16_overflow 0
		.amdhsa_memory_ordered 1
		.amdhsa_forward_progress 1
		.amdhsa_inst_pref_size 1
		.amdhsa_round_robin_scheduling 0
		.amdhsa_exception_fp_ieee_invalid_op 0
		.amdhsa_exception_fp_denorm_src 0
		.amdhsa_exception_fp_ieee_div_zero 0
		.amdhsa_exception_fp_ieee_overflow 0
		.amdhsa_exception_fp_ieee_underflow 0
		.amdhsa_exception_fp_ieee_inexact 0
		.amdhsa_exception_int_div_zero 0
	.end_amdhsa_kernel
	.section	.text._Z39paged_attention_ll4mi_QKV_mfma16_kernelI14__hip_bfloat16hLN4vllm18Fp8KVCacheDataTypeE1ES0_Li32ELi64ELi256ELb0ELi5EEvPKT_PKT0_S8_ifPKiSA_SA_iPKfiiiPfSD_PS3_PT2_iSC_SC_,"axG",@progbits,_Z39paged_attention_ll4mi_QKV_mfma16_kernelI14__hip_bfloat16hLN4vllm18Fp8KVCacheDataTypeE1ES0_Li32ELi64ELi256ELb0ELi5EEvPKT_PKT0_S8_ifPKiSA_SA_iPKfiiiPfSD_PS3_PT2_iSC_SC_,comdat
.Lfunc_end1234:
	.size	_Z39paged_attention_ll4mi_QKV_mfma16_kernelI14__hip_bfloat16hLN4vllm18Fp8KVCacheDataTypeE1ES0_Li32ELi64ELi256ELb0ELi5EEvPKT_PKT0_S8_ifPKiSA_SA_iPKfiiiPfSD_PS3_PT2_iSC_SC_, .Lfunc_end1234-_Z39paged_attention_ll4mi_QKV_mfma16_kernelI14__hip_bfloat16hLN4vllm18Fp8KVCacheDataTypeE1ES0_Li32ELi64ELi256ELb0ELi5EEvPKT_PKT0_S8_ifPKiSA_SA_iPKfiiiPfSD_PS3_PT2_iSC_SC_
                                        ; -- End function
	.set _Z39paged_attention_ll4mi_QKV_mfma16_kernelI14__hip_bfloat16hLN4vllm18Fp8KVCacheDataTypeE1ES0_Li32ELi64ELi256ELb0ELi5EEvPKT_PKT0_S8_ifPKiSA_SA_iPKfiiiPfSD_PS3_PT2_iSC_SC_.num_vgpr, max(3, .L__assert_fail.num_vgpr)
	.set _Z39paged_attention_ll4mi_QKV_mfma16_kernelI14__hip_bfloat16hLN4vllm18Fp8KVCacheDataTypeE1ES0_Li32ELi64ELi256ELb0ELi5EEvPKT_PKT0_S8_ifPKiSA_SA_iPKfiiiPfSD_PS3_PT2_iSC_SC_.num_agpr, max(0, .L__assert_fail.num_agpr)
	.set _Z39paged_attention_ll4mi_QKV_mfma16_kernelI14__hip_bfloat16hLN4vllm18Fp8KVCacheDataTypeE1ES0_Li32ELi64ELi256ELb0ELi5EEvPKT_PKT0_S8_ifPKiSA_SA_iPKfiiiPfSD_PS3_PT2_iSC_SC_.numbered_sgpr, max(33, .L__assert_fail.numbered_sgpr)
	.set _Z39paged_attention_ll4mi_QKV_mfma16_kernelI14__hip_bfloat16hLN4vllm18Fp8KVCacheDataTypeE1ES0_Li32ELi64ELi256ELb0ELi5EEvPKT_PKT0_S8_ifPKiSA_SA_iPKfiiiPfSD_PS3_PT2_iSC_SC_.num_named_barrier, max(0, .L__assert_fail.num_named_barrier)
	.set _Z39paged_attention_ll4mi_QKV_mfma16_kernelI14__hip_bfloat16hLN4vllm18Fp8KVCacheDataTypeE1ES0_Li32ELi64ELi256ELb0ELi5EEvPKT_PKT0_S8_ifPKiSA_SA_iPKfiiiPfSD_PS3_PT2_iSC_SC_.private_seg_size, 0+max(.L__assert_fail.private_seg_size)
	.set _Z39paged_attention_ll4mi_QKV_mfma16_kernelI14__hip_bfloat16hLN4vllm18Fp8KVCacheDataTypeE1ES0_Li32ELi64ELi256ELb0ELi5EEvPKT_PKT0_S8_ifPKiSA_SA_iPKfiiiPfSD_PS3_PT2_iSC_SC_.uses_vcc, or(1, .L__assert_fail.uses_vcc)
	.set _Z39paged_attention_ll4mi_QKV_mfma16_kernelI14__hip_bfloat16hLN4vllm18Fp8KVCacheDataTypeE1ES0_Li32ELi64ELi256ELb0ELi5EEvPKT_PKT0_S8_ifPKiSA_SA_iPKfiiiPfSD_PS3_PT2_iSC_SC_.uses_flat_scratch, or(0, .L__assert_fail.uses_flat_scratch)
	.set _Z39paged_attention_ll4mi_QKV_mfma16_kernelI14__hip_bfloat16hLN4vllm18Fp8KVCacheDataTypeE1ES0_Li32ELi64ELi256ELb0ELi5EEvPKT_PKT0_S8_ifPKiSA_SA_iPKfiiiPfSD_PS3_PT2_iSC_SC_.has_dyn_sized_stack, or(0, .L__assert_fail.has_dyn_sized_stack)
	.set _Z39paged_attention_ll4mi_QKV_mfma16_kernelI14__hip_bfloat16hLN4vllm18Fp8KVCacheDataTypeE1ES0_Li32ELi64ELi256ELb0ELi5EEvPKT_PKT0_S8_ifPKiSA_SA_iPKfiiiPfSD_PS3_PT2_iSC_SC_.has_recursion, or(0, .L__assert_fail.has_recursion)
	.set _Z39paged_attention_ll4mi_QKV_mfma16_kernelI14__hip_bfloat16hLN4vllm18Fp8KVCacheDataTypeE1ES0_Li32ELi64ELi256ELb0ELi5EEvPKT_PKT0_S8_ifPKiSA_SA_iPKfiiiPfSD_PS3_PT2_iSC_SC_.has_indirect_call, or(0, .L__assert_fail.has_indirect_call)
	.section	.AMDGPU.csdata,"",@progbits
; Kernel info:
; codeLenInByte = 68
; TotalNumSgprs: 36
; NumVgprs: 51
; ScratchSize: 64
; MemoryBound: 0
; FloatMode: 240
; IeeeMode: 1
; LDSByteSize: 0 bytes/workgroup (compile time only)
; SGPRBlocks: 0
; VGPRBlocks: 3
; NumSGPRsForWavesPerEU: 36
; NumVGPRsForWavesPerEU: 51
; NamedBarCnt: 0
; Occupancy: 16
; WaveLimiterHint : 1
; COMPUTE_PGM_RSRC2:SCRATCH_EN: 1
; COMPUTE_PGM_RSRC2:USER_SGPR: 2
; COMPUTE_PGM_RSRC2:TRAP_HANDLER: 0
; COMPUTE_PGM_RSRC2:TGID_X_EN: 1
; COMPUTE_PGM_RSRC2:TGID_Y_EN: 0
; COMPUTE_PGM_RSRC2:TGID_Z_EN: 0
; COMPUTE_PGM_RSRC2:TIDIG_COMP_CNT: 0
	.section	.text._Z39paged_attention_ll4mi_QKV_mfma16_kernelI14__hip_bfloat16hLN4vllm18Fp8KVCacheDataTypeE1ES0_Li32ELi64ELi256ELb0ELi6EEvPKT_PKT0_S8_ifPKiSA_SA_iPKfiiiPfSD_PS3_PT2_iSC_SC_,"axG",@progbits,_Z39paged_attention_ll4mi_QKV_mfma16_kernelI14__hip_bfloat16hLN4vllm18Fp8KVCacheDataTypeE1ES0_Li32ELi64ELi256ELb0ELi6EEvPKT_PKT0_S8_ifPKiSA_SA_iPKfiiiPfSD_PS3_PT2_iSC_SC_,comdat
	.protected	_Z39paged_attention_ll4mi_QKV_mfma16_kernelI14__hip_bfloat16hLN4vllm18Fp8KVCacheDataTypeE1ES0_Li32ELi64ELi256ELb0ELi6EEvPKT_PKT0_S8_ifPKiSA_SA_iPKfiiiPfSD_PS3_PT2_iSC_SC_ ; -- Begin function _Z39paged_attention_ll4mi_QKV_mfma16_kernelI14__hip_bfloat16hLN4vllm18Fp8KVCacheDataTypeE1ES0_Li32ELi64ELi256ELb0ELi6EEvPKT_PKT0_S8_ifPKiSA_SA_iPKfiiiPfSD_PS3_PT2_iSC_SC_
	.globl	_Z39paged_attention_ll4mi_QKV_mfma16_kernelI14__hip_bfloat16hLN4vllm18Fp8KVCacheDataTypeE1ES0_Li32ELi64ELi256ELb0ELi6EEvPKT_PKT0_S8_ifPKiSA_SA_iPKfiiiPfSD_PS3_PT2_iSC_SC_
	.p2align	8
	.type	_Z39paged_attention_ll4mi_QKV_mfma16_kernelI14__hip_bfloat16hLN4vllm18Fp8KVCacheDataTypeE1ES0_Li32ELi64ELi256ELb0ELi6EEvPKT_PKT0_S8_ifPKiSA_SA_iPKfiiiPfSD_PS3_PT2_iSC_SC_,@function
_Z39paged_attention_ll4mi_QKV_mfma16_kernelI14__hip_bfloat16hLN4vllm18Fp8KVCacheDataTypeE1ES0_Li32ELi64ELi256ELb0ELi6EEvPKT_PKT0_S8_ifPKiSA_SA_iPKfiiiPfSD_PS3_PT2_iSC_SC_: ; @_Z39paged_attention_ll4mi_QKV_mfma16_kernelI14__hip_bfloat16hLN4vllm18Fp8KVCacheDataTypeE1ES0_Li32ELi64ELi256ELb0ELi6EEvPKT_PKT0_S8_ifPKiSA_SA_iPKfiiiPfSD_PS3_PT2_iSC_SC_
; %bb.0:
	s_get_pc_i64 s[2:3]
	s_add_nc_u64 s[2:3], s[2:3], __PRETTY_FUNCTION__._Z39paged_attention_ll4mi_QKV_mfma16_kernelI14__hip_bfloat16hLN4vllm18Fp8KVCacheDataTypeE1ES0_Li32ELi64ELi256ELb0ELi6EEvPKT_PKT0_S8_ifPKiSA_SA_iPKfiiiPfSD_PS3_PT2_iSC_SC_@rel64+4
	s_delay_alu instid0(SALU_CYCLE_1)
	v_dual_mov_b32 v0, 0xbb3 :: v_dual_mov_b32 v1, s2
	v_mov_b32_e32 v2, s3
	s_add_nc_u64 s[8:9], s[0:1], 0x90
	s_get_pc_i64 s[0:1]
	s_add_nc_u64 s[0:1], s[0:1], __assert_fail@rel64+4
	s_mov_b32 s32, 0
	s_swap_pc_i64 s[30:31], s[0:1]
	.section	.rodata,"a",@progbits
	.p2align	6, 0x0
	.amdhsa_kernel _Z39paged_attention_ll4mi_QKV_mfma16_kernelI14__hip_bfloat16hLN4vllm18Fp8KVCacheDataTypeE1ES0_Li32ELi64ELi256ELb0ELi6EEvPKT_PKT0_S8_ifPKiSA_SA_iPKfiiiPfSD_PS3_PT2_iSC_SC_
		.amdhsa_group_segment_fixed_size 0
		.amdhsa_private_segment_fixed_size 64
		.amdhsa_kernarg_size 400
		.amdhsa_user_sgpr_count 2
		.amdhsa_user_sgpr_dispatch_ptr 0
		.amdhsa_user_sgpr_queue_ptr 0
		.amdhsa_user_sgpr_kernarg_segment_ptr 1
		.amdhsa_user_sgpr_dispatch_id 0
		.amdhsa_user_sgpr_kernarg_preload_length 0
		.amdhsa_user_sgpr_kernarg_preload_offset 0
		.amdhsa_user_sgpr_private_segment_size 0
		.amdhsa_wavefront_size32 1
		.amdhsa_uses_dynamic_stack 0
		.amdhsa_enable_private_segment 1
		.amdhsa_system_sgpr_workgroup_id_x 1
		.amdhsa_system_sgpr_workgroup_id_y 0
		.amdhsa_system_sgpr_workgroup_id_z 0
		.amdhsa_system_sgpr_workgroup_info 0
		.amdhsa_system_vgpr_workitem_id 0
		.amdhsa_next_free_vgpr 51
		.amdhsa_next_free_sgpr 34
		.amdhsa_named_barrier_count 0
		.amdhsa_reserve_vcc 1
		.amdhsa_float_round_mode_32 0
		.amdhsa_float_round_mode_16_64 0
		.amdhsa_float_denorm_mode_32 3
		.amdhsa_float_denorm_mode_16_64 3
		.amdhsa_fp16_overflow 0
		.amdhsa_memory_ordered 1
		.amdhsa_forward_progress 1
		.amdhsa_inst_pref_size 1
		.amdhsa_round_robin_scheduling 0
		.amdhsa_exception_fp_ieee_invalid_op 0
		.amdhsa_exception_fp_denorm_src 0
		.amdhsa_exception_fp_ieee_div_zero 0
		.amdhsa_exception_fp_ieee_overflow 0
		.amdhsa_exception_fp_ieee_underflow 0
		.amdhsa_exception_fp_ieee_inexact 0
		.amdhsa_exception_int_div_zero 0
	.end_amdhsa_kernel
	.section	.text._Z39paged_attention_ll4mi_QKV_mfma16_kernelI14__hip_bfloat16hLN4vllm18Fp8KVCacheDataTypeE1ES0_Li32ELi64ELi256ELb0ELi6EEvPKT_PKT0_S8_ifPKiSA_SA_iPKfiiiPfSD_PS3_PT2_iSC_SC_,"axG",@progbits,_Z39paged_attention_ll4mi_QKV_mfma16_kernelI14__hip_bfloat16hLN4vllm18Fp8KVCacheDataTypeE1ES0_Li32ELi64ELi256ELb0ELi6EEvPKT_PKT0_S8_ifPKiSA_SA_iPKfiiiPfSD_PS3_PT2_iSC_SC_,comdat
.Lfunc_end1235:
	.size	_Z39paged_attention_ll4mi_QKV_mfma16_kernelI14__hip_bfloat16hLN4vllm18Fp8KVCacheDataTypeE1ES0_Li32ELi64ELi256ELb0ELi6EEvPKT_PKT0_S8_ifPKiSA_SA_iPKfiiiPfSD_PS3_PT2_iSC_SC_, .Lfunc_end1235-_Z39paged_attention_ll4mi_QKV_mfma16_kernelI14__hip_bfloat16hLN4vllm18Fp8KVCacheDataTypeE1ES0_Li32ELi64ELi256ELb0ELi6EEvPKT_PKT0_S8_ifPKiSA_SA_iPKfiiiPfSD_PS3_PT2_iSC_SC_
                                        ; -- End function
	.set _Z39paged_attention_ll4mi_QKV_mfma16_kernelI14__hip_bfloat16hLN4vllm18Fp8KVCacheDataTypeE1ES0_Li32ELi64ELi256ELb0ELi6EEvPKT_PKT0_S8_ifPKiSA_SA_iPKfiiiPfSD_PS3_PT2_iSC_SC_.num_vgpr, max(3, .L__assert_fail.num_vgpr)
	.set _Z39paged_attention_ll4mi_QKV_mfma16_kernelI14__hip_bfloat16hLN4vllm18Fp8KVCacheDataTypeE1ES0_Li32ELi64ELi256ELb0ELi6EEvPKT_PKT0_S8_ifPKiSA_SA_iPKfiiiPfSD_PS3_PT2_iSC_SC_.num_agpr, max(0, .L__assert_fail.num_agpr)
	.set _Z39paged_attention_ll4mi_QKV_mfma16_kernelI14__hip_bfloat16hLN4vllm18Fp8KVCacheDataTypeE1ES0_Li32ELi64ELi256ELb0ELi6EEvPKT_PKT0_S8_ifPKiSA_SA_iPKfiiiPfSD_PS3_PT2_iSC_SC_.numbered_sgpr, max(33, .L__assert_fail.numbered_sgpr)
	.set _Z39paged_attention_ll4mi_QKV_mfma16_kernelI14__hip_bfloat16hLN4vllm18Fp8KVCacheDataTypeE1ES0_Li32ELi64ELi256ELb0ELi6EEvPKT_PKT0_S8_ifPKiSA_SA_iPKfiiiPfSD_PS3_PT2_iSC_SC_.num_named_barrier, max(0, .L__assert_fail.num_named_barrier)
	.set _Z39paged_attention_ll4mi_QKV_mfma16_kernelI14__hip_bfloat16hLN4vllm18Fp8KVCacheDataTypeE1ES0_Li32ELi64ELi256ELb0ELi6EEvPKT_PKT0_S8_ifPKiSA_SA_iPKfiiiPfSD_PS3_PT2_iSC_SC_.private_seg_size, 0+max(.L__assert_fail.private_seg_size)
	.set _Z39paged_attention_ll4mi_QKV_mfma16_kernelI14__hip_bfloat16hLN4vllm18Fp8KVCacheDataTypeE1ES0_Li32ELi64ELi256ELb0ELi6EEvPKT_PKT0_S8_ifPKiSA_SA_iPKfiiiPfSD_PS3_PT2_iSC_SC_.uses_vcc, or(1, .L__assert_fail.uses_vcc)
	.set _Z39paged_attention_ll4mi_QKV_mfma16_kernelI14__hip_bfloat16hLN4vllm18Fp8KVCacheDataTypeE1ES0_Li32ELi64ELi256ELb0ELi6EEvPKT_PKT0_S8_ifPKiSA_SA_iPKfiiiPfSD_PS3_PT2_iSC_SC_.uses_flat_scratch, or(0, .L__assert_fail.uses_flat_scratch)
	.set _Z39paged_attention_ll4mi_QKV_mfma16_kernelI14__hip_bfloat16hLN4vllm18Fp8KVCacheDataTypeE1ES0_Li32ELi64ELi256ELb0ELi6EEvPKT_PKT0_S8_ifPKiSA_SA_iPKfiiiPfSD_PS3_PT2_iSC_SC_.has_dyn_sized_stack, or(0, .L__assert_fail.has_dyn_sized_stack)
	.set _Z39paged_attention_ll4mi_QKV_mfma16_kernelI14__hip_bfloat16hLN4vllm18Fp8KVCacheDataTypeE1ES0_Li32ELi64ELi256ELb0ELi6EEvPKT_PKT0_S8_ifPKiSA_SA_iPKfiiiPfSD_PS3_PT2_iSC_SC_.has_recursion, or(0, .L__assert_fail.has_recursion)
	.set _Z39paged_attention_ll4mi_QKV_mfma16_kernelI14__hip_bfloat16hLN4vllm18Fp8KVCacheDataTypeE1ES0_Li32ELi64ELi256ELb0ELi6EEvPKT_PKT0_S8_ifPKiSA_SA_iPKfiiiPfSD_PS3_PT2_iSC_SC_.has_indirect_call, or(0, .L__assert_fail.has_indirect_call)
	.section	.AMDGPU.csdata,"",@progbits
; Kernel info:
; codeLenInByte = 68
; TotalNumSgprs: 36
; NumVgprs: 51
; ScratchSize: 64
; MemoryBound: 0
; FloatMode: 240
; IeeeMode: 1
; LDSByteSize: 0 bytes/workgroup (compile time only)
; SGPRBlocks: 0
; VGPRBlocks: 3
; NumSGPRsForWavesPerEU: 36
; NumVGPRsForWavesPerEU: 51
; NamedBarCnt: 0
; Occupancy: 16
; WaveLimiterHint : 1
; COMPUTE_PGM_RSRC2:SCRATCH_EN: 1
; COMPUTE_PGM_RSRC2:USER_SGPR: 2
; COMPUTE_PGM_RSRC2:TRAP_HANDLER: 0
; COMPUTE_PGM_RSRC2:TGID_X_EN: 1
; COMPUTE_PGM_RSRC2:TGID_Y_EN: 0
; COMPUTE_PGM_RSRC2:TGID_Z_EN: 0
; COMPUTE_PGM_RSRC2:TIDIG_COMP_CNT: 0
	.section	.text._Z39paged_attention_ll4mi_QKV_mfma16_kernelI14__hip_bfloat16hLN4vllm18Fp8KVCacheDataTypeE1ES0_Li32ELi64ELi256ELb0ELi7EEvPKT_PKT0_S8_ifPKiSA_SA_iPKfiiiPfSD_PS3_PT2_iSC_SC_,"axG",@progbits,_Z39paged_attention_ll4mi_QKV_mfma16_kernelI14__hip_bfloat16hLN4vllm18Fp8KVCacheDataTypeE1ES0_Li32ELi64ELi256ELb0ELi7EEvPKT_PKT0_S8_ifPKiSA_SA_iPKfiiiPfSD_PS3_PT2_iSC_SC_,comdat
	.protected	_Z39paged_attention_ll4mi_QKV_mfma16_kernelI14__hip_bfloat16hLN4vllm18Fp8KVCacheDataTypeE1ES0_Li32ELi64ELi256ELb0ELi7EEvPKT_PKT0_S8_ifPKiSA_SA_iPKfiiiPfSD_PS3_PT2_iSC_SC_ ; -- Begin function _Z39paged_attention_ll4mi_QKV_mfma16_kernelI14__hip_bfloat16hLN4vllm18Fp8KVCacheDataTypeE1ES0_Li32ELi64ELi256ELb0ELi7EEvPKT_PKT0_S8_ifPKiSA_SA_iPKfiiiPfSD_PS3_PT2_iSC_SC_
	.globl	_Z39paged_attention_ll4mi_QKV_mfma16_kernelI14__hip_bfloat16hLN4vllm18Fp8KVCacheDataTypeE1ES0_Li32ELi64ELi256ELb0ELi7EEvPKT_PKT0_S8_ifPKiSA_SA_iPKfiiiPfSD_PS3_PT2_iSC_SC_
	.p2align	8
	.type	_Z39paged_attention_ll4mi_QKV_mfma16_kernelI14__hip_bfloat16hLN4vllm18Fp8KVCacheDataTypeE1ES0_Li32ELi64ELi256ELb0ELi7EEvPKT_PKT0_S8_ifPKiSA_SA_iPKfiiiPfSD_PS3_PT2_iSC_SC_,@function
_Z39paged_attention_ll4mi_QKV_mfma16_kernelI14__hip_bfloat16hLN4vllm18Fp8KVCacheDataTypeE1ES0_Li32ELi64ELi256ELb0ELi7EEvPKT_PKT0_S8_ifPKiSA_SA_iPKfiiiPfSD_PS3_PT2_iSC_SC_: ; @_Z39paged_attention_ll4mi_QKV_mfma16_kernelI14__hip_bfloat16hLN4vllm18Fp8KVCacheDataTypeE1ES0_Li32ELi64ELi256ELb0ELi7EEvPKT_PKT0_S8_ifPKiSA_SA_iPKfiiiPfSD_PS3_PT2_iSC_SC_
; %bb.0:
	s_get_pc_i64 s[2:3]
	s_add_nc_u64 s[2:3], s[2:3], __PRETTY_FUNCTION__._Z39paged_attention_ll4mi_QKV_mfma16_kernelI14__hip_bfloat16hLN4vllm18Fp8KVCacheDataTypeE1ES0_Li32ELi64ELi256ELb0ELi7EEvPKT_PKT0_S8_ifPKiSA_SA_iPKfiiiPfSD_PS3_PT2_iSC_SC_@rel64+4
	s_delay_alu instid0(SALU_CYCLE_1)
	v_dual_mov_b32 v0, 0xbb3 :: v_dual_mov_b32 v1, s2
	v_mov_b32_e32 v2, s3
	s_add_nc_u64 s[8:9], s[0:1], 0x90
	s_get_pc_i64 s[0:1]
	s_add_nc_u64 s[0:1], s[0:1], __assert_fail@rel64+4
	s_mov_b32 s32, 0
	s_swap_pc_i64 s[30:31], s[0:1]
	.section	.rodata,"a",@progbits
	.p2align	6, 0x0
	.amdhsa_kernel _Z39paged_attention_ll4mi_QKV_mfma16_kernelI14__hip_bfloat16hLN4vllm18Fp8KVCacheDataTypeE1ES0_Li32ELi64ELi256ELb0ELi7EEvPKT_PKT0_S8_ifPKiSA_SA_iPKfiiiPfSD_PS3_PT2_iSC_SC_
		.amdhsa_group_segment_fixed_size 0
		.amdhsa_private_segment_fixed_size 64
		.amdhsa_kernarg_size 400
		.amdhsa_user_sgpr_count 2
		.amdhsa_user_sgpr_dispatch_ptr 0
		.amdhsa_user_sgpr_queue_ptr 0
		.amdhsa_user_sgpr_kernarg_segment_ptr 1
		.amdhsa_user_sgpr_dispatch_id 0
		.amdhsa_user_sgpr_kernarg_preload_length 0
		.amdhsa_user_sgpr_kernarg_preload_offset 0
		.amdhsa_user_sgpr_private_segment_size 0
		.amdhsa_wavefront_size32 1
		.amdhsa_uses_dynamic_stack 0
		.amdhsa_enable_private_segment 1
		.amdhsa_system_sgpr_workgroup_id_x 1
		.amdhsa_system_sgpr_workgroup_id_y 0
		.amdhsa_system_sgpr_workgroup_id_z 0
		.amdhsa_system_sgpr_workgroup_info 0
		.amdhsa_system_vgpr_workitem_id 0
		.amdhsa_next_free_vgpr 51
		.amdhsa_next_free_sgpr 34
		.amdhsa_named_barrier_count 0
		.amdhsa_reserve_vcc 1
		.amdhsa_float_round_mode_32 0
		.amdhsa_float_round_mode_16_64 0
		.amdhsa_float_denorm_mode_32 3
		.amdhsa_float_denorm_mode_16_64 3
		.amdhsa_fp16_overflow 0
		.amdhsa_memory_ordered 1
		.amdhsa_forward_progress 1
		.amdhsa_inst_pref_size 1
		.amdhsa_round_robin_scheduling 0
		.amdhsa_exception_fp_ieee_invalid_op 0
		.amdhsa_exception_fp_denorm_src 0
		.amdhsa_exception_fp_ieee_div_zero 0
		.amdhsa_exception_fp_ieee_overflow 0
		.amdhsa_exception_fp_ieee_underflow 0
		.amdhsa_exception_fp_ieee_inexact 0
		.amdhsa_exception_int_div_zero 0
	.end_amdhsa_kernel
	.section	.text._Z39paged_attention_ll4mi_QKV_mfma16_kernelI14__hip_bfloat16hLN4vllm18Fp8KVCacheDataTypeE1ES0_Li32ELi64ELi256ELb0ELi7EEvPKT_PKT0_S8_ifPKiSA_SA_iPKfiiiPfSD_PS3_PT2_iSC_SC_,"axG",@progbits,_Z39paged_attention_ll4mi_QKV_mfma16_kernelI14__hip_bfloat16hLN4vllm18Fp8KVCacheDataTypeE1ES0_Li32ELi64ELi256ELb0ELi7EEvPKT_PKT0_S8_ifPKiSA_SA_iPKfiiiPfSD_PS3_PT2_iSC_SC_,comdat
.Lfunc_end1236:
	.size	_Z39paged_attention_ll4mi_QKV_mfma16_kernelI14__hip_bfloat16hLN4vllm18Fp8KVCacheDataTypeE1ES0_Li32ELi64ELi256ELb0ELi7EEvPKT_PKT0_S8_ifPKiSA_SA_iPKfiiiPfSD_PS3_PT2_iSC_SC_, .Lfunc_end1236-_Z39paged_attention_ll4mi_QKV_mfma16_kernelI14__hip_bfloat16hLN4vllm18Fp8KVCacheDataTypeE1ES0_Li32ELi64ELi256ELb0ELi7EEvPKT_PKT0_S8_ifPKiSA_SA_iPKfiiiPfSD_PS3_PT2_iSC_SC_
                                        ; -- End function
	.set _Z39paged_attention_ll4mi_QKV_mfma16_kernelI14__hip_bfloat16hLN4vllm18Fp8KVCacheDataTypeE1ES0_Li32ELi64ELi256ELb0ELi7EEvPKT_PKT0_S8_ifPKiSA_SA_iPKfiiiPfSD_PS3_PT2_iSC_SC_.num_vgpr, max(3, .L__assert_fail.num_vgpr)
	.set _Z39paged_attention_ll4mi_QKV_mfma16_kernelI14__hip_bfloat16hLN4vllm18Fp8KVCacheDataTypeE1ES0_Li32ELi64ELi256ELb0ELi7EEvPKT_PKT0_S8_ifPKiSA_SA_iPKfiiiPfSD_PS3_PT2_iSC_SC_.num_agpr, max(0, .L__assert_fail.num_agpr)
	.set _Z39paged_attention_ll4mi_QKV_mfma16_kernelI14__hip_bfloat16hLN4vllm18Fp8KVCacheDataTypeE1ES0_Li32ELi64ELi256ELb0ELi7EEvPKT_PKT0_S8_ifPKiSA_SA_iPKfiiiPfSD_PS3_PT2_iSC_SC_.numbered_sgpr, max(33, .L__assert_fail.numbered_sgpr)
	.set _Z39paged_attention_ll4mi_QKV_mfma16_kernelI14__hip_bfloat16hLN4vllm18Fp8KVCacheDataTypeE1ES0_Li32ELi64ELi256ELb0ELi7EEvPKT_PKT0_S8_ifPKiSA_SA_iPKfiiiPfSD_PS3_PT2_iSC_SC_.num_named_barrier, max(0, .L__assert_fail.num_named_barrier)
	.set _Z39paged_attention_ll4mi_QKV_mfma16_kernelI14__hip_bfloat16hLN4vllm18Fp8KVCacheDataTypeE1ES0_Li32ELi64ELi256ELb0ELi7EEvPKT_PKT0_S8_ifPKiSA_SA_iPKfiiiPfSD_PS3_PT2_iSC_SC_.private_seg_size, 0+max(.L__assert_fail.private_seg_size)
	.set _Z39paged_attention_ll4mi_QKV_mfma16_kernelI14__hip_bfloat16hLN4vllm18Fp8KVCacheDataTypeE1ES0_Li32ELi64ELi256ELb0ELi7EEvPKT_PKT0_S8_ifPKiSA_SA_iPKfiiiPfSD_PS3_PT2_iSC_SC_.uses_vcc, or(1, .L__assert_fail.uses_vcc)
	.set _Z39paged_attention_ll4mi_QKV_mfma16_kernelI14__hip_bfloat16hLN4vllm18Fp8KVCacheDataTypeE1ES0_Li32ELi64ELi256ELb0ELi7EEvPKT_PKT0_S8_ifPKiSA_SA_iPKfiiiPfSD_PS3_PT2_iSC_SC_.uses_flat_scratch, or(0, .L__assert_fail.uses_flat_scratch)
	.set _Z39paged_attention_ll4mi_QKV_mfma16_kernelI14__hip_bfloat16hLN4vllm18Fp8KVCacheDataTypeE1ES0_Li32ELi64ELi256ELb0ELi7EEvPKT_PKT0_S8_ifPKiSA_SA_iPKfiiiPfSD_PS3_PT2_iSC_SC_.has_dyn_sized_stack, or(0, .L__assert_fail.has_dyn_sized_stack)
	.set _Z39paged_attention_ll4mi_QKV_mfma16_kernelI14__hip_bfloat16hLN4vllm18Fp8KVCacheDataTypeE1ES0_Li32ELi64ELi256ELb0ELi7EEvPKT_PKT0_S8_ifPKiSA_SA_iPKfiiiPfSD_PS3_PT2_iSC_SC_.has_recursion, or(0, .L__assert_fail.has_recursion)
	.set _Z39paged_attention_ll4mi_QKV_mfma16_kernelI14__hip_bfloat16hLN4vllm18Fp8KVCacheDataTypeE1ES0_Li32ELi64ELi256ELb0ELi7EEvPKT_PKT0_S8_ifPKiSA_SA_iPKfiiiPfSD_PS3_PT2_iSC_SC_.has_indirect_call, or(0, .L__assert_fail.has_indirect_call)
	.section	.AMDGPU.csdata,"",@progbits
; Kernel info:
; codeLenInByte = 68
; TotalNumSgprs: 36
; NumVgprs: 51
; ScratchSize: 64
; MemoryBound: 0
; FloatMode: 240
; IeeeMode: 1
; LDSByteSize: 0 bytes/workgroup (compile time only)
; SGPRBlocks: 0
; VGPRBlocks: 3
; NumSGPRsForWavesPerEU: 36
; NumVGPRsForWavesPerEU: 51
; NamedBarCnt: 0
; Occupancy: 16
; WaveLimiterHint : 1
; COMPUTE_PGM_RSRC2:SCRATCH_EN: 1
; COMPUTE_PGM_RSRC2:USER_SGPR: 2
; COMPUTE_PGM_RSRC2:TRAP_HANDLER: 0
; COMPUTE_PGM_RSRC2:TGID_X_EN: 1
; COMPUTE_PGM_RSRC2:TGID_Y_EN: 0
; COMPUTE_PGM_RSRC2:TGID_Z_EN: 0
; COMPUTE_PGM_RSRC2:TIDIG_COMP_CNT: 0
	.section	.text._Z39paged_attention_ll4mi_QKV_mfma16_kernelI14__hip_bfloat16hLN4vllm18Fp8KVCacheDataTypeE1ES0_Li32ELi64ELi256ELb0ELi8EEvPKT_PKT0_S8_ifPKiSA_SA_iPKfiiiPfSD_PS3_PT2_iSC_SC_,"axG",@progbits,_Z39paged_attention_ll4mi_QKV_mfma16_kernelI14__hip_bfloat16hLN4vllm18Fp8KVCacheDataTypeE1ES0_Li32ELi64ELi256ELb0ELi8EEvPKT_PKT0_S8_ifPKiSA_SA_iPKfiiiPfSD_PS3_PT2_iSC_SC_,comdat
	.protected	_Z39paged_attention_ll4mi_QKV_mfma16_kernelI14__hip_bfloat16hLN4vllm18Fp8KVCacheDataTypeE1ES0_Li32ELi64ELi256ELb0ELi8EEvPKT_PKT0_S8_ifPKiSA_SA_iPKfiiiPfSD_PS3_PT2_iSC_SC_ ; -- Begin function _Z39paged_attention_ll4mi_QKV_mfma16_kernelI14__hip_bfloat16hLN4vllm18Fp8KVCacheDataTypeE1ES0_Li32ELi64ELi256ELb0ELi8EEvPKT_PKT0_S8_ifPKiSA_SA_iPKfiiiPfSD_PS3_PT2_iSC_SC_
	.globl	_Z39paged_attention_ll4mi_QKV_mfma16_kernelI14__hip_bfloat16hLN4vllm18Fp8KVCacheDataTypeE1ES0_Li32ELi64ELi256ELb0ELi8EEvPKT_PKT0_S8_ifPKiSA_SA_iPKfiiiPfSD_PS3_PT2_iSC_SC_
	.p2align	8
	.type	_Z39paged_attention_ll4mi_QKV_mfma16_kernelI14__hip_bfloat16hLN4vllm18Fp8KVCacheDataTypeE1ES0_Li32ELi64ELi256ELb0ELi8EEvPKT_PKT0_S8_ifPKiSA_SA_iPKfiiiPfSD_PS3_PT2_iSC_SC_,@function
_Z39paged_attention_ll4mi_QKV_mfma16_kernelI14__hip_bfloat16hLN4vllm18Fp8KVCacheDataTypeE1ES0_Li32ELi64ELi256ELb0ELi8EEvPKT_PKT0_S8_ifPKiSA_SA_iPKfiiiPfSD_PS3_PT2_iSC_SC_: ; @_Z39paged_attention_ll4mi_QKV_mfma16_kernelI14__hip_bfloat16hLN4vllm18Fp8KVCacheDataTypeE1ES0_Li32ELi64ELi256ELb0ELi8EEvPKT_PKT0_S8_ifPKiSA_SA_iPKfiiiPfSD_PS3_PT2_iSC_SC_
; %bb.0:
	s_get_pc_i64 s[2:3]
	s_add_nc_u64 s[2:3], s[2:3], __PRETTY_FUNCTION__._Z39paged_attention_ll4mi_QKV_mfma16_kernelI14__hip_bfloat16hLN4vllm18Fp8KVCacheDataTypeE1ES0_Li32ELi64ELi256ELb0ELi8EEvPKT_PKT0_S8_ifPKiSA_SA_iPKfiiiPfSD_PS3_PT2_iSC_SC_@rel64+4
	s_delay_alu instid0(SALU_CYCLE_1)
	v_dual_mov_b32 v0, 0xbb3 :: v_dual_mov_b32 v1, s2
	v_mov_b32_e32 v2, s3
	s_add_nc_u64 s[8:9], s[0:1], 0x90
	s_get_pc_i64 s[0:1]
	s_add_nc_u64 s[0:1], s[0:1], __assert_fail@rel64+4
	s_mov_b32 s32, 0
	s_swap_pc_i64 s[30:31], s[0:1]
	.section	.rodata,"a",@progbits
	.p2align	6, 0x0
	.amdhsa_kernel _Z39paged_attention_ll4mi_QKV_mfma16_kernelI14__hip_bfloat16hLN4vllm18Fp8KVCacheDataTypeE1ES0_Li32ELi64ELi256ELb0ELi8EEvPKT_PKT0_S8_ifPKiSA_SA_iPKfiiiPfSD_PS3_PT2_iSC_SC_
		.amdhsa_group_segment_fixed_size 0
		.amdhsa_private_segment_fixed_size 64
		.amdhsa_kernarg_size 400
		.amdhsa_user_sgpr_count 2
		.amdhsa_user_sgpr_dispatch_ptr 0
		.amdhsa_user_sgpr_queue_ptr 0
		.amdhsa_user_sgpr_kernarg_segment_ptr 1
		.amdhsa_user_sgpr_dispatch_id 0
		.amdhsa_user_sgpr_kernarg_preload_length 0
		.amdhsa_user_sgpr_kernarg_preload_offset 0
		.amdhsa_user_sgpr_private_segment_size 0
		.amdhsa_wavefront_size32 1
		.amdhsa_uses_dynamic_stack 0
		.amdhsa_enable_private_segment 1
		.amdhsa_system_sgpr_workgroup_id_x 1
		.amdhsa_system_sgpr_workgroup_id_y 0
		.amdhsa_system_sgpr_workgroup_id_z 0
		.amdhsa_system_sgpr_workgroup_info 0
		.amdhsa_system_vgpr_workitem_id 0
		.amdhsa_next_free_vgpr 51
		.amdhsa_next_free_sgpr 34
		.amdhsa_named_barrier_count 0
		.amdhsa_reserve_vcc 1
		.amdhsa_float_round_mode_32 0
		.amdhsa_float_round_mode_16_64 0
		.amdhsa_float_denorm_mode_32 3
		.amdhsa_float_denorm_mode_16_64 3
		.amdhsa_fp16_overflow 0
		.amdhsa_memory_ordered 1
		.amdhsa_forward_progress 1
		.amdhsa_inst_pref_size 1
		.amdhsa_round_robin_scheduling 0
		.amdhsa_exception_fp_ieee_invalid_op 0
		.amdhsa_exception_fp_denorm_src 0
		.amdhsa_exception_fp_ieee_div_zero 0
		.amdhsa_exception_fp_ieee_overflow 0
		.amdhsa_exception_fp_ieee_underflow 0
		.amdhsa_exception_fp_ieee_inexact 0
		.amdhsa_exception_int_div_zero 0
	.end_amdhsa_kernel
	.section	.text._Z39paged_attention_ll4mi_QKV_mfma16_kernelI14__hip_bfloat16hLN4vllm18Fp8KVCacheDataTypeE1ES0_Li32ELi64ELi256ELb0ELi8EEvPKT_PKT0_S8_ifPKiSA_SA_iPKfiiiPfSD_PS3_PT2_iSC_SC_,"axG",@progbits,_Z39paged_attention_ll4mi_QKV_mfma16_kernelI14__hip_bfloat16hLN4vllm18Fp8KVCacheDataTypeE1ES0_Li32ELi64ELi256ELb0ELi8EEvPKT_PKT0_S8_ifPKiSA_SA_iPKfiiiPfSD_PS3_PT2_iSC_SC_,comdat
.Lfunc_end1237:
	.size	_Z39paged_attention_ll4mi_QKV_mfma16_kernelI14__hip_bfloat16hLN4vllm18Fp8KVCacheDataTypeE1ES0_Li32ELi64ELi256ELb0ELi8EEvPKT_PKT0_S8_ifPKiSA_SA_iPKfiiiPfSD_PS3_PT2_iSC_SC_, .Lfunc_end1237-_Z39paged_attention_ll4mi_QKV_mfma16_kernelI14__hip_bfloat16hLN4vllm18Fp8KVCacheDataTypeE1ES0_Li32ELi64ELi256ELb0ELi8EEvPKT_PKT0_S8_ifPKiSA_SA_iPKfiiiPfSD_PS3_PT2_iSC_SC_
                                        ; -- End function
	.set _Z39paged_attention_ll4mi_QKV_mfma16_kernelI14__hip_bfloat16hLN4vllm18Fp8KVCacheDataTypeE1ES0_Li32ELi64ELi256ELb0ELi8EEvPKT_PKT0_S8_ifPKiSA_SA_iPKfiiiPfSD_PS3_PT2_iSC_SC_.num_vgpr, max(3, .L__assert_fail.num_vgpr)
	.set _Z39paged_attention_ll4mi_QKV_mfma16_kernelI14__hip_bfloat16hLN4vllm18Fp8KVCacheDataTypeE1ES0_Li32ELi64ELi256ELb0ELi8EEvPKT_PKT0_S8_ifPKiSA_SA_iPKfiiiPfSD_PS3_PT2_iSC_SC_.num_agpr, max(0, .L__assert_fail.num_agpr)
	.set _Z39paged_attention_ll4mi_QKV_mfma16_kernelI14__hip_bfloat16hLN4vllm18Fp8KVCacheDataTypeE1ES0_Li32ELi64ELi256ELb0ELi8EEvPKT_PKT0_S8_ifPKiSA_SA_iPKfiiiPfSD_PS3_PT2_iSC_SC_.numbered_sgpr, max(33, .L__assert_fail.numbered_sgpr)
	.set _Z39paged_attention_ll4mi_QKV_mfma16_kernelI14__hip_bfloat16hLN4vllm18Fp8KVCacheDataTypeE1ES0_Li32ELi64ELi256ELb0ELi8EEvPKT_PKT0_S8_ifPKiSA_SA_iPKfiiiPfSD_PS3_PT2_iSC_SC_.num_named_barrier, max(0, .L__assert_fail.num_named_barrier)
	.set _Z39paged_attention_ll4mi_QKV_mfma16_kernelI14__hip_bfloat16hLN4vllm18Fp8KVCacheDataTypeE1ES0_Li32ELi64ELi256ELb0ELi8EEvPKT_PKT0_S8_ifPKiSA_SA_iPKfiiiPfSD_PS3_PT2_iSC_SC_.private_seg_size, 0+max(.L__assert_fail.private_seg_size)
	.set _Z39paged_attention_ll4mi_QKV_mfma16_kernelI14__hip_bfloat16hLN4vllm18Fp8KVCacheDataTypeE1ES0_Li32ELi64ELi256ELb0ELi8EEvPKT_PKT0_S8_ifPKiSA_SA_iPKfiiiPfSD_PS3_PT2_iSC_SC_.uses_vcc, or(1, .L__assert_fail.uses_vcc)
	.set _Z39paged_attention_ll4mi_QKV_mfma16_kernelI14__hip_bfloat16hLN4vllm18Fp8KVCacheDataTypeE1ES0_Li32ELi64ELi256ELb0ELi8EEvPKT_PKT0_S8_ifPKiSA_SA_iPKfiiiPfSD_PS3_PT2_iSC_SC_.uses_flat_scratch, or(0, .L__assert_fail.uses_flat_scratch)
	.set _Z39paged_attention_ll4mi_QKV_mfma16_kernelI14__hip_bfloat16hLN4vllm18Fp8KVCacheDataTypeE1ES0_Li32ELi64ELi256ELb0ELi8EEvPKT_PKT0_S8_ifPKiSA_SA_iPKfiiiPfSD_PS3_PT2_iSC_SC_.has_dyn_sized_stack, or(0, .L__assert_fail.has_dyn_sized_stack)
	.set _Z39paged_attention_ll4mi_QKV_mfma16_kernelI14__hip_bfloat16hLN4vllm18Fp8KVCacheDataTypeE1ES0_Li32ELi64ELi256ELb0ELi8EEvPKT_PKT0_S8_ifPKiSA_SA_iPKfiiiPfSD_PS3_PT2_iSC_SC_.has_recursion, or(0, .L__assert_fail.has_recursion)
	.set _Z39paged_attention_ll4mi_QKV_mfma16_kernelI14__hip_bfloat16hLN4vllm18Fp8KVCacheDataTypeE1ES0_Li32ELi64ELi256ELb0ELi8EEvPKT_PKT0_S8_ifPKiSA_SA_iPKfiiiPfSD_PS3_PT2_iSC_SC_.has_indirect_call, or(0, .L__assert_fail.has_indirect_call)
	.section	.AMDGPU.csdata,"",@progbits
; Kernel info:
; codeLenInByte = 68
; TotalNumSgprs: 36
; NumVgprs: 51
; ScratchSize: 64
; MemoryBound: 0
; FloatMode: 240
; IeeeMode: 1
; LDSByteSize: 0 bytes/workgroup (compile time only)
; SGPRBlocks: 0
; VGPRBlocks: 3
; NumSGPRsForWavesPerEU: 36
; NumVGPRsForWavesPerEU: 51
; NamedBarCnt: 0
; Occupancy: 16
; WaveLimiterHint : 1
; COMPUTE_PGM_RSRC2:SCRATCH_EN: 1
; COMPUTE_PGM_RSRC2:USER_SGPR: 2
; COMPUTE_PGM_RSRC2:TRAP_HANDLER: 0
; COMPUTE_PGM_RSRC2:TGID_X_EN: 1
; COMPUTE_PGM_RSRC2:TGID_Y_EN: 0
; COMPUTE_PGM_RSRC2:TGID_Z_EN: 0
; COMPUTE_PGM_RSRC2:TIDIG_COMP_CNT: 0
	.section	.text._Z39paged_attention_ll4mi_QKV_mfma16_kernelI14__hip_bfloat16hLN4vllm18Fp8KVCacheDataTypeE1ES0_Li32ELi64ELi256ELb0ELi9EEvPKT_PKT0_S8_ifPKiSA_SA_iPKfiiiPfSD_PS3_PT2_iSC_SC_,"axG",@progbits,_Z39paged_attention_ll4mi_QKV_mfma16_kernelI14__hip_bfloat16hLN4vllm18Fp8KVCacheDataTypeE1ES0_Li32ELi64ELi256ELb0ELi9EEvPKT_PKT0_S8_ifPKiSA_SA_iPKfiiiPfSD_PS3_PT2_iSC_SC_,comdat
	.protected	_Z39paged_attention_ll4mi_QKV_mfma16_kernelI14__hip_bfloat16hLN4vllm18Fp8KVCacheDataTypeE1ES0_Li32ELi64ELi256ELb0ELi9EEvPKT_PKT0_S8_ifPKiSA_SA_iPKfiiiPfSD_PS3_PT2_iSC_SC_ ; -- Begin function _Z39paged_attention_ll4mi_QKV_mfma16_kernelI14__hip_bfloat16hLN4vllm18Fp8KVCacheDataTypeE1ES0_Li32ELi64ELi256ELb0ELi9EEvPKT_PKT0_S8_ifPKiSA_SA_iPKfiiiPfSD_PS3_PT2_iSC_SC_
	.globl	_Z39paged_attention_ll4mi_QKV_mfma16_kernelI14__hip_bfloat16hLN4vllm18Fp8KVCacheDataTypeE1ES0_Li32ELi64ELi256ELb0ELi9EEvPKT_PKT0_S8_ifPKiSA_SA_iPKfiiiPfSD_PS3_PT2_iSC_SC_
	.p2align	8
	.type	_Z39paged_attention_ll4mi_QKV_mfma16_kernelI14__hip_bfloat16hLN4vllm18Fp8KVCacheDataTypeE1ES0_Li32ELi64ELi256ELb0ELi9EEvPKT_PKT0_S8_ifPKiSA_SA_iPKfiiiPfSD_PS3_PT2_iSC_SC_,@function
_Z39paged_attention_ll4mi_QKV_mfma16_kernelI14__hip_bfloat16hLN4vllm18Fp8KVCacheDataTypeE1ES0_Li32ELi64ELi256ELb0ELi9EEvPKT_PKT0_S8_ifPKiSA_SA_iPKfiiiPfSD_PS3_PT2_iSC_SC_: ; @_Z39paged_attention_ll4mi_QKV_mfma16_kernelI14__hip_bfloat16hLN4vllm18Fp8KVCacheDataTypeE1ES0_Li32ELi64ELi256ELb0ELi9EEvPKT_PKT0_S8_ifPKiSA_SA_iPKfiiiPfSD_PS3_PT2_iSC_SC_
; %bb.0:
	s_get_pc_i64 s[2:3]
	s_add_nc_u64 s[2:3], s[2:3], __PRETTY_FUNCTION__._Z39paged_attention_ll4mi_QKV_mfma16_kernelI14__hip_bfloat16hLN4vllm18Fp8KVCacheDataTypeE1ES0_Li32ELi64ELi256ELb0ELi9EEvPKT_PKT0_S8_ifPKiSA_SA_iPKfiiiPfSD_PS3_PT2_iSC_SC_@rel64+4
	s_delay_alu instid0(SALU_CYCLE_1)
	v_dual_mov_b32 v0, 0xbb3 :: v_dual_mov_b32 v1, s2
	v_mov_b32_e32 v2, s3
	s_add_nc_u64 s[8:9], s[0:1], 0x90
	s_get_pc_i64 s[0:1]
	s_add_nc_u64 s[0:1], s[0:1], __assert_fail@rel64+4
	s_mov_b32 s32, 0
	s_swap_pc_i64 s[30:31], s[0:1]
	.section	.rodata,"a",@progbits
	.p2align	6, 0x0
	.amdhsa_kernel _Z39paged_attention_ll4mi_QKV_mfma16_kernelI14__hip_bfloat16hLN4vllm18Fp8KVCacheDataTypeE1ES0_Li32ELi64ELi256ELb0ELi9EEvPKT_PKT0_S8_ifPKiSA_SA_iPKfiiiPfSD_PS3_PT2_iSC_SC_
		.amdhsa_group_segment_fixed_size 0
		.amdhsa_private_segment_fixed_size 64
		.amdhsa_kernarg_size 400
		.amdhsa_user_sgpr_count 2
		.amdhsa_user_sgpr_dispatch_ptr 0
		.amdhsa_user_sgpr_queue_ptr 0
		.amdhsa_user_sgpr_kernarg_segment_ptr 1
		.amdhsa_user_sgpr_dispatch_id 0
		.amdhsa_user_sgpr_kernarg_preload_length 0
		.amdhsa_user_sgpr_kernarg_preload_offset 0
		.amdhsa_user_sgpr_private_segment_size 0
		.amdhsa_wavefront_size32 1
		.amdhsa_uses_dynamic_stack 0
		.amdhsa_enable_private_segment 1
		.amdhsa_system_sgpr_workgroup_id_x 1
		.amdhsa_system_sgpr_workgroup_id_y 0
		.amdhsa_system_sgpr_workgroup_id_z 0
		.amdhsa_system_sgpr_workgroup_info 0
		.amdhsa_system_vgpr_workitem_id 0
		.amdhsa_next_free_vgpr 51
		.amdhsa_next_free_sgpr 34
		.amdhsa_named_barrier_count 0
		.amdhsa_reserve_vcc 1
		.amdhsa_float_round_mode_32 0
		.amdhsa_float_round_mode_16_64 0
		.amdhsa_float_denorm_mode_32 3
		.amdhsa_float_denorm_mode_16_64 3
		.amdhsa_fp16_overflow 0
		.amdhsa_memory_ordered 1
		.amdhsa_forward_progress 1
		.amdhsa_inst_pref_size 1
		.amdhsa_round_robin_scheduling 0
		.amdhsa_exception_fp_ieee_invalid_op 0
		.amdhsa_exception_fp_denorm_src 0
		.amdhsa_exception_fp_ieee_div_zero 0
		.amdhsa_exception_fp_ieee_overflow 0
		.amdhsa_exception_fp_ieee_underflow 0
		.amdhsa_exception_fp_ieee_inexact 0
		.amdhsa_exception_int_div_zero 0
	.end_amdhsa_kernel
	.section	.text._Z39paged_attention_ll4mi_QKV_mfma16_kernelI14__hip_bfloat16hLN4vllm18Fp8KVCacheDataTypeE1ES0_Li32ELi64ELi256ELb0ELi9EEvPKT_PKT0_S8_ifPKiSA_SA_iPKfiiiPfSD_PS3_PT2_iSC_SC_,"axG",@progbits,_Z39paged_attention_ll4mi_QKV_mfma16_kernelI14__hip_bfloat16hLN4vllm18Fp8KVCacheDataTypeE1ES0_Li32ELi64ELi256ELb0ELi9EEvPKT_PKT0_S8_ifPKiSA_SA_iPKfiiiPfSD_PS3_PT2_iSC_SC_,comdat
.Lfunc_end1238:
	.size	_Z39paged_attention_ll4mi_QKV_mfma16_kernelI14__hip_bfloat16hLN4vllm18Fp8KVCacheDataTypeE1ES0_Li32ELi64ELi256ELb0ELi9EEvPKT_PKT0_S8_ifPKiSA_SA_iPKfiiiPfSD_PS3_PT2_iSC_SC_, .Lfunc_end1238-_Z39paged_attention_ll4mi_QKV_mfma16_kernelI14__hip_bfloat16hLN4vllm18Fp8KVCacheDataTypeE1ES0_Li32ELi64ELi256ELb0ELi9EEvPKT_PKT0_S8_ifPKiSA_SA_iPKfiiiPfSD_PS3_PT2_iSC_SC_
                                        ; -- End function
	.set _Z39paged_attention_ll4mi_QKV_mfma16_kernelI14__hip_bfloat16hLN4vllm18Fp8KVCacheDataTypeE1ES0_Li32ELi64ELi256ELb0ELi9EEvPKT_PKT0_S8_ifPKiSA_SA_iPKfiiiPfSD_PS3_PT2_iSC_SC_.num_vgpr, max(3, .L__assert_fail.num_vgpr)
	.set _Z39paged_attention_ll4mi_QKV_mfma16_kernelI14__hip_bfloat16hLN4vllm18Fp8KVCacheDataTypeE1ES0_Li32ELi64ELi256ELb0ELi9EEvPKT_PKT0_S8_ifPKiSA_SA_iPKfiiiPfSD_PS3_PT2_iSC_SC_.num_agpr, max(0, .L__assert_fail.num_agpr)
	.set _Z39paged_attention_ll4mi_QKV_mfma16_kernelI14__hip_bfloat16hLN4vllm18Fp8KVCacheDataTypeE1ES0_Li32ELi64ELi256ELb0ELi9EEvPKT_PKT0_S8_ifPKiSA_SA_iPKfiiiPfSD_PS3_PT2_iSC_SC_.numbered_sgpr, max(33, .L__assert_fail.numbered_sgpr)
	.set _Z39paged_attention_ll4mi_QKV_mfma16_kernelI14__hip_bfloat16hLN4vllm18Fp8KVCacheDataTypeE1ES0_Li32ELi64ELi256ELb0ELi9EEvPKT_PKT0_S8_ifPKiSA_SA_iPKfiiiPfSD_PS3_PT2_iSC_SC_.num_named_barrier, max(0, .L__assert_fail.num_named_barrier)
	.set _Z39paged_attention_ll4mi_QKV_mfma16_kernelI14__hip_bfloat16hLN4vllm18Fp8KVCacheDataTypeE1ES0_Li32ELi64ELi256ELb0ELi9EEvPKT_PKT0_S8_ifPKiSA_SA_iPKfiiiPfSD_PS3_PT2_iSC_SC_.private_seg_size, 0+max(.L__assert_fail.private_seg_size)
	.set _Z39paged_attention_ll4mi_QKV_mfma16_kernelI14__hip_bfloat16hLN4vllm18Fp8KVCacheDataTypeE1ES0_Li32ELi64ELi256ELb0ELi9EEvPKT_PKT0_S8_ifPKiSA_SA_iPKfiiiPfSD_PS3_PT2_iSC_SC_.uses_vcc, or(1, .L__assert_fail.uses_vcc)
	.set _Z39paged_attention_ll4mi_QKV_mfma16_kernelI14__hip_bfloat16hLN4vllm18Fp8KVCacheDataTypeE1ES0_Li32ELi64ELi256ELb0ELi9EEvPKT_PKT0_S8_ifPKiSA_SA_iPKfiiiPfSD_PS3_PT2_iSC_SC_.uses_flat_scratch, or(0, .L__assert_fail.uses_flat_scratch)
	.set _Z39paged_attention_ll4mi_QKV_mfma16_kernelI14__hip_bfloat16hLN4vllm18Fp8KVCacheDataTypeE1ES0_Li32ELi64ELi256ELb0ELi9EEvPKT_PKT0_S8_ifPKiSA_SA_iPKfiiiPfSD_PS3_PT2_iSC_SC_.has_dyn_sized_stack, or(0, .L__assert_fail.has_dyn_sized_stack)
	.set _Z39paged_attention_ll4mi_QKV_mfma16_kernelI14__hip_bfloat16hLN4vllm18Fp8KVCacheDataTypeE1ES0_Li32ELi64ELi256ELb0ELi9EEvPKT_PKT0_S8_ifPKiSA_SA_iPKfiiiPfSD_PS3_PT2_iSC_SC_.has_recursion, or(0, .L__assert_fail.has_recursion)
	.set _Z39paged_attention_ll4mi_QKV_mfma16_kernelI14__hip_bfloat16hLN4vllm18Fp8KVCacheDataTypeE1ES0_Li32ELi64ELi256ELb0ELi9EEvPKT_PKT0_S8_ifPKiSA_SA_iPKfiiiPfSD_PS3_PT2_iSC_SC_.has_indirect_call, or(0, .L__assert_fail.has_indirect_call)
	.section	.AMDGPU.csdata,"",@progbits
; Kernel info:
; codeLenInByte = 68
; TotalNumSgprs: 36
; NumVgprs: 51
; ScratchSize: 64
; MemoryBound: 0
; FloatMode: 240
; IeeeMode: 1
; LDSByteSize: 0 bytes/workgroup (compile time only)
; SGPRBlocks: 0
; VGPRBlocks: 3
; NumSGPRsForWavesPerEU: 36
; NumVGPRsForWavesPerEU: 51
; NamedBarCnt: 0
; Occupancy: 16
; WaveLimiterHint : 1
; COMPUTE_PGM_RSRC2:SCRATCH_EN: 1
; COMPUTE_PGM_RSRC2:USER_SGPR: 2
; COMPUTE_PGM_RSRC2:TRAP_HANDLER: 0
; COMPUTE_PGM_RSRC2:TGID_X_EN: 1
; COMPUTE_PGM_RSRC2:TGID_Y_EN: 0
; COMPUTE_PGM_RSRC2:TGID_Z_EN: 0
; COMPUTE_PGM_RSRC2:TIDIG_COMP_CNT: 0
	.section	.text._Z39paged_attention_ll4mi_QKV_mfma16_kernelI14__hip_bfloat16hLN4vllm18Fp8KVCacheDataTypeE1ES0_Li32ELi64ELi256ELb0ELi10EEvPKT_PKT0_S8_ifPKiSA_SA_iPKfiiiPfSD_PS3_PT2_iSC_SC_,"axG",@progbits,_Z39paged_attention_ll4mi_QKV_mfma16_kernelI14__hip_bfloat16hLN4vllm18Fp8KVCacheDataTypeE1ES0_Li32ELi64ELi256ELb0ELi10EEvPKT_PKT0_S8_ifPKiSA_SA_iPKfiiiPfSD_PS3_PT2_iSC_SC_,comdat
	.protected	_Z39paged_attention_ll4mi_QKV_mfma16_kernelI14__hip_bfloat16hLN4vllm18Fp8KVCacheDataTypeE1ES0_Li32ELi64ELi256ELb0ELi10EEvPKT_PKT0_S8_ifPKiSA_SA_iPKfiiiPfSD_PS3_PT2_iSC_SC_ ; -- Begin function _Z39paged_attention_ll4mi_QKV_mfma16_kernelI14__hip_bfloat16hLN4vllm18Fp8KVCacheDataTypeE1ES0_Li32ELi64ELi256ELb0ELi10EEvPKT_PKT0_S8_ifPKiSA_SA_iPKfiiiPfSD_PS3_PT2_iSC_SC_
	.globl	_Z39paged_attention_ll4mi_QKV_mfma16_kernelI14__hip_bfloat16hLN4vllm18Fp8KVCacheDataTypeE1ES0_Li32ELi64ELi256ELb0ELi10EEvPKT_PKT0_S8_ifPKiSA_SA_iPKfiiiPfSD_PS3_PT2_iSC_SC_
	.p2align	8
	.type	_Z39paged_attention_ll4mi_QKV_mfma16_kernelI14__hip_bfloat16hLN4vllm18Fp8KVCacheDataTypeE1ES0_Li32ELi64ELi256ELb0ELi10EEvPKT_PKT0_S8_ifPKiSA_SA_iPKfiiiPfSD_PS3_PT2_iSC_SC_,@function
_Z39paged_attention_ll4mi_QKV_mfma16_kernelI14__hip_bfloat16hLN4vllm18Fp8KVCacheDataTypeE1ES0_Li32ELi64ELi256ELb0ELi10EEvPKT_PKT0_S8_ifPKiSA_SA_iPKfiiiPfSD_PS3_PT2_iSC_SC_: ; @_Z39paged_attention_ll4mi_QKV_mfma16_kernelI14__hip_bfloat16hLN4vllm18Fp8KVCacheDataTypeE1ES0_Li32ELi64ELi256ELb0ELi10EEvPKT_PKT0_S8_ifPKiSA_SA_iPKfiiiPfSD_PS3_PT2_iSC_SC_
; %bb.0:
	s_get_pc_i64 s[2:3]
	s_add_nc_u64 s[2:3], s[2:3], __PRETTY_FUNCTION__._Z39paged_attention_ll4mi_QKV_mfma16_kernelI14__hip_bfloat16hLN4vllm18Fp8KVCacheDataTypeE1ES0_Li32ELi64ELi256ELb0ELi10EEvPKT_PKT0_S8_ifPKiSA_SA_iPKfiiiPfSD_PS3_PT2_iSC_SC_@rel64+4
	s_delay_alu instid0(SALU_CYCLE_1)
	v_dual_mov_b32 v0, 0xbb3 :: v_dual_mov_b32 v1, s2
	v_mov_b32_e32 v2, s3
	s_add_nc_u64 s[8:9], s[0:1], 0x90
	s_get_pc_i64 s[0:1]
	s_add_nc_u64 s[0:1], s[0:1], __assert_fail@rel64+4
	s_mov_b32 s32, 0
	s_swap_pc_i64 s[30:31], s[0:1]
	.section	.rodata,"a",@progbits
	.p2align	6, 0x0
	.amdhsa_kernel _Z39paged_attention_ll4mi_QKV_mfma16_kernelI14__hip_bfloat16hLN4vllm18Fp8KVCacheDataTypeE1ES0_Li32ELi64ELi256ELb0ELi10EEvPKT_PKT0_S8_ifPKiSA_SA_iPKfiiiPfSD_PS3_PT2_iSC_SC_
		.amdhsa_group_segment_fixed_size 0
		.amdhsa_private_segment_fixed_size 64
		.amdhsa_kernarg_size 400
		.amdhsa_user_sgpr_count 2
		.amdhsa_user_sgpr_dispatch_ptr 0
		.amdhsa_user_sgpr_queue_ptr 0
		.amdhsa_user_sgpr_kernarg_segment_ptr 1
		.amdhsa_user_sgpr_dispatch_id 0
		.amdhsa_user_sgpr_kernarg_preload_length 0
		.amdhsa_user_sgpr_kernarg_preload_offset 0
		.amdhsa_user_sgpr_private_segment_size 0
		.amdhsa_wavefront_size32 1
		.amdhsa_uses_dynamic_stack 0
		.amdhsa_enable_private_segment 1
		.amdhsa_system_sgpr_workgroup_id_x 1
		.amdhsa_system_sgpr_workgroup_id_y 0
		.amdhsa_system_sgpr_workgroup_id_z 0
		.amdhsa_system_sgpr_workgroup_info 0
		.amdhsa_system_vgpr_workitem_id 0
		.amdhsa_next_free_vgpr 51
		.amdhsa_next_free_sgpr 34
		.amdhsa_named_barrier_count 0
		.amdhsa_reserve_vcc 1
		.amdhsa_float_round_mode_32 0
		.amdhsa_float_round_mode_16_64 0
		.amdhsa_float_denorm_mode_32 3
		.amdhsa_float_denorm_mode_16_64 3
		.amdhsa_fp16_overflow 0
		.amdhsa_memory_ordered 1
		.amdhsa_forward_progress 1
		.amdhsa_inst_pref_size 1
		.amdhsa_round_robin_scheduling 0
		.amdhsa_exception_fp_ieee_invalid_op 0
		.amdhsa_exception_fp_denorm_src 0
		.amdhsa_exception_fp_ieee_div_zero 0
		.amdhsa_exception_fp_ieee_overflow 0
		.amdhsa_exception_fp_ieee_underflow 0
		.amdhsa_exception_fp_ieee_inexact 0
		.amdhsa_exception_int_div_zero 0
	.end_amdhsa_kernel
	.section	.text._Z39paged_attention_ll4mi_QKV_mfma16_kernelI14__hip_bfloat16hLN4vllm18Fp8KVCacheDataTypeE1ES0_Li32ELi64ELi256ELb0ELi10EEvPKT_PKT0_S8_ifPKiSA_SA_iPKfiiiPfSD_PS3_PT2_iSC_SC_,"axG",@progbits,_Z39paged_attention_ll4mi_QKV_mfma16_kernelI14__hip_bfloat16hLN4vllm18Fp8KVCacheDataTypeE1ES0_Li32ELi64ELi256ELb0ELi10EEvPKT_PKT0_S8_ifPKiSA_SA_iPKfiiiPfSD_PS3_PT2_iSC_SC_,comdat
.Lfunc_end1239:
	.size	_Z39paged_attention_ll4mi_QKV_mfma16_kernelI14__hip_bfloat16hLN4vllm18Fp8KVCacheDataTypeE1ES0_Li32ELi64ELi256ELb0ELi10EEvPKT_PKT0_S8_ifPKiSA_SA_iPKfiiiPfSD_PS3_PT2_iSC_SC_, .Lfunc_end1239-_Z39paged_attention_ll4mi_QKV_mfma16_kernelI14__hip_bfloat16hLN4vllm18Fp8KVCacheDataTypeE1ES0_Li32ELi64ELi256ELb0ELi10EEvPKT_PKT0_S8_ifPKiSA_SA_iPKfiiiPfSD_PS3_PT2_iSC_SC_
                                        ; -- End function
	.set _Z39paged_attention_ll4mi_QKV_mfma16_kernelI14__hip_bfloat16hLN4vllm18Fp8KVCacheDataTypeE1ES0_Li32ELi64ELi256ELb0ELi10EEvPKT_PKT0_S8_ifPKiSA_SA_iPKfiiiPfSD_PS3_PT2_iSC_SC_.num_vgpr, max(3, .L__assert_fail.num_vgpr)
	.set _Z39paged_attention_ll4mi_QKV_mfma16_kernelI14__hip_bfloat16hLN4vllm18Fp8KVCacheDataTypeE1ES0_Li32ELi64ELi256ELb0ELi10EEvPKT_PKT0_S8_ifPKiSA_SA_iPKfiiiPfSD_PS3_PT2_iSC_SC_.num_agpr, max(0, .L__assert_fail.num_agpr)
	.set _Z39paged_attention_ll4mi_QKV_mfma16_kernelI14__hip_bfloat16hLN4vllm18Fp8KVCacheDataTypeE1ES0_Li32ELi64ELi256ELb0ELi10EEvPKT_PKT0_S8_ifPKiSA_SA_iPKfiiiPfSD_PS3_PT2_iSC_SC_.numbered_sgpr, max(33, .L__assert_fail.numbered_sgpr)
	.set _Z39paged_attention_ll4mi_QKV_mfma16_kernelI14__hip_bfloat16hLN4vllm18Fp8KVCacheDataTypeE1ES0_Li32ELi64ELi256ELb0ELi10EEvPKT_PKT0_S8_ifPKiSA_SA_iPKfiiiPfSD_PS3_PT2_iSC_SC_.num_named_barrier, max(0, .L__assert_fail.num_named_barrier)
	.set _Z39paged_attention_ll4mi_QKV_mfma16_kernelI14__hip_bfloat16hLN4vllm18Fp8KVCacheDataTypeE1ES0_Li32ELi64ELi256ELb0ELi10EEvPKT_PKT0_S8_ifPKiSA_SA_iPKfiiiPfSD_PS3_PT2_iSC_SC_.private_seg_size, 0+max(.L__assert_fail.private_seg_size)
	.set _Z39paged_attention_ll4mi_QKV_mfma16_kernelI14__hip_bfloat16hLN4vllm18Fp8KVCacheDataTypeE1ES0_Li32ELi64ELi256ELb0ELi10EEvPKT_PKT0_S8_ifPKiSA_SA_iPKfiiiPfSD_PS3_PT2_iSC_SC_.uses_vcc, or(1, .L__assert_fail.uses_vcc)
	.set _Z39paged_attention_ll4mi_QKV_mfma16_kernelI14__hip_bfloat16hLN4vllm18Fp8KVCacheDataTypeE1ES0_Li32ELi64ELi256ELb0ELi10EEvPKT_PKT0_S8_ifPKiSA_SA_iPKfiiiPfSD_PS3_PT2_iSC_SC_.uses_flat_scratch, or(0, .L__assert_fail.uses_flat_scratch)
	.set _Z39paged_attention_ll4mi_QKV_mfma16_kernelI14__hip_bfloat16hLN4vllm18Fp8KVCacheDataTypeE1ES0_Li32ELi64ELi256ELb0ELi10EEvPKT_PKT0_S8_ifPKiSA_SA_iPKfiiiPfSD_PS3_PT2_iSC_SC_.has_dyn_sized_stack, or(0, .L__assert_fail.has_dyn_sized_stack)
	.set _Z39paged_attention_ll4mi_QKV_mfma16_kernelI14__hip_bfloat16hLN4vllm18Fp8KVCacheDataTypeE1ES0_Li32ELi64ELi256ELb0ELi10EEvPKT_PKT0_S8_ifPKiSA_SA_iPKfiiiPfSD_PS3_PT2_iSC_SC_.has_recursion, or(0, .L__assert_fail.has_recursion)
	.set _Z39paged_attention_ll4mi_QKV_mfma16_kernelI14__hip_bfloat16hLN4vllm18Fp8KVCacheDataTypeE1ES0_Li32ELi64ELi256ELb0ELi10EEvPKT_PKT0_S8_ifPKiSA_SA_iPKfiiiPfSD_PS3_PT2_iSC_SC_.has_indirect_call, or(0, .L__assert_fail.has_indirect_call)
	.section	.AMDGPU.csdata,"",@progbits
; Kernel info:
; codeLenInByte = 68
; TotalNumSgprs: 36
; NumVgprs: 51
; ScratchSize: 64
; MemoryBound: 0
; FloatMode: 240
; IeeeMode: 1
; LDSByteSize: 0 bytes/workgroup (compile time only)
; SGPRBlocks: 0
; VGPRBlocks: 3
; NumSGPRsForWavesPerEU: 36
; NumVGPRsForWavesPerEU: 51
; NamedBarCnt: 0
; Occupancy: 16
; WaveLimiterHint : 1
; COMPUTE_PGM_RSRC2:SCRATCH_EN: 1
; COMPUTE_PGM_RSRC2:USER_SGPR: 2
; COMPUTE_PGM_RSRC2:TRAP_HANDLER: 0
; COMPUTE_PGM_RSRC2:TGID_X_EN: 1
; COMPUTE_PGM_RSRC2:TGID_Y_EN: 0
; COMPUTE_PGM_RSRC2:TGID_Z_EN: 0
; COMPUTE_PGM_RSRC2:TIDIG_COMP_CNT: 0
	.section	.text._Z39paged_attention_ll4mi_QKV_mfma16_kernelI14__hip_bfloat16hLN4vllm18Fp8KVCacheDataTypeE1ES0_Li32ELi64ELi256ELb0ELi11EEvPKT_PKT0_S8_ifPKiSA_SA_iPKfiiiPfSD_PS3_PT2_iSC_SC_,"axG",@progbits,_Z39paged_attention_ll4mi_QKV_mfma16_kernelI14__hip_bfloat16hLN4vllm18Fp8KVCacheDataTypeE1ES0_Li32ELi64ELi256ELb0ELi11EEvPKT_PKT0_S8_ifPKiSA_SA_iPKfiiiPfSD_PS3_PT2_iSC_SC_,comdat
	.protected	_Z39paged_attention_ll4mi_QKV_mfma16_kernelI14__hip_bfloat16hLN4vllm18Fp8KVCacheDataTypeE1ES0_Li32ELi64ELi256ELb0ELi11EEvPKT_PKT0_S8_ifPKiSA_SA_iPKfiiiPfSD_PS3_PT2_iSC_SC_ ; -- Begin function _Z39paged_attention_ll4mi_QKV_mfma16_kernelI14__hip_bfloat16hLN4vllm18Fp8KVCacheDataTypeE1ES0_Li32ELi64ELi256ELb0ELi11EEvPKT_PKT0_S8_ifPKiSA_SA_iPKfiiiPfSD_PS3_PT2_iSC_SC_
	.globl	_Z39paged_attention_ll4mi_QKV_mfma16_kernelI14__hip_bfloat16hLN4vllm18Fp8KVCacheDataTypeE1ES0_Li32ELi64ELi256ELb0ELi11EEvPKT_PKT0_S8_ifPKiSA_SA_iPKfiiiPfSD_PS3_PT2_iSC_SC_
	.p2align	8
	.type	_Z39paged_attention_ll4mi_QKV_mfma16_kernelI14__hip_bfloat16hLN4vllm18Fp8KVCacheDataTypeE1ES0_Li32ELi64ELi256ELb0ELi11EEvPKT_PKT0_S8_ifPKiSA_SA_iPKfiiiPfSD_PS3_PT2_iSC_SC_,@function
_Z39paged_attention_ll4mi_QKV_mfma16_kernelI14__hip_bfloat16hLN4vllm18Fp8KVCacheDataTypeE1ES0_Li32ELi64ELi256ELb0ELi11EEvPKT_PKT0_S8_ifPKiSA_SA_iPKfiiiPfSD_PS3_PT2_iSC_SC_: ; @_Z39paged_attention_ll4mi_QKV_mfma16_kernelI14__hip_bfloat16hLN4vllm18Fp8KVCacheDataTypeE1ES0_Li32ELi64ELi256ELb0ELi11EEvPKT_PKT0_S8_ifPKiSA_SA_iPKfiiiPfSD_PS3_PT2_iSC_SC_
; %bb.0:
	s_get_pc_i64 s[2:3]
	s_add_nc_u64 s[2:3], s[2:3], __PRETTY_FUNCTION__._Z39paged_attention_ll4mi_QKV_mfma16_kernelI14__hip_bfloat16hLN4vllm18Fp8KVCacheDataTypeE1ES0_Li32ELi64ELi256ELb0ELi11EEvPKT_PKT0_S8_ifPKiSA_SA_iPKfiiiPfSD_PS3_PT2_iSC_SC_@rel64+4
	s_delay_alu instid0(SALU_CYCLE_1)
	v_dual_mov_b32 v0, 0xbb3 :: v_dual_mov_b32 v1, s2
	v_mov_b32_e32 v2, s3
	s_add_nc_u64 s[8:9], s[0:1], 0x90
	s_get_pc_i64 s[0:1]
	s_add_nc_u64 s[0:1], s[0:1], __assert_fail@rel64+4
	s_mov_b32 s32, 0
	s_swap_pc_i64 s[30:31], s[0:1]
	.section	.rodata,"a",@progbits
	.p2align	6, 0x0
	.amdhsa_kernel _Z39paged_attention_ll4mi_QKV_mfma16_kernelI14__hip_bfloat16hLN4vllm18Fp8KVCacheDataTypeE1ES0_Li32ELi64ELi256ELb0ELi11EEvPKT_PKT0_S8_ifPKiSA_SA_iPKfiiiPfSD_PS3_PT2_iSC_SC_
		.amdhsa_group_segment_fixed_size 0
		.amdhsa_private_segment_fixed_size 64
		.amdhsa_kernarg_size 400
		.amdhsa_user_sgpr_count 2
		.amdhsa_user_sgpr_dispatch_ptr 0
		.amdhsa_user_sgpr_queue_ptr 0
		.amdhsa_user_sgpr_kernarg_segment_ptr 1
		.amdhsa_user_sgpr_dispatch_id 0
		.amdhsa_user_sgpr_kernarg_preload_length 0
		.amdhsa_user_sgpr_kernarg_preload_offset 0
		.amdhsa_user_sgpr_private_segment_size 0
		.amdhsa_wavefront_size32 1
		.amdhsa_uses_dynamic_stack 0
		.amdhsa_enable_private_segment 1
		.amdhsa_system_sgpr_workgroup_id_x 1
		.amdhsa_system_sgpr_workgroup_id_y 0
		.amdhsa_system_sgpr_workgroup_id_z 0
		.amdhsa_system_sgpr_workgroup_info 0
		.amdhsa_system_vgpr_workitem_id 0
		.amdhsa_next_free_vgpr 51
		.amdhsa_next_free_sgpr 34
		.amdhsa_named_barrier_count 0
		.amdhsa_reserve_vcc 1
		.amdhsa_float_round_mode_32 0
		.amdhsa_float_round_mode_16_64 0
		.amdhsa_float_denorm_mode_32 3
		.amdhsa_float_denorm_mode_16_64 3
		.amdhsa_fp16_overflow 0
		.amdhsa_memory_ordered 1
		.amdhsa_forward_progress 1
		.amdhsa_inst_pref_size 1
		.amdhsa_round_robin_scheduling 0
		.amdhsa_exception_fp_ieee_invalid_op 0
		.amdhsa_exception_fp_denorm_src 0
		.amdhsa_exception_fp_ieee_div_zero 0
		.amdhsa_exception_fp_ieee_overflow 0
		.amdhsa_exception_fp_ieee_underflow 0
		.amdhsa_exception_fp_ieee_inexact 0
		.amdhsa_exception_int_div_zero 0
	.end_amdhsa_kernel
	.section	.text._Z39paged_attention_ll4mi_QKV_mfma16_kernelI14__hip_bfloat16hLN4vllm18Fp8KVCacheDataTypeE1ES0_Li32ELi64ELi256ELb0ELi11EEvPKT_PKT0_S8_ifPKiSA_SA_iPKfiiiPfSD_PS3_PT2_iSC_SC_,"axG",@progbits,_Z39paged_attention_ll4mi_QKV_mfma16_kernelI14__hip_bfloat16hLN4vllm18Fp8KVCacheDataTypeE1ES0_Li32ELi64ELi256ELb0ELi11EEvPKT_PKT0_S8_ifPKiSA_SA_iPKfiiiPfSD_PS3_PT2_iSC_SC_,comdat
.Lfunc_end1240:
	.size	_Z39paged_attention_ll4mi_QKV_mfma16_kernelI14__hip_bfloat16hLN4vllm18Fp8KVCacheDataTypeE1ES0_Li32ELi64ELi256ELb0ELi11EEvPKT_PKT0_S8_ifPKiSA_SA_iPKfiiiPfSD_PS3_PT2_iSC_SC_, .Lfunc_end1240-_Z39paged_attention_ll4mi_QKV_mfma16_kernelI14__hip_bfloat16hLN4vllm18Fp8KVCacheDataTypeE1ES0_Li32ELi64ELi256ELb0ELi11EEvPKT_PKT0_S8_ifPKiSA_SA_iPKfiiiPfSD_PS3_PT2_iSC_SC_
                                        ; -- End function
	.set _Z39paged_attention_ll4mi_QKV_mfma16_kernelI14__hip_bfloat16hLN4vllm18Fp8KVCacheDataTypeE1ES0_Li32ELi64ELi256ELb0ELi11EEvPKT_PKT0_S8_ifPKiSA_SA_iPKfiiiPfSD_PS3_PT2_iSC_SC_.num_vgpr, max(3, .L__assert_fail.num_vgpr)
	.set _Z39paged_attention_ll4mi_QKV_mfma16_kernelI14__hip_bfloat16hLN4vllm18Fp8KVCacheDataTypeE1ES0_Li32ELi64ELi256ELb0ELi11EEvPKT_PKT0_S8_ifPKiSA_SA_iPKfiiiPfSD_PS3_PT2_iSC_SC_.num_agpr, max(0, .L__assert_fail.num_agpr)
	.set _Z39paged_attention_ll4mi_QKV_mfma16_kernelI14__hip_bfloat16hLN4vllm18Fp8KVCacheDataTypeE1ES0_Li32ELi64ELi256ELb0ELi11EEvPKT_PKT0_S8_ifPKiSA_SA_iPKfiiiPfSD_PS3_PT2_iSC_SC_.numbered_sgpr, max(33, .L__assert_fail.numbered_sgpr)
	.set _Z39paged_attention_ll4mi_QKV_mfma16_kernelI14__hip_bfloat16hLN4vllm18Fp8KVCacheDataTypeE1ES0_Li32ELi64ELi256ELb0ELi11EEvPKT_PKT0_S8_ifPKiSA_SA_iPKfiiiPfSD_PS3_PT2_iSC_SC_.num_named_barrier, max(0, .L__assert_fail.num_named_barrier)
	.set _Z39paged_attention_ll4mi_QKV_mfma16_kernelI14__hip_bfloat16hLN4vllm18Fp8KVCacheDataTypeE1ES0_Li32ELi64ELi256ELb0ELi11EEvPKT_PKT0_S8_ifPKiSA_SA_iPKfiiiPfSD_PS3_PT2_iSC_SC_.private_seg_size, 0+max(.L__assert_fail.private_seg_size)
	.set _Z39paged_attention_ll4mi_QKV_mfma16_kernelI14__hip_bfloat16hLN4vllm18Fp8KVCacheDataTypeE1ES0_Li32ELi64ELi256ELb0ELi11EEvPKT_PKT0_S8_ifPKiSA_SA_iPKfiiiPfSD_PS3_PT2_iSC_SC_.uses_vcc, or(1, .L__assert_fail.uses_vcc)
	.set _Z39paged_attention_ll4mi_QKV_mfma16_kernelI14__hip_bfloat16hLN4vllm18Fp8KVCacheDataTypeE1ES0_Li32ELi64ELi256ELb0ELi11EEvPKT_PKT0_S8_ifPKiSA_SA_iPKfiiiPfSD_PS3_PT2_iSC_SC_.uses_flat_scratch, or(0, .L__assert_fail.uses_flat_scratch)
	.set _Z39paged_attention_ll4mi_QKV_mfma16_kernelI14__hip_bfloat16hLN4vllm18Fp8KVCacheDataTypeE1ES0_Li32ELi64ELi256ELb0ELi11EEvPKT_PKT0_S8_ifPKiSA_SA_iPKfiiiPfSD_PS3_PT2_iSC_SC_.has_dyn_sized_stack, or(0, .L__assert_fail.has_dyn_sized_stack)
	.set _Z39paged_attention_ll4mi_QKV_mfma16_kernelI14__hip_bfloat16hLN4vllm18Fp8KVCacheDataTypeE1ES0_Li32ELi64ELi256ELb0ELi11EEvPKT_PKT0_S8_ifPKiSA_SA_iPKfiiiPfSD_PS3_PT2_iSC_SC_.has_recursion, or(0, .L__assert_fail.has_recursion)
	.set _Z39paged_attention_ll4mi_QKV_mfma16_kernelI14__hip_bfloat16hLN4vllm18Fp8KVCacheDataTypeE1ES0_Li32ELi64ELi256ELb0ELi11EEvPKT_PKT0_S8_ifPKiSA_SA_iPKfiiiPfSD_PS3_PT2_iSC_SC_.has_indirect_call, or(0, .L__assert_fail.has_indirect_call)
	.section	.AMDGPU.csdata,"",@progbits
; Kernel info:
; codeLenInByte = 68
; TotalNumSgprs: 36
; NumVgprs: 51
; ScratchSize: 64
; MemoryBound: 0
; FloatMode: 240
; IeeeMode: 1
; LDSByteSize: 0 bytes/workgroup (compile time only)
; SGPRBlocks: 0
; VGPRBlocks: 3
; NumSGPRsForWavesPerEU: 36
; NumVGPRsForWavesPerEU: 51
; NamedBarCnt: 0
; Occupancy: 16
; WaveLimiterHint : 1
; COMPUTE_PGM_RSRC2:SCRATCH_EN: 1
; COMPUTE_PGM_RSRC2:USER_SGPR: 2
; COMPUTE_PGM_RSRC2:TRAP_HANDLER: 0
; COMPUTE_PGM_RSRC2:TGID_X_EN: 1
; COMPUTE_PGM_RSRC2:TGID_Y_EN: 0
; COMPUTE_PGM_RSRC2:TGID_Z_EN: 0
; COMPUTE_PGM_RSRC2:TIDIG_COMP_CNT: 0
	.section	.text._Z39paged_attention_ll4mi_QKV_mfma16_kernelI14__hip_bfloat16hLN4vllm18Fp8KVCacheDataTypeE1ES0_Li32ELi64ELi256ELb0ELi12EEvPKT_PKT0_S8_ifPKiSA_SA_iPKfiiiPfSD_PS3_PT2_iSC_SC_,"axG",@progbits,_Z39paged_attention_ll4mi_QKV_mfma16_kernelI14__hip_bfloat16hLN4vllm18Fp8KVCacheDataTypeE1ES0_Li32ELi64ELi256ELb0ELi12EEvPKT_PKT0_S8_ifPKiSA_SA_iPKfiiiPfSD_PS3_PT2_iSC_SC_,comdat
	.protected	_Z39paged_attention_ll4mi_QKV_mfma16_kernelI14__hip_bfloat16hLN4vllm18Fp8KVCacheDataTypeE1ES0_Li32ELi64ELi256ELb0ELi12EEvPKT_PKT0_S8_ifPKiSA_SA_iPKfiiiPfSD_PS3_PT2_iSC_SC_ ; -- Begin function _Z39paged_attention_ll4mi_QKV_mfma16_kernelI14__hip_bfloat16hLN4vllm18Fp8KVCacheDataTypeE1ES0_Li32ELi64ELi256ELb0ELi12EEvPKT_PKT0_S8_ifPKiSA_SA_iPKfiiiPfSD_PS3_PT2_iSC_SC_
	.globl	_Z39paged_attention_ll4mi_QKV_mfma16_kernelI14__hip_bfloat16hLN4vllm18Fp8KVCacheDataTypeE1ES0_Li32ELi64ELi256ELb0ELi12EEvPKT_PKT0_S8_ifPKiSA_SA_iPKfiiiPfSD_PS3_PT2_iSC_SC_
	.p2align	8
	.type	_Z39paged_attention_ll4mi_QKV_mfma16_kernelI14__hip_bfloat16hLN4vllm18Fp8KVCacheDataTypeE1ES0_Li32ELi64ELi256ELb0ELi12EEvPKT_PKT0_S8_ifPKiSA_SA_iPKfiiiPfSD_PS3_PT2_iSC_SC_,@function
_Z39paged_attention_ll4mi_QKV_mfma16_kernelI14__hip_bfloat16hLN4vllm18Fp8KVCacheDataTypeE1ES0_Li32ELi64ELi256ELb0ELi12EEvPKT_PKT0_S8_ifPKiSA_SA_iPKfiiiPfSD_PS3_PT2_iSC_SC_: ; @_Z39paged_attention_ll4mi_QKV_mfma16_kernelI14__hip_bfloat16hLN4vllm18Fp8KVCacheDataTypeE1ES0_Li32ELi64ELi256ELb0ELi12EEvPKT_PKT0_S8_ifPKiSA_SA_iPKfiiiPfSD_PS3_PT2_iSC_SC_
; %bb.0:
	s_get_pc_i64 s[2:3]
	s_add_nc_u64 s[2:3], s[2:3], __PRETTY_FUNCTION__._Z39paged_attention_ll4mi_QKV_mfma16_kernelI14__hip_bfloat16hLN4vllm18Fp8KVCacheDataTypeE1ES0_Li32ELi64ELi256ELb0ELi12EEvPKT_PKT0_S8_ifPKiSA_SA_iPKfiiiPfSD_PS3_PT2_iSC_SC_@rel64+4
	s_delay_alu instid0(SALU_CYCLE_1)
	v_dual_mov_b32 v0, 0xbb3 :: v_dual_mov_b32 v1, s2
	v_mov_b32_e32 v2, s3
	s_add_nc_u64 s[8:9], s[0:1], 0x90
	s_get_pc_i64 s[0:1]
	s_add_nc_u64 s[0:1], s[0:1], __assert_fail@rel64+4
	s_mov_b32 s32, 0
	s_swap_pc_i64 s[30:31], s[0:1]
	.section	.rodata,"a",@progbits
	.p2align	6, 0x0
	.amdhsa_kernel _Z39paged_attention_ll4mi_QKV_mfma16_kernelI14__hip_bfloat16hLN4vllm18Fp8KVCacheDataTypeE1ES0_Li32ELi64ELi256ELb0ELi12EEvPKT_PKT0_S8_ifPKiSA_SA_iPKfiiiPfSD_PS3_PT2_iSC_SC_
		.amdhsa_group_segment_fixed_size 0
		.amdhsa_private_segment_fixed_size 64
		.amdhsa_kernarg_size 400
		.amdhsa_user_sgpr_count 2
		.amdhsa_user_sgpr_dispatch_ptr 0
		.amdhsa_user_sgpr_queue_ptr 0
		.amdhsa_user_sgpr_kernarg_segment_ptr 1
		.amdhsa_user_sgpr_dispatch_id 0
		.amdhsa_user_sgpr_kernarg_preload_length 0
		.amdhsa_user_sgpr_kernarg_preload_offset 0
		.amdhsa_user_sgpr_private_segment_size 0
		.amdhsa_wavefront_size32 1
		.amdhsa_uses_dynamic_stack 0
		.amdhsa_enable_private_segment 1
		.amdhsa_system_sgpr_workgroup_id_x 1
		.amdhsa_system_sgpr_workgroup_id_y 0
		.amdhsa_system_sgpr_workgroup_id_z 0
		.amdhsa_system_sgpr_workgroup_info 0
		.amdhsa_system_vgpr_workitem_id 0
		.amdhsa_next_free_vgpr 51
		.amdhsa_next_free_sgpr 34
		.amdhsa_named_barrier_count 0
		.amdhsa_reserve_vcc 1
		.amdhsa_float_round_mode_32 0
		.amdhsa_float_round_mode_16_64 0
		.amdhsa_float_denorm_mode_32 3
		.amdhsa_float_denorm_mode_16_64 3
		.amdhsa_fp16_overflow 0
		.amdhsa_memory_ordered 1
		.amdhsa_forward_progress 1
		.amdhsa_inst_pref_size 1
		.amdhsa_round_robin_scheduling 0
		.amdhsa_exception_fp_ieee_invalid_op 0
		.amdhsa_exception_fp_denorm_src 0
		.amdhsa_exception_fp_ieee_div_zero 0
		.amdhsa_exception_fp_ieee_overflow 0
		.amdhsa_exception_fp_ieee_underflow 0
		.amdhsa_exception_fp_ieee_inexact 0
		.amdhsa_exception_int_div_zero 0
	.end_amdhsa_kernel
	.section	.text._Z39paged_attention_ll4mi_QKV_mfma16_kernelI14__hip_bfloat16hLN4vllm18Fp8KVCacheDataTypeE1ES0_Li32ELi64ELi256ELb0ELi12EEvPKT_PKT0_S8_ifPKiSA_SA_iPKfiiiPfSD_PS3_PT2_iSC_SC_,"axG",@progbits,_Z39paged_attention_ll4mi_QKV_mfma16_kernelI14__hip_bfloat16hLN4vllm18Fp8KVCacheDataTypeE1ES0_Li32ELi64ELi256ELb0ELi12EEvPKT_PKT0_S8_ifPKiSA_SA_iPKfiiiPfSD_PS3_PT2_iSC_SC_,comdat
.Lfunc_end1241:
	.size	_Z39paged_attention_ll4mi_QKV_mfma16_kernelI14__hip_bfloat16hLN4vllm18Fp8KVCacheDataTypeE1ES0_Li32ELi64ELi256ELb0ELi12EEvPKT_PKT0_S8_ifPKiSA_SA_iPKfiiiPfSD_PS3_PT2_iSC_SC_, .Lfunc_end1241-_Z39paged_attention_ll4mi_QKV_mfma16_kernelI14__hip_bfloat16hLN4vllm18Fp8KVCacheDataTypeE1ES0_Li32ELi64ELi256ELb0ELi12EEvPKT_PKT0_S8_ifPKiSA_SA_iPKfiiiPfSD_PS3_PT2_iSC_SC_
                                        ; -- End function
	.set _Z39paged_attention_ll4mi_QKV_mfma16_kernelI14__hip_bfloat16hLN4vllm18Fp8KVCacheDataTypeE1ES0_Li32ELi64ELi256ELb0ELi12EEvPKT_PKT0_S8_ifPKiSA_SA_iPKfiiiPfSD_PS3_PT2_iSC_SC_.num_vgpr, max(3, .L__assert_fail.num_vgpr)
	.set _Z39paged_attention_ll4mi_QKV_mfma16_kernelI14__hip_bfloat16hLN4vllm18Fp8KVCacheDataTypeE1ES0_Li32ELi64ELi256ELb0ELi12EEvPKT_PKT0_S8_ifPKiSA_SA_iPKfiiiPfSD_PS3_PT2_iSC_SC_.num_agpr, max(0, .L__assert_fail.num_agpr)
	.set _Z39paged_attention_ll4mi_QKV_mfma16_kernelI14__hip_bfloat16hLN4vllm18Fp8KVCacheDataTypeE1ES0_Li32ELi64ELi256ELb0ELi12EEvPKT_PKT0_S8_ifPKiSA_SA_iPKfiiiPfSD_PS3_PT2_iSC_SC_.numbered_sgpr, max(33, .L__assert_fail.numbered_sgpr)
	.set _Z39paged_attention_ll4mi_QKV_mfma16_kernelI14__hip_bfloat16hLN4vllm18Fp8KVCacheDataTypeE1ES0_Li32ELi64ELi256ELb0ELi12EEvPKT_PKT0_S8_ifPKiSA_SA_iPKfiiiPfSD_PS3_PT2_iSC_SC_.num_named_barrier, max(0, .L__assert_fail.num_named_barrier)
	.set _Z39paged_attention_ll4mi_QKV_mfma16_kernelI14__hip_bfloat16hLN4vllm18Fp8KVCacheDataTypeE1ES0_Li32ELi64ELi256ELb0ELi12EEvPKT_PKT0_S8_ifPKiSA_SA_iPKfiiiPfSD_PS3_PT2_iSC_SC_.private_seg_size, 0+max(.L__assert_fail.private_seg_size)
	.set _Z39paged_attention_ll4mi_QKV_mfma16_kernelI14__hip_bfloat16hLN4vllm18Fp8KVCacheDataTypeE1ES0_Li32ELi64ELi256ELb0ELi12EEvPKT_PKT0_S8_ifPKiSA_SA_iPKfiiiPfSD_PS3_PT2_iSC_SC_.uses_vcc, or(1, .L__assert_fail.uses_vcc)
	.set _Z39paged_attention_ll4mi_QKV_mfma16_kernelI14__hip_bfloat16hLN4vllm18Fp8KVCacheDataTypeE1ES0_Li32ELi64ELi256ELb0ELi12EEvPKT_PKT0_S8_ifPKiSA_SA_iPKfiiiPfSD_PS3_PT2_iSC_SC_.uses_flat_scratch, or(0, .L__assert_fail.uses_flat_scratch)
	.set _Z39paged_attention_ll4mi_QKV_mfma16_kernelI14__hip_bfloat16hLN4vllm18Fp8KVCacheDataTypeE1ES0_Li32ELi64ELi256ELb0ELi12EEvPKT_PKT0_S8_ifPKiSA_SA_iPKfiiiPfSD_PS3_PT2_iSC_SC_.has_dyn_sized_stack, or(0, .L__assert_fail.has_dyn_sized_stack)
	.set _Z39paged_attention_ll4mi_QKV_mfma16_kernelI14__hip_bfloat16hLN4vllm18Fp8KVCacheDataTypeE1ES0_Li32ELi64ELi256ELb0ELi12EEvPKT_PKT0_S8_ifPKiSA_SA_iPKfiiiPfSD_PS3_PT2_iSC_SC_.has_recursion, or(0, .L__assert_fail.has_recursion)
	.set _Z39paged_attention_ll4mi_QKV_mfma16_kernelI14__hip_bfloat16hLN4vllm18Fp8KVCacheDataTypeE1ES0_Li32ELi64ELi256ELb0ELi12EEvPKT_PKT0_S8_ifPKiSA_SA_iPKfiiiPfSD_PS3_PT2_iSC_SC_.has_indirect_call, or(0, .L__assert_fail.has_indirect_call)
	.section	.AMDGPU.csdata,"",@progbits
; Kernel info:
; codeLenInByte = 68
; TotalNumSgprs: 36
; NumVgprs: 51
; ScratchSize: 64
; MemoryBound: 0
; FloatMode: 240
; IeeeMode: 1
; LDSByteSize: 0 bytes/workgroup (compile time only)
; SGPRBlocks: 0
; VGPRBlocks: 3
; NumSGPRsForWavesPerEU: 36
; NumVGPRsForWavesPerEU: 51
; NamedBarCnt: 0
; Occupancy: 16
; WaveLimiterHint : 1
; COMPUTE_PGM_RSRC2:SCRATCH_EN: 1
; COMPUTE_PGM_RSRC2:USER_SGPR: 2
; COMPUTE_PGM_RSRC2:TRAP_HANDLER: 0
; COMPUTE_PGM_RSRC2:TGID_X_EN: 1
; COMPUTE_PGM_RSRC2:TGID_Y_EN: 0
; COMPUTE_PGM_RSRC2:TGID_Z_EN: 0
; COMPUTE_PGM_RSRC2:TIDIG_COMP_CNT: 0
	.section	.text._Z39paged_attention_ll4mi_QKV_mfma16_kernelI14__hip_bfloat16hLN4vllm18Fp8KVCacheDataTypeE1ES0_Li32ELi64ELi256ELb0ELi13EEvPKT_PKT0_S8_ifPKiSA_SA_iPKfiiiPfSD_PS3_PT2_iSC_SC_,"axG",@progbits,_Z39paged_attention_ll4mi_QKV_mfma16_kernelI14__hip_bfloat16hLN4vllm18Fp8KVCacheDataTypeE1ES0_Li32ELi64ELi256ELb0ELi13EEvPKT_PKT0_S8_ifPKiSA_SA_iPKfiiiPfSD_PS3_PT2_iSC_SC_,comdat
	.protected	_Z39paged_attention_ll4mi_QKV_mfma16_kernelI14__hip_bfloat16hLN4vllm18Fp8KVCacheDataTypeE1ES0_Li32ELi64ELi256ELb0ELi13EEvPKT_PKT0_S8_ifPKiSA_SA_iPKfiiiPfSD_PS3_PT2_iSC_SC_ ; -- Begin function _Z39paged_attention_ll4mi_QKV_mfma16_kernelI14__hip_bfloat16hLN4vllm18Fp8KVCacheDataTypeE1ES0_Li32ELi64ELi256ELb0ELi13EEvPKT_PKT0_S8_ifPKiSA_SA_iPKfiiiPfSD_PS3_PT2_iSC_SC_
	.globl	_Z39paged_attention_ll4mi_QKV_mfma16_kernelI14__hip_bfloat16hLN4vllm18Fp8KVCacheDataTypeE1ES0_Li32ELi64ELi256ELb0ELi13EEvPKT_PKT0_S8_ifPKiSA_SA_iPKfiiiPfSD_PS3_PT2_iSC_SC_
	.p2align	8
	.type	_Z39paged_attention_ll4mi_QKV_mfma16_kernelI14__hip_bfloat16hLN4vllm18Fp8KVCacheDataTypeE1ES0_Li32ELi64ELi256ELb0ELi13EEvPKT_PKT0_S8_ifPKiSA_SA_iPKfiiiPfSD_PS3_PT2_iSC_SC_,@function
_Z39paged_attention_ll4mi_QKV_mfma16_kernelI14__hip_bfloat16hLN4vllm18Fp8KVCacheDataTypeE1ES0_Li32ELi64ELi256ELb0ELi13EEvPKT_PKT0_S8_ifPKiSA_SA_iPKfiiiPfSD_PS3_PT2_iSC_SC_: ; @_Z39paged_attention_ll4mi_QKV_mfma16_kernelI14__hip_bfloat16hLN4vllm18Fp8KVCacheDataTypeE1ES0_Li32ELi64ELi256ELb0ELi13EEvPKT_PKT0_S8_ifPKiSA_SA_iPKfiiiPfSD_PS3_PT2_iSC_SC_
; %bb.0:
	s_get_pc_i64 s[2:3]
	s_add_nc_u64 s[2:3], s[2:3], __PRETTY_FUNCTION__._Z39paged_attention_ll4mi_QKV_mfma16_kernelI14__hip_bfloat16hLN4vllm18Fp8KVCacheDataTypeE1ES0_Li32ELi64ELi256ELb0ELi13EEvPKT_PKT0_S8_ifPKiSA_SA_iPKfiiiPfSD_PS3_PT2_iSC_SC_@rel64+4
	s_delay_alu instid0(SALU_CYCLE_1)
	v_dual_mov_b32 v0, 0xbb3 :: v_dual_mov_b32 v1, s2
	v_mov_b32_e32 v2, s3
	s_add_nc_u64 s[8:9], s[0:1], 0x90
	s_get_pc_i64 s[0:1]
	s_add_nc_u64 s[0:1], s[0:1], __assert_fail@rel64+4
	s_mov_b32 s32, 0
	s_swap_pc_i64 s[30:31], s[0:1]
	.section	.rodata,"a",@progbits
	.p2align	6, 0x0
	.amdhsa_kernel _Z39paged_attention_ll4mi_QKV_mfma16_kernelI14__hip_bfloat16hLN4vllm18Fp8KVCacheDataTypeE1ES0_Li32ELi64ELi256ELb0ELi13EEvPKT_PKT0_S8_ifPKiSA_SA_iPKfiiiPfSD_PS3_PT2_iSC_SC_
		.amdhsa_group_segment_fixed_size 0
		.amdhsa_private_segment_fixed_size 64
		.amdhsa_kernarg_size 400
		.amdhsa_user_sgpr_count 2
		.amdhsa_user_sgpr_dispatch_ptr 0
		.amdhsa_user_sgpr_queue_ptr 0
		.amdhsa_user_sgpr_kernarg_segment_ptr 1
		.amdhsa_user_sgpr_dispatch_id 0
		.amdhsa_user_sgpr_kernarg_preload_length 0
		.amdhsa_user_sgpr_kernarg_preload_offset 0
		.amdhsa_user_sgpr_private_segment_size 0
		.amdhsa_wavefront_size32 1
		.amdhsa_uses_dynamic_stack 0
		.amdhsa_enable_private_segment 1
		.amdhsa_system_sgpr_workgroup_id_x 1
		.amdhsa_system_sgpr_workgroup_id_y 0
		.amdhsa_system_sgpr_workgroup_id_z 0
		.amdhsa_system_sgpr_workgroup_info 0
		.amdhsa_system_vgpr_workitem_id 0
		.amdhsa_next_free_vgpr 51
		.amdhsa_next_free_sgpr 34
		.amdhsa_named_barrier_count 0
		.amdhsa_reserve_vcc 1
		.amdhsa_float_round_mode_32 0
		.amdhsa_float_round_mode_16_64 0
		.amdhsa_float_denorm_mode_32 3
		.amdhsa_float_denorm_mode_16_64 3
		.amdhsa_fp16_overflow 0
		.amdhsa_memory_ordered 1
		.amdhsa_forward_progress 1
		.amdhsa_inst_pref_size 1
		.amdhsa_round_robin_scheduling 0
		.amdhsa_exception_fp_ieee_invalid_op 0
		.amdhsa_exception_fp_denorm_src 0
		.amdhsa_exception_fp_ieee_div_zero 0
		.amdhsa_exception_fp_ieee_overflow 0
		.amdhsa_exception_fp_ieee_underflow 0
		.amdhsa_exception_fp_ieee_inexact 0
		.amdhsa_exception_int_div_zero 0
	.end_amdhsa_kernel
	.section	.text._Z39paged_attention_ll4mi_QKV_mfma16_kernelI14__hip_bfloat16hLN4vllm18Fp8KVCacheDataTypeE1ES0_Li32ELi64ELi256ELb0ELi13EEvPKT_PKT0_S8_ifPKiSA_SA_iPKfiiiPfSD_PS3_PT2_iSC_SC_,"axG",@progbits,_Z39paged_attention_ll4mi_QKV_mfma16_kernelI14__hip_bfloat16hLN4vllm18Fp8KVCacheDataTypeE1ES0_Li32ELi64ELi256ELb0ELi13EEvPKT_PKT0_S8_ifPKiSA_SA_iPKfiiiPfSD_PS3_PT2_iSC_SC_,comdat
.Lfunc_end1242:
	.size	_Z39paged_attention_ll4mi_QKV_mfma16_kernelI14__hip_bfloat16hLN4vllm18Fp8KVCacheDataTypeE1ES0_Li32ELi64ELi256ELb0ELi13EEvPKT_PKT0_S8_ifPKiSA_SA_iPKfiiiPfSD_PS3_PT2_iSC_SC_, .Lfunc_end1242-_Z39paged_attention_ll4mi_QKV_mfma16_kernelI14__hip_bfloat16hLN4vllm18Fp8KVCacheDataTypeE1ES0_Li32ELi64ELi256ELb0ELi13EEvPKT_PKT0_S8_ifPKiSA_SA_iPKfiiiPfSD_PS3_PT2_iSC_SC_
                                        ; -- End function
	.set _Z39paged_attention_ll4mi_QKV_mfma16_kernelI14__hip_bfloat16hLN4vllm18Fp8KVCacheDataTypeE1ES0_Li32ELi64ELi256ELb0ELi13EEvPKT_PKT0_S8_ifPKiSA_SA_iPKfiiiPfSD_PS3_PT2_iSC_SC_.num_vgpr, max(3, .L__assert_fail.num_vgpr)
	.set _Z39paged_attention_ll4mi_QKV_mfma16_kernelI14__hip_bfloat16hLN4vllm18Fp8KVCacheDataTypeE1ES0_Li32ELi64ELi256ELb0ELi13EEvPKT_PKT0_S8_ifPKiSA_SA_iPKfiiiPfSD_PS3_PT2_iSC_SC_.num_agpr, max(0, .L__assert_fail.num_agpr)
	.set _Z39paged_attention_ll4mi_QKV_mfma16_kernelI14__hip_bfloat16hLN4vllm18Fp8KVCacheDataTypeE1ES0_Li32ELi64ELi256ELb0ELi13EEvPKT_PKT0_S8_ifPKiSA_SA_iPKfiiiPfSD_PS3_PT2_iSC_SC_.numbered_sgpr, max(33, .L__assert_fail.numbered_sgpr)
	.set _Z39paged_attention_ll4mi_QKV_mfma16_kernelI14__hip_bfloat16hLN4vllm18Fp8KVCacheDataTypeE1ES0_Li32ELi64ELi256ELb0ELi13EEvPKT_PKT0_S8_ifPKiSA_SA_iPKfiiiPfSD_PS3_PT2_iSC_SC_.num_named_barrier, max(0, .L__assert_fail.num_named_barrier)
	.set _Z39paged_attention_ll4mi_QKV_mfma16_kernelI14__hip_bfloat16hLN4vllm18Fp8KVCacheDataTypeE1ES0_Li32ELi64ELi256ELb0ELi13EEvPKT_PKT0_S8_ifPKiSA_SA_iPKfiiiPfSD_PS3_PT2_iSC_SC_.private_seg_size, 0+max(.L__assert_fail.private_seg_size)
	.set _Z39paged_attention_ll4mi_QKV_mfma16_kernelI14__hip_bfloat16hLN4vllm18Fp8KVCacheDataTypeE1ES0_Li32ELi64ELi256ELb0ELi13EEvPKT_PKT0_S8_ifPKiSA_SA_iPKfiiiPfSD_PS3_PT2_iSC_SC_.uses_vcc, or(1, .L__assert_fail.uses_vcc)
	.set _Z39paged_attention_ll4mi_QKV_mfma16_kernelI14__hip_bfloat16hLN4vllm18Fp8KVCacheDataTypeE1ES0_Li32ELi64ELi256ELb0ELi13EEvPKT_PKT0_S8_ifPKiSA_SA_iPKfiiiPfSD_PS3_PT2_iSC_SC_.uses_flat_scratch, or(0, .L__assert_fail.uses_flat_scratch)
	.set _Z39paged_attention_ll4mi_QKV_mfma16_kernelI14__hip_bfloat16hLN4vllm18Fp8KVCacheDataTypeE1ES0_Li32ELi64ELi256ELb0ELi13EEvPKT_PKT0_S8_ifPKiSA_SA_iPKfiiiPfSD_PS3_PT2_iSC_SC_.has_dyn_sized_stack, or(0, .L__assert_fail.has_dyn_sized_stack)
	.set _Z39paged_attention_ll4mi_QKV_mfma16_kernelI14__hip_bfloat16hLN4vllm18Fp8KVCacheDataTypeE1ES0_Li32ELi64ELi256ELb0ELi13EEvPKT_PKT0_S8_ifPKiSA_SA_iPKfiiiPfSD_PS3_PT2_iSC_SC_.has_recursion, or(0, .L__assert_fail.has_recursion)
	.set _Z39paged_attention_ll4mi_QKV_mfma16_kernelI14__hip_bfloat16hLN4vllm18Fp8KVCacheDataTypeE1ES0_Li32ELi64ELi256ELb0ELi13EEvPKT_PKT0_S8_ifPKiSA_SA_iPKfiiiPfSD_PS3_PT2_iSC_SC_.has_indirect_call, or(0, .L__assert_fail.has_indirect_call)
	.section	.AMDGPU.csdata,"",@progbits
; Kernel info:
; codeLenInByte = 68
; TotalNumSgprs: 36
; NumVgprs: 51
; ScratchSize: 64
; MemoryBound: 0
; FloatMode: 240
; IeeeMode: 1
; LDSByteSize: 0 bytes/workgroup (compile time only)
; SGPRBlocks: 0
; VGPRBlocks: 3
; NumSGPRsForWavesPerEU: 36
; NumVGPRsForWavesPerEU: 51
; NamedBarCnt: 0
; Occupancy: 16
; WaveLimiterHint : 1
; COMPUTE_PGM_RSRC2:SCRATCH_EN: 1
; COMPUTE_PGM_RSRC2:USER_SGPR: 2
; COMPUTE_PGM_RSRC2:TRAP_HANDLER: 0
; COMPUTE_PGM_RSRC2:TGID_X_EN: 1
; COMPUTE_PGM_RSRC2:TGID_Y_EN: 0
; COMPUTE_PGM_RSRC2:TGID_Z_EN: 0
; COMPUTE_PGM_RSRC2:TIDIG_COMP_CNT: 0
	.section	.text._Z39paged_attention_ll4mi_QKV_mfma16_kernelI14__hip_bfloat16hLN4vllm18Fp8KVCacheDataTypeE1ES0_Li32ELi64ELi256ELb0ELi14EEvPKT_PKT0_S8_ifPKiSA_SA_iPKfiiiPfSD_PS3_PT2_iSC_SC_,"axG",@progbits,_Z39paged_attention_ll4mi_QKV_mfma16_kernelI14__hip_bfloat16hLN4vllm18Fp8KVCacheDataTypeE1ES0_Li32ELi64ELi256ELb0ELi14EEvPKT_PKT0_S8_ifPKiSA_SA_iPKfiiiPfSD_PS3_PT2_iSC_SC_,comdat
	.protected	_Z39paged_attention_ll4mi_QKV_mfma16_kernelI14__hip_bfloat16hLN4vllm18Fp8KVCacheDataTypeE1ES0_Li32ELi64ELi256ELb0ELi14EEvPKT_PKT0_S8_ifPKiSA_SA_iPKfiiiPfSD_PS3_PT2_iSC_SC_ ; -- Begin function _Z39paged_attention_ll4mi_QKV_mfma16_kernelI14__hip_bfloat16hLN4vllm18Fp8KVCacheDataTypeE1ES0_Li32ELi64ELi256ELb0ELi14EEvPKT_PKT0_S8_ifPKiSA_SA_iPKfiiiPfSD_PS3_PT2_iSC_SC_
	.globl	_Z39paged_attention_ll4mi_QKV_mfma16_kernelI14__hip_bfloat16hLN4vllm18Fp8KVCacheDataTypeE1ES0_Li32ELi64ELi256ELb0ELi14EEvPKT_PKT0_S8_ifPKiSA_SA_iPKfiiiPfSD_PS3_PT2_iSC_SC_
	.p2align	8
	.type	_Z39paged_attention_ll4mi_QKV_mfma16_kernelI14__hip_bfloat16hLN4vllm18Fp8KVCacheDataTypeE1ES0_Li32ELi64ELi256ELb0ELi14EEvPKT_PKT0_S8_ifPKiSA_SA_iPKfiiiPfSD_PS3_PT2_iSC_SC_,@function
_Z39paged_attention_ll4mi_QKV_mfma16_kernelI14__hip_bfloat16hLN4vllm18Fp8KVCacheDataTypeE1ES0_Li32ELi64ELi256ELb0ELi14EEvPKT_PKT0_S8_ifPKiSA_SA_iPKfiiiPfSD_PS3_PT2_iSC_SC_: ; @_Z39paged_attention_ll4mi_QKV_mfma16_kernelI14__hip_bfloat16hLN4vllm18Fp8KVCacheDataTypeE1ES0_Li32ELi64ELi256ELb0ELi14EEvPKT_PKT0_S8_ifPKiSA_SA_iPKfiiiPfSD_PS3_PT2_iSC_SC_
; %bb.0:
	s_get_pc_i64 s[2:3]
	s_add_nc_u64 s[2:3], s[2:3], __PRETTY_FUNCTION__._Z39paged_attention_ll4mi_QKV_mfma16_kernelI14__hip_bfloat16hLN4vllm18Fp8KVCacheDataTypeE1ES0_Li32ELi64ELi256ELb0ELi14EEvPKT_PKT0_S8_ifPKiSA_SA_iPKfiiiPfSD_PS3_PT2_iSC_SC_@rel64+4
	s_delay_alu instid0(SALU_CYCLE_1)
	v_dual_mov_b32 v0, 0xbb3 :: v_dual_mov_b32 v1, s2
	v_mov_b32_e32 v2, s3
	s_add_nc_u64 s[8:9], s[0:1], 0x90
	s_get_pc_i64 s[0:1]
	s_add_nc_u64 s[0:1], s[0:1], __assert_fail@rel64+4
	s_mov_b32 s32, 0
	s_swap_pc_i64 s[30:31], s[0:1]
	.section	.rodata,"a",@progbits
	.p2align	6, 0x0
	.amdhsa_kernel _Z39paged_attention_ll4mi_QKV_mfma16_kernelI14__hip_bfloat16hLN4vllm18Fp8KVCacheDataTypeE1ES0_Li32ELi64ELi256ELb0ELi14EEvPKT_PKT0_S8_ifPKiSA_SA_iPKfiiiPfSD_PS3_PT2_iSC_SC_
		.amdhsa_group_segment_fixed_size 0
		.amdhsa_private_segment_fixed_size 64
		.amdhsa_kernarg_size 400
		.amdhsa_user_sgpr_count 2
		.amdhsa_user_sgpr_dispatch_ptr 0
		.amdhsa_user_sgpr_queue_ptr 0
		.amdhsa_user_sgpr_kernarg_segment_ptr 1
		.amdhsa_user_sgpr_dispatch_id 0
		.amdhsa_user_sgpr_kernarg_preload_length 0
		.amdhsa_user_sgpr_kernarg_preload_offset 0
		.amdhsa_user_sgpr_private_segment_size 0
		.amdhsa_wavefront_size32 1
		.amdhsa_uses_dynamic_stack 0
		.amdhsa_enable_private_segment 1
		.amdhsa_system_sgpr_workgroup_id_x 1
		.amdhsa_system_sgpr_workgroup_id_y 0
		.amdhsa_system_sgpr_workgroup_id_z 0
		.amdhsa_system_sgpr_workgroup_info 0
		.amdhsa_system_vgpr_workitem_id 0
		.amdhsa_next_free_vgpr 51
		.amdhsa_next_free_sgpr 34
		.amdhsa_named_barrier_count 0
		.amdhsa_reserve_vcc 1
		.amdhsa_float_round_mode_32 0
		.amdhsa_float_round_mode_16_64 0
		.amdhsa_float_denorm_mode_32 3
		.amdhsa_float_denorm_mode_16_64 3
		.amdhsa_fp16_overflow 0
		.amdhsa_memory_ordered 1
		.amdhsa_forward_progress 1
		.amdhsa_inst_pref_size 1
		.amdhsa_round_robin_scheduling 0
		.amdhsa_exception_fp_ieee_invalid_op 0
		.amdhsa_exception_fp_denorm_src 0
		.amdhsa_exception_fp_ieee_div_zero 0
		.amdhsa_exception_fp_ieee_overflow 0
		.amdhsa_exception_fp_ieee_underflow 0
		.amdhsa_exception_fp_ieee_inexact 0
		.amdhsa_exception_int_div_zero 0
	.end_amdhsa_kernel
	.section	.text._Z39paged_attention_ll4mi_QKV_mfma16_kernelI14__hip_bfloat16hLN4vllm18Fp8KVCacheDataTypeE1ES0_Li32ELi64ELi256ELb0ELi14EEvPKT_PKT0_S8_ifPKiSA_SA_iPKfiiiPfSD_PS3_PT2_iSC_SC_,"axG",@progbits,_Z39paged_attention_ll4mi_QKV_mfma16_kernelI14__hip_bfloat16hLN4vllm18Fp8KVCacheDataTypeE1ES0_Li32ELi64ELi256ELb0ELi14EEvPKT_PKT0_S8_ifPKiSA_SA_iPKfiiiPfSD_PS3_PT2_iSC_SC_,comdat
.Lfunc_end1243:
	.size	_Z39paged_attention_ll4mi_QKV_mfma16_kernelI14__hip_bfloat16hLN4vllm18Fp8KVCacheDataTypeE1ES0_Li32ELi64ELi256ELb0ELi14EEvPKT_PKT0_S8_ifPKiSA_SA_iPKfiiiPfSD_PS3_PT2_iSC_SC_, .Lfunc_end1243-_Z39paged_attention_ll4mi_QKV_mfma16_kernelI14__hip_bfloat16hLN4vllm18Fp8KVCacheDataTypeE1ES0_Li32ELi64ELi256ELb0ELi14EEvPKT_PKT0_S8_ifPKiSA_SA_iPKfiiiPfSD_PS3_PT2_iSC_SC_
                                        ; -- End function
	.set _Z39paged_attention_ll4mi_QKV_mfma16_kernelI14__hip_bfloat16hLN4vllm18Fp8KVCacheDataTypeE1ES0_Li32ELi64ELi256ELb0ELi14EEvPKT_PKT0_S8_ifPKiSA_SA_iPKfiiiPfSD_PS3_PT2_iSC_SC_.num_vgpr, max(3, .L__assert_fail.num_vgpr)
	.set _Z39paged_attention_ll4mi_QKV_mfma16_kernelI14__hip_bfloat16hLN4vllm18Fp8KVCacheDataTypeE1ES0_Li32ELi64ELi256ELb0ELi14EEvPKT_PKT0_S8_ifPKiSA_SA_iPKfiiiPfSD_PS3_PT2_iSC_SC_.num_agpr, max(0, .L__assert_fail.num_agpr)
	.set _Z39paged_attention_ll4mi_QKV_mfma16_kernelI14__hip_bfloat16hLN4vllm18Fp8KVCacheDataTypeE1ES0_Li32ELi64ELi256ELb0ELi14EEvPKT_PKT0_S8_ifPKiSA_SA_iPKfiiiPfSD_PS3_PT2_iSC_SC_.numbered_sgpr, max(33, .L__assert_fail.numbered_sgpr)
	.set _Z39paged_attention_ll4mi_QKV_mfma16_kernelI14__hip_bfloat16hLN4vllm18Fp8KVCacheDataTypeE1ES0_Li32ELi64ELi256ELb0ELi14EEvPKT_PKT0_S8_ifPKiSA_SA_iPKfiiiPfSD_PS3_PT2_iSC_SC_.num_named_barrier, max(0, .L__assert_fail.num_named_barrier)
	.set _Z39paged_attention_ll4mi_QKV_mfma16_kernelI14__hip_bfloat16hLN4vllm18Fp8KVCacheDataTypeE1ES0_Li32ELi64ELi256ELb0ELi14EEvPKT_PKT0_S8_ifPKiSA_SA_iPKfiiiPfSD_PS3_PT2_iSC_SC_.private_seg_size, 0+max(.L__assert_fail.private_seg_size)
	.set _Z39paged_attention_ll4mi_QKV_mfma16_kernelI14__hip_bfloat16hLN4vllm18Fp8KVCacheDataTypeE1ES0_Li32ELi64ELi256ELb0ELi14EEvPKT_PKT0_S8_ifPKiSA_SA_iPKfiiiPfSD_PS3_PT2_iSC_SC_.uses_vcc, or(1, .L__assert_fail.uses_vcc)
	.set _Z39paged_attention_ll4mi_QKV_mfma16_kernelI14__hip_bfloat16hLN4vllm18Fp8KVCacheDataTypeE1ES0_Li32ELi64ELi256ELb0ELi14EEvPKT_PKT0_S8_ifPKiSA_SA_iPKfiiiPfSD_PS3_PT2_iSC_SC_.uses_flat_scratch, or(0, .L__assert_fail.uses_flat_scratch)
	.set _Z39paged_attention_ll4mi_QKV_mfma16_kernelI14__hip_bfloat16hLN4vllm18Fp8KVCacheDataTypeE1ES0_Li32ELi64ELi256ELb0ELi14EEvPKT_PKT0_S8_ifPKiSA_SA_iPKfiiiPfSD_PS3_PT2_iSC_SC_.has_dyn_sized_stack, or(0, .L__assert_fail.has_dyn_sized_stack)
	.set _Z39paged_attention_ll4mi_QKV_mfma16_kernelI14__hip_bfloat16hLN4vllm18Fp8KVCacheDataTypeE1ES0_Li32ELi64ELi256ELb0ELi14EEvPKT_PKT0_S8_ifPKiSA_SA_iPKfiiiPfSD_PS3_PT2_iSC_SC_.has_recursion, or(0, .L__assert_fail.has_recursion)
	.set _Z39paged_attention_ll4mi_QKV_mfma16_kernelI14__hip_bfloat16hLN4vllm18Fp8KVCacheDataTypeE1ES0_Li32ELi64ELi256ELb0ELi14EEvPKT_PKT0_S8_ifPKiSA_SA_iPKfiiiPfSD_PS3_PT2_iSC_SC_.has_indirect_call, or(0, .L__assert_fail.has_indirect_call)
	.section	.AMDGPU.csdata,"",@progbits
; Kernel info:
; codeLenInByte = 68
; TotalNumSgprs: 36
; NumVgprs: 51
; ScratchSize: 64
; MemoryBound: 0
; FloatMode: 240
; IeeeMode: 1
; LDSByteSize: 0 bytes/workgroup (compile time only)
; SGPRBlocks: 0
; VGPRBlocks: 3
; NumSGPRsForWavesPerEU: 36
; NumVGPRsForWavesPerEU: 51
; NamedBarCnt: 0
; Occupancy: 16
; WaveLimiterHint : 1
; COMPUTE_PGM_RSRC2:SCRATCH_EN: 1
; COMPUTE_PGM_RSRC2:USER_SGPR: 2
; COMPUTE_PGM_RSRC2:TRAP_HANDLER: 0
; COMPUTE_PGM_RSRC2:TGID_X_EN: 1
; COMPUTE_PGM_RSRC2:TGID_Y_EN: 0
; COMPUTE_PGM_RSRC2:TGID_Z_EN: 0
; COMPUTE_PGM_RSRC2:TIDIG_COMP_CNT: 0
	.section	.text._Z39paged_attention_ll4mi_QKV_mfma16_kernelI14__hip_bfloat16hLN4vllm18Fp8KVCacheDataTypeE1ES0_Li32ELi64ELi256ELb0ELi15EEvPKT_PKT0_S8_ifPKiSA_SA_iPKfiiiPfSD_PS3_PT2_iSC_SC_,"axG",@progbits,_Z39paged_attention_ll4mi_QKV_mfma16_kernelI14__hip_bfloat16hLN4vllm18Fp8KVCacheDataTypeE1ES0_Li32ELi64ELi256ELb0ELi15EEvPKT_PKT0_S8_ifPKiSA_SA_iPKfiiiPfSD_PS3_PT2_iSC_SC_,comdat
	.protected	_Z39paged_attention_ll4mi_QKV_mfma16_kernelI14__hip_bfloat16hLN4vllm18Fp8KVCacheDataTypeE1ES0_Li32ELi64ELi256ELb0ELi15EEvPKT_PKT0_S8_ifPKiSA_SA_iPKfiiiPfSD_PS3_PT2_iSC_SC_ ; -- Begin function _Z39paged_attention_ll4mi_QKV_mfma16_kernelI14__hip_bfloat16hLN4vllm18Fp8KVCacheDataTypeE1ES0_Li32ELi64ELi256ELb0ELi15EEvPKT_PKT0_S8_ifPKiSA_SA_iPKfiiiPfSD_PS3_PT2_iSC_SC_
	.globl	_Z39paged_attention_ll4mi_QKV_mfma16_kernelI14__hip_bfloat16hLN4vllm18Fp8KVCacheDataTypeE1ES0_Li32ELi64ELi256ELb0ELi15EEvPKT_PKT0_S8_ifPKiSA_SA_iPKfiiiPfSD_PS3_PT2_iSC_SC_
	.p2align	8
	.type	_Z39paged_attention_ll4mi_QKV_mfma16_kernelI14__hip_bfloat16hLN4vllm18Fp8KVCacheDataTypeE1ES0_Li32ELi64ELi256ELb0ELi15EEvPKT_PKT0_S8_ifPKiSA_SA_iPKfiiiPfSD_PS3_PT2_iSC_SC_,@function
_Z39paged_attention_ll4mi_QKV_mfma16_kernelI14__hip_bfloat16hLN4vllm18Fp8KVCacheDataTypeE1ES0_Li32ELi64ELi256ELb0ELi15EEvPKT_PKT0_S8_ifPKiSA_SA_iPKfiiiPfSD_PS3_PT2_iSC_SC_: ; @_Z39paged_attention_ll4mi_QKV_mfma16_kernelI14__hip_bfloat16hLN4vllm18Fp8KVCacheDataTypeE1ES0_Li32ELi64ELi256ELb0ELi15EEvPKT_PKT0_S8_ifPKiSA_SA_iPKfiiiPfSD_PS3_PT2_iSC_SC_
; %bb.0:
	s_get_pc_i64 s[2:3]
	s_add_nc_u64 s[2:3], s[2:3], __PRETTY_FUNCTION__._Z39paged_attention_ll4mi_QKV_mfma16_kernelI14__hip_bfloat16hLN4vllm18Fp8KVCacheDataTypeE1ES0_Li32ELi64ELi256ELb0ELi15EEvPKT_PKT0_S8_ifPKiSA_SA_iPKfiiiPfSD_PS3_PT2_iSC_SC_@rel64+4
	s_delay_alu instid0(SALU_CYCLE_1)
	v_dual_mov_b32 v0, 0xbb3 :: v_dual_mov_b32 v1, s2
	v_mov_b32_e32 v2, s3
	s_add_nc_u64 s[8:9], s[0:1], 0x90
	s_get_pc_i64 s[0:1]
	s_add_nc_u64 s[0:1], s[0:1], __assert_fail@rel64+4
	s_mov_b32 s32, 0
	s_swap_pc_i64 s[30:31], s[0:1]
	.section	.rodata,"a",@progbits
	.p2align	6, 0x0
	.amdhsa_kernel _Z39paged_attention_ll4mi_QKV_mfma16_kernelI14__hip_bfloat16hLN4vllm18Fp8KVCacheDataTypeE1ES0_Li32ELi64ELi256ELb0ELi15EEvPKT_PKT0_S8_ifPKiSA_SA_iPKfiiiPfSD_PS3_PT2_iSC_SC_
		.amdhsa_group_segment_fixed_size 0
		.amdhsa_private_segment_fixed_size 64
		.amdhsa_kernarg_size 400
		.amdhsa_user_sgpr_count 2
		.amdhsa_user_sgpr_dispatch_ptr 0
		.amdhsa_user_sgpr_queue_ptr 0
		.amdhsa_user_sgpr_kernarg_segment_ptr 1
		.amdhsa_user_sgpr_dispatch_id 0
		.amdhsa_user_sgpr_kernarg_preload_length 0
		.amdhsa_user_sgpr_kernarg_preload_offset 0
		.amdhsa_user_sgpr_private_segment_size 0
		.amdhsa_wavefront_size32 1
		.amdhsa_uses_dynamic_stack 0
		.amdhsa_enable_private_segment 1
		.amdhsa_system_sgpr_workgroup_id_x 1
		.amdhsa_system_sgpr_workgroup_id_y 0
		.amdhsa_system_sgpr_workgroup_id_z 0
		.amdhsa_system_sgpr_workgroup_info 0
		.amdhsa_system_vgpr_workitem_id 0
		.amdhsa_next_free_vgpr 51
		.amdhsa_next_free_sgpr 34
		.amdhsa_named_barrier_count 0
		.amdhsa_reserve_vcc 1
		.amdhsa_float_round_mode_32 0
		.amdhsa_float_round_mode_16_64 0
		.amdhsa_float_denorm_mode_32 3
		.amdhsa_float_denorm_mode_16_64 3
		.amdhsa_fp16_overflow 0
		.amdhsa_memory_ordered 1
		.amdhsa_forward_progress 1
		.amdhsa_inst_pref_size 1
		.amdhsa_round_robin_scheduling 0
		.amdhsa_exception_fp_ieee_invalid_op 0
		.amdhsa_exception_fp_denorm_src 0
		.amdhsa_exception_fp_ieee_div_zero 0
		.amdhsa_exception_fp_ieee_overflow 0
		.amdhsa_exception_fp_ieee_underflow 0
		.amdhsa_exception_fp_ieee_inexact 0
		.amdhsa_exception_int_div_zero 0
	.end_amdhsa_kernel
	.section	.text._Z39paged_attention_ll4mi_QKV_mfma16_kernelI14__hip_bfloat16hLN4vllm18Fp8KVCacheDataTypeE1ES0_Li32ELi64ELi256ELb0ELi15EEvPKT_PKT0_S8_ifPKiSA_SA_iPKfiiiPfSD_PS3_PT2_iSC_SC_,"axG",@progbits,_Z39paged_attention_ll4mi_QKV_mfma16_kernelI14__hip_bfloat16hLN4vllm18Fp8KVCacheDataTypeE1ES0_Li32ELi64ELi256ELb0ELi15EEvPKT_PKT0_S8_ifPKiSA_SA_iPKfiiiPfSD_PS3_PT2_iSC_SC_,comdat
.Lfunc_end1244:
	.size	_Z39paged_attention_ll4mi_QKV_mfma16_kernelI14__hip_bfloat16hLN4vllm18Fp8KVCacheDataTypeE1ES0_Li32ELi64ELi256ELb0ELi15EEvPKT_PKT0_S8_ifPKiSA_SA_iPKfiiiPfSD_PS3_PT2_iSC_SC_, .Lfunc_end1244-_Z39paged_attention_ll4mi_QKV_mfma16_kernelI14__hip_bfloat16hLN4vllm18Fp8KVCacheDataTypeE1ES0_Li32ELi64ELi256ELb0ELi15EEvPKT_PKT0_S8_ifPKiSA_SA_iPKfiiiPfSD_PS3_PT2_iSC_SC_
                                        ; -- End function
	.set _Z39paged_attention_ll4mi_QKV_mfma16_kernelI14__hip_bfloat16hLN4vllm18Fp8KVCacheDataTypeE1ES0_Li32ELi64ELi256ELb0ELi15EEvPKT_PKT0_S8_ifPKiSA_SA_iPKfiiiPfSD_PS3_PT2_iSC_SC_.num_vgpr, max(3, .L__assert_fail.num_vgpr)
	.set _Z39paged_attention_ll4mi_QKV_mfma16_kernelI14__hip_bfloat16hLN4vllm18Fp8KVCacheDataTypeE1ES0_Li32ELi64ELi256ELb0ELi15EEvPKT_PKT0_S8_ifPKiSA_SA_iPKfiiiPfSD_PS3_PT2_iSC_SC_.num_agpr, max(0, .L__assert_fail.num_agpr)
	.set _Z39paged_attention_ll4mi_QKV_mfma16_kernelI14__hip_bfloat16hLN4vllm18Fp8KVCacheDataTypeE1ES0_Li32ELi64ELi256ELb0ELi15EEvPKT_PKT0_S8_ifPKiSA_SA_iPKfiiiPfSD_PS3_PT2_iSC_SC_.numbered_sgpr, max(33, .L__assert_fail.numbered_sgpr)
	.set _Z39paged_attention_ll4mi_QKV_mfma16_kernelI14__hip_bfloat16hLN4vllm18Fp8KVCacheDataTypeE1ES0_Li32ELi64ELi256ELb0ELi15EEvPKT_PKT0_S8_ifPKiSA_SA_iPKfiiiPfSD_PS3_PT2_iSC_SC_.num_named_barrier, max(0, .L__assert_fail.num_named_barrier)
	.set _Z39paged_attention_ll4mi_QKV_mfma16_kernelI14__hip_bfloat16hLN4vllm18Fp8KVCacheDataTypeE1ES0_Li32ELi64ELi256ELb0ELi15EEvPKT_PKT0_S8_ifPKiSA_SA_iPKfiiiPfSD_PS3_PT2_iSC_SC_.private_seg_size, 0+max(.L__assert_fail.private_seg_size)
	.set _Z39paged_attention_ll4mi_QKV_mfma16_kernelI14__hip_bfloat16hLN4vllm18Fp8KVCacheDataTypeE1ES0_Li32ELi64ELi256ELb0ELi15EEvPKT_PKT0_S8_ifPKiSA_SA_iPKfiiiPfSD_PS3_PT2_iSC_SC_.uses_vcc, or(1, .L__assert_fail.uses_vcc)
	.set _Z39paged_attention_ll4mi_QKV_mfma16_kernelI14__hip_bfloat16hLN4vllm18Fp8KVCacheDataTypeE1ES0_Li32ELi64ELi256ELb0ELi15EEvPKT_PKT0_S8_ifPKiSA_SA_iPKfiiiPfSD_PS3_PT2_iSC_SC_.uses_flat_scratch, or(0, .L__assert_fail.uses_flat_scratch)
	.set _Z39paged_attention_ll4mi_QKV_mfma16_kernelI14__hip_bfloat16hLN4vllm18Fp8KVCacheDataTypeE1ES0_Li32ELi64ELi256ELb0ELi15EEvPKT_PKT0_S8_ifPKiSA_SA_iPKfiiiPfSD_PS3_PT2_iSC_SC_.has_dyn_sized_stack, or(0, .L__assert_fail.has_dyn_sized_stack)
	.set _Z39paged_attention_ll4mi_QKV_mfma16_kernelI14__hip_bfloat16hLN4vllm18Fp8KVCacheDataTypeE1ES0_Li32ELi64ELi256ELb0ELi15EEvPKT_PKT0_S8_ifPKiSA_SA_iPKfiiiPfSD_PS3_PT2_iSC_SC_.has_recursion, or(0, .L__assert_fail.has_recursion)
	.set _Z39paged_attention_ll4mi_QKV_mfma16_kernelI14__hip_bfloat16hLN4vllm18Fp8KVCacheDataTypeE1ES0_Li32ELi64ELi256ELb0ELi15EEvPKT_PKT0_S8_ifPKiSA_SA_iPKfiiiPfSD_PS3_PT2_iSC_SC_.has_indirect_call, or(0, .L__assert_fail.has_indirect_call)
	.section	.AMDGPU.csdata,"",@progbits
; Kernel info:
; codeLenInByte = 68
; TotalNumSgprs: 36
; NumVgprs: 51
; ScratchSize: 64
; MemoryBound: 0
; FloatMode: 240
; IeeeMode: 1
; LDSByteSize: 0 bytes/workgroup (compile time only)
; SGPRBlocks: 0
; VGPRBlocks: 3
; NumSGPRsForWavesPerEU: 36
; NumVGPRsForWavesPerEU: 51
; NamedBarCnt: 0
; Occupancy: 16
; WaveLimiterHint : 1
; COMPUTE_PGM_RSRC2:SCRATCH_EN: 1
; COMPUTE_PGM_RSRC2:USER_SGPR: 2
; COMPUTE_PGM_RSRC2:TRAP_HANDLER: 0
; COMPUTE_PGM_RSRC2:TGID_X_EN: 1
; COMPUTE_PGM_RSRC2:TGID_Y_EN: 0
; COMPUTE_PGM_RSRC2:TGID_Z_EN: 0
; COMPUTE_PGM_RSRC2:TIDIG_COMP_CNT: 0
	.section	.text._Z39paged_attention_ll4mi_QKV_mfma16_kernelI14__hip_bfloat16hLN4vllm18Fp8KVCacheDataTypeE1ES0_Li32ELi64ELi256ELb0ELi16EEvPKT_PKT0_S8_ifPKiSA_SA_iPKfiiiPfSD_PS3_PT2_iSC_SC_,"axG",@progbits,_Z39paged_attention_ll4mi_QKV_mfma16_kernelI14__hip_bfloat16hLN4vllm18Fp8KVCacheDataTypeE1ES0_Li32ELi64ELi256ELb0ELi16EEvPKT_PKT0_S8_ifPKiSA_SA_iPKfiiiPfSD_PS3_PT2_iSC_SC_,comdat
	.protected	_Z39paged_attention_ll4mi_QKV_mfma16_kernelI14__hip_bfloat16hLN4vllm18Fp8KVCacheDataTypeE1ES0_Li32ELi64ELi256ELb0ELi16EEvPKT_PKT0_S8_ifPKiSA_SA_iPKfiiiPfSD_PS3_PT2_iSC_SC_ ; -- Begin function _Z39paged_attention_ll4mi_QKV_mfma16_kernelI14__hip_bfloat16hLN4vllm18Fp8KVCacheDataTypeE1ES0_Li32ELi64ELi256ELb0ELi16EEvPKT_PKT0_S8_ifPKiSA_SA_iPKfiiiPfSD_PS3_PT2_iSC_SC_
	.globl	_Z39paged_attention_ll4mi_QKV_mfma16_kernelI14__hip_bfloat16hLN4vllm18Fp8KVCacheDataTypeE1ES0_Li32ELi64ELi256ELb0ELi16EEvPKT_PKT0_S8_ifPKiSA_SA_iPKfiiiPfSD_PS3_PT2_iSC_SC_
	.p2align	8
	.type	_Z39paged_attention_ll4mi_QKV_mfma16_kernelI14__hip_bfloat16hLN4vllm18Fp8KVCacheDataTypeE1ES0_Li32ELi64ELi256ELb0ELi16EEvPKT_PKT0_S8_ifPKiSA_SA_iPKfiiiPfSD_PS3_PT2_iSC_SC_,@function
_Z39paged_attention_ll4mi_QKV_mfma16_kernelI14__hip_bfloat16hLN4vllm18Fp8KVCacheDataTypeE1ES0_Li32ELi64ELi256ELb0ELi16EEvPKT_PKT0_S8_ifPKiSA_SA_iPKfiiiPfSD_PS3_PT2_iSC_SC_: ; @_Z39paged_attention_ll4mi_QKV_mfma16_kernelI14__hip_bfloat16hLN4vllm18Fp8KVCacheDataTypeE1ES0_Li32ELi64ELi256ELb0ELi16EEvPKT_PKT0_S8_ifPKiSA_SA_iPKfiiiPfSD_PS3_PT2_iSC_SC_
; %bb.0:
	s_get_pc_i64 s[2:3]
	s_add_nc_u64 s[2:3], s[2:3], __PRETTY_FUNCTION__._Z39paged_attention_ll4mi_QKV_mfma16_kernelI14__hip_bfloat16hLN4vllm18Fp8KVCacheDataTypeE1ES0_Li32ELi64ELi256ELb0ELi16EEvPKT_PKT0_S8_ifPKiSA_SA_iPKfiiiPfSD_PS3_PT2_iSC_SC_@rel64+4
	s_delay_alu instid0(SALU_CYCLE_1)
	v_dual_mov_b32 v0, 0xbb3 :: v_dual_mov_b32 v1, s2
	v_mov_b32_e32 v2, s3
	s_add_nc_u64 s[8:9], s[0:1], 0x90
	s_get_pc_i64 s[0:1]
	s_add_nc_u64 s[0:1], s[0:1], __assert_fail@rel64+4
	s_mov_b32 s32, 0
	s_swap_pc_i64 s[30:31], s[0:1]
	.section	.rodata,"a",@progbits
	.p2align	6, 0x0
	.amdhsa_kernel _Z39paged_attention_ll4mi_QKV_mfma16_kernelI14__hip_bfloat16hLN4vllm18Fp8KVCacheDataTypeE1ES0_Li32ELi64ELi256ELb0ELi16EEvPKT_PKT0_S8_ifPKiSA_SA_iPKfiiiPfSD_PS3_PT2_iSC_SC_
		.amdhsa_group_segment_fixed_size 0
		.amdhsa_private_segment_fixed_size 64
		.amdhsa_kernarg_size 400
		.amdhsa_user_sgpr_count 2
		.amdhsa_user_sgpr_dispatch_ptr 0
		.amdhsa_user_sgpr_queue_ptr 0
		.amdhsa_user_sgpr_kernarg_segment_ptr 1
		.amdhsa_user_sgpr_dispatch_id 0
		.amdhsa_user_sgpr_kernarg_preload_length 0
		.amdhsa_user_sgpr_kernarg_preload_offset 0
		.amdhsa_user_sgpr_private_segment_size 0
		.amdhsa_wavefront_size32 1
		.amdhsa_uses_dynamic_stack 0
		.amdhsa_enable_private_segment 1
		.amdhsa_system_sgpr_workgroup_id_x 1
		.amdhsa_system_sgpr_workgroup_id_y 0
		.amdhsa_system_sgpr_workgroup_id_z 0
		.amdhsa_system_sgpr_workgroup_info 0
		.amdhsa_system_vgpr_workitem_id 0
		.amdhsa_next_free_vgpr 51
		.amdhsa_next_free_sgpr 34
		.amdhsa_named_barrier_count 0
		.amdhsa_reserve_vcc 1
		.amdhsa_float_round_mode_32 0
		.amdhsa_float_round_mode_16_64 0
		.amdhsa_float_denorm_mode_32 3
		.amdhsa_float_denorm_mode_16_64 3
		.amdhsa_fp16_overflow 0
		.amdhsa_memory_ordered 1
		.amdhsa_forward_progress 1
		.amdhsa_inst_pref_size 1
		.amdhsa_round_robin_scheduling 0
		.amdhsa_exception_fp_ieee_invalid_op 0
		.amdhsa_exception_fp_denorm_src 0
		.amdhsa_exception_fp_ieee_div_zero 0
		.amdhsa_exception_fp_ieee_overflow 0
		.amdhsa_exception_fp_ieee_underflow 0
		.amdhsa_exception_fp_ieee_inexact 0
		.amdhsa_exception_int_div_zero 0
	.end_amdhsa_kernel
	.section	.text._Z39paged_attention_ll4mi_QKV_mfma16_kernelI14__hip_bfloat16hLN4vllm18Fp8KVCacheDataTypeE1ES0_Li32ELi64ELi256ELb0ELi16EEvPKT_PKT0_S8_ifPKiSA_SA_iPKfiiiPfSD_PS3_PT2_iSC_SC_,"axG",@progbits,_Z39paged_attention_ll4mi_QKV_mfma16_kernelI14__hip_bfloat16hLN4vllm18Fp8KVCacheDataTypeE1ES0_Li32ELi64ELi256ELb0ELi16EEvPKT_PKT0_S8_ifPKiSA_SA_iPKfiiiPfSD_PS3_PT2_iSC_SC_,comdat
.Lfunc_end1245:
	.size	_Z39paged_attention_ll4mi_QKV_mfma16_kernelI14__hip_bfloat16hLN4vllm18Fp8KVCacheDataTypeE1ES0_Li32ELi64ELi256ELb0ELi16EEvPKT_PKT0_S8_ifPKiSA_SA_iPKfiiiPfSD_PS3_PT2_iSC_SC_, .Lfunc_end1245-_Z39paged_attention_ll4mi_QKV_mfma16_kernelI14__hip_bfloat16hLN4vllm18Fp8KVCacheDataTypeE1ES0_Li32ELi64ELi256ELb0ELi16EEvPKT_PKT0_S8_ifPKiSA_SA_iPKfiiiPfSD_PS3_PT2_iSC_SC_
                                        ; -- End function
	.set _Z39paged_attention_ll4mi_QKV_mfma16_kernelI14__hip_bfloat16hLN4vllm18Fp8KVCacheDataTypeE1ES0_Li32ELi64ELi256ELb0ELi16EEvPKT_PKT0_S8_ifPKiSA_SA_iPKfiiiPfSD_PS3_PT2_iSC_SC_.num_vgpr, max(3, .L__assert_fail.num_vgpr)
	.set _Z39paged_attention_ll4mi_QKV_mfma16_kernelI14__hip_bfloat16hLN4vllm18Fp8KVCacheDataTypeE1ES0_Li32ELi64ELi256ELb0ELi16EEvPKT_PKT0_S8_ifPKiSA_SA_iPKfiiiPfSD_PS3_PT2_iSC_SC_.num_agpr, max(0, .L__assert_fail.num_agpr)
	.set _Z39paged_attention_ll4mi_QKV_mfma16_kernelI14__hip_bfloat16hLN4vllm18Fp8KVCacheDataTypeE1ES0_Li32ELi64ELi256ELb0ELi16EEvPKT_PKT0_S8_ifPKiSA_SA_iPKfiiiPfSD_PS3_PT2_iSC_SC_.numbered_sgpr, max(33, .L__assert_fail.numbered_sgpr)
	.set _Z39paged_attention_ll4mi_QKV_mfma16_kernelI14__hip_bfloat16hLN4vllm18Fp8KVCacheDataTypeE1ES0_Li32ELi64ELi256ELb0ELi16EEvPKT_PKT0_S8_ifPKiSA_SA_iPKfiiiPfSD_PS3_PT2_iSC_SC_.num_named_barrier, max(0, .L__assert_fail.num_named_barrier)
	.set _Z39paged_attention_ll4mi_QKV_mfma16_kernelI14__hip_bfloat16hLN4vllm18Fp8KVCacheDataTypeE1ES0_Li32ELi64ELi256ELb0ELi16EEvPKT_PKT0_S8_ifPKiSA_SA_iPKfiiiPfSD_PS3_PT2_iSC_SC_.private_seg_size, 0+max(.L__assert_fail.private_seg_size)
	.set _Z39paged_attention_ll4mi_QKV_mfma16_kernelI14__hip_bfloat16hLN4vllm18Fp8KVCacheDataTypeE1ES0_Li32ELi64ELi256ELb0ELi16EEvPKT_PKT0_S8_ifPKiSA_SA_iPKfiiiPfSD_PS3_PT2_iSC_SC_.uses_vcc, or(1, .L__assert_fail.uses_vcc)
	.set _Z39paged_attention_ll4mi_QKV_mfma16_kernelI14__hip_bfloat16hLN4vllm18Fp8KVCacheDataTypeE1ES0_Li32ELi64ELi256ELb0ELi16EEvPKT_PKT0_S8_ifPKiSA_SA_iPKfiiiPfSD_PS3_PT2_iSC_SC_.uses_flat_scratch, or(0, .L__assert_fail.uses_flat_scratch)
	.set _Z39paged_attention_ll4mi_QKV_mfma16_kernelI14__hip_bfloat16hLN4vllm18Fp8KVCacheDataTypeE1ES0_Li32ELi64ELi256ELb0ELi16EEvPKT_PKT0_S8_ifPKiSA_SA_iPKfiiiPfSD_PS3_PT2_iSC_SC_.has_dyn_sized_stack, or(0, .L__assert_fail.has_dyn_sized_stack)
	.set _Z39paged_attention_ll4mi_QKV_mfma16_kernelI14__hip_bfloat16hLN4vllm18Fp8KVCacheDataTypeE1ES0_Li32ELi64ELi256ELb0ELi16EEvPKT_PKT0_S8_ifPKiSA_SA_iPKfiiiPfSD_PS3_PT2_iSC_SC_.has_recursion, or(0, .L__assert_fail.has_recursion)
	.set _Z39paged_attention_ll4mi_QKV_mfma16_kernelI14__hip_bfloat16hLN4vllm18Fp8KVCacheDataTypeE1ES0_Li32ELi64ELi256ELb0ELi16EEvPKT_PKT0_S8_ifPKiSA_SA_iPKfiiiPfSD_PS3_PT2_iSC_SC_.has_indirect_call, or(0, .L__assert_fail.has_indirect_call)
	.section	.AMDGPU.csdata,"",@progbits
; Kernel info:
; codeLenInByte = 68
; TotalNumSgprs: 36
; NumVgprs: 51
; ScratchSize: 64
; MemoryBound: 0
; FloatMode: 240
; IeeeMode: 1
; LDSByteSize: 0 bytes/workgroup (compile time only)
; SGPRBlocks: 0
; VGPRBlocks: 3
; NumSGPRsForWavesPerEU: 36
; NumVGPRsForWavesPerEU: 51
; NamedBarCnt: 0
; Occupancy: 16
; WaveLimiterHint : 1
; COMPUTE_PGM_RSRC2:SCRATCH_EN: 1
; COMPUTE_PGM_RSRC2:USER_SGPR: 2
; COMPUTE_PGM_RSRC2:TRAP_HANDLER: 0
; COMPUTE_PGM_RSRC2:TGID_X_EN: 1
; COMPUTE_PGM_RSRC2:TGID_Y_EN: 0
; COMPUTE_PGM_RSRC2:TGID_Z_EN: 0
; COMPUTE_PGM_RSRC2:TIDIG_COMP_CNT: 0
	.section	.text._Z39paged_attention_ll4mi_QKV_mfma16_kernelI14__hip_bfloat16hLN4vllm18Fp8KVCacheDataTypeE1ES0_Li32ELi64ELi256ELb0ELi1EEvPKT_PKT0_S8_ifPKiSA_SA_iPKfiiiPfSD_PS3_PT2_iSC_SC_,"axG",@progbits,_Z39paged_attention_ll4mi_QKV_mfma16_kernelI14__hip_bfloat16hLN4vllm18Fp8KVCacheDataTypeE1ES0_Li32ELi64ELi256ELb0ELi1EEvPKT_PKT0_S8_ifPKiSA_SA_iPKfiiiPfSD_PS3_PT2_iSC_SC_,comdat
	.protected	_Z39paged_attention_ll4mi_QKV_mfma16_kernelI14__hip_bfloat16hLN4vllm18Fp8KVCacheDataTypeE1ES0_Li32ELi64ELi256ELb0ELi1EEvPKT_PKT0_S8_ifPKiSA_SA_iPKfiiiPfSD_PS3_PT2_iSC_SC_ ; -- Begin function _Z39paged_attention_ll4mi_QKV_mfma16_kernelI14__hip_bfloat16hLN4vllm18Fp8KVCacheDataTypeE1ES0_Li32ELi64ELi256ELb0ELi1EEvPKT_PKT0_S8_ifPKiSA_SA_iPKfiiiPfSD_PS3_PT2_iSC_SC_
	.globl	_Z39paged_attention_ll4mi_QKV_mfma16_kernelI14__hip_bfloat16hLN4vllm18Fp8KVCacheDataTypeE1ES0_Li32ELi64ELi256ELb0ELi1EEvPKT_PKT0_S8_ifPKiSA_SA_iPKfiiiPfSD_PS3_PT2_iSC_SC_
	.p2align	8
	.type	_Z39paged_attention_ll4mi_QKV_mfma16_kernelI14__hip_bfloat16hLN4vllm18Fp8KVCacheDataTypeE1ES0_Li32ELi64ELi256ELb0ELi1EEvPKT_PKT0_S8_ifPKiSA_SA_iPKfiiiPfSD_PS3_PT2_iSC_SC_,@function
_Z39paged_attention_ll4mi_QKV_mfma16_kernelI14__hip_bfloat16hLN4vllm18Fp8KVCacheDataTypeE1ES0_Li32ELi64ELi256ELb0ELi1EEvPKT_PKT0_S8_ifPKiSA_SA_iPKfiiiPfSD_PS3_PT2_iSC_SC_: ; @_Z39paged_attention_ll4mi_QKV_mfma16_kernelI14__hip_bfloat16hLN4vllm18Fp8KVCacheDataTypeE1ES0_Li32ELi64ELi256ELb0ELi1EEvPKT_PKT0_S8_ifPKiSA_SA_iPKfiiiPfSD_PS3_PT2_iSC_SC_
; %bb.0:
	s_get_pc_i64 s[2:3]
	s_add_nc_u64 s[2:3], s[2:3], __PRETTY_FUNCTION__._Z39paged_attention_ll4mi_QKV_mfma16_kernelI14__hip_bfloat16hLN4vllm18Fp8KVCacheDataTypeE1ES0_Li32ELi64ELi256ELb0ELi1EEvPKT_PKT0_S8_ifPKiSA_SA_iPKfiiiPfSD_PS3_PT2_iSC_SC_@rel64+4
	s_delay_alu instid0(SALU_CYCLE_1)
	v_dual_mov_b32 v0, 0xbb3 :: v_dual_mov_b32 v1, s2
	v_mov_b32_e32 v2, s3
	s_add_nc_u64 s[8:9], s[0:1], 0x90
	s_get_pc_i64 s[0:1]
	s_add_nc_u64 s[0:1], s[0:1], __assert_fail@rel64+4
	s_mov_b32 s32, 0
	s_swap_pc_i64 s[30:31], s[0:1]
	.section	.rodata,"a",@progbits
	.p2align	6, 0x0
	.amdhsa_kernel _Z39paged_attention_ll4mi_QKV_mfma16_kernelI14__hip_bfloat16hLN4vllm18Fp8KVCacheDataTypeE1ES0_Li32ELi64ELi256ELb0ELi1EEvPKT_PKT0_S8_ifPKiSA_SA_iPKfiiiPfSD_PS3_PT2_iSC_SC_
		.amdhsa_group_segment_fixed_size 0
		.amdhsa_private_segment_fixed_size 64
		.amdhsa_kernarg_size 400
		.amdhsa_user_sgpr_count 2
		.amdhsa_user_sgpr_dispatch_ptr 0
		.amdhsa_user_sgpr_queue_ptr 0
		.amdhsa_user_sgpr_kernarg_segment_ptr 1
		.amdhsa_user_sgpr_dispatch_id 0
		.amdhsa_user_sgpr_kernarg_preload_length 0
		.amdhsa_user_sgpr_kernarg_preload_offset 0
		.amdhsa_user_sgpr_private_segment_size 0
		.amdhsa_wavefront_size32 1
		.amdhsa_uses_dynamic_stack 0
		.amdhsa_enable_private_segment 1
		.amdhsa_system_sgpr_workgroup_id_x 1
		.amdhsa_system_sgpr_workgroup_id_y 0
		.amdhsa_system_sgpr_workgroup_id_z 0
		.amdhsa_system_sgpr_workgroup_info 0
		.amdhsa_system_vgpr_workitem_id 0
		.amdhsa_next_free_vgpr 51
		.amdhsa_next_free_sgpr 34
		.amdhsa_named_barrier_count 0
		.amdhsa_reserve_vcc 1
		.amdhsa_float_round_mode_32 0
		.amdhsa_float_round_mode_16_64 0
		.amdhsa_float_denorm_mode_32 3
		.amdhsa_float_denorm_mode_16_64 3
		.amdhsa_fp16_overflow 0
		.amdhsa_memory_ordered 1
		.amdhsa_forward_progress 1
		.amdhsa_inst_pref_size 1
		.amdhsa_round_robin_scheduling 0
		.amdhsa_exception_fp_ieee_invalid_op 0
		.amdhsa_exception_fp_denorm_src 0
		.amdhsa_exception_fp_ieee_div_zero 0
		.amdhsa_exception_fp_ieee_overflow 0
		.amdhsa_exception_fp_ieee_underflow 0
		.amdhsa_exception_fp_ieee_inexact 0
		.amdhsa_exception_int_div_zero 0
	.end_amdhsa_kernel
	.section	.text._Z39paged_attention_ll4mi_QKV_mfma16_kernelI14__hip_bfloat16hLN4vllm18Fp8KVCacheDataTypeE1ES0_Li32ELi64ELi256ELb0ELi1EEvPKT_PKT0_S8_ifPKiSA_SA_iPKfiiiPfSD_PS3_PT2_iSC_SC_,"axG",@progbits,_Z39paged_attention_ll4mi_QKV_mfma16_kernelI14__hip_bfloat16hLN4vllm18Fp8KVCacheDataTypeE1ES0_Li32ELi64ELi256ELb0ELi1EEvPKT_PKT0_S8_ifPKiSA_SA_iPKfiiiPfSD_PS3_PT2_iSC_SC_,comdat
.Lfunc_end1246:
	.size	_Z39paged_attention_ll4mi_QKV_mfma16_kernelI14__hip_bfloat16hLN4vllm18Fp8KVCacheDataTypeE1ES0_Li32ELi64ELi256ELb0ELi1EEvPKT_PKT0_S8_ifPKiSA_SA_iPKfiiiPfSD_PS3_PT2_iSC_SC_, .Lfunc_end1246-_Z39paged_attention_ll4mi_QKV_mfma16_kernelI14__hip_bfloat16hLN4vllm18Fp8KVCacheDataTypeE1ES0_Li32ELi64ELi256ELb0ELi1EEvPKT_PKT0_S8_ifPKiSA_SA_iPKfiiiPfSD_PS3_PT2_iSC_SC_
                                        ; -- End function
	.set _Z39paged_attention_ll4mi_QKV_mfma16_kernelI14__hip_bfloat16hLN4vllm18Fp8KVCacheDataTypeE1ES0_Li32ELi64ELi256ELb0ELi1EEvPKT_PKT0_S8_ifPKiSA_SA_iPKfiiiPfSD_PS3_PT2_iSC_SC_.num_vgpr, max(3, .L__assert_fail.num_vgpr)
	.set _Z39paged_attention_ll4mi_QKV_mfma16_kernelI14__hip_bfloat16hLN4vllm18Fp8KVCacheDataTypeE1ES0_Li32ELi64ELi256ELb0ELi1EEvPKT_PKT0_S8_ifPKiSA_SA_iPKfiiiPfSD_PS3_PT2_iSC_SC_.num_agpr, max(0, .L__assert_fail.num_agpr)
	.set _Z39paged_attention_ll4mi_QKV_mfma16_kernelI14__hip_bfloat16hLN4vllm18Fp8KVCacheDataTypeE1ES0_Li32ELi64ELi256ELb0ELi1EEvPKT_PKT0_S8_ifPKiSA_SA_iPKfiiiPfSD_PS3_PT2_iSC_SC_.numbered_sgpr, max(33, .L__assert_fail.numbered_sgpr)
	.set _Z39paged_attention_ll4mi_QKV_mfma16_kernelI14__hip_bfloat16hLN4vllm18Fp8KVCacheDataTypeE1ES0_Li32ELi64ELi256ELb0ELi1EEvPKT_PKT0_S8_ifPKiSA_SA_iPKfiiiPfSD_PS3_PT2_iSC_SC_.num_named_barrier, max(0, .L__assert_fail.num_named_barrier)
	.set _Z39paged_attention_ll4mi_QKV_mfma16_kernelI14__hip_bfloat16hLN4vllm18Fp8KVCacheDataTypeE1ES0_Li32ELi64ELi256ELb0ELi1EEvPKT_PKT0_S8_ifPKiSA_SA_iPKfiiiPfSD_PS3_PT2_iSC_SC_.private_seg_size, 0+max(.L__assert_fail.private_seg_size)
	.set _Z39paged_attention_ll4mi_QKV_mfma16_kernelI14__hip_bfloat16hLN4vllm18Fp8KVCacheDataTypeE1ES0_Li32ELi64ELi256ELb0ELi1EEvPKT_PKT0_S8_ifPKiSA_SA_iPKfiiiPfSD_PS3_PT2_iSC_SC_.uses_vcc, or(1, .L__assert_fail.uses_vcc)
	.set _Z39paged_attention_ll4mi_QKV_mfma16_kernelI14__hip_bfloat16hLN4vllm18Fp8KVCacheDataTypeE1ES0_Li32ELi64ELi256ELb0ELi1EEvPKT_PKT0_S8_ifPKiSA_SA_iPKfiiiPfSD_PS3_PT2_iSC_SC_.uses_flat_scratch, or(0, .L__assert_fail.uses_flat_scratch)
	.set _Z39paged_attention_ll4mi_QKV_mfma16_kernelI14__hip_bfloat16hLN4vllm18Fp8KVCacheDataTypeE1ES0_Li32ELi64ELi256ELb0ELi1EEvPKT_PKT0_S8_ifPKiSA_SA_iPKfiiiPfSD_PS3_PT2_iSC_SC_.has_dyn_sized_stack, or(0, .L__assert_fail.has_dyn_sized_stack)
	.set _Z39paged_attention_ll4mi_QKV_mfma16_kernelI14__hip_bfloat16hLN4vllm18Fp8KVCacheDataTypeE1ES0_Li32ELi64ELi256ELb0ELi1EEvPKT_PKT0_S8_ifPKiSA_SA_iPKfiiiPfSD_PS3_PT2_iSC_SC_.has_recursion, or(0, .L__assert_fail.has_recursion)
	.set _Z39paged_attention_ll4mi_QKV_mfma16_kernelI14__hip_bfloat16hLN4vllm18Fp8KVCacheDataTypeE1ES0_Li32ELi64ELi256ELb0ELi1EEvPKT_PKT0_S8_ifPKiSA_SA_iPKfiiiPfSD_PS3_PT2_iSC_SC_.has_indirect_call, or(0, .L__assert_fail.has_indirect_call)
	.section	.AMDGPU.csdata,"",@progbits
; Kernel info:
; codeLenInByte = 68
; TotalNumSgprs: 36
; NumVgprs: 51
; ScratchSize: 64
; MemoryBound: 0
; FloatMode: 240
; IeeeMode: 1
; LDSByteSize: 0 bytes/workgroup (compile time only)
; SGPRBlocks: 0
; VGPRBlocks: 3
; NumSGPRsForWavesPerEU: 36
; NumVGPRsForWavesPerEU: 51
; NamedBarCnt: 0
; Occupancy: 16
; WaveLimiterHint : 1
; COMPUTE_PGM_RSRC2:SCRATCH_EN: 1
; COMPUTE_PGM_RSRC2:USER_SGPR: 2
; COMPUTE_PGM_RSRC2:TRAP_HANDLER: 0
; COMPUTE_PGM_RSRC2:TGID_X_EN: 1
; COMPUTE_PGM_RSRC2:TGID_Y_EN: 0
; COMPUTE_PGM_RSRC2:TGID_Z_EN: 0
; COMPUTE_PGM_RSRC2:TIDIG_COMP_CNT: 0
	.section	.text._Z39paged_attention_ll4mi_QKV_mfma16_kernelI14__hip_bfloat16hLN4vllm18Fp8KVCacheDataTypeE1ES0_Li32ELi64ELi256ELb0ELi2EEvPKT_PKT0_S8_ifPKiSA_SA_iPKfiiiPfSD_PS3_PT2_iSC_SC_,"axG",@progbits,_Z39paged_attention_ll4mi_QKV_mfma16_kernelI14__hip_bfloat16hLN4vllm18Fp8KVCacheDataTypeE1ES0_Li32ELi64ELi256ELb0ELi2EEvPKT_PKT0_S8_ifPKiSA_SA_iPKfiiiPfSD_PS3_PT2_iSC_SC_,comdat
	.protected	_Z39paged_attention_ll4mi_QKV_mfma16_kernelI14__hip_bfloat16hLN4vllm18Fp8KVCacheDataTypeE1ES0_Li32ELi64ELi256ELb0ELi2EEvPKT_PKT0_S8_ifPKiSA_SA_iPKfiiiPfSD_PS3_PT2_iSC_SC_ ; -- Begin function _Z39paged_attention_ll4mi_QKV_mfma16_kernelI14__hip_bfloat16hLN4vllm18Fp8KVCacheDataTypeE1ES0_Li32ELi64ELi256ELb0ELi2EEvPKT_PKT0_S8_ifPKiSA_SA_iPKfiiiPfSD_PS3_PT2_iSC_SC_
	.globl	_Z39paged_attention_ll4mi_QKV_mfma16_kernelI14__hip_bfloat16hLN4vllm18Fp8KVCacheDataTypeE1ES0_Li32ELi64ELi256ELb0ELi2EEvPKT_PKT0_S8_ifPKiSA_SA_iPKfiiiPfSD_PS3_PT2_iSC_SC_
	.p2align	8
	.type	_Z39paged_attention_ll4mi_QKV_mfma16_kernelI14__hip_bfloat16hLN4vllm18Fp8KVCacheDataTypeE1ES0_Li32ELi64ELi256ELb0ELi2EEvPKT_PKT0_S8_ifPKiSA_SA_iPKfiiiPfSD_PS3_PT2_iSC_SC_,@function
_Z39paged_attention_ll4mi_QKV_mfma16_kernelI14__hip_bfloat16hLN4vllm18Fp8KVCacheDataTypeE1ES0_Li32ELi64ELi256ELb0ELi2EEvPKT_PKT0_S8_ifPKiSA_SA_iPKfiiiPfSD_PS3_PT2_iSC_SC_: ; @_Z39paged_attention_ll4mi_QKV_mfma16_kernelI14__hip_bfloat16hLN4vllm18Fp8KVCacheDataTypeE1ES0_Li32ELi64ELi256ELb0ELi2EEvPKT_PKT0_S8_ifPKiSA_SA_iPKfiiiPfSD_PS3_PT2_iSC_SC_
; %bb.0:
	s_get_pc_i64 s[2:3]
	s_add_nc_u64 s[2:3], s[2:3], __PRETTY_FUNCTION__._Z39paged_attention_ll4mi_QKV_mfma16_kernelI14__hip_bfloat16hLN4vllm18Fp8KVCacheDataTypeE1ES0_Li32ELi64ELi256ELb0ELi2EEvPKT_PKT0_S8_ifPKiSA_SA_iPKfiiiPfSD_PS3_PT2_iSC_SC_@rel64+4
	s_delay_alu instid0(SALU_CYCLE_1)
	v_dual_mov_b32 v0, 0xbb3 :: v_dual_mov_b32 v1, s2
	v_mov_b32_e32 v2, s3
	s_add_nc_u64 s[8:9], s[0:1], 0x90
	s_get_pc_i64 s[0:1]
	s_add_nc_u64 s[0:1], s[0:1], __assert_fail@rel64+4
	s_mov_b32 s32, 0
	s_swap_pc_i64 s[30:31], s[0:1]
	.section	.rodata,"a",@progbits
	.p2align	6, 0x0
	.amdhsa_kernel _Z39paged_attention_ll4mi_QKV_mfma16_kernelI14__hip_bfloat16hLN4vllm18Fp8KVCacheDataTypeE1ES0_Li32ELi64ELi256ELb0ELi2EEvPKT_PKT0_S8_ifPKiSA_SA_iPKfiiiPfSD_PS3_PT2_iSC_SC_
		.amdhsa_group_segment_fixed_size 0
		.amdhsa_private_segment_fixed_size 64
		.amdhsa_kernarg_size 400
		.amdhsa_user_sgpr_count 2
		.amdhsa_user_sgpr_dispatch_ptr 0
		.amdhsa_user_sgpr_queue_ptr 0
		.amdhsa_user_sgpr_kernarg_segment_ptr 1
		.amdhsa_user_sgpr_dispatch_id 0
		.amdhsa_user_sgpr_kernarg_preload_length 0
		.amdhsa_user_sgpr_kernarg_preload_offset 0
		.amdhsa_user_sgpr_private_segment_size 0
		.amdhsa_wavefront_size32 1
		.amdhsa_uses_dynamic_stack 0
		.amdhsa_enable_private_segment 1
		.amdhsa_system_sgpr_workgroup_id_x 1
		.amdhsa_system_sgpr_workgroup_id_y 0
		.amdhsa_system_sgpr_workgroup_id_z 0
		.amdhsa_system_sgpr_workgroup_info 0
		.amdhsa_system_vgpr_workitem_id 0
		.amdhsa_next_free_vgpr 51
		.amdhsa_next_free_sgpr 34
		.amdhsa_named_barrier_count 0
		.amdhsa_reserve_vcc 1
		.amdhsa_float_round_mode_32 0
		.amdhsa_float_round_mode_16_64 0
		.amdhsa_float_denorm_mode_32 3
		.amdhsa_float_denorm_mode_16_64 3
		.amdhsa_fp16_overflow 0
		.amdhsa_memory_ordered 1
		.amdhsa_forward_progress 1
		.amdhsa_inst_pref_size 1
		.amdhsa_round_robin_scheduling 0
		.amdhsa_exception_fp_ieee_invalid_op 0
		.amdhsa_exception_fp_denorm_src 0
		.amdhsa_exception_fp_ieee_div_zero 0
		.amdhsa_exception_fp_ieee_overflow 0
		.amdhsa_exception_fp_ieee_underflow 0
		.amdhsa_exception_fp_ieee_inexact 0
		.amdhsa_exception_int_div_zero 0
	.end_amdhsa_kernel
	.section	.text._Z39paged_attention_ll4mi_QKV_mfma16_kernelI14__hip_bfloat16hLN4vllm18Fp8KVCacheDataTypeE1ES0_Li32ELi64ELi256ELb0ELi2EEvPKT_PKT0_S8_ifPKiSA_SA_iPKfiiiPfSD_PS3_PT2_iSC_SC_,"axG",@progbits,_Z39paged_attention_ll4mi_QKV_mfma16_kernelI14__hip_bfloat16hLN4vllm18Fp8KVCacheDataTypeE1ES0_Li32ELi64ELi256ELb0ELi2EEvPKT_PKT0_S8_ifPKiSA_SA_iPKfiiiPfSD_PS3_PT2_iSC_SC_,comdat
.Lfunc_end1247:
	.size	_Z39paged_attention_ll4mi_QKV_mfma16_kernelI14__hip_bfloat16hLN4vllm18Fp8KVCacheDataTypeE1ES0_Li32ELi64ELi256ELb0ELi2EEvPKT_PKT0_S8_ifPKiSA_SA_iPKfiiiPfSD_PS3_PT2_iSC_SC_, .Lfunc_end1247-_Z39paged_attention_ll4mi_QKV_mfma16_kernelI14__hip_bfloat16hLN4vllm18Fp8KVCacheDataTypeE1ES0_Li32ELi64ELi256ELb0ELi2EEvPKT_PKT0_S8_ifPKiSA_SA_iPKfiiiPfSD_PS3_PT2_iSC_SC_
                                        ; -- End function
	.set _Z39paged_attention_ll4mi_QKV_mfma16_kernelI14__hip_bfloat16hLN4vllm18Fp8KVCacheDataTypeE1ES0_Li32ELi64ELi256ELb0ELi2EEvPKT_PKT0_S8_ifPKiSA_SA_iPKfiiiPfSD_PS3_PT2_iSC_SC_.num_vgpr, max(3, .L__assert_fail.num_vgpr)
	.set _Z39paged_attention_ll4mi_QKV_mfma16_kernelI14__hip_bfloat16hLN4vllm18Fp8KVCacheDataTypeE1ES0_Li32ELi64ELi256ELb0ELi2EEvPKT_PKT0_S8_ifPKiSA_SA_iPKfiiiPfSD_PS3_PT2_iSC_SC_.num_agpr, max(0, .L__assert_fail.num_agpr)
	.set _Z39paged_attention_ll4mi_QKV_mfma16_kernelI14__hip_bfloat16hLN4vllm18Fp8KVCacheDataTypeE1ES0_Li32ELi64ELi256ELb0ELi2EEvPKT_PKT0_S8_ifPKiSA_SA_iPKfiiiPfSD_PS3_PT2_iSC_SC_.numbered_sgpr, max(33, .L__assert_fail.numbered_sgpr)
	.set _Z39paged_attention_ll4mi_QKV_mfma16_kernelI14__hip_bfloat16hLN4vllm18Fp8KVCacheDataTypeE1ES0_Li32ELi64ELi256ELb0ELi2EEvPKT_PKT0_S8_ifPKiSA_SA_iPKfiiiPfSD_PS3_PT2_iSC_SC_.num_named_barrier, max(0, .L__assert_fail.num_named_barrier)
	.set _Z39paged_attention_ll4mi_QKV_mfma16_kernelI14__hip_bfloat16hLN4vllm18Fp8KVCacheDataTypeE1ES0_Li32ELi64ELi256ELb0ELi2EEvPKT_PKT0_S8_ifPKiSA_SA_iPKfiiiPfSD_PS3_PT2_iSC_SC_.private_seg_size, 0+max(.L__assert_fail.private_seg_size)
	.set _Z39paged_attention_ll4mi_QKV_mfma16_kernelI14__hip_bfloat16hLN4vllm18Fp8KVCacheDataTypeE1ES0_Li32ELi64ELi256ELb0ELi2EEvPKT_PKT0_S8_ifPKiSA_SA_iPKfiiiPfSD_PS3_PT2_iSC_SC_.uses_vcc, or(1, .L__assert_fail.uses_vcc)
	.set _Z39paged_attention_ll4mi_QKV_mfma16_kernelI14__hip_bfloat16hLN4vllm18Fp8KVCacheDataTypeE1ES0_Li32ELi64ELi256ELb0ELi2EEvPKT_PKT0_S8_ifPKiSA_SA_iPKfiiiPfSD_PS3_PT2_iSC_SC_.uses_flat_scratch, or(0, .L__assert_fail.uses_flat_scratch)
	.set _Z39paged_attention_ll4mi_QKV_mfma16_kernelI14__hip_bfloat16hLN4vllm18Fp8KVCacheDataTypeE1ES0_Li32ELi64ELi256ELb0ELi2EEvPKT_PKT0_S8_ifPKiSA_SA_iPKfiiiPfSD_PS3_PT2_iSC_SC_.has_dyn_sized_stack, or(0, .L__assert_fail.has_dyn_sized_stack)
	.set _Z39paged_attention_ll4mi_QKV_mfma16_kernelI14__hip_bfloat16hLN4vllm18Fp8KVCacheDataTypeE1ES0_Li32ELi64ELi256ELb0ELi2EEvPKT_PKT0_S8_ifPKiSA_SA_iPKfiiiPfSD_PS3_PT2_iSC_SC_.has_recursion, or(0, .L__assert_fail.has_recursion)
	.set _Z39paged_attention_ll4mi_QKV_mfma16_kernelI14__hip_bfloat16hLN4vllm18Fp8KVCacheDataTypeE1ES0_Li32ELi64ELi256ELb0ELi2EEvPKT_PKT0_S8_ifPKiSA_SA_iPKfiiiPfSD_PS3_PT2_iSC_SC_.has_indirect_call, or(0, .L__assert_fail.has_indirect_call)
	.section	.AMDGPU.csdata,"",@progbits
; Kernel info:
; codeLenInByte = 68
; TotalNumSgprs: 36
; NumVgprs: 51
; ScratchSize: 64
; MemoryBound: 0
; FloatMode: 240
; IeeeMode: 1
; LDSByteSize: 0 bytes/workgroup (compile time only)
; SGPRBlocks: 0
; VGPRBlocks: 3
; NumSGPRsForWavesPerEU: 36
; NumVGPRsForWavesPerEU: 51
; NamedBarCnt: 0
; Occupancy: 16
; WaveLimiterHint : 1
; COMPUTE_PGM_RSRC2:SCRATCH_EN: 1
; COMPUTE_PGM_RSRC2:USER_SGPR: 2
; COMPUTE_PGM_RSRC2:TRAP_HANDLER: 0
; COMPUTE_PGM_RSRC2:TGID_X_EN: 1
; COMPUTE_PGM_RSRC2:TGID_Y_EN: 0
; COMPUTE_PGM_RSRC2:TGID_Z_EN: 0
; COMPUTE_PGM_RSRC2:TIDIG_COMP_CNT: 0
	.section	.text._Z39paged_attention_ll4mi_QKV_mfma16_kernelI14__hip_bfloat16hLN4vllm18Fp8KVCacheDataTypeE1ES0_Li32ELi64ELi256ELb0ELi3EEvPKT_PKT0_S8_ifPKiSA_SA_iPKfiiiPfSD_PS3_PT2_iSC_SC_,"axG",@progbits,_Z39paged_attention_ll4mi_QKV_mfma16_kernelI14__hip_bfloat16hLN4vllm18Fp8KVCacheDataTypeE1ES0_Li32ELi64ELi256ELb0ELi3EEvPKT_PKT0_S8_ifPKiSA_SA_iPKfiiiPfSD_PS3_PT2_iSC_SC_,comdat
	.protected	_Z39paged_attention_ll4mi_QKV_mfma16_kernelI14__hip_bfloat16hLN4vllm18Fp8KVCacheDataTypeE1ES0_Li32ELi64ELi256ELb0ELi3EEvPKT_PKT0_S8_ifPKiSA_SA_iPKfiiiPfSD_PS3_PT2_iSC_SC_ ; -- Begin function _Z39paged_attention_ll4mi_QKV_mfma16_kernelI14__hip_bfloat16hLN4vllm18Fp8KVCacheDataTypeE1ES0_Li32ELi64ELi256ELb0ELi3EEvPKT_PKT0_S8_ifPKiSA_SA_iPKfiiiPfSD_PS3_PT2_iSC_SC_
	.globl	_Z39paged_attention_ll4mi_QKV_mfma16_kernelI14__hip_bfloat16hLN4vllm18Fp8KVCacheDataTypeE1ES0_Li32ELi64ELi256ELb0ELi3EEvPKT_PKT0_S8_ifPKiSA_SA_iPKfiiiPfSD_PS3_PT2_iSC_SC_
	.p2align	8
	.type	_Z39paged_attention_ll4mi_QKV_mfma16_kernelI14__hip_bfloat16hLN4vllm18Fp8KVCacheDataTypeE1ES0_Li32ELi64ELi256ELb0ELi3EEvPKT_PKT0_S8_ifPKiSA_SA_iPKfiiiPfSD_PS3_PT2_iSC_SC_,@function
_Z39paged_attention_ll4mi_QKV_mfma16_kernelI14__hip_bfloat16hLN4vllm18Fp8KVCacheDataTypeE1ES0_Li32ELi64ELi256ELb0ELi3EEvPKT_PKT0_S8_ifPKiSA_SA_iPKfiiiPfSD_PS3_PT2_iSC_SC_: ; @_Z39paged_attention_ll4mi_QKV_mfma16_kernelI14__hip_bfloat16hLN4vllm18Fp8KVCacheDataTypeE1ES0_Li32ELi64ELi256ELb0ELi3EEvPKT_PKT0_S8_ifPKiSA_SA_iPKfiiiPfSD_PS3_PT2_iSC_SC_
; %bb.0:
	s_get_pc_i64 s[2:3]
	s_add_nc_u64 s[2:3], s[2:3], __PRETTY_FUNCTION__._Z39paged_attention_ll4mi_QKV_mfma16_kernelI14__hip_bfloat16hLN4vllm18Fp8KVCacheDataTypeE1ES0_Li32ELi64ELi256ELb0ELi3EEvPKT_PKT0_S8_ifPKiSA_SA_iPKfiiiPfSD_PS3_PT2_iSC_SC_@rel64+4
	s_delay_alu instid0(SALU_CYCLE_1)
	v_dual_mov_b32 v0, 0xbb3 :: v_dual_mov_b32 v1, s2
	v_mov_b32_e32 v2, s3
	s_add_nc_u64 s[8:9], s[0:1], 0x90
	s_get_pc_i64 s[0:1]
	s_add_nc_u64 s[0:1], s[0:1], __assert_fail@rel64+4
	s_mov_b32 s32, 0
	s_swap_pc_i64 s[30:31], s[0:1]
	.section	.rodata,"a",@progbits
	.p2align	6, 0x0
	.amdhsa_kernel _Z39paged_attention_ll4mi_QKV_mfma16_kernelI14__hip_bfloat16hLN4vllm18Fp8KVCacheDataTypeE1ES0_Li32ELi64ELi256ELb0ELi3EEvPKT_PKT0_S8_ifPKiSA_SA_iPKfiiiPfSD_PS3_PT2_iSC_SC_
		.amdhsa_group_segment_fixed_size 0
		.amdhsa_private_segment_fixed_size 64
		.amdhsa_kernarg_size 400
		.amdhsa_user_sgpr_count 2
		.amdhsa_user_sgpr_dispatch_ptr 0
		.amdhsa_user_sgpr_queue_ptr 0
		.amdhsa_user_sgpr_kernarg_segment_ptr 1
		.amdhsa_user_sgpr_dispatch_id 0
		.amdhsa_user_sgpr_kernarg_preload_length 0
		.amdhsa_user_sgpr_kernarg_preload_offset 0
		.amdhsa_user_sgpr_private_segment_size 0
		.amdhsa_wavefront_size32 1
		.amdhsa_uses_dynamic_stack 0
		.amdhsa_enable_private_segment 1
		.amdhsa_system_sgpr_workgroup_id_x 1
		.amdhsa_system_sgpr_workgroup_id_y 0
		.amdhsa_system_sgpr_workgroup_id_z 0
		.amdhsa_system_sgpr_workgroup_info 0
		.amdhsa_system_vgpr_workitem_id 0
		.amdhsa_next_free_vgpr 51
		.amdhsa_next_free_sgpr 34
		.amdhsa_named_barrier_count 0
		.amdhsa_reserve_vcc 1
		.amdhsa_float_round_mode_32 0
		.amdhsa_float_round_mode_16_64 0
		.amdhsa_float_denorm_mode_32 3
		.amdhsa_float_denorm_mode_16_64 3
		.amdhsa_fp16_overflow 0
		.amdhsa_memory_ordered 1
		.amdhsa_forward_progress 1
		.amdhsa_inst_pref_size 1
		.amdhsa_round_robin_scheduling 0
		.amdhsa_exception_fp_ieee_invalid_op 0
		.amdhsa_exception_fp_denorm_src 0
		.amdhsa_exception_fp_ieee_div_zero 0
		.amdhsa_exception_fp_ieee_overflow 0
		.amdhsa_exception_fp_ieee_underflow 0
		.amdhsa_exception_fp_ieee_inexact 0
		.amdhsa_exception_int_div_zero 0
	.end_amdhsa_kernel
	.section	.text._Z39paged_attention_ll4mi_QKV_mfma16_kernelI14__hip_bfloat16hLN4vllm18Fp8KVCacheDataTypeE1ES0_Li32ELi64ELi256ELb0ELi3EEvPKT_PKT0_S8_ifPKiSA_SA_iPKfiiiPfSD_PS3_PT2_iSC_SC_,"axG",@progbits,_Z39paged_attention_ll4mi_QKV_mfma16_kernelI14__hip_bfloat16hLN4vllm18Fp8KVCacheDataTypeE1ES0_Li32ELi64ELi256ELb0ELi3EEvPKT_PKT0_S8_ifPKiSA_SA_iPKfiiiPfSD_PS3_PT2_iSC_SC_,comdat
.Lfunc_end1248:
	.size	_Z39paged_attention_ll4mi_QKV_mfma16_kernelI14__hip_bfloat16hLN4vllm18Fp8KVCacheDataTypeE1ES0_Li32ELi64ELi256ELb0ELi3EEvPKT_PKT0_S8_ifPKiSA_SA_iPKfiiiPfSD_PS3_PT2_iSC_SC_, .Lfunc_end1248-_Z39paged_attention_ll4mi_QKV_mfma16_kernelI14__hip_bfloat16hLN4vllm18Fp8KVCacheDataTypeE1ES0_Li32ELi64ELi256ELb0ELi3EEvPKT_PKT0_S8_ifPKiSA_SA_iPKfiiiPfSD_PS3_PT2_iSC_SC_
                                        ; -- End function
	.set _Z39paged_attention_ll4mi_QKV_mfma16_kernelI14__hip_bfloat16hLN4vllm18Fp8KVCacheDataTypeE1ES0_Li32ELi64ELi256ELb0ELi3EEvPKT_PKT0_S8_ifPKiSA_SA_iPKfiiiPfSD_PS3_PT2_iSC_SC_.num_vgpr, max(3, .L__assert_fail.num_vgpr)
	.set _Z39paged_attention_ll4mi_QKV_mfma16_kernelI14__hip_bfloat16hLN4vllm18Fp8KVCacheDataTypeE1ES0_Li32ELi64ELi256ELb0ELi3EEvPKT_PKT0_S8_ifPKiSA_SA_iPKfiiiPfSD_PS3_PT2_iSC_SC_.num_agpr, max(0, .L__assert_fail.num_agpr)
	.set _Z39paged_attention_ll4mi_QKV_mfma16_kernelI14__hip_bfloat16hLN4vllm18Fp8KVCacheDataTypeE1ES0_Li32ELi64ELi256ELb0ELi3EEvPKT_PKT0_S8_ifPKiSA_SA_iPKfiiiPfSD_PS3_PT2_iSC_SC_.numbered_sgpr, max(33, .L__assert_fail.numbered_sgpr)
	.set _Z39paged_attention_ll4mi_QKV_mfma16_kernelI14__hip_bfloat16hLN4vllm18Fp8KVCacheDataTypeE1ES0_Li32ELi64ELi256ELb0ELi3EEvPKT_PKT0_S8_ifPKiSA_SA_iPKfiiiPfSD_PS3_PT2_iSC_SC_.num_named_barrier, max(0, .L__assert_fail.num_named_barrier)
	.set _Z39paged_attention_ll4mi_QKV_mfma16_kernelI14__hip_bfloat16hLN4vllm18Fp8KVCacheDataTypeE1ES0_Li32ELi64ELi256ELb0ELi3EEvPKT_PKT0_S8_ifPKiSA_SA_iPKfiiiPfSD_PS3_PT2_iSC_SC_.private_seg_size, 0+max(.L__assert_fail.private_seg_size)
	.set _Z39paged_attention_ll4mi_QKV_mfma16_kernelI14__hip_bfloat16hLN4vllm18Fp8KVCacheDataTypeE1ES0_Li32ELi64ELi256ELb0ELi3EEvPKT_PKT0_S8_ifPKiSA_SA_iPKfiiiPfSD_PS3_PT2_iSC_SC_.uses_vcc, or(1, .L__assert_fail.uses_vcc)
	.set _Z39paged_attention_ll4mi_QKV_mfma16_kernelI14__hip_bfloat16hLN4vllm18Fp8KVCacheDataTypeE1ES0_Li32ELi64ELi256ELb0ELi3EEvPKT_PKT0_S8_ifPKiSA_SA_iPKfiiiPfSD_PS3_PT2_iSC_SC_.uses_flat_scratch, or(0, .L__assert_fail.uses_flat_scratch)
	.set _Z39paged_attention_ll4mi_QKV_mfma16_kernelI14__hip_bfloat16hLN4vllm18Fp8KVCacheDataTypeE1ES0_Li32ELi64ELi256ELb0ELi3EEvPKT_PKT0_S8_ifPKiSA_SA_iPKfiiiPfSD_PS3_PT2_iSC_SC_.has_dyn_sized_stack, or(0, .L__assert_fail.has_dyn_sized_stack)
	.set _Z39paged_attention_ll4mi_QKV_mfma16_kernelI14__hip_bfloat16hLN4vllm18Fp8KVCacheDataTypeE1ES0_Li32ELi64ELi256ELb0ELi3EEvPKT_PKT0_S8_ifPKiSA_SA_iPKfiiiPfSD_PS3_PT2_iSC_SC_.has_recursion, or(0, .L__assert_fail.has_recursion)
	.set _Z39paged_attention_ll4mi_QKV_mfma16_kernelI14__hip_bfloat16hLN4vllm18Fp8KVCacheDataTypeE1ES0_Li32ELi64ELi256ELb0ELi3EEvPKT_PKT0_S8_ifPKiSA_SA_iPKfiiiPfSD_PS3_PT2_iSC_SC_.has_indirect_call, or(0, .L__assert_fail.has_indirect_call)
	.section	.AMDGPU.csdata,"",@progbits
; Kernel info:
; codeLenInByte = 68
; TotalNumSgprs: 36
; NumVgprs: 51
; ScratchSize: 64
; MemoryBound: 0
; FloatMode: 240
; IeeeMode: 1
; LDSByteSize: 0 bytes/workgroup (compile time only)
; SGPRBlocks: 0
; VGPRBlocks: 3
; NumSGPRsForWavesPerEU: 36
; NumVGPRsForWavesPerEU: 51
; NamedBarCnt: 0
; Occupancy: 16
; WaveLimiterHint : 1
; COMPUTE_PGM_RSRC2:SCRATCH_EN: 1
; COMPUTE_PGM_RSRC2:USER_SGPR: 2
; COMPUTE_PGM_RSRC2:TRAP_HANDLER: 0
; COMPUTE_PGM_RSRC2:TGID_X_EN: 1
; COMPUTE_PGM_RSRC2:TGID_Y_EN: 0
; COMPUTE_PGM_RSRC2:TGID_Z_EN: 0
; COMPUTE_PGM_RSRC2:TIDIG_COMP_CNT: 0
	.section	.text._Z39paged_attention_ll4mi_QKV_mfma16_kernelI14__hip_bfloat16hLN4vllm18Fp8KVCacheDataTypeE1ES0_Li32ELi64ELi256ELb0ELi4EEvPKT_PKT0_S8_ifPKiSA_SA_iPKfiiiPfSD_PS3_PT2_iSC_SC_,"axG",@progbits,_Z39paged_attention_ll4mi_QKV_mfma16_kernelI14__hip_bfloat16hLN4vllm18Fp8KVCacheDataTypeE1ES0_Li32ELi64ELi256ELb0ELi4EEvPKT_PKT0_S8_ifPKiSA_SA_iPKfiiiPfSD_PS3_PT2_iSC_SC_,comdat
	.protected	_Z39paged_attention_ll4mi_QKV_mfma16_kernelI14__hip_bfloat16hLN4vllm18Fp8KVCacheDataTypeE1ES0_Li32ELi64ELi256ELb0ELi4EEvPKT_PKT0_S8_ifPKiSA_SA_iPKfiiiPfSD_PS3_PT2_iSC_SC_ ; -- Begin function _Z39paged_attention_ll4mi_QKV_mfma16_kernelI14__hip_bfloat16hLN4vllm18Fp8KVCacheDataTypeE1ES0_Li32ELi64ELi256ELb0ELi4EEvPKT_PKT0_S8_ifPKiSA_SA_iPKfiiiPfSD_PS3_PT2_iSC_SC_
	.globl	_Z39paged_attention_ll4mi_QKV_mfma16_kernelI14__hip_bfloat16hLN4vllm18Fp8KVCacheDataTypeE1ES0_Li32ELi64ELi256ELb0ELi4EEvPKT_PKT0_S8_ifPKiSA_SA_iPKfiiiPfSD_PS3_PT2_iSC_SC_
	.p2align	8
	.type	_Z39paged_attention_ll4mi_QKV_mfma16_kernelI14__hip_bfloat16hLN4vllm18Fp8KVCacheDataTypeE1ES0_Li32ELi64ELi256ELb0ELi4EEvPKT_PKT0_S8_ifPKiSA_SA_iPKfiiiPfSD_PS3_PT2_iSC_SC_,@function
_Z39paged_attention_ll4mi_QKV_mfma16_kernelI14__hip_bfloat16hLN4vllm18Fp8KVCacheDataTypeE1ES0_Li32ELi64ELi256ELb0ELi4EEvPKT_PKT0_S8_ifPKiSA_SA_iPKfiiiPfSD_PS3_PT2_iSC_SC_: ; @_Z39paged_attention_ll4mi_QKV_mfma16_kernelI14__hip_bfloat16hLN4vllm18Fp8KVCacheDataTypeE1ES0_Li32ELi64ELi256ELb0ELi4EEvPKT_PKT0_S8_ifPKiSA_SA_iPKfiiiPfSD_PS3_PT2_iSC_SC_
; %bb.0:
	s_get_pc_i64 s[2:3]
	s_add_nc_u64 s[2:3], s[2:3], __PRETTY_FUNCTION__._Z39paged_attention_ll4mi_QKV_mfma16_kernelI14__hip_bfloat16hLN4vllm18Fp8KVCacheDataTypeE1ES0_Li32ELi64ELi256ELb0ELi4EEvPKT_PKT0_S8_ifPKiSA_SA_iPKfiiiPfSD_PS3_PT2_iSC_SC_@rel64+4
	s_delay_alu instid0(SALU_CYCLE_1)
	v_dual_mov_b32 v0, 0xbb3 :: v_dual_mov_b32 v1, s2
	v_mov_b32_e32 v2, s3
	s_add_nc_u64 s[8:9], s[0:1], 0x90
	s_get_pc_i64 s[0:1]
	s_add_nc_u64 s[0:1], s[0:1], __assert_fail@rel64+4
	s_mov_b32 s32, 0
	s_swap_pc_i64 s[30:31], s[0:1]
	.section	.rodata,"a",@progbits
	.p2align	6, 0x0
	.amdhsa_kernel _Z39paged_attention_ll4mi_QKV_mfma16_kernelI14__hip_bfloat16hLN4vllm18Fp8KVCacheDataTypeE1ES0_Li32ELi64ELi256ELb0ELi4EEvPKT_PKT0_S8_ifPKiSA_SA_iPKfiiiPfSD_PS3_PT2_iSC_SC_
		.amdhsa_group_segment_fixed_size 0
		.amdhsa_private_segment_fixed_size 64
		.amdhsa_kernarg_size 400
		.amdhsa_user_sgpr_count 2
		.amdhsa_user_sgpr_dispatch_ptr 0
		.amdhsa_user_sgpr_queue_ptr 0
		.amdhsa_user_sgpr_kernarg_segment_ptr 1
		.amdhsa_user_sgpr_dispatch_id 0
		.amdhsa_user_sgpr_kernarg_preload_length 0
		.amdhsa_user_sgpr_kernarg_preload_offset 0
		.amdhsa_user_sgpr_private_segment_size 0
		.amdhsa_wavefront_size32 1
		.amdhsa_uses_dynamic_stack 0
		.amdhsa_enable_private_segment 1
		.amdhsa_system_sgpr_workgroup_id_x 1
		.amdhsa_system_sgpr_workgroup_id_y 0
		.amdhsa_system_sgpr_workgroup_id_z 0
		.amdhsa_system_sgpr_workgroup_info 0
		.amdhsa_system_vgpr_workitem_id 0
		.amdhsa_next_free_vgpr 51
		.amdhsa_next_free_sgpr 34
		.amdhsa_named_barrier_count 0
		.amdhsa_reserve_vcc 1
		.amdhsa_float_round_mode_32 0
		.amdhsa_float_round_mode_16_64 0
		.amdhsa_float_denorm_mode_32 3
		.amdhsa_float_denorm_mode_16_64 3
		.amdhsa_fp16_overflow 0
		.amdhsa_memory_ordered 1
		.amdhsa_forward_progress 1
		.amdhsa_inst_pref_size 1
		.amdhsa_round_robin_scheduling 0
		.amdhsa_exception_fp_ieee_invalid_op 0
		.amdhsa_exception_fp_denorm_src 0
		.amdhsa_exception_fp_ieee_div_zero 0
		.amdhsa_exception_fp_ieee_overflow 0
		.amdhsa_exception_fp_ieee_underflow 0
		.amdhsa_exception_fp_ieee_inexact 0
		.amdhsa_exception_int_div_zero 0
	.end_amdhsa_kernel
	.section	.text._Z39paged_attention_ll4mi_QKV_mfma16_kernelI14__hip_bfloat16hLN4vllm18Fp8KVCacheDataTypeE1ES0_Li32ELi64ELi256ELb0ELi4EEvPKT_PKT0_S8_ifPKiSA_SA_iPKfiiiPfSD_PS3_PT2_iSC_SC_,"axG",@progbits,_Z39paged_attention_ll4mi_QKV_mfma16_kernelI14__hip_bfloat16hLN4vllm18Fp8KVCacheDataTypeE1ES0_Li32ELi64ELi256ELb0ELi4EEvPKT_PKT0_S8_ifPKiSA_SA_iPKfiiiPfSD_PS3_PT2_iSC_SC_,comdat
.Lfunc_end1249:
	.size	_Z39paged_attention_ll4mi_QKV_mfma16_kernelI14__hip_bfloat16hLN4vllm18Fp8KVCacheDataTypeE1ES0_Li32ELi64ELi256ELb0ELi4EEvPKT_PKT0_S8_ifPKiSA_SA_iPKfiiiPfSD_PS3_PT2_iSC_SC_, .Lfunc_end1249-_Z39paged_attention_ll4mi_QKV_mfma16_kernelI14__hip_bfloat16hLN4vllm18Fp8KVCacheDataTypeE1ES0_Li32ELi64ELi256ELb0ELi4EEvPKT_PKT0_S8_ifPKiSA_SA_iPKfiiiPfSD_PS3_PT2_iSC_SC_
                                        ; -- End function
	.set _Z39paged_attention_ll4mi_QKV_mfma16_kernelI14__hip_bfloat16hLN4vllm18Fp8KVCacheDataTypeE1ES0_Li32ELi64ELi256ELb0ELi4EEvPKT_PKT0_S8_ifPKiSA_SA_iPKfiiiPfSD_PS3_PT2_iSC_SC_.num_vgpr, max(3, .L__assert_fail.num_vgpr)
	.set _Z39paged_attention_ll4mi_QKV_mfma16_kernelI14__hip_bfloat16hLN4vllm18Fp8KVCacheDataTypeE1ES0_Li32ELi64ELi256ELb0ELi4EEvPKT_PKT0_S8_ifPKiSA_SA_iPKfiiiPfSD_PS3_PT2_iSC_SC_.num_agpr, max(0, .L__assert_fail.num_agpr)
	.set _Z39paged_attention_ll4mi_QKV_mfma16_kernelI14__hip_bfloat16hLN4vllm18Fp8KVCacheDataTypeE1ES0_Li32ELi64ELi256ELb0ELi4EEvPKT_PKT0_S8_ifPKiSA_SA_iPKfiiiPfSD_PS3_PT2_iSC_SC_.numbered_sgpr, max(33, .L__assert_fail.numbered_sgpr)
	.set _Z39paged_attention_ll4mi_QKV_mfma16_kernelI14__hip_bfloat16hLN4vllm18Fp8KVCacheDataTypeE1ES0_Li32ELi64ELi256ELb0ELi4EEvPKT_PKT0_S8_ifPKiSA_SA_iPKfiiiPfSD_PS3_PT2_iSC_SC_.num_named_barrier, max(0, .L__assert_fail.num_named_barrier)
	.set _Z39paged_attention_ll4mi_QKV_mfma16_kernelI14__hip_bfloat16hLN4vllm18Fp8KVCacheDataTypeE1ES0_Li32ELi64ELi256ELb0ELi4EEvPKT_PKT0_S8_ifPKiSA_SA_iPKfiiiPfSD_PS3_PT2_iSC_SC_.private_seg_size, 0+max(.L__assert_fail.private_seg_size)
	.set _Z39paged_attention_ll4mi_QKV_mfma16_kernelI14__hip_bfloat16hLN4vllm18Fp8KVCacheDataTypeE1ES0_Li32ELi64ELi256ELb0ELi4EEvPKT_PKT0_S8_ifPKiSA_SA_iPKfiiiPfSD_PS3_PT2_iSC_SC_.uses_vcc, or(1, .L__assert_fail.uses_vcc)
	.set _Z39paged_attention_ll4mi_QKV_mfma16_kernelI14__hip_bfloat16hLN4vllm18Fp8KVCacheDataTypeE1ES0_Li32ELi64ELi256ELb0ELi4EEvPKT_PKT0_S8_ifPKiSA_SA_iPKfiiiPfSD_PS3_PT2_iSC_SC_.uses_flat_scratch, or(0, .L__assert_fail.uses_flat_scratch)
	.set _Z39paged_attention_ll4mi_QKV_mfma16_kernelI14__hip_bfloat16hLN4vllm18Fp8KVCacheDataTypeE1ES0_Li32ELi64ELi256ELb0ELi4EEvPKT_PKT0_S8_ifPKiSA_SA_iPKfiiiPfSD_PS3_PT2_iSC_SC_.has_dyn_sized_stack, or(0, .L__assert_fail.has_dyn_sized_stack)
	.set _Z39paged_attention_ll4mi_QKV_mfma16_kernelI14__hip_bfloat16hLN4vllm18Fp8KVCacheDataTypeE1ES0_Li32ELi64ELi256ELb0ELi4EEvPKT_PKT0_S8_ifPKiSA_SA_iPKfiiiPfSD_PS3_PT2_iSC_SC_.has_recursion, or(0, .L__assert_fail.has_recursion)
	.set _Z39paged_attention_ll4mi_QKV_mfma16_kernelI14__hip_bfloat16hLN4vllm18Fp8KVCacheDataTypeE1ES0_Li32ELi64ELi256ELb0ELi4EEvPKT_PKT0_S8_ifPKiSA_SA_iPKfiiiPfSD_PS3_PT2_iSC_SC_.has_indirect_call, or(0, .L__assert_fail.has_indirect_call)
	.section	.AMDGPU.csdata,"",@progbits
; Kernel info:
; codeLenInByte = 68
; TotalNumSgprs: 36
; NumVgprs: 51
; ScratchSize: 64
; MemoryBound: 0
; FloatMode: 240
; IeeeMode: 1
; LDSByteSize: 0 bytes/workgroup (compile time only)
; SGPRBlocks: 0
; VGPRBlocks: 3
; NumSGPRsForWavesPerEU: 36
; NumVGPRsForWavesPerEU: 51
; NamedBarCnt: 0
; Occupancy: 16
; WaveLimiterHint : 1
; COMPUTE_PGM_RSRC2:SCRATCH_EN: 1
; COMPUTE_PGM_RSRC2:USER_SGPR: 2
; COMPUTE_PGM_RSRC2:TRAP_HANDLER: 0
; COMPUTE_PGM_RSRC2:TGID_X_EN: 1
; COMPUTE_PGM_RSRC2:TGID_Y_EN: 0
; COMPUTE_PGM_RSRC2:TGID_Z_EN: 0
; COMPUTE_PGM_RSRC2:TIDIG_COMP_CNT: 0
	.section	.text._Z38paged_attention_ll4mi_QKV_mfma4_kernelI14__hip_bfloat16hLN4vllm18Fp8KVCacheDataTypeE1EhLi16ELi128ELi256ELb1ELi1EEvPKT_PKT0_S8_ifPKiSA_SA_iPKfiiiPfSD_PS3_PT2_iSC_SC_,"axG",@progbits,_Z38paged_attention_ll4mi_QKV_mfma4_kernelI14__hip_bfloat16hLN4vllm18Fp8KVCacheDataTypeE1EhLi16ELi128ELi256ELb1ELi1EEvPKT_PKT0_S8_ifPKiSA_SA_iPKfiiiPfSD_PS3_PT2_iSC_SC_,comdat
	.protected	_Z38paged_attention_ll4mi_QKV_mfma4_kernelI14__hip_bfloat16hLN4vllm18Fp8KVCacheDataTypeE1EhLi16ELi128ELi256ELb1ELi1EEvPKT_PKT0_S8_ifPKiSA_SA_iPKfiiiPfSD_PS3_PT2_iSC_SC_ ; -- Begin function _Z38paged_attention_ll4mi_QKV_mfma4_kernelI14__hip_bfloat16hLN4vllm18Fp8KVCacheDataTypeE1EhLi16ELi128ELi256ELb1ELi1EEvPKT_PKT0_S8_ifPKiSA_SA_iPKfiiiPfSD_PS3_PT2_iSC_SC_
	.globl	_Z38paged_attention_ll4mi_QKV_mfma4_kernelI14__hip_bfloat16hLN4vllm18Fp8KVCacheDataTypeE1EhLi16ELi128ELi256ELb1ELi1EEvPKT_PKT0_S8_ifPKiSA_SA_iPKfiiiPfSD_PS3_PT2_iSC_SC_
	.p2align	8
	.type	_Z38paged_attention_ll4mi_QKV_mfma4_kernelI14__hip_bfloat16hLN4vllm18Fp8KVCacheDataTypeE1EhLi16ELi128ELi256ELb1ELi1EEvPKT_PKT0_S8_ifPKiSA_SA_iPKfiiiPfSD_PS3_PT2_iSC_SC_,@function
_Z38paged_attention_ll4mi_QKV_mfma4_kernelI14__hip_bfloat16hLN4vllm18Fp8KVCacheDataTypeE1EhLi16ELi128ELi256ELb1ELi1EEvPKT_PKT0_S8_ifPKiSA_SA_iPKfiiiPfSD_PS3_PT2_iSC_SC_: ; @_Z38paged_attention_ll4mi_QKV_mfma4_kernelI14__hip_bfloat16hLN4vllm18Fp8KVCacheDataTypeE1EhLi16ELi128ELi256ELb1ELi1EEvPKT_PKT0_S8_ifPKiSA_SA_iPKfiiiPfSD_PS3_PT2_iSC_SC_
; %bb.0:
	s_get_pc_i64 s[2:3]
	s_add_nc_u64 s[2:3], s[2:3], __PRETTY_FUNCTION__._Z38paged_attention_ll4mi_QKV_mfma4_kernelI14__hip_bfloat16hLN4vllm18Fp8KVCacheDataTypeE1EhLi16ELi128ELi256ELb1ELi1EEvPKT_PKT0_S8_ifPKiSA_SA_iPKfiiiPfSD_PS3_PT2_iSC_SC_@rel64+4
	s_delay_alu instid0(SALU_CYCLE_1)
	v_dual_mov_b32 v0, 0xbce :: v_dual_mov_b32 v1, s2
	v_mov_b32_e32 v2, s3
	s_add_nc_u64 s[8:9], s[0:1], 0x90
	s_get_pc_i64 s[0:1]
	s_add_nc_u64 s[0:1], s[0:1], __assert_fail@rel64+4
	s_mov_b32 s32, 0
	s_swap_pc_i64 s[30:31], s[0:1]
	.section	.rodata,"a",@progbits
	.p2align	6, 0x0
	.amdhsa_kernel _Z38paged_attention_ll4mi_QKV_mfma4_kernelI14__hip_bfloat16hLN4vllm18Fp8KVCacheDataTypeE1EhLi16ELi128ELi256ELb1ELi1EEvPKT_PKT0_S8_ifPKiSA_SA_iPKfiiiPfSD_PS3_PT2_iSC_SC_
		.amdhsa_group_segment_fixed_size 0
		.amdhsa_private_segment_fixed_size 64
		.amdhsa_kernarg_size 400
		.amdhsa_user_sgpr_count 2
		.amdhsa_user_sgpr_dispatch_ptr 0
		.amdhsa_user_sgpr_queue_ptr 0
		.amdhsa_user_sgpr_kernarg_segment_ptr 1
		.amdhsa_user_sgpr_dispatch_id 0
		.amdhsa_user_sgpr_kernarg_preload_length 0
		.amdhsa_user_sgpr_kernarg_preload_offset 0
		.amdhsa_user_sgpr_private_segment_size 0
		.amdhsa_wavefront_size32 1
		.amdhsa_uses_dynamic_stack 0
		.amdhsa_enable_private_segment 1
		.amdhsa_system_sgpr_workgroup_id_x 1
		.amdhsa_system_sgpr_workgroup_id_y 0
		.amdhsa_system_sgpr_workgroup_id_z 0
		.amdhsa_system_sgpr_workgroup_info 0
		.amdhsa_system_vgpr_workitem_id 0
		.amdhsa_next_free_vgpr 51
		.amdhsa_next_free_sgpr 34
		.amdhsa_named_barrier_count 0
		.amdhsa_reserve_vcc 1
		.amdhsa_float_round_mode_32 0
		.amdhsa_float_round_mode_16_64 0
		.amdhsa_float_denorm_mode_32 3
		.amdhsa_float_denorm_mode_16_64 3
		.amdhsa_fp16_overflow 0
		.amdhsa_memory_ordered 1
		.amdhsa_forward_progress 1
		.amdhsa_inst_pref_size 1
		.amdhsa_round_robin_scheduling 0
		.amdhsa_exception_fp_ieee_invalid_op 0
		.amdhsa_exception_fp_denorm_src 0
		.amdhsa_exception_fp_ieee_div_zero 0
		.amdhsa_exception_fp_ieee_overflow 0
		.amdhsa_exception_fp_ieee_underflow 0
		.amdhsa_exception_fp_ieee_inexact 0
		.amdhsa_exception_int_div_zero 0
	.end_amdhsa_kernel
	.section	.text._Z38paged_attention_ll4mi_QKV_mfma4_kernelI14__hip_bfloat16hLN4vllm18Fp8KVCacheDataTypeE1EhLi16ELi128ELi256ELb1ELi1EEvPKT_PKT0_S8_ifPKiSA_SA_iPKfiiiPfSD_PS3_PT2_iSC_SC_,"axG",@progbits,_Z38paged_attention_ll4mi_QKV_mfma4_kernelI14__hip_bfloat16hLN4vllm18Fp8KVCacheDataTypeE1EhLi16ELi128ELi256ELb1ELi1EEvPKT_PKT0_S8_ifPKiSA_SA_iPKfiiiPfSD_PS3_PT2_iSC_SC_,comdat
.Lfunc_end1250:
	.size	_Z38paged_attention_ll4mi_QKV_mfma4_kernelI14__hip_bfloat16hLN4vllm18Fp8KVCacheDataTypeE1EhLi16ELi128ELi256ELb1ELi1EEvPKT_PKT0_S8_ifPKiSA_SA_iPKfiiiPfSD_PS3_PT2_iSC_SC_, .Lfunc_end1250-_Z38paged_attention_ll4mi_QKV_mfma4_kernelI14__hip_bfloat16hLN4vllm18Fp8KVCacheDataTypeE1EhLi16ELi128ELi256ELb1ELi1EEvPKT_PKT0_S8_ifPKiSA_SA_iPKfiiiPfSD_PS3_PT2_iSC_SC_
                                        ; -- End function
	.set _Z38paged_attention_ll4mi_QKV_mfma4_kernelI14__hip_bfloat16hLN4vllm18Fp8KVCacheDataTypeE1EhLi16ELi128ELi256ELb1ELi1EEvPKT_PKT0_S8_ifPKiSA_SA_iPKfiiiPfSD_PS3_PT2_iSC_SC_.num_vgpr, max(3, .L__assert_fail.num_vgpr)
	.set _Z38paged_attention_ll4mi_QKV_mfma4_kernelI14__hip_bfloat16hLN4vllm18Fp8KVCacheDataTypeE1EhLi16ELi128ELi256ELb1ELi1EEvPKT_PKT0_S8_ifPKiSA_SA_iPKfiiiPfSD_PS3_PT2_iSC_SC_.num_agpr, max(0, .L__assert_fail.num_agpr)
	.set _Z38paged_attention_ll4mi_QKV_mfma4_kernelI14__hip_bfloat16hLN4vllm18Fp8KVCacheDataTypeE1EhLi16ELi128ELi256ELb1ELi1EEvPKT_PKT0_S8_ifPKiSA_SA_iPKfiiiPfSD_PS3_PT2_iSC_SC_.numbered_sgpr, max(33, .L__assert_fail.numbered_sgpr)
	.set _Z38paged_attention_ll4mi_QKV_mfma4_kernelI14__hip_bfloat16hLN4vllm18Fp8KVCacheDataTypeE1EhLi16ELi128ELi256ELb1ELi1EEvPKT_PKT0_S8_ifPKiSA_SA_iPKfiiiPfSD_PS3_PT2_iSC_SC_.num_named_barrier, max(0, .L__assert_fail.num_named_barrier)
	.set _Z38paged_attention_ll4mi_QKV_mfma4_kernelI14__hip_bfloat16hLN4vllm18Fp8KVCacheDataTypeE1EhLi16ELi128ELi256ELb1ELi1EEvPKT_PKT0_S8_ifPKiSA_SA_iPKfiiiPfSD_PS3_PT2_iSC_SC_.private_seg_size, 0+max(.L__assert_fail.private_seg_size)
	.set _Z38paged_attention_ll4mi_QKV_mfma4_kernelI14__hip_bfloat16hLN4vllm18Fp8KVCacheDataTypeE1EhLi16ELi128ELi256ELb1ELi1EEvPKT_PKT0_S8_ifPKiSA_SA_iPKfiiiPfSD_PS3_PT2_iSC_SC_.uses_vcc, or(1, .L__assert_fail.uses_vcc)
	.set _Z38paged_attention_ll4mi_QKV_mfma4_kernelI14__hip_bfloat16hLN4vllm18Fp8KVCacheDataTypeE1EhLi16ELi128ELi256ELb1ELi1EEvPKT_PKT0_S8_ifPKiSA_SA_iPKfiiiPfSD_PS3_PT2_iSC_SC_.uses_flat_scratch, or(0, .L__assert_fail.uses_flat_scratch)
	.set _Z38paged_attention_ll4mi_QKV_mfma4_kernelI14__hip_bfloat16hLN4vllm18Fp8KVCacheDataTypeE1EhLi16ELi128ELi256ELb1ELi1EEvPKT_PKT0_S8_ifPKiSA_SA_iPKfiiiPfSD_PS3_PT2_iSC_SC_.has_dyn_sized_stack, or(0, .L__assert_fail.has_dyn_sized_stack)
	.set _Z38paged_attention_ll4mi_QKV_mfma4_kernelI14__hip_bfloat16hLN4vllm18Fp8KVCacheDataTypeE1EhLi16ELi128ELi256ELb1ELi1EEvPKT_PKT0_S8_ifPKiSA_SA_iPKfiiiPfSD_PS3_PT2_iSC_SC_.has_recursion, or(0, .L__assert_fail.has_recursion)
	.set _Z38paged_attention_ll4mi_QKV_mfma4_kernelI14__hip_bfloat16hLN4vllm18Fp8KVCacheDataTypeE1EhLi16ELi128ELi256ELb1ELi1EEvPKT_PKT0_S8_ifPKiSA_SA_iPKfiiiPfSD_PS3_PT2_iSC_SC_.has_indirect_call, or(0, .L__assert_fail.has_indirect_call)
	.section	.AMDGPU.csdata,"",@progbits
; Kernel info:
; codeLenInByte = 68
; TotalNumSgprs: 36
; NumVgprs: 51
; ScratchSize: 64
; MemoryBound: 0
; FloatMode: 240
; IeeeMode: 1
; LDSByteSize: 0 bytes/workgroup (compile time only)
; SGPRBlocks: 0
; VGPRBlocks: 3
; NumSGPRsForWavesPerEU: 36
; NumVGPRsForWavesPerEU: 51
; NamedBarCnt: 0
; Occupancy: 16
; WaveLimiterHint : 1
; COMPUTE_PGM_RSRC2:SCRATCH_EN: 1
; COMPUTE_PGM_RSRC2:USER_SGPR: 2
; COMPUTE_PGM_RSRC2:TRAP_HANDLER: 0
; COMPUTE_PGM_RSRC2:TGID_X_EN: 1
; COMPUTE_PGM_RSRC2:TGID_Y_EN: 0
; COMPUTE_PGM_RSRC2:TGID_Z_EN: 0
; COMPUTE_PGM_RSRC2:TIDIG_COMP_CNT: 0
	.section	.text._Z38paged_attention_ll4mi_QKV_mfma4_kernelI14__hip_bfloat16hLN4vllm18Fp8KVCacheDataTypeE1EhLi16ELi128ELi256ELb1ELi2EEvPKT_PKT0_S8_ifPKiSA_SA_iPKfiiiPfSD_PS3_PT2_iSC_SC_,"axG",@progbits,_Z38paged_attention_ll4mi_QKV_mfma4_kernelI14__hip_bfloat16hLN4vllm18Fp8KVCacheDataTypeE1EhLi16ELi128ELi256ELb1ELi2EEvPKT_PKT0_S8_ifPKiSA_SA_iPKfiiiPfSD_PS3_PT2_iSC_SC_,comdat
	.protected	_Z38paged_attention_ll4mi_QKV_mfma4_kernelI14__hip_bfloat16hLN4vllm18Fp8KVCacheDataTypeE1EhLi16ELi128ELi256ELb1ELi2EEvPKT_PKT0_S8_ifPKiSA_SA_iPKfiiiPfSD_PS3_PT2_iSC_SC_ ; -- Begin function _Z38paged_attention_ll4mi_QKV_mfma4_kernelI14__hip_bfloat16hLN4vllm18Fp8KVCacheDataTypeE1EhLi16ELi128ELi256ELb1ELi2EEvPKT_PKT0_S8_ifPKiSA_SA_iPKfiiiPfSD_PS3_PT2_iSC_SC_
	.globl	_Z38paged_attention_ll4mi_QKV_mfma4_kernelI14__hip_bfloat16hLN4vllm18Fp8KVCacheDataTypeE1EhLi16ELi128ELi256ELb1ELi2EEvPKT_PKT0_S8_ifPKiSA_SA_iPKfiiiPfSD_PS3_PT2_iSC_SC_
	.p2align	8
	.type	_Z38paged_attention_ll4mi_QKV_mfma4_kernelI14__hip_bfloat16hLN4vllm18Fp8KVCacheDataTypeE1EhLi16ELi128ELi256ELb1ELi2EEvPKT_PKT0_S8_ifPKiSA_SA_iPKfiiiPfSD_PS3_PT2_iSC_SC_,@function
_Z38paged_attention_ll4mi_QKV_mfma4_kernelI14__hip_bfloat16hLN4vllm18Fp8KVCacheDataTypeE1EhLi16ELi128ELi256ELb1ELi2EEvPKT_PKT0_S8_ifPKiSA_SA_iPKfiiiPfSD_PS3_PT2_iSC_SC_: ; @_Z38paged_attention_ll4mi_QKV_mfma4_kernelI14__hip_bfloat16hLN4vllm18Fp8KVCacheDataTypeE1EhLi16ELi128ELi256ELb1ELi2EEvPKT_PKT0_S8_ifPKiSA_SA_iPKfiiiPfSD_PS3_PT2_iSC_SC_
; %bb.0:
	s_get_pc_i64 s[2:3]
	s_add_nc_u64 s[2:3], s[2:3], __PRETTY_FUNCTION__._Z38paged_attention_ll4mi_QKV_mfma4_kernelI14__hip_bfloat16hLN4vllm18Fp8KVCacheDataTypeE1EhLi16ELi128ELi256ELb1ELi2EEvPKT_PKT0_S8_ifPKiSA_SA_iPKfiiiPfSD_PS3_PT2_iSC_SC_@rel64+4
	s_delay_alu instid0(SALU_CYCLE_1)
	v_dual_mov_b32 v0, 0xbce :: v_dual_mov_b32 v1, s2
	v_mov_b32_e32 v2, s3
	s_add_nc_u64 s[8:9], s[0:1], 0x90
	s_get_pc_i64 s[0:1]
	s_add_nc_u64 s[0:1], s[0:1], __assert_fail@rel64+4
	s_mov_b32 s32, 0
	s_swap_pc_i64 s[30:31], s[0:1]
	.section	.rodata,"a",@progbits
	.p2align	6, 0x0
	.amdhsa_kernel _Z38paged_attention_ll4mi_QKV_mfma4_kernelI14__hip_bfloat16hLN4vllm18Fp8KVCacheDataTypeE1EhLi16ELi128ELi256ELb1ELi2EEvPKT_PKT0_S8_ifPKiSA_SA_iPKfiiiPfSD_PS3_PT2_iSC_SC_
		.amdhsa_group_segment_fixed_size 0
		.amdhsa_private_segment_fixed_size 64
		.amdhsa_kernarg_size 400
		.amdhsa_user_sgpr_count 2
		.amdhsa_user_sgpr_dispatch_ptr 0
		.amdhsa_user_sgpr_queue_ptr 0
		.amdhsa_user_sgpr_kernarg_segment_ptr 1
		.amdhsa_user_sgpr_dispatch_id 0
		.amdhsa_user_sgpr_kernarg_preload_length 0
		.amdhsa_user_sgpr_kernarg_preload_offset 0
		.amdhsa_user_sgpr_private_segment_size 0
		.amdhsa_wavefront_size32 1
		.amdhsa_uses_dynamic_stack 0
		.amdhsa_enable_private_segment 1
		.amdhsa_system_sgpr_workgroup_id_x 1
		.amdhsa_system_sgpr_workgroup_id_y 0
		.amdhsa_system_sgpr_workgroup_id_z 0
		.amdhsa_system_sgpr_workgroup_info 0
		.amdhsa_system_vgpr_workitem_id 0
		.amdhsa_next_free_vgpr 51
		.amdhsa_next_free_sgpr 34
		.amdhsa_named_barrier_count 0
		.amdhsa_reserve_vcc 1
		.amdhsa_float_round_mode_32 0
		.amdhsa_float_round_mode_16_64 0
		.amdhsa_float_denorm_mode_32 3
		.amdhsa_float_denorm_mode_16_64 3
		.amdhsa_fp16_overflow 0
		.amdhsa_memory_ordered 1
		.amdhsa_forward_progress 1
		.amdhsa_inst_pref_size 1
		.amdhsa_round_robin_scheduling 0
		.amdhsa_exception_fp_ieee_invalid_op 0
		.amdhsa_exception_fp_denorm_src 0
		.amdhsa_exception_fp_ieee_div_zero 0
		.amdhsa_exception_fp_ieee_overflow 0
		.amdhsa_exception_fp_ieee_underflow 0
		.amdhsa_exception_fp_ieee_inexact 0
		.amdhsa_exception_int_div_zero 0
	.end_amdhsa_kernel
	.section	.text._Z38paged_attention_ll4mi_QKV_mfma4_kernelI14__hip_bfloat16hLN4vllm18Fp8KVCacheDataTypeE1EhLi16ELi128ELi256ELb1ELi2EEvPKT_PKT0_S8_ifPKiSA_SA_iPKfiiiPfSD_PS3_PT2_iSC_SC_,"axG",@progbits,_Z38paged_attention_ll4mi_QKV_mfma4_kernelI14__hip_bfloat16hLN4vllm18Fp8KVCacheDataTypeE1EhLi16ELi128ELi256ELb1ELi2EEvPKT_PKT0_S8_ifPKiSA_SA_iPKfiiiPfSD_PS3_PT2_iSC_SC_,comdat
.Lfunc_end1251:
	.size	_Z38paged_attention_ll4mi_QKV_mfma4_kernelI14__hip_bfloat16hLN4vllm18Fp8KVCacheDataTypeE1EhLi16ELi128ELi256ELb1ELi2EEvPKT_PKT0_S8_ifPKiSA_SA_iPKfiiiPfSD_PS3_PT2_iSC_SC_, .Lfunc_end1251-_Z38paged_attention_ll4mi_QKV_mfma4_kernelI14__hip_bfloat16hLN4vllm18Fp8KVCacheDataTypeE1EhLi16ELi128ELi256ELb1ELi2EEvPKT_PKT0_S8_ifPKiSA_SA_iPKfiiiPfSD_PS3_PT2_iSC_SC_
                                        ; -- End function
	.set _Z38paged_attention_ll4mi_QKV_mfma4_kernelI14__hip_bfloat16hLN4vllm18Fp8KVCacheDataTypeE1EhLi16ELi128ELi256ELb1ELi2EEvPKT_PKT0_S8_ifPKiSA_SA_iPKfiiiPfSD_PS3_PT2_iSC_SC_.num_vgpr, max(3, .L__assert_fail.num_vgpr)
	.set _Z38paged_attention_ll4mi_QKV_mfma4_kernelI14__hip_bfloat16hLN4vllm18Fp8KVCacheDataTypeE1EhLi16ELi128ELi256ELb1ELi2EEvPKT_PKT0_S8_ifPKiSA_SA_iPKfiiiPfSD_PS3_PT2_iSC_SC_.num_agpr, max(0, .L__assert_fail.num_agpr)
	.set _Z38paged_attention_ll4mi_QKV_mfma4_kernelI14__hip_bfloat16hLN4vllm18Fp8KVCacheDataTypeE1EhLi16ELi128ELi256ELb1ELi2EEvPKT_PKT0_S8_ifPKiSA_SA_iPKfiiiPfSD_PS3_PT2_iSC_SC_.numbered_sgpr, max(33, .L__assert_fail.numbered_sgpr)
	.set _Z38paged_attention_ll4mi_QKV_mfma4_kernelI14__hip_bfloat16hLN4vllm18Fp8KVCacheDataTypeE1EhLi16ELi128ELi256ELb1ELi2EEvPKT_PKT0_S8_ifPKiSA_SA_iPKfiiiPfSD_PS3_PT2_iSC_SC_.num_named_barrier, max(0, .L__assert_fail.num_named_barrier)
	.set _Z38paged_attention_ll4mi_QKV_mfma4_kernelI14__hip_bfloat16hLN4vllm18Fp8KVCacheDataTypeE1EhLi16ELi128ELi256ELb1ELi2EEvPKT_PKT0_S8_ifPKiSA_SA_iPKfiiiPfSD_PS3_PT2_iSC_SC_.private_seg_size, 0+max(.L__assert_fail.private_seg_size)
	.set _Z38paged_attention_ll4mi_QKV_mfma4_kernelI14__hip_bfloat16hLN4vllm18Fp8KVCacheDataTypeE1EhLi16ELi128ELi256ELb1ELi2EEvPKT_PKT0_S8_ifPKiSA_SA_iPKfiiiPfSD_PS3_PT2_iSC_SC_.uses_vcc, or(1, .L__assert_fail.uses_vcc)
	.set _Z38paged_attention_ll4mi_QKV_mfma4_kernelI14__hip_bfloat16hLN4vllm18Fp8KVCacheDataTypeE1EhLi16ELi128ELi256ELb1ELi2EEvPKT_PKT0_S8_ifPKiSA_SA_iPKfiiiPfSD_PS3_PT2_iSC_SC_.uses_flat_scratch, or(0, .L__assert_fail.uses_flat_scratch)
	.set _Z38paged_attention_ll4mi_QKV_mfma4_kernelI14__hip_bfloat16hLN4vllm18Fp8KVCacheDataTypeE1EhLi16ELi128ELi256ELb1ELi2EEvPKT_PKT0_S8_ifPKiSA_SA_iPKfiiiPfSD_PS3_PT2_iSC_SC_.has_dyn_sized_stack, or(0, .L__assert_fail.has_dyn_sized_stack)
	.set _Z38paged_attention_ll4mi_QKV_mfma4_kernelI14__hip_bfloat16hLN4vllm18Fp8KVCacheDataTypeE1EhLi16ELi128ELi256ELb1ELi2EEvPKT_PKT0_S8_ifPKiSA_SA_iPKfiiiPfSD_PS3_PT2_iSC_SC_.has_recursion, or(0, .L__assert_fail.has_recursion)
	.set _Z38paged_attention_ll4mi_QKV_mfma4_kernelI14__hip_bfloat16hLN4vllm18Fp8KVCacheDataTypeE1EhLi16ELi128ELi256ELb1ELi2EEvPKT_PKT0_S8_ifPKiSA_SA_iPKfiiiPfSD_PS3_PT2_iSC_SC_.has_indirect_call, or(0, .L__assert_fail.has_indirect_call)
	.section	.AMDGPU.csdata,"",@progbits
; Kernel info:
; codeLenInByte = 68
; TotalNumSgprs: 36
; NumVgprs: 51
; ScratchSize: 64
; MemoryBound: 0
; FloatMode: 240
; IeeeMode: 1
; LDSByteSize: 0 bytes/workgroup (compile time only)
; SGPRBlocks: 0
; VGPRBlocks: 3
; NumSGPRsForWavesPerEU: 36
; NumVGPRsForWavesPerEU: 51
; NamedBarCnt: 0
; Occupancy: 16
; WaveLimiterHint : 1
; COMPUTE_PGM_RSRC2:SCRATCH_EN: 1
; COMPUTE_PGM_RSRC2:USER_SGPR: 2
; COMPUTE_PGM_RSRC2:TRAP_HANDLER: 0
; COMPUTE_PGM_RSRC2:TGID_X_EN: 1
; COMPUTE_PGM_RSRC2:TGID_Y_EN: 0
; COMPUTE_PGM_RSRC2:TGID_Z_EN: 0
; COMPUTE_PGM_RSRC2:TIDIG_COMP_CNT: 0
	.section	.text._Z38paged_attention_ll4mi_QKV_mfma4_kernelI14__hip_bfloat16hLN4vllm18Fp8KVCacheDataTypeE1EhLi16ELi128ELi256ELb1ELi3EEvPKT_PKT0_S8_ifPKiSA_SA_iPKfiiiPfSD_PS3_PT2_iSC_SC_,"axG",@progbits,_Z38paged_attention_ll4mi_QKV_mfma4_kernelI14__hip_bfloat16hLN4vllm18Fp8KVCacheDataTypeE1EhLi16ELi128ELi256ELb1ELi3EEvPKT_PKT0_S8_ifPKiSA_SA_iPKfiiiPfSD_PS3_PT2_iSC_SC_,comdat
	.protected	_Z38paged_attention_ll4mi_QKV_mfma4_kernelI14__hip_bfloat16hLN4vllm18Fp8KVCacheDataTypeE1EhLi16ELi128ELi256ELb1ELi3EEvPKT_PKT0_S8_ifPKiSA_SA_iPKfiiiPfSD_PS3_PT2_iSC_SC_ ; -- Begin function _Z38paged_attention_ll4mi_QKV_mfma4_kernelI14__hip_bfloat16hLN4vllm18Fp8KVCacheDataTypeE1EhLi16ELi128ELi256ELb1ELi3EEvPKT_PKT0_S8_ifPKiSA_SA_iPKfiiiPfSD_PS3_PT2_iSC_SC_
	.globl	_Z38paged_attention_ll4mi_QKV_mfma4_kernelI14__hip_bfloat16hLN4vllm18Fp8KVCacheDataTypeE1EhLi16ELi128ELi256ELb1ELi3EEvPKT_PKT0_S8_ifPKiSA_SA_iPKfiiiPfSD_PS3_PT2_iSC_SC_
	.p2align	8
	.type	_Z38paged_attention_ll4mi_QKV_mfma4_kernelI14__hip_bfloat16hLN4vllm18Fp8KVCacheDataTypeE1EhLi16ELi128ELi256ELb1ELi3EEvPKT_PKT0_S8_ifPKiSA_SA_iPKfiiiPfSD_PS3_PT2_iSC_SC_,@function
_Z38paged_attention_ll4mi_QKV_mfma4_kernelI14__hip_bfloat16hLN4vllm18Fp8KVCacheDataTypeE1EhLi16ELi128ELi256ELb1ELi3EEvPKT_PKT0_S8_ifPKiSA_SA_iPKfiiiPfSD_PS3_PT2_iSC_SC_: ; @_Z38paged_attention_ll4mi_QKV_mfma4_kernelI14__hip_bfloat16hLN4vllm18Fp8KVCacheDataTypeE1EhLi16ELi128ELi256ELb1ELi3EEvPKT_PKT0_S8_ifPKiSA_SA_iPKfiiiPfSD_PS3_PT2_iSC_SC_
; %bb.0:
	s_get_pc_i64 s[2:3]
	s_add_nc_u64 s[2:3], s[2:3], __PRETTY_FUNCTION__._Z38paged_attention_ll4mi_QKV_mfma4_kernelI14__hip_bfloat16hLN4vllm18Fp8KVCacheDataTypeE1EhLi16ELi128ELi256ELb1ELi3EEvPKT_PKT0_S8_ifPKiSA_SA_iPKfiiiPfSD_PS3_PT2_iSC_SC_@rel64+4
	s_delay_alu instid0(SALU_CYCLE_1)
	v_dual_mov_b32 v0, 0xbce :: v_dual_mov_b32 v1, s2
	v_mov_b32_e32 v2, s3
	s_add_nc_u64 s[8:9], s[0:1], 0x90
	s_get_pc_i64 s[0:1]
	s_add_nc_u64 s[0:1], s[0:1], __assert_fail@rel64+4
	s_mov_b32 s32, 0
	s_swap_pc_i64 s[30:31], s[0:1]
	.section	.rodata,"a",@progbits
	.p2align	6, 0x0
	.amdhsa_kernel _Z38paged_attention_ll4mi_QKV_mfma4_kernelI14__hip_bfloat16hLN4vllm18Fp8KVCacheDataTypeE1EhLi16ELi128ELi256ELb1ELi3EEvPKT_PKT0_S8_ifPKiSA_SA_iPKfiiiPfSD_PS3_PT2_iSC_SC_
		.amdhsa_group_segment_fixed_size 0
		.amdhsa_private_segment_fixed_size 64
		.amdhsa_kernarg_size 400
		.amdhsa_user_sgpr_count 2
		.amdhsa_user_sgpr_dispatch_ptr 0
		.amdhsa_user_sgpr_queue_ptr 0
		.amdhsa_user_sgpr_kernarg_segment_ptr 1
		.amdhsa_user_sgpr_dispatch_id 0
		.amdhsa_user_sgpr_kernarg_preload_length 0
		.amdhsa_user_sgpr_kernarg_preload_offset 0
		.amdhsa_user_sgpr_private_segment_size 0
		.amdhsa_wavefront_size32 1
		.amdhsa_uses_dynamic_stack 0
		.amdhsa_enable_private_segment 1
		.amdhsa_system_sgpr_workgroup_id_x 1
		.amdhsa_system_sgpr_workgroup_id_y 0
		.amdhsa_system_sgpr_workgroup_id_z 0
		.amdhsa_system_sgpr_workgroup_info 0
		.amdhsa_system_vgpr_workitem_id 0
		.amdhsa_next_free_vgpr 51
		.amdhsa_next_free_sgpr 34
		.amdhsa_named_barrier_count 0
		.amdhsa_reserve_vcc 1
		.amdhsa_float_round_mode_32 0
		.amdhsa_float_round_mode_16_64 0
		.amdhsa_float_denorm_mode_32 3
		.amdhsa_float_denorm_mode_16_64 3
		.amdhsa_fp16_overflow 0
		.amdhsa_memory_ordered 1
		.amdhsa_forward_progress 1
		.amdhsa_inst_pref_size 1
		.amdhsa_round_robin_scheduling 0
		.amdhsa_exception_fp_ieee_invalid_op 0
		.amdhsa_exception_fp_denorm_src 0
		.amdhsa_exception_fp_ieee_div_zero 0
		.amdhsa_exception_fp_ieee_overflow 0
		.amdhsa_exception_fp_ieee_underflow 0
		.amdhsa_exception_fp_ieee_inexact 0
		.amdhsa_exception_int_div_zero 0
	.end_amdhsa_kernel
	.section	.text._Z38paged_attention_ll4mi_QKV_mfma4_kernelI14__hip_bfloat16hLN4vllm18Fp8KVCacheDataTypeE1EhLi16ELi128ELi256ELb1ELi3EEvPKT_PKT0_S8_ifPKiSA_SA_iPKfiiiPfSD_PS3_PT2_iSC_SC_,"axG",@progbits,_Z38paged_attention_ll4mi_QKV_mfma4_kernelI14__hip_bfloat16hLN4vllm18Fp8KVCacheDataTypeE1EhLi16ELi128ELi256ELb1ELi3EEvPKT_PKT0_S8_ifPKiSA_SA_iPKfiiiPfSD_PS3_PT2_iSC_SC_,comdat
.Lfunc_end1252:
	.size	_Z38paged_attention_ll4mi_QKV_mfma4_kernelI14__hip_bfloat16hLN4vllm18Fp8KVCacheDataTypeE1EhLi16ELi128ELi256ELb1ELi3EEvPKT_PKT0_S8_ifPKiSA_SA_iPKfiiiPfSD_PS3_PT2_iSC_SC_, .Lfunc_end1252-_Z38paged_attention_ll4mi_QKV_mfma4_kernelI14__hip_bfloat16hLN4vllm18Fp8KVCacheDataTypeE1EhLi16ELi128ELi256ELb1ELi3EEvPKT_PKT0_S8_ifPKiSA_SA_iPKfiiiPfSD_PS3_PT2_iSC_SC_
                                        ; -- End function
	.set _Z38paged_attention_ll4mi_QKV_mfma4_kernelI14__hip_bfloat16hLN4vllm18Fp8KVCacheDataTypeE1EhLi16ELi128ELi256ELb1ELi3EEvPKT_PKT0_S8_ifPKiSA_SA_iPKfiiiPfSD_PS3_PT2_iSC_SC_.num_vgpr, max(3, .L__assert_fail.num_vgpr)
	.set _Z38paged_attention_ll4mi_QKV_mfma4_kernelI14__hip_bfloat16hLN4vllm18Fp8KVCacheDataTypeE1EhLi16ELi128ELi256ELb1ELi3EEvPKT_PKT0_S8_ifPKiSA_SA_iPKfiiiPfSD_PS3_PT2_iSC_SC_.num_agpr, max(0, .L__assert_fail.num_agpr)
	.set _Z38paged_attention_ll4mi_QKV_mfma4_kernelI14__hip_bfloat16hLN4vllm18Fp8KVCacheDataTypeE1EhLi16ELi128ELi256ELb1ELi3EEvPKT_PKT0_S8_ifPKiSA_SA_iPKfiiiPfSD_PS3_PT2_iSC_SC_.numbered_sgpr, max(33, .L__assert_fail.numbered_sgpr)
	.set _Z38paged_attention_ll4mi_QKV_mfma4_kernelI14__hip_bfloat16hLN4vllm18Fp8KVCacheDataTypeE1EhLi16ELi128ELi256ELb1ELi3EEvPKT_PKT0_S8_ifPKiSA_SA_iPKfiiiPfSD_PS3_PT2_iSC_SC_.num_named_barrier, max(0, .L__assert_fail.num_named_barrier)
	.set _Z38paged_attention_ll4mi_QKV_mfma4_kernelI14__hip_bfloat16hLN4vllm18Fp8KVCacheDataTypeE1EhLi16ELi128ELi256ELb1ELi3EEvPKT_PKT0_S8_ifPKiSA_SA_iPKfiiiPfSD_PS3_PT2_iSC_SC_.private_seg_size, 0+max(.L__assert_fail.private_seg_size)
	.set _Z38paged_attention_ll4mi_QKV_mfma4_kernelI14__hip_bfloat16hLN4vllm18Fp8KVCacheDataTypeE1EhLi16ELi128ELi256ELb1ELi3EEvPKT_PKT0_S8_ifPKiSA_SA_iPKfiiiPfSD_PS3_PT2_iSC_SC_.uses_vcc, or(1, .L__assert_fail.uses_vcc)
	.set _Z38paged_attention_ll4mi_QKV_mfma4_kernelI14__hip_bfloat16hLN4vllm18Fp8KVCacheDataTypeE1EhLi16ELi128ELi256ELb1ELi3EEvPKT_PKT0_S8_ifPKiSA_SA_iPKfiiiPfSD_PS3_PT2_iSC_SC_.uses_flat_scratch, or(0, .L__assert_fail.uses_flat_scratch)
	.set _Z38paged_attention_ll4mi_QKV_mfma4_kernelI14__hip_bfloat16hLN4vllm18Fp8KVCacheDataTypeE1EhLi16ELi128ELi256ELb1ELi3EEvPKT_PKT0_S8_ifPKiSA_SA_iPKfiiiPfSD_PS3_PT2_iSC_SC_.has_dyn_sized_stack, or(0, .L__assert_fail.has_dyn_sized_stack)
	.set _Z38paged_attention_ll4mi_QKV_mfma4_kernelI14__hip_bfloat16hLN4vllm18Fp8KVCacheDataTypeE1EhLi16ELi128ELi256ELb1ELi3EEvPKT_PKT0_S8_ifPKiSA_SA_iPKfiiiPfSD_PS3_PT2_iSC_SC_.has_recursion, or(0, .L__assert_fail.has_recursion)
	.set _Z38paged_attention_ll4mi_QKV_mfma4_kernelI14__hip_bfloat16hLN4vllm18Fp8KVCacheDataTypeE1EhLi16ELi128ELi256ELb1ELi3EEvPKT_PKT0_S8_ifPKiSA_SA_iPKfiiiPfSD_PS3_PT2_iSC_SC_.has_indirect_call, or(0, .L__assert_fail.has_indirect_call)
	.section	.AMDGPU.csdata,"",@progbits
; Kernel info:
; codeLenInByte = 68
; TotalNumSgprs: 36
; NumVgprs: 51
; ScratchSize: 64
; MemoryBound: 0
; FloatMode: 240
; IeeeMode: 1
; LDSByteSize: 0 bytes/workgroup (compile time only)
; SGPRBlocks: 0
; VGPRBlocks: 3
; NumSGPRsForWavesPerEU: 36
; NumVGPRsForWavesPerEU: 51
; NamedBarCnt: 0
; Occupancy: 16
; WaveLimiterHint : 1
; COMPUTE_PGM_RSRC2:SCRATCH_EN: 1
; COMPUTE_PGM_RSRC2:USER_SGPR: 2
; COMPUTE_PGM_RSRC2:TRAP_HANDLER: 0
; COMPUTE_PGM_RSRC2:TGID_X_EN: 1
; COMPUTE_PGM_RSRC2:TGID_Y_EN: 0
; COMPUTE_PGM_RSRC2:TGID_Z_EN: 0
; COMPUTE_PGM_RSRC2:TIDIG_COMP_CNT: 0
	.section	.text._Z38paged_attention_ll4mi_QKV_mfma4_kernelI14__hip_bfloat16hLN4vllm18Fp8KVCacheDataTypeE1EhLi16ELi128ELi256ELb1ELi4EEvPKT_PKT0_S8_ifPKiSA_SA_iPKfiiiPfSD_PS3_PT2_iSC_SC_,"axG",@progbits,_Z38paged_attention_ll4mi_QKV_mfma4_kernelI14__hip_bfloat16hLN4vllm18Fp8KVCacheDataTypeE1EhLi16ELi128ELi256ELb1ELi4EEvPKT_PKT0_S8_ifPKiSA_SA_iPKfiiiPfSD_PS3_PT2_iSC_SC_,comdat
	.protected	_Z38paged_attention_ll4mi_QKV_mfma4_kernelI14__hip_bfloat16hLN4vllm18Fp8KVCacheDataTypeE1EhLi16ELi128ELi256ELb1ELi4EEvPKT_PKT0_S8_ifPKiSA_SA_iPKfiiiPfSD_PS3_PT2_iSC_SC_ ; -- Begin function _Z38paged_attention_ll4mi_QKV_mfma4_kernelI14__hip_bfloat16hLN4vllm18Fp8KVCacheDataTypeE1EhLi16ELi128ELi256ELb1ELi4EEvPKT_PKT0_S8_ifPKiSA_SA_iPKfiiiPfSD_PS3_PT2_iSC_SC_
	.globl	_Z38paged_attention_ll4mi_QKV_mfma4_kernelI14__hip_bfloat16hLN4vllm18Fp8KVCacheDataTypeE1EhLi16ELi128ELi256ELb1ELi4EEvPKT_PKT0_S8_ifPKiSA_SA_iPKfiiiPfSD_PS3_PT2_iSC_SC_
	.p2align	8
	.type	_Z38paged_attention_ll4mi_QKV_mfma4_kernelI14__hip_bfloat16hLN4vllm18Fp8KVCacheDataTypeE1EhLi16ELi128ELi256ELb1ELi4EEvPKT_PKT0_S8_ifPKiSA_SA_iPKfiiiPfSD_PS3_PT2_iSC_SC_,@function
_Z38paged_attention_ll4mi_QKV_mfma4_kernelI14__hip_bfloat16hLN4vllm18Fp8KVCacheDataTypeE1EhLi16ELi128ELi256ELb1ELi4EEvPKT_PKT0_S8_ifPKiSA_SA_iPKfiiiPfSD_PS3_PT2_iSC_SC_: ; @_Z38paged_attention_ll4mi_QKV_mfma4_kernelI14__hip_bfloat16hLN4vllm18Fp8KVCacheDataTypeE1EhLi16ELi128ELi256ELb1ELi4EEvPKT_PKT0_S8_ifPKiSA_SA_iPKfiiiPfSD_PS3_PT2_iSC_SC_
; %bb.0:
	s_get_pc_i64 s[2:3]
	s_add_nc_u64 s[2:3], s[2:3], __PRETTY_FUNCTION__._Z38paged_attention_ll4mi_QKV_mfma4_kernelI14__hip_bfloat16hLN4vllm18Fp8KVCacheDataTypeE1EhLi16ELi128ELi256ELb1ELi4EEvPKT_PKT0_S8_ifPKiSA_SA_iPKfiiiPfSD_PS3_PT2_iSC_SC_@rel64+4
	s_delay_alu instid0(SALU_CYCLE_1)
	v_dual_mov_b32 v0, 0xbce :: v_dual_mov_b32 v1, s2
	v_mov_b32_e32 v2, s3
	s_add_nc_u64 s[8:9], s[0:1], 0x90
	s_get_pc_i64 s[0:1]
	s_add_nc_u64 s[0:1], s[0:1], __assert_fail@rel64+4
	s_mov_b32 s32, 0
	s_swap_pc_i64 s[30:31], s[0:1]
	.section	.rodata,"a",@progbits
	.p2align	6, 0x0
	.amdhsa_kernel _Z38paged_attention_ll4mi_QKV_mfma4_kernelI14__hip_bfloat16hLN4vllm18Fp8KVCacheDataTypeE1EhLi16ELi128ELi256ELb1ELi4EEvPKT_PKT0_S8_ifPKiSA_SA_iPKfiiiPfSD_PS3_PT2_iSC_SC_
		.amdhsa_group_segment_fixed_size 0
		.amdhsa_private_segment_fixed_size 64
		.amdhsa_kernarg_size 400
		.amdhsa_user_sgpr_count 2
		.amdhsa_user_sgpr_dispatch_ptr 0
		.amdhsa_user_sgpr_queue_ptr 0
		.amdhsa_user_sgpr_kernarg_segment_ptr 1
		.amdhsa_user_sgpr_dispatch_id 0
		.amdhsa_user_sgpr_kernarg_preload_length 0
		.amdhsa_user_sgpr_kernarg_preload_offset 0
		.amdhsa_user_sgpr_private_segment_size 0
		.amdhsa_wavefront_size32 1
		.amdhsa_uses_dynamic_stack 0
		.amdhsa_enable_private_segment 1
		.amdhsa_system_sgpr_workgroup_id_x 1
		.amdhsa_system_sgpr_workgroup_id_y 0
		.amdhsa_system_sgpr_workgroup_id_z 0
		.amdhsa_system_sgpr_workgroup_info 0
		.amdhsa_system_vgpr_workitem_id 0
		.amdhsa_next_free_vgpr 51
		.amdhsa_next_free_sgpr 34
		.amdhsa_named_barrier_count 0
		.amdhsa_reserve_vcc 1
		.amdhsa_float_round_mode_32 0
		.amdhsa_float_round_mode_16_64 0
		.amdhsa_float_denorm_mode_32 3
		.amdhsa_float_denorm_mode_16_64 3
		.amdhsa_fp16_overflow 0
		.amdhsa_memory_ordered 1
		.amdhsa_forward_progress 1
		.amdhsa_inst_pref_size 1
		.amdhsa_round_robin_scheduling 0
		.amdhsa_exception_fp_ieee_invalid_op 0
		.amdhsa_exception_fp_denorm_src 0
		.amdhsa_exception_fp_ieee_div_zero 0
		.amdhsa_exception_fp_ieee_overflow 0
		.amdhsa_exception_fp_ieee_underflow 0
		.amdhsa_exception_fp_ieee_inexact 0
		.amdhsa_exception_int_div_zero 0
	.end_amdhsa_kernel
	.section	.text._Z38paged_attention_ll4mi_QKV_mfma4_kernelI14__hip_bfloat16hLN4vllm18Fp8KVCacheDataTypeE1EhLi16ELi128ELi256ELb1ELi4EEvPKT_PKT0_S8_ifPKiSA_SA_iPKfiiiPfSD_PS3_PT2_iSC_SC_,"axG",@progbits,_Z38paged_attention_ll4mi_QKV_mfma4_kernelI14__hip_bfloat16hLN4vllm18Fp8KVCacheDataTypeE1EhLi16ELi128ELi256ELb1ELi4EEvPKT_PKT0_S8_ifPKiSA_SA_iPKfiiiPfSD_PS3_PT2_iSC_SC_,comdat
.Lfunc_end1253:
	.size	_Z38paged_attention_ll4mi_QKV_mfma4_kernelI14__hip_bfloat16hLN4vllm18Fp8KVCacheDataTypeE1EhLi16ELi128ELi256ELb1ELi4EEvPKT_PKT0_S8_ifPKiSA_SA_iPKfiiiPfSD_PS3_PT2_iSC_SC_, .Lfunc_end1253-_Z38paged_attention_ll4mi_QKV_mfma4_kernelI14__hip_bfloat16hLN4vllm18Fp8KVCacheDataTypeE1EhLi16ELi128ELi256ELb1ELi4EEvPKT_PKT0_S8_ifPKiSA_SA_iPKfiiiPfSD_PS3_PT2_iSC_SC_
                                        ; -- End function
	.set _Z38paged_attention_ll4mi_QKV_mfma4_kernelI14__hip_bfloat16hLN4vllm18Fp8KVCacheDataTypeE1EhLi16ELi128ELi256ELb1ELi4EEvPKT_PKT0_S8_ifPKiSA_SA_iPKfiiiPfSD_PS3_PT2_iSC_SC_.num_vgpr, max(3, .L__assert_fail.num_vgpr)
	.set _Z38paged_attention_ll4mi_QKV_mfma4_kernelI14__hip_bfloat16hLN4vllm18Fp8KVCacheDataTypeE1EhLi16ELi128ELi256ELb1ELi4EEvPKT_PKT0_S8_ifPKiSA_SA_iPKfiiiPfSD_PS3_PT2_iSC_SC_.num_agpr, max(0, .L__assert_fail.num_agpr)
	.set _Z38paged_attention_ll4mi_QKV_mfma4_kernelI14__hip_bfloat16hLN4vllm18Fp8KVCacheDataTypeE1EhLi16ELi128ELi256ELb1ELi4EEvPKT_PKT0_S8_ifPKiSA_SA_iPKfiiiPfSD_PS3_PT2_iSC_SC_.numbered_sgpr, max(33, .L__assert_fail.numbered_sgpr)
	.set _Z38paged_attention_ll4mi_QKV_mfma4_kernelI14__hip_bfloat16hLN4vllm18Fp8KVCacheDataTypeE1EhLi16ELi128ELi256ELb1ELi4EEvPKT_PKT0_S8_ifPKiSA_SA_iPKfiiiPfSD_PS3_PT2_iSC_SC_.num_named_barrier, max(0, .L__assert_fail.num_named_barrier)
	.set _Z38paged_attention_ll4mi_QKV_mfma4_kernelI14__hip_bfloat16hLN4vllm18Fp8KVCacheDataTypeE1EhLi16ELi128ELi256ELb1ELi4EEvPKT_PKT0_S8_ifPKiSA_SA_iPKfiiiPfSD_PS3_PT2_iSC_SC_.private_seg_size, 0+max(.L__assert_fail.private_seg_size)
	.set _Z38paged_attention_ll4mi_QKV_mfma4_kernelI14__hip_bfloat16hLN4vllm18Fp8KVCacheDataTypeE1EhLi16ELi128ELi256ELb1ELi4EEvPKT_PKT0_S8_ifPKiSA_SA_iPKfiiiPfSD_PS3_PT2_iSC_SC_.uses_vcc, or(1, .L__assert_fail.uses_vcc)
	.set _Z38paged_attention_ll4mi_QKV_mfma4_kernelI14__hip_bfloat16hLN4vllm18Fp8KVCacheDataTypeE1EhLi16ELi128ELi256ELb1ELi4EEvPKT_PKT0_S8_ifPKiSA_SA_iPKfiiiPfSD_PS3_PT2_iSC_SC_.uses_flat_scratch, or(0, .L__assert_fail.uses_flat_scratch)
	.set _Z38paged_attention_ll4mi_QKV_mfma4_kernelI14__hip_bfloat16hLN4vllm18Fp8KVCacheDataTypeE1EhLi16ELi128ELi256ELb1ELi4EEvPKT_PKT0_S8_ifPKiSA_SA_iPKfiiiPfSD_PS3_PT2_iSC_SC_.has_dyn_sized_stack, or(0, .L__assert_fail.has_dyn_sized_stack)
	.set _Z38paged_attention_ll4mi_QKV_mfma4_kernelI14__hip_bfloat16hLN4vllm18Fp8KVCacheDataTypeE1EhLi16ELi128ELi256ELb1ELi4EEvPKT_PKT0_S8_ifPKiSA_SA_iPKfiiiPfSD_PS3_PT2_iSC_SC_.has_recursion, or(0, .L__assert_fail.has_recursion)
	.set _Z38paged_attention_ll4mi_QKV_mfma4_kernelI14__hip_bfloat16hLN4vllm18Fp8KVCacheDataTypeE1EhLi16ELi128ELi256ELb1ELi4EEvPKT_PKT0_S8_ifPKiSA_SA_iPKfiiiPfSD_PS3_PT2_iSC_SC_.has_indirect_call, or(0, .L__assert_fail.has_indirect_call)
	.section	.AMDGPU.csdata,"",@progbits
; Kernel info:
; codeLenInByte = 68
; TotalNumSgprs: 36
; NumVgprs: 51
; ScratchSize: 64
; MemoryBound: 0
; FloatMode: 240
; IeeeMode: 1
; LDSByteSize: 0 bytes/workgroup (compile time only)
; SGPRBlocks: 0
; VGPRBlocks: 3
; NumSGPRsForWavesPerEU: 36
; NumVGPRsForWavesPerEU: 51
; NamedBarCnt: 0
; Occupancy: 16
; WaveLimiterHint : 1
; COMPUTE_PGM_RSRC2:SCRATCH_EN: 1
; COMPUTE_PGM_RSRC2:USER_SGPR: 2
; COMPUTE_PGM_RSRC2:TRAP_HANDLER: 0
; COMPUTE_PGM_RSRC2:TGID_X_EN: 1
; COMPUTE_PGM_RSRC2:TGID_Y_EN: 0
; COMPUTE_PGM_RSRC2:TGID_Z_EN: 0
; COMPUTE_PGM_RSRC2:TIDIG_COMP_CNT: 0
	.section	.text._Z39paged_attention_ll4mi_QKV_mfma16_kernelI14__hip_bfloat16hLN4vllm18Fp8KVCacheDataTypeE1EhLi16ELi128ELi256ELb1ELi5EEvPKT_PKT0_S8_ifPKiSA_SA_iPKfiiiPfSD_PS3_PT2_iSC_SC_,"axG",@progbits,_Z39paged_attention_ll4mi_QKV_mfma16_kernelI14__hip_bfloat16hLN4vllm18Fp8KVCacheDataTypeE1EhLi16ELi128ELi256ELb1ELi5EEvPKT_PKT0_S8_ifPKiSA_SA_iPKfiiiPfSD_PS3_PT2_iSC_SC_,comdat
	.protected	_Z39paged_attention_ll4mi_QKV_mfma16_kernelI14__hip_bfloat16hLN4vllm18Fp8KVCacheDataTypeE1EhLi16ELi128ELi256ELb1ELi5EEvPKT_PKT0_S8_ifPKiSA_SA_iPKfiiiPfSD_PS3_PT2_iSC_SC_ ; -- Begin function _Z39paged_attention_ll4mi_QKV_mfma16_kernelI14__hip_bfloat16hLN4vllm18Fp8KVCacheDataTypeE1EhLi16ELi128ELi256ELb1ELi5EEvPKT_PKT0_S8_ifPKiSA_SA_iPKfiiiPfSD_PS3_PT2_iSC_SC_
	.globl	_Z39paged_attention_ll4mi_QKV_mfma16_kernelI14__hip_bfloat16hLN4vllm18Fp8KVCacheDataTypeE1EhLi16ELi128ELi256ELb1ELi5EEvPKT_PKT0_S8_ifPKiSA_SA_iPKfiiiPfSD_PS3_PT2_iSC_SC_
	.p2align	8
	.type	_Z39paged_attention_ll4mi_QKV_mfma16_kernelI14__hip_bfloat16hLN4vllm18Fp8KVCacheDataTypeE1EhLi16ELi128ELi256ELb1ELi5EEvPKT_PKT0_S8_ifPKiSA_SA_iPKfiiiPfSD_PS3_PT2_iSC_SC_,@function
_Z39paged_attention_ll4mi_QKV_mfma16_kernelI14__hip_bfloat16hLN4vllm18Fp8KVCacheDataTypeE1EhLi16ELi128ELi256ELb1ELi5EEvPKT_PKT0_S8_ifPKiSA_SA_iPKfiiiPfSD_PS3_PT2_iSC_SC_: ; @_Z39paged_attention_ll4mi_QKV_mfma16_kernelI14__hip_bfloat16hLN4vllm18Fp8KVCacheDataTypeE1EhLi16ELi128ELi256ELb1ELi5EEvPKT_PKT0_S8_ifPKiSA_SA_iPKfiiiPfSD_PS3_PT2_iSC_SC_
; %bb.0:
	s_get_pc_i64 s[2:3]
	s_add_nc_u64 s[2:3], s[2:3], __PRETTY_FUNCTION__._Z39paged_attention_ll4mi_QKV_mfma16_kernelI14__hip_bfloat16hLN4vllm18Fp8KVCacheDataTypeE1EhLi16ELi128ELi256ELb1ELi5EEvPKT_PKT0_S8_ifPKiSA_SA_iPKfiiiPfSD_PS3_PT2_iSC_SC_@rel64+4
	s_delay_alu instid0(SALU_CYCLE_1)
	v_dual_mov_b32 v0, 0xbb3 :: v_dual_mov_b32 v1, s2
	v_mov_b32_e32 v2, s3
	s_add_nc_u64 s[8:9], s[0:1], 0x90
	s_get_pc_i64 s[0:1]
	s_add_nc_u64 s[0:1], s[0:1], __assert_fail@rel64+4
	s_mov_b32 s32, 0
	s_swap_pc_i64 s[30:31], s[0:1]
	.section	.rodata,"a",@progbits
	.p2align	6, 0x0
	.amdhsa_kernel _Z39paged_attention_ll4mi_QKV_mfma16_kernelI14__hip_bfloat16hLN4vllm18Fp8KVCacheDataTypeE1EhLi16ELi128ELi256ELb1ELi5EEvPKT_PKT0_S8_ifPKiSA_SA_iPKfiiiPfSD_PS3_PT2_iSC_SC_
		.amdhsa_group_segment_fixed_size 0
		.amdhsa_private_segment_fixed_size 64
		.amdhsa_kernarg_size 400
		.amdhsa_user_sgpr_count 2
		.amdhsa_user_sgpr_dispatch_ptr 0
		.amdhsa_user_sgpr_queue_ptr 0
		.amdhsa_user_sgpr_kernarg_segment_ptr 1
		.amdhsa_user_sgpr_dispatch_id 0
		.amdhsa_user_sgpr_kernarg_preload_length 0
		.amdhsa_user_sgpr_kernarg_preload_offset 0
		.amdhsa_user_sgpr_private_segment_size 0
		.amdhsa_wavefront_size32 1
		.amdhsa_uses_dynamic_stack 0
		.amdhsa_enable_private_segment 1
		.amdhsa_system_sgpr_workgroup_id_x 1
		.amdhsa_system_sgpr_workgroup_id_y 0
		.amdhsa_system_sgpr_workgroup_id_z 0
		.amdhsa_system_sgpr_workgroup_info 0
		.amdhsa_system_vgpr_workitem_id 0
		.amdhsa_next_free_vgpr 51
		.amdhsa_next_free_sgpr 34
		.amdhsa_named_barrier_count 0
		.amdhsa_reserve_vcc 1
		.amdhsa_float_round_mode_32 0
		.amdhsa_float_round_mode_16_64 0
		.amdhsa_float_denorm_mode_32 3
		.amdhsa_float_denorm_mode_16_64 3
		.amdhsa_fp16_overflow 0
		.amdhsa_memory_ordered 1
		.amdhsa_forward_progress 1
		.amdhsa_inst_pref_size 1
		.amdhsa_round_robin_scheduling 0
		.amdhsa_exception_fp_ieee_invalid_op 0
		.amdhsa_exception_fp_denorm_src 0
		.amdhsa_exception_fp_ieee_div_zero 0
		.amdhsa_exception_fp_ieee_overflow 0
		.amdhsa_exception_fp_ieee_underflow 0
		.amdhsa_exception_fp_ieee_inexact 0
		.amdhsa_exception_int_div_zero 0
	.end_amdhsa_kernel
	.section	.text._Z39paged_attention_ll4mi_QKV_mfma16_kernelI14__hip_bfloat16hLN4vllm18Fp8KVCacheDataTypeE1EhLi16ELi128ELi256ELb1ELi5EEvPKT_PKT0_S8_ifPKiSA_SA_iPKfiiiPfSD_PS3_PT2_iSC_SC_,"axG",@progbits,_Z39paged_attention_ll4mi_QKV_mfma16_kernelI14__hip_bfloat16hLN4vllm18Fp8KVCacheDataTypeE1EhLi16ELi128ELi256ELb1ELi5EEvPKT_PKT0_S8_ifPKiSA_SA_iPKfiiiPfSD_PS3_PT2_iSC_SC_,comdat
.Lfunc_end1254:
	.size	_Z39paged_attention_ll4mi_QKV_mfma16_kernelI14__hip_bfloat16hLN4vllm18Fp8KVCacheDataTypeE1EhLi16ELi128ELi256ELb1ELi5EEvPKT_PKT0_S8_ifPKiSA_SA_iPKfiiiPfSD_PS3_PT2_iSC_SC_, .Lfunc_end1254-_Z39paged_attention_ll4mi_QKV_mfma16_kernelI14__hip_bfloat16hLN4vllm18Fp8KVCacheDataTypeE1EhLi16ELi128ELi256ELb1ELi5EEvPKT_PKT0_S8_ifPKiSA_SA_iPKfiiiPfSD_PS3_PT2_iSC_SC_
                                        ; -- End function
	.set _Z39paged_attention_ll4mi_QKV_mfma16_kernelI14__hip_bfloat16hLN4vllm18Fp8KVCacheDataTypeE1EhLi16ELi128ELi256ELb1ELi5EEvPKT_PKT0_S8_ifPKiSA_SA_iPKfiiiPfSD_PS3_PT2_iSC_SC_.num_vgpr, max(3, .L__assert_fail.num_vgpr)
	.set _Z39paged_attention_ll4mi_QKV_mfma16_kernelI14__hip_bfloat16hLN4vllm18Fp8KVCacheDataTypeE1EhLi16ELi128ELi256ELb1ELi5EEvPKT_PKT0_S8_ifPKiSA_SA_iPKfiiiPfSD_PS3_PT2_iSC_SC_.num_agpr, max(0, .L__assert_fail.num_agpr)
	.set _Z39paged_attention_ll4mi_QKV_mfma16_kernelI14__hip_bfloat16hLN4vllm18Fp8KVCacheDataTypeE1EhLi16ELi128ELi256ELb1ELi5EEvPKT_PKT0_S8_ifPKiSA_SA_iPKfiiiPfSD_PS3_PT2_iSC_SC_.numbered_sgpr, max(33, .L__assert_fail.numbered_sgpr)
	.set _Z39paged_attention_ll4mi_QKV_mfma16_kernelI14__hip_bfloat16hLN4vllm18Fp8KVCacheDataTypeE1EhLi16ELi128ELi256ELb1ELi5EEvPKT_PKT0_S8_ifPKiSA_SA_iPKfiiiPfSD_PS3_PT2_iSC_SC_.num_named_barrier, max(0, .L__assert_fail.num_named_barrier)
	.set _Z39paged_attention_ll4mi_QKV_mfma16_kernelI14__hip_bfloat16hLN4vllm18Fp8KVCacheDataTypeE1EhLi16ELi128ELi256ELb1ELi5EEvPKT_PKT0_S8_ifPKiSA_SA_iPKfiiiPfSD_PS3_PT2_iSC_SC_.private_seg_size, 0+max(.L__assert_fail.private_seg_size)
	.set _Z39paged_attention_ll4mi_QKV_mfma16_kernelI14__hip_bfloat16hLN4vllm18Fp8KVCacheDataTypeE1EhLi16ELi128ELi256ELb1ELi5EEvPKT_PKT0_S8_ifPKiSA_SA_iPKfiiiPfSD_PS3_PT2_iSC_SC_.uses_vcc, or(1, .L__assert_fail.uses_vcc)
	.set _Z39paged_attention_ll4mi_QKV_mfma16_kernelI14__hip_bfloat16hLN4vllm18Fp8KVCacheDataTypeE1EhLi16ELi128ELi256ELb1ELi5EEvPKT_PKT0_S8_ifPKiSA_SA_iPKfiiiPfSD_PS3_PT2_iSC_SC_.uses_flat_scratch, or(0, .L__assert_fail.uses_flat_scratch)
	.set _Z39paged_attention_ll4mi_QKV_mfma16_kernelI14__hip_bfloat16hLN4vllm18Fp8KVCacheDataTypeE1EhLi16ELi128ELi256ELb1ELi5EEvPKT_PKT0_S8_ifPKiSA_SA_iPKfiiiPfSD_PS3_PT2_iSC_SC_.has_dyn_sized_stack, or(0, .L__assert_fail.has_dyn_sized_stack)
	.set _Z39paged_attention_ll4mi_QKV_mfma16_kernelI14__hip_bfloat16hLN4vllm18Fp8KVCacheDataTypeE1EhLi16ELi128ELi256ELb1ELi5EEvPKT_PKT0_S8_ifPKiSA_SA_iPKfiiiPfSD_PS3_PT2_iSC_SC_.has_recursion, or(0, .L__assert_fail.has_recursion)
	.set _Z39paged_attention_ll4mi_QKV_mfma16_kernelI14__hip_bfloat16hLN4vllm18Fp8KVCacheDataTypeE1EhLi16ELi128ELi256ELb1ELi5EEvPKT_PKT0_S8_ifPKiSA_SA_iPKfiiiPfSD_PS3_PT2_iSC_SC_.has_indirect_call, or(0, .L__assert_fail.has_indirect_call)
	.section	.AMDGPU.csdata,"",@progbits
; Kernel info:
; codeLenInByte = 68
; TotalNumSgprs: 36
; NumVgprs: 51
; ScratchSize: 64
; MemoryBound: 0
; FloatMode: 240
; IeeeMode: 1
; LDSByteSize: 0 bytes/workgroup (compile time only)
; SGPRBlocks: 0
; VGPRBlocks: 3
; NumSGPRsForWavesPerEU: 36
; NumVGPRsForWavesPerEU: 51
; NamedBarCnt: 0
; Occupancy: 16
; WaveLimiterHint : 1
; COMPUTE_PGM_RSRC2:SCRATCH_EN: 1
; COMPUTE_PGM_RSRC2:USER_SGPR: 2
; COMPUTE_PGM_RSRC2:TRAP_HANDLER: 0
; COMPUTE_PGM_RSRC2:TGID_X_EN: 1
; COMPUTE_PGM_RSRC2:TGID_Y_EN: 0
; COMPUTE_PGM_RSRC2:TGID_Z_EN: 0
; COMPUTE_PGM_RSRC2:TIDIG_COMP_CNT: 0
	.section	.text._Z39paged_attention_ll4mi_QKV_mfma16_kernelI14__hip_bfloat16hLN4vllm18Fp8KVCacheDataTypeE1EhLi16ELi128ELi256ELb1ELi6EEvPKT_PKT0_S8_ifPKiSA_SA_iPKfiiiPfSD_PS3_PT2_iSC_SC_,"axG",@progbits,_Z39paged_attention_ll4mi_QKV_mfma16_kernelI14__hip_bfloat16hLN4vllm18Fp8KVCacheDataTypeE1EhLi16ELi128ELi256ELb1ELi6EEvPKT_PKT0_S8_ifPKiSA_SA_iPKfiiiPfSD_PS3_PT2_iSC_SC_,comdat
	.protected	_Z39paged_attention_ll4mi_QKV_mfma16_kernelI14__hip_bfloat16hLN4vllm18Fp8KVCacheDataTypeE1EhLi16ELi128ELi256ELb1ELi6EEvPKT_PKT0_S8_ifPKiSA_SA_iPKfiiiPfSD_PS3_PT2_iSC_SC_ ; -- Begin function _Z39paged_attention_ll4mi_QKV_mfma16_kernelI14__hip_bfloat16hLN4vllm18Fp8KVCacheDataTypeE1EhLi16ELi128ELi256ELb1ELi6EEvPKT_PKT0_S8_ifPKiSA_SA_iPKfiiiPfSD_PS3_PT2_iSC_SC_
	.globl	_Z39paged_attention_ll4mi_QKV_mfma16_kernelI14__hip_bfloat16hLN4vllm18Fp8KVCacheDataTypeE1EhLi16ELi128ELi256ELb1ELi6EEvPKT_PKT0_S8_ifPKiSA_SA_iPKfiiiPfSD_PS3_PT2_iSC_SC_
	.p2align	8
	.type	_Z39paged_attention_ll4mi_QKV_mfma16_kernelI14__hip_bfloat16hLN4vllm18Fp8KVCacheDataTypeE1EhLi16ELi128ELi256ELb1ELi6EEvPKT_PKT0_S8_ifPKiSA_SA_iPKfiiiPfSD_PS3_PT2_iSC_SC_,@function
_Z39paged_attention_ll4mi_QKV_mfma16_kernelI14__hip_bfloat16hLN4vllm18Fp8KVCacheDataTypeE1EhLi16ELi128ELi256ELb1ELi6EEvPKT_PKT0_S8_ifPKiSA_SA_iPKfiiiPfSD_PS3_PT2_iSC_SC_: ; @_Z39paged_attention_ll4mi_QKV_mfma16_kernelI14__hip_bfloat16hLN4vllm18Fp8KVCacheDataTypeE1EhLi16ELi128ELi256ELb1ELi6EEvPKT_PKT0_S8_ifPKiSA_SA_iPKfiiiPfSD_PS3_PT2_iSC_SC_
; %bb.0:
	s_get_pc_i64 s[2:3]
	s_add_nc_u64 s[2:3], s[2:3], __PRETTY_FUNCTION__._Z39paged_attention_ll4mi_QKV_mfma16_kernelI14__hip_bfloat16hLN4vllm18Fp8KVCacheDataTypeE1EhLi16ELi128ELi256ELb1ELi6EEvPKT_PKT0_S8_ifPKiSA_SA_iPKfiiiPfSD_PS3_PT2_iSC_SC_@rel64+4
	s_delay_alu instid0(SALU_CYCLE_1)
	v_dual_mov_b32 v0, 0xbb3 :: v_dual_mov_b32 v1, s2
	v_mov_b32_e32 v2, s3
	s_add_nc_u64 s[8:9], s[0:1], 0x90
	s_get_pc_i64 s[0:1]
	s_add_nc_u64 s[0:1], s[0:1], __assert_fail@rel64+4
	s_mov_b32 s32, 0
	s_swap_pc_i64 s[30:31], s[0:1]
	.section	.rodata,"a",@progbits
	.p2align	6, 0x0
	.amdhsa_kernel _Z39paged_attention_ll4mi_QKV_mfma16_kernelI14__hip_bfloat16hLN4vllm18Fp8KVCacheDataTypeE1EhLi16ELi128ELi256ELb1ELi6EEvPKT_PKT0_S8_ifPKiSA_SA_iPKfiiiPfSD_PS3_PT2_iSC_SC_
		.amdhsa_group_segment_fixed_size 0
		.amdhsa_private_segment_fixed_size 64
		.amdhsa_kernarg_size 400
		.amdhsa_user_sgpr_count 2
		.amdhsa_user_sgpr_dispatch_ptr 0
		.amdhsa_user_sgpr_queue_ptr 0
		.amdhsa_user_sgpr_kernarg_segment_ptr 1
		.amdhsa_user_sgpr_dispatch_id 0
		.amdhsa_user_sgpr_kernarg_preload_length 0
		.amdhsa_user_sgpr_kernarg_preload_offset 0
		.amdhsa_user_sgpr_private_segment_size 0
		.amdhsa_wavefront_size32 1
		.amdhsa_uses_dynamic_stack 0
		.amdhsa_enable_private_segment 1
		.amdhsa_system_sgpr_workgroup_id_x 1
		.amdhsa_system_sgpr_workgroup_id_y 0
		.amdhsa_system_sgpr_workgroup_id_z 0
		.amdhsa_system_sgpr_workgroup_info 0
		.amdhsa_system_vgpr_workitem_id 0
		.amdhsa_next_free_vgpr 51
		.amdhsa_next_free_sgpr 34
		.amdhsa_named_barrier_count 0
		.amdhsa_reserve_vcc 1
		.amdhsa_float_round_mode_32 0
		.amdhsa_float_round_mode_16_64 0
		.amdhsa_float_denorm_mode_32 3
		.amdhsa_float_denorm_mode_16_64 3
		.amdhsa_fp16_overflow 0
		.amdhsa_memory_ordered 1
		.amdhsa_forward_progress 1
		.amdhsa_inst_pref_size 1
		.amdhsa_round_robin_scheduling 0
		.amdhsa_exception_fp_ieee_invalid_op 0
		.amdhsa_exception_fp_denorm_src 0
		.amdhsa_exception_fp_ieee_div_zero 0
		.amdhsa_exception_fp_ieee_overflow 0
		.amdhsa_exception_fp_ieee_underflow 0
		.amdhsa_exception_fp_ieee_inexact 0
		.amdhsa_exception_int_div_zero 0
	.end_amdhsa_kernel
	.section	.text._Z39paged_attention_ll4mi_QKV_mfma16_kernelI14__hip_bfloat16hLN4vllm18Fp8KVCacheDataTypeE1EhLi16ELi128ELi256ELb1ELi6EEvPKT_PKT0_S8_ifPKiSA_SA_iPKfiiiPfSD_PS3_PT2_iSC_SC_,"axG",@progbits,_Z39paged_attention_ll4mi_QKV_mfma16_kernelI14__hip_bfloat16hLN4vllm18Fp8KVCacheDataTypeE1EhLi16ELi128ELi256ELb1ELi6EEvPKT_PKT0_S8_ifPKiSA_SA_iPKfiiiPfSD_PS3_PT2_iSC_SC_,comdat
.Lfunc_end1255:
	.size	_Z39paged_attention_ll4mi_QKV_mfma16_kernelI14__hip_bfloat16hLN4vllm18Fp8KVCacheDataTypeE1EhLi16ELi128ELi256ELb1ELi6EEvPKT_PKT0_S8_ifPKiSA_SA_iPKfiiiPfSD_PS3_PT2_iSC_SC_, .Lfunc_end1255-_Z39paged_attention_ll4mi_QKV_mfma16_kernelI14__hip_bfloat16hLN4vllm18Fp8KVCacheDataTypeE1EhLi16ELi128ELi256ELb1ELi6EEvPKT_PKT0_S8_ifPKiSA_SA_iPKfiiiPfSD_PS3_PT2_iSC_SC_
                                        ; -- End function
	.set _Z39paged_attention_ll4mi_QKV_mfma16_kernelI14__hip_bfloat16hLN4vllm18Fp8KVCacheDataTypeE1EhLi16ELi128ELi256ELb1ELi6EEvPKT_PKT0_S8_ifPKiSA_SA_iPKfiiiPfSD_PS3_PT2_iSC_SC_.num_vgpr, max(3, .L__assert_fail.num_vgpr)
	.set _Z39paged_attention_ll4mi_QKV_mfma16_kernelI14__hip_bfloat16hLN4vllm18Fp8KVCacheDataTypeE1EhLi16ELi128ELi256ELb1ELi6EEvPKT_PKT0_S8_ifPKiSA_SA_iPKfiiiPfSD_PS3_PT2_iSC_SC_.num_agpr, max(0, .L__assert_fail.num_agpr)
	.set _Z39paged_attention_ll4mi_QKV_mfma16_kernelI14__hip_bfloat16hLN4vllm18Fp8KVCacheDataTypeE1EhLi16ELi128ELi256ELb1ELi6EEvPKT_PKT0_S8_ifPKiSA_SA_iPKfiiiPfSD_PS3_PT2_iSC_SC_.numbered_sgpr, max(33, .L__assert_fail.numbered_sgpr)
	.set _Z39paged_attention_ll4mi_QKV_mfma16_kernelI14__hip_bfloat16hLN4vllm18Fp8KVCacheDataTypeE1EhLi16ELi128ELi256ELb1ELi6EEvPKT_PKT0_S8_ifPKiSA_SA_iPKfiiiPfSD_PS3_PT2_iSC_SC_.num_named_barrier, max(0, .L__assert_fail.num_named_barrier)
	.set _Z39paged_attention_ll4mi_QKV_mfma16_kernelI14__hip_bfloat16hLN4vllm18Fp8KVCacheDataTypeE1EhLi16ELi128ELi256ELb1ELi6EEvPKT_PKT0_S8_ifPKiSA_SA_iPKfiiiPfSD_PS3_PT2_iSC_SC_.private_seg_size, 0+max(.L__assert_fail.private_seg_size)
	.set _Z39paged_attention_ll4mi_QKV_mfma16_kernelI14__hip_bfloat16hLN4vllm18Fp8KVCacheDataTypeE1EhLi16ELi128ELi256ELb1ELi6EEvPKT_PKT0_S8_ifPKiSA_SA_iPKfiiiPfSD_PS3_PT2_iSC_SC_.uses_vcc, or(1, .L__assert_fail.uses_vcc)
	.set _Z39paged_attention_ll4mi_QKV_mfma16_kernelI14__hip_bfloat16hLN4vllm18Fp8KVCacheDataTypeE1EhLi16ELi128ELi256ELb1ELi6EEvPKT_PKT0_S8_ifPKiSA_SA_iPKfiiiPfSD_PS3_PT2_iSC_SC_.uses_flat_scratch, or(0, .L__assert_fail.uses_flat_scratch)
	.set _Z39paged_attention_ll4mi_QKV_mfma16_kernelI14__hip_bfloat16hLN4vllm18Fp8KVCacheDataTypeE1EhLi16ELi128ELi256ELb1ELi6EEvPKT_PKT0_S8_ifPKiSA_SA_iPKfiiiPfSD_PS3_PT2_iSC_SC_.has_dyn_sized_stack, or(0, .L__assert_fail.has_dyn_sized_stack)
	.set _Z39paged_attention_ll4mi_QKV_mfma16_kernelI14__hip_bfloat16hLN4vllm18Fp8KVCacheDataTypeE1EhLi16ELi128ELi256ELb1ELi6EEvPKT_PKT0_S8_ifPKiSA_SA_iPKfiiiPfSD_PS3_PT2_iSC_SC_.has_recursion, or(0, .L__assert_fail.has_recursion)
	.set _Z39paged_attention_ll4mi_QKV_mfma16_kernelI14__hip_bfloat16hLN4vllm18Fp8KVCacheDataTypeE1EhLi16ELi128ELi256ELb1ELi6EEvPKT_PKT0_S8_ifPKiSA_SA_iPKfiiiPfSD_PS3_PT2_iSC_SC_.has_indirect_call, or(0, .L__assert_fail.has_indirect_call)
	.section	.AMDGPU.csdata,"",@progbits
; Kernel info:
; codeLenInByte = 68
; TotalNumSgprs: 36
; NumVgprs: 51
; ScratchSize: 64
; MemoryBound: 0
; FloatMode: 240
; IeeeMode: 1
; LDSByteSize: 0 bytes/workgroup (compile time only)
; SGPRBlocks: 0
; VGPRBlocks: 3
; NumSGPRsForWavesPerEU: 36
; NumVGPRsForWavesPerEU: 51
; NamedBarCnt: 0
; Occupancy: 16
; WaveLimiterHint : 1
; COMPUTE_PGM_RSRC2:SCRATCH_EN: 1
; COMPUTE_PGM_RSRC2:USER_SGPR: 2
; COMPUTE_PGM_RSRC2:TRAP_HANDLER: 0
; COMPUTE_PGM_RSRC2:TGID_X_EN: 1
; COMPUTE_PGM_RSRC2:TGID_Y_EN: 0
; COMPUTE_PGM_RSRC2:TGID_Z_EN: 0
; COMPUTE_PGM_RSRC2:TIDIG_COMP_CNT: 0
	.section	.text._Z39paged_attention_ll4mi_QKV_mfma16_kernelI14__hip_bfloat16hLN4vllm18Fp8KVCacheDataTypeE1EhLi16ELi128ELi256ELb1ELi7EEvPKT_PKT0_S8_ifPKiSA_SA_iPKfiiiPfSD_PS3_PT2_iSC_SC_,"axG",@progbits,_Z39paged_attention_ll4mi_QKV_mfma16_kernelI14__hip_bfloat16hLN4vllm18Fp8KVCacheDataTypeE1EhLi16ELi128ELi256ELb1ELi7EEvPKT_PKT0_S8_ifPKiSA_SA_iPKfiiiPfSD_PS3_PT2_iSC_SC_,comdat
	.protected	_Z39paged_attention_ll4mi_QKV_mfma16_kernelI14__hip_bfloat16hLN4vllm18Fp8KVCacheDataTypeE1EhLi16ELi128ELi256ELb1ELi7EEvPKT_PKT0_S8_ifPKiSA_SA_iPKfiiiPfSD_PS3_PT2_iSC_SC_ ; -- Begin function _Z39paged_attention_ll4mi_QKV_mfma16_kernelI14__hip_bfloat16hLN4vllm18Fp8KVCacheDataTypeE1EhLi16ELi128ELi256ELb1ELi7EEvPKT_PKT0_S8_ifPKiSA_SA_iPKfiiiPfSD_PS3_PT2_iSC_SC_
	.globl	_Z39paged_attention_ll4mi_QKV_mfma16_kernelI14__hip_bfloat16hLN4vllm18Fp8KVCacheDataTypeE1EhLi16ELi128ELi256ELb1ELi7EEvPKT_PKT0_S8_ifPKiSA_SA_iPKfiiiPfSD_PS3_PT2_iSC_SC_
	.p2align	8
	.type	_Z39paged_attention_ll4mi_QKV_mfma16_kernelI14__hip_bfloat16hLN4vllm18Fp8KVCacheDataTypeE1EhLi16ELi128ELi256ELb1ELi7EEvPKT_PKT0_S8_ifPKiSA_SA_iPKfiiiPfSD_PS3_PT2_iSC_SC_,@function
_Z39paged_attention_ll4mi_QKV_mfma16_kernelI14__hip_bfloat16hLN4vllm18Fp8KVCacheDataTypeE1EhLi16ELi128ELi256ELb1ELi7EEvPKT_PKT0_S8_ifPKiSA_SA_iPKfiiiPfSD_PS3_PT2_iSC_SC_: ; @_Z39paged_attention_ll4mi_QKV_mfma16_kernelI14__hip_bfloat16hLN4vllm18Fp8KVCacheDataTypeE1EhLi16ELi128ELi256ELb1ELi7EEvPKT_PKT0_S8_ifPKiSA_SA_iPKfiiiPfSD_PS3_PT2_iSC_SC_
; %bb.0:
	s_get_pc_i64 s[2:3]
	s_add_nc_u64 s[2:3], s[2:3], __PRETTY_FUNCTION__._Z39paged_attention_ll4mi_QKV_mfma16_kernelI14__hip_bfloat16hLN4vllm18Fp8KVCacheDataTypeE1EhLi16ELi128ELi256ELb1ELi7EEvPKT_PKT0_S8_ifPKiSA_SA_iPKfiiiPfSD_PS3_PT2_iSC_SC_@rel64+4
	s_delay_alu instid0(SALU_CYCLE_1)
	v_dual_mov_b32 v0, 0xbb3 :: v_dual_mov_b32 v1, s2
	v_mov_b32_e32 v2, s3
	s_add_nc_u64 s[8:9], s[0:1], 0x90
	s_get_pc_i64 s[0:1]
	s_add_nc_u64 s[0:1], s[0:1], __assert_fail@rel64+4
	s_mov_b32 s32, 0
	s_swap_pc_i64 s[30:31], s[0:1]
	.section	.rodata,"a",@progbits
	.p2align	6, 0x0
	.amdhsa_kernel _Z39paged_attention_ll4mi_QKV_mfma16_kernelI14__hip_bfloat16hLN4vllm18Fp8KVCacheDataTypeE1EhLi16ELi128ELi256ELb1ELi7EEvPKT_PKT0_S8_ifPKiSA_SA_iPKfiiiPfSD_PS3_PT2_iSC_SC_
		.amdhsa_group_segment_fixed_size 0
		.amdhsa_private_segment_fixed_size 64
		.amdhsa_kernarg_size 400
		.amdhsa_user_sgpr_count 2
		.amdhsa_user_sgpr_dispatch_ptr 0
		.amdhsa_user_sgpr_queue_ptr 0
		.amdhsa_user_sgpr_kernarg_segment_ptr 1
		.amdhsa_user_sgpr_dispatch_id 0
		.amdhsa_user_sgpr_kernarg_preload_length 0
		.amdhsa_user_sgpr_kernarg_preload_offset 0
		.amdhsa_user_sgpr_private_segment_size 0
		.amdhsa_wavefront_size32 1
		.amdhsa_uses_dynamic_stack 0
		.amdhsa_enable_private_segment 1
		.amdhsa_system_sgpr_workgroup_id_x 1
		.amdhsa_system_sgpr_workgroup_id_y 0
		.amdhsa_system_sgpr_workgroup_id_z 0
		.amdhsa_system_sgpr_workgroup_info 0
		.amdhsa_system_vgpr_workitem_id 0
		.amdhsa_next_free_vgpr 51
		.amdhsa_next_free_sgpr 34
		.amdhsa_named_barrier_count 0
		.amdhsa_reserve_vcc 1
		.amdhsa_float_round_mode_32 0
		.amdhsa_float_round_mode_16_64 0
		.amdhsa_float_denorm_mode_32 3
		.amdhsa_float_denorm_mode_16_64 3
		.amdhsa_fp16_overflow 0
		.amdhsa_memory_ordered 1
		.amdhsa_forward_progress 1
		.amdhsa_inst_pref_size 1
		.amdhsa_round_robin_scheduling 0
		.amdhsa_exception_fp_ieee_invalid_op 0
		.amdhsa_exception_fp_denorm_src 0
		.amdhsa_exception_fp_ieee_div_zero 0
		.amdhsa_exception_fp_ieee_overflow 0
		.amdhsa_exception_fp_ieee_underflow 0
		.amdhsa_exception_fp_ieee_inexact 0
		.amdhsa_exception_int_div_zero 0
	.end_amdhsa_kernel
	.section	.text._Z39paged_attention_ll4mi_QKV_mfma16_kernelI14__hip_bfloat16hLN4vllm18Fp8KVCacheDataTypeE1EhLi16ELi128ELi256ELb1ELi7EEvPKT_PKT0_S8_ifPKiSA_SA_iPKfiiiPfSD_PS3_PT2_iSC_SC_,"axG",@progbits,_Z39paged_attention_ll4mi_QKV_mfma16_kernelI14__hip_bfloat16hLN4vllm18Fp8KVCacheDataTypeE1EhLi16ELi128ELi256ELb1ELi7EEvPKT_PKT0_S8_ifPKiSA_SA_iPKfiiiPfSD_PS3_PT2_iSC_SC_,comdat
.Lfunc_end1256:
	.size	_Z39paged_attention_ll4mi_QKV_mfma16_kernelI14__hip_bfloat16hLN4vllm18Fp8KVCacheDataTypeE1EhLi16ELi128ELi256ELb1ELi7EEvPKT_PKT0_S8_ifPKiSA_SA_iPKfiiiPfSD_PS3_PT2_iSC_SC_, .Lfunc_end1256-_Z39paged_attention_ll4mi_QKV_mfma16_kernelI14__hip_bfloat16hLN4vllm18Fp8KVCacheDataTypeE1EhLi16ELi128ELi256ELb1ELi7EEvPKT_PKT0_S8_ifPKiSA_SA_iPKfiiiPfSD_PS3_PT2_iSC_SC_
                                        ; -- End function
	.set _Z39paged_attention_ll4mi_QKV_mfma16_kernelI14__hip_bfloat16hLN4vllm18Fp8KVCacheDataTypeE1EhLi16ELi128ELi256ELb1ELi7EEvPKT_PKT0_S8_ifPKiSA_SA_iPKfiiiPfSD_PS3_PT2_iSC_SC_.num_vgpr, max(3, .L__assert_fail.num_vgpr)
	.set _Z39paged_attention_ll4mi_QKV_mfma16_kernelI14__hip_bfloat16hLN4vllm18Fp8KVCacheDataTypeE1EhLi16ELi128ELi256ELb1ELi7EEvPKT_PKT0_S8_ifPKiSA_SA_iPKfiiiPfSD_PS3_PT2_iSC_SC_.num_agpr, max(0, .L__assert_fail.num_agpr)
	.set _Z39paged_attention_ll4mi_QKV_mfma16_kernelI14__hip_bfloat16hLN4vllm18Fp8KVCacheDataTypeE1EhLi16ELi128ELi256ELb1ELi7EEvPKT_PKT0_S8_ifPKiSA_SA_iPKfiiiPfSD_PS3_PT2_iSC_SC_.numbered_sgpr, max(33, .L__assert_fail.numbered_sgpr)
	.set _Z39paged_attention_ll4mi_QKV_mfma16_kernelI14__hip_bfloat16hLN4vllm18Fp8KVCacheDataTypeE1EhLi16ELi128ELi256ELb1ELi7EEvPKT_PKT0_S8_ifPKiSA_SA_iPKfiiiPfSD_PS3_PT2_iSC_SC_.num_named_barrier, max(0, .L__assert_fail.num_named_barrier)
	.set _Z39paged_attention_ll4mi_QKV_mfma16_kernelI14__hip_bfloat16hLN4vllm18Fp8KVCacheDataTypeE1EhLi16ELi128ELi256ELb1ELi7EEvPKT_PKT0_S8_ifPKiSA_SA_iPKfiiiPfSD_PS3_PT2_iSC_SC_.private_seg_size, 0+max(.L__assert_fail.private_seg_size)
	.set _Z39paged_attention_ll4mi_QKV_mfma16_kernelI14__hip_bfloat16hLN4vllm18Fp8KVCacheDataTypeE1EhLi16ELi128ELi256ELb1ELi7EEvPKT_PKT0_S8_ifPKiSA_SA_iPKfiiiPfSD_PS3_PT2_iSC_SC_.uses_vcc, or(1, .L__assert_fail.uses_vcc)
	.set _Z39paged_attention_ll4mi_QKV_mfma16_kernelI14__hip_bfloat16hLN4vllm18Fp8KVCacheDataTypeE1EhLi16ELi128ELi256ELb1ELi7EEvPKT_PKT0_S8_ifPKiSA_SA_iPKfiiiPfSD_PS3_PT2_iSC_SC_.uses_flat_scratch, or(0, .L__assert_fail.uses_flat_scratch)
	.set _Z39paged_attention_ll4mi_QKV_mfma16_kernelI14__hip_bfloat16hLN4vllm18Fp8KVCacheDataTypeE1EhLi16ELi128ELi256ELb1ELi7EEvPKT_PKT0_S8_ifPKiSA_SA_iPKfiiiPfSD_PS3_PT2_iSC_SC_.has_dyn_sized_stack, or(0, .L__assert_fail.has_dyn_sized_stack)
	.set _Z39paged_attention_ll4mi_QKV_mfma16_kernelI14__hip_bfloat16hLN4vllm18Fp8KVCacheDataTypeE1EhLi16ELi128ELi256ELb1ELi7EEvPKT_PKT0_S8_ifPKiSA_SA_iPKfiiiPfSD_PS3_PT2_iSC_SC_.has_recursion, or(0, .L__assert_fail.has_recursion)
	.set _Z39paged_attention_ll4mi_QKV_mfma16_kernelI14__hip_bfloat16hLN4vllm18Fp8KVCacheDataTypeE1EhLi16ELi128ELi256ELb1ELi7EEvPKT_PKT0_S8_ifPKiSA_SA_iPKfiiiPfSD_PS3_PT2_iSC_SC_.has_indirect_call, or(0, .L__assert_fail.has_indirect_call)
	.section	.AMDGPU.csdata,"",@progbits
; Kernel info:
; codeLenInByte = 68
; TotalNumSgprs: 36
; NumVgprs: 51
; ScratchSize: 64
; MemoryBound: 0
; FloatMode: 240
; IeeeMode: 1
; LDSByteSize: 0 bytes/workgroup (compile time only)
; SGPRBlocks: 0
; VGPRBlocks: 3
; NumSGPRsForWavesPerEU: 36
; NumVGPRsForWavesPerEU: 51
; NamedBarCnt: 0
; Occupancy: 16
; WaveLimiterHint : 1
; COMPUTE_PGM_RSRC2:SCRATCH_EN: 1
; COMPUTE_PGM_RSRC2:USER_SGPR: 2
; COMPUTE_PGM_RSRC2:TRAP_HANDLER: 0
; COMPUTE_PGM_RSRC2:TGID_X_EN: 1
; COMPUTE_PGM_RSRC2:TGID_Y_EN: 0
; COMPUTE_PGM_RSRC2:TGID_Z_EN: 0
; COMPUTE_PGM_RSRC2:TIDIG_COMP_CNT: 0
	.section	.text._Z39paged_attention_ll4mi_QKV_mfma16_kernelI14__hip_bfloat16hLN4vllm18Fp8KVCacheDataTypeE1EhLi16ELi128ELi256ELb1ELi8EEvPKT_PKT0_S8_ifPKiSA_SA_iPKfiiiPfSD_PS3_PT2_iSC_SC_,"axG",@progbits,_Z39paged_attention_ll4mi_QKV_mfma16_kernelI14__hip_bfloat16hLN4vllm18Fp8KVCacheDataTypeE1EhLi16ELi128ELi256ELb1ELi8EEvPKT_PKT0_S8_ifPKiSA_SA_iPKfiiiPfSD_PS3_PT2_iSC_SC_,comdat
	.protected	_Z39paged_attention_ll4mi_QKV_mfma16_kernelI14__hip_bfloat16hLN4vllm18Fp8KVCacheDataTypeE1EhLi16ELi128ELi256ELb1ELi8EEvPKT_PKT0_S8_ifPKiSA_SA_iPKfiiiPfSD_PS3_PT2_iSC_SC_ ; -- Begin function _Z39paged_attention_ll4mi_QKV_mfma16_kernelI14__hip_bfloat16hLN4vllm18Fp8KVCacheDataTypeE1EhLi16ELi128ELi256ELb1ELi8EEvPKT_PKT0_S8_ifPKiSA_SA_iPKfiiiPfSD_PS3_PT2_iSC_SC_
	.globl	_Z39paged_attention_ll4mi_QKV_mfma16_kernelI14__hip_bfloat16hLN4vllm18Fp8KVCacheDataTypeE1EhLi16ELi128ELi256ELb1ELi8EEvPKT_PKT0_S8_ifPKiSA_SA_iPKfiiiPfSD_PS3_PT2_iSC_SC_
	.p2align	8
	.type	_Z39paged_attention_ll4mi_QKV_mfma16_kernelI14__hip_bfloat16hLN4vllm18Fp8KVCacheDataTypeE1EhLi16ELi128ELi256ELb1ELi8EEvPKT_PKT0_S8_ifPKiSA_SA_iPKfiiiPfSD_PS3_PT2_iSC_SC_,@function
_Z39paged_attention_ll4mi_QKV_mfma16_kernelI14__hip_bfloat16hLN4vllm18Fp8KVCacheDataTypeE1EhLi16ELi128ELi256ELb1ELi8EEvPKT_PKT0_S8_ifPKiSA_SA_iPKfiiiPfSD_PS3_PT2_iSC_SC_: ; @_Z39paged_attention_ll4mi_QKV_mfma16_kernelI14__hip_bfloat16hLN4vllm18Fp8KVCacheDataTypeE1EhLi16ELi128ELi256ELb1ELi8EEvPKT_PKT0_S8_ifPKiSA_SA_iPKfiiiPfSD_PS3_PT2_iSC_SC_
; %bb.0:
	s_get_pc_i64 s[2:3]
	s_add_nc_u64 s[2:3], s[2:3], __PRETTY_FUNCTION__._Z39paged_attention_ll4mi_QKV_mfma16_kernelI14__hip_bfloat16hLN4vllm18Fp8KVCacheDataTypeE1EhLi16ELi128ELi256ELb1ELi8EEvPKT_PKT0_S8_ifPKiSA_SA_iPKfiiiPfSD_PS3_PT2_iSC_SC_@rel64+4
	s_delay_alu instid0(SALU_CYCLE_1)
	v_dual_mov_b32 v0, 0xbb3 :: v_dual_mov_b32 v1, s2
	v_mov_b32_e32 v2, s3
	s_add_nc_u64 s[8:9], s[0:1], 0x90
	s_get_pc_i64 s[0:1]
	s_add_nc_u64 s[0:1], s[0:1], __assert_fail@rel64+4
	s_mov_b32 s32, 0
	s_swap_pc_i64 s[30:31], s[0:1]
	.section	.rodata,"a",@progbits
	.p2align	6, 0x0
	.amdhsa_kernel _Z39paged_attention_ll4mi_QKV_mfma16_kernelI14__hip_bfloat16hLN4vllm18Fp8KVCacheDataTypeE1EhLi16ELi128ELi256ELb1ELi8EEvPKT_PKT0_S8_ifPKiSA_SA_iPKfiiiPfSD_PS3_PT2_iSC_SC_
		.amdhsa_group_segment_fixed_size 0
		.amdhsa_private_segment_fixed_size 64
		.amdhsa_kernarg_size 400
		.amdhsa_user_sgpr_count 2
		.amdhsa_user_sgpr_dispatch_ptr 0
		.amdhsa_user_sgpr_queue_ptr 0
		.amdhsa_user_sgpr_kernarg_segment_ptr 1
		.amdhsa_user_sgpr_dispatch_id 0
		.amdhsa_user_sgpr_kernarg_preload_length 0
		.amdhsa_user_sgpr_kernarg_preload_offset 0
		.amdhsa_user_sgpr_private_segment_size 0
		.amdhsa_wavefront_size32 1
		.amdhsa_uses_dynamic_stack 0
		.amdhsa_enable_private_segment 1
		.amdhsa_system_sgpr_workgroup_id_x 1
		.amdhsa_system_sgpr_workgroup_id_y 0
		.amdhsa_system_sgpr_workgroup_id_z 0
		.amdhsa_system_sgpr_workgroup_info 0
		.amdhsa_system_vgpr_workitem_id 0
		.amdhsa_next_free_vgpr 51
		.amdhsa_next_free_sgpr 34
		.amdhsa_named_barrier_count 0
		.amdhsa_reserve_vcc 1
		.amdhsa_float_round_mode_32 0
		.amdhsa_float_round_mode_16_64 0
		.amdhsa_float_denorm_mode_32 3
		.amdhsa_float_denorm_mode_16_64 3
		.amdhsa_fp16_overflow 0
		.amdhsa_memory_ordered 1
		.amdhsa_forward_progress 1
		.amdhsa_inst_pref_size 1
		.amdhsa_round_robin_scheduling 0
		.amdhsa_exception_fp_ieee_invalid_op 0
		.amdhsa_exception_fp_denorm_src 0
		.amdhsa_exception_fp_ieee_div_zero 0
		.amdhsa_exception_fp_ieee_overflow 0
		.amdhsa_exception_fp_ieee_underflow 0
		.amdhsa_exception_fp_ieee_inexact 0
		.amdhsa_exception_int_div_zero 0
	.end_amdhsa_kernel
	.section	.text._Z39paged_attention_ll4mi_QKV_mfma16_kernelI14__hip_bfloat16hLN4vllm18Fp8KVCacheDataTypeE1EhLi16ELi128ELi256ELb1ELi8EEvPKT_PKT0_S8_ifPKiSA_SA_iPKfiiiPfSD_PS3_PT2_iSC_SC_,"axG",@progbits,_Z39paged_attention_ll4mi_QKV_mfma16_kernelI14__hip_bfloat16hLN4vllm18Fp8KVCacheDataTypeE1EhLi16ELi128ELi256ELb1ELi8EEvPKT_PKT0_S8_ifPKiSA_SA_iPKfiiiPfSD_PS3_PT2_iSC_SC_,comdat
.Lfunc_end1257:
	.size	_Z39paged_attention_ll4mi_QKV_mfma16_kernelI14__hip_bfloat16hLN4vllm18Fp8KVCacheDataTypeE1EhLi16ELi128ELi256ELb1ELi8EEvPKT_PKT0_S8_ifPKiSA_SA_iPKfiiiPfSD_PS3_PT2_iSC_SC_, .Lfunc_end1257-_Z39paged_attention_ll4mi_QKV_mfma16_kernelI14__hip_bfloat16hLN4vllm18Fp8KVCacheDataTypeE1EhLi16ELi128ELi256ELb1ELi8EEvPKT_PKT0_S8_ifPKiSA_SA_iPKfiiiPfSD_PS3_PT2_iSC_SC_
                                        ; -- End function
	.set _Z39paged_attention_ll4mi_QKV_mfma16_kernelI14__hip_bfloat16hLN4vllm18Fp8KVCacheDataTypeE1EhLi16ELi128ELi256ELb1ELi8EEvPKT_PKT0_S8_ifPKiSA_SA_iPKfiiiPfSD_PS3_PT2_iSC_SC_.num_vgpr, max(3, .L__assert_fail.num_vgpr)
	.set _Z39paged_attention_ll4mi_QKV_mfma16_kernelI14__hip_bfloat16hLN4vllm18Fp8KVCacheDataTypeE1EhLi16ELi128ELi256ELb1ELi8EEvPKT_PKT0_S8_ifPKiSA_SA_iPKfiiiPfSD_PS3_PT2_iSC_SC_.num_agpr, max(0, .L__assert_fail.num_agpr)
	.set _Z39paged_attention_ll4mi_QKV_mfma16_kernelI14__hip_bfloat16hLN4vllm18Fp8KVCacheDataTypeE1EhLi16ELi128ELi256ELb1ELi8EEvPKT_PKT0_S8_ifPKiSA_SA_iPKfiiiPfSD_PS3_PT2_iSC_SC_.numbered_sgpr, max(33, .L__assert_fail.numbered_sgpr)
	.set _Z39paged_attention_ll4mi_QKV_mfma16_kernelI14__hip_bfloat16hLN4vllm18Fp8KVCacheDataTypeE1EhLi16ELi128ELi256ELb1ELi8EEvPKT_PKT0_S8_ifPKiSA_SA_iPKfiiiPfSD_PS3_PT2_iSC_SC_.num_named_barrier, max(0, .L__assert_fail.num_named_barrier)
	.set _Z39paged_attention_ll4mi_QKV_mfma16_kernelI14__hip_bfloat16hLN4vllm18Fp8KVCacheDataTypeE1EhLi16ELi128ELi256ELb1ELi8EEvPKT_PKT0_S8_ifPKiSA_SA_iPKfiiiPfSD_PS3_PT2_iSC_SC_.private_seg_size, 0+max(.L__assert_fail.private_seg_size)
	.set _Z39paged_attention_ll4mi_QKV_mfma16_kernelI14__hip_bfloat16hLN4vllm18Fp8KVCacheDataTypeE1EhLi16ELi128ELi256ELb1ELi8EEvPKT_PKT0_S8_ifPKiSA_SA_iPKfiiiPfSD_PS3_PT2_iSC_SC_.uses_vcc, or(1, .L__assert_fail.uses_vcc)
	.set _Z39paged_attention_ll4mi_QKV_mfma16_kernelI14__hip_bfloat16hLN4vllm18Fp8KVCacheDataTypeE1EhLi16ELi128ELi256ELb1ELi8EEvPKT_PKT0_S8_ifPKiSA_SA_iPKfiiiPfSD_PS3_PT2_iSC_SC_.uses_flat_scratch, or(0, .L__assert_fail.uses_flat_scratch)
	.set _Z39paged_attention_ll4mi_QKV_mfma16_kernelI14__hip_bfloat16hLN4vllm18Fp8KVCacheDataTypeE1EhLi16ELi128ELi256ELb1ELi8EEvPKT_PKT0_S8_ifPKiSA_SA_iPKfiiiPfSD_PS3_PT2_iSC_SC_.has_dyn_sized_stack, or(0, .L__assert_fail.has_dyn_sized_stack)
	.set _Z39paged_attention_ll4mi_QKV_mfma16_kernelI14__hip_bfloat16hLN4vllm18Fp8KVCacheDataTypeE1EhLi16ELi128ELi256ELb1ELi8EEvPKT_PKT0_S8_ifPKiSA_SA_iPKfiiiPfSD_PS3_PT2_iSC_SC_.has_recursion, or(0, .L__assert_fail.has_recursion)
	.set _Z39paged_attention_ll4mi_QKV_mfma16_kernelI14__hip_bfloat16hLN4vllm18Fp8KVCacheDataTypeE1EhLi16ELi128ELi256ELb1ELi8EEvPKT_PKT0_S8_ifPKiSA_SA_iPKfiiiPfSD_PS3_PT2_iSC_SC_.has_indirect_call, or(0, .L__assert_fail.has_indirect_call)
	.section	.AMDGPU.csdata,"",@progbits
; Kernel info:
; codeLenInByte = 68
; TotalNumSgprs: 36
; NumVgprs: 51
; ScratchSize: 64
; MemoryBound: 0
; FloatMode: 240
; IeeeMode: 1
; LDSByteSize: 0 bytes/workgroup (compile time only)
; SGPRBlocks: 0
; VGPRBlocks: 3
; NumSGPRsForWavesPerEU: 36
; NumVGPRsForWavesPerEU: 51
; NamedBarCnt: 0
; Occupancy: 16
; WaveLimiterHint : 1
; COMPUTE_PGM_RSRC2:SCRATCH_EN: 1
; COMPUTE_PGM_RSRC2:USER_SGPR: 2
; COMPUTE_PGM_RSRC2:TRAP_HANDLER: 0
; COMPUTE_PGM_RSRC2:TGID_X_EN: 1
; COMPUTE_PGM_RSRC2:TGID_Y_EN: 0
; COMPUTE_PGM_RSRC2:TGID_Z_EN: 0
; COMPUTE_PGM_RSRC2:TIDIG_COMP_CNT: 0
	.section	.text._Z39paged_attention_ll4mi_QKV_mfma16_kernelI14__hip_bfloat16hLN4vllm18Fp8KVCacheDataTypeE1EhLi16ELi128ELi256ELb1ELi9EEvPKT_PKT0_S8_ifPKiSA_SA_iPKfiiiPfSD_PS3_PT2_iSC_SC_,"axG",@progbits,_Z39paged_attention_ll4mi_QKV_mfma16_kernelI14__hip_bfloat16hLN4vllm18Fp8KVCacheDataTypeE1EhLi16ELi128ELi256ELb1ELi9EEvPKT_PKT0_S8_ifPKiSA_SA_iPKfiiiPfSD_PS3_PT2_iSC_SC_,comdat
	.protected	_Z39paged_attention_ll4mi_QKV_mfma16_kernelI14__hip_bfloat16hLN4vllm18Fp8KVCacheDataTypeE1EhLi16ELi128ELi256ELb1ELi9EEvPKT_PKT0_S8_ifPKiSA_SA_iPKfiiiPfSD_PS3_PT2_iSC_SC_ ; -- Begin function _Z39paged_attention_ll4mi_QKV_mfma16_kernelI14__hip_bfloat16hLN4vllm18Fp8KVCacheDataTypeE1EhLi16ELi128ELi256ELb1ELi9EEvPKT_PKT0_S8_ifPKiSA_SA_iPKfiiiPfSD_PS3_PT2_iSC_SC_
	.globl	_Z39paged_attention_ll4mi_QKV_mfma16_kernelI14__hip_bfloat16hLN4vllm18Fp8KVCacheDataTypeE1EhLi16ELi128ELi256ELb1ELi9EEvPKT_PKT0_S8_ifPKiSA_SA_iPKfiiiPfSD_PS3_PT2_iSC_SC_
	.p2align	8
	.type	_Z39paged_attention_ll4mi_QKV_mfma16_kernelI14__hip_bfloat16hLN4vllm18Fp8KVCacheDataTypeE1EhLi16ELi128ELi256ELb1ELi9EEvPKT_PKT0_S8_ifPKiSA_SA_iPKfiiiPfSD_PS3_PT2_iSC_SC_,@function
_Z39paged_attention_ll4mi_QKV_mfma16_kernelI14__hip_bfloat16hLN4vllm18Fp8KVCacheDataTypeE1EhLi16ELi128ELi256ELb1ELi9EEvPKT_PKT0_S8_ifPKiSA_SA_iPKfiiiPfSD_PS3_PT2_iSC_SC_: ; @_Z39paged_attention_ll4mi_QKV_mfma16_kernelI14__hip_bfloat16hLN4vllm18Fp8KVCacheDataTypeE1EhLi16ELi128ELi256ELb1ELi9EEvPKT_PKT0_S8_ifPKiSA_SA_iPKfiiiPfSD_PS3_PT2_iSC_SC_
; %bb.0:
	s_get_pc_i64 s[2:3]
	s_add_nc_u64 s[2:3], s[2:3], __PRETTY_FUNCTION__._Z39paged_attention_ll4mi_QKV_mfma16_kernelI14__hip_bfloat16hLN4vllm18Fp8KVCacheDataTypeE1EhLi16ELi128ELi256ELb1ELi9EEvPKT_PKT0_S8_ifPKiSA_SA_iPKfiiiPfSD_PS3_PT2_iSC_SC_@rel64+4
	s_delay_alu instid0(SALU_CYCLE_1)
	v_dual_mov_b32 v0, 0xbb3 :: v_dual_mov_b32 v1, s2
	v_mov_b32_e32 v2, s3
	s_add_nc_u64 s[8:9], s[0:1], 0x90
	s_get_pc_i64 s[0:1]
	s_add_nc_u64 s[0:1], s[0:1], __assert_fail@rel64+4
	s_mov_b32 s32, 0
	s_swap_pc_i64 s[30:31], s[0:1]
	.section	.rodata,"a",@progbits
	.p2align	6, 0x0
	.amdhsa_kernel _Z39paged_attention_ll4mi_QKV_mfma16_kernelI14__hip_bfloat16hLN4vllm18Fp8KVCacheDataTypeE1EhLi16ELi128ELi256ELb1ELi9EEvPKT_PKT0_S8_ifPKiSA_SA_iPKfiiiPfSD_PS3_PT2_iSC_SC_
		.amdhsa_group_segment_fixed_size 0
		.amdhsa_private_segment_fixed_size 64
		.amdhsa_kernarg_size 400
		.amdhsa_user_sgpr_count 2
		.amdhsa_user_sgpr_dispatch_ptr 0
		.amdhsa_user_sgpr_queue_ptr 0
		.amdhsa_user_sgpr_kernarg_segment_ptr 1
		.amdhsa_user_sgpr_dispatch_id 0
		.amdhsa_user_sgpr_kernarg_preload_length 0
		.amdhsa_user_sgpr_kernarg_preload_offset 0
		.amdhsa_user_sgpr_private_segment_size 0
		.amdhsa_wavefront_size32 1
		.amdhsa_uses_dynamic_stack 0
		.amdhsa_enable_private_segment 1
		.amdhsa_system_sgpr_workgroup_id_x 1
		.amdhsa_system_sgpr_workgroup_id_y 0
		.amdhsa_system_sgpr_workgroup_id_z 0
		.amdhsa_system_sgpr_workgroup_info 0
		.amdhsa_system_vgpr_workitem_id 0
		.amdhsa_next_free_vgpr 51
		.amdhsa_next_free_sgpr 34
		.amdhsa_named_barrier_count 0
		.amdhsa_reserve_vcc 1
		.amdhsa_float_round_mode_32 0
		.amdhsa_float_round_mode_16_64 0
		.amdhsa_float_denorm_mode_32 3
		.amdhsa_float_denorm_mode_16_64 3
		.amdhsa_fp16_overflow 0
		.amdhsa_memory_ordered 1
		.amdhsa_forward_progress 1
		.amdhsa_inst_pref_size 1
		.amdhsa_round_robin_scheduling 0
		.amdhsa_exception_fp_ieee_invalid_op 0
		.amdhsa_exception_fp_denorm_src 0
		.amdhsa_exception_fp_ieee_div_zero 0
		.amdhsa_exception_fp_ieee_overflow 0
		.amdhsa_exception_fp_ieee_underflow 0
		.amdhsa_exception_fp_ieee_inexact 0
		.amdhsa_exception_int_div_zero 0
	.end_amdhsa_kernel
	.section	.text._Z39paged_attention_ll4mi_QKV_mfma16_kernelI14__hip_bfloat16hLN4vllm18Fp8KVCacheDataTypeE1EhLi16ELi128ELi256ELb1ELi9EEvPKT_PKT0_S8_ifPKiSA_SA_iPKfiiiPfSD_PS3_PT2_iSC_SC_,"axG",@progbits,_Z39paged_attention_ll4mi_QKV_mfma16_kernelI14__hip_bfloat16hLN4vllm18Fp8KVCacheDataTypeE1EhLi16ELi128ELi256ELb1ELi9EEvPKT_PKT0_S8_ifPKiSA_SA_iPKfiiiPfSD_PS3_PT2_iSC_SC_,comdat
.Lfunc_end1258:
	.size	_Z39paged_attention_ll4mi_QKV_mfma16_kernelI14__hip_bfloat16hLN4vllm18Fp8KVCacheDataTypeE1EhLi16ELi128ELi256ELb1ELi9EEvPKT_PKT0_S8_ifPKiSA_SA_iPKfiiiPfSD_PS3_PT2_iSC_SC_, .Lfunc_end1258-_Z39paged_attention_ll4mi_QKV_mfma16_kernelI14__hip_bfloat16hLN4vllm18Fp8KVCacheDataTypeE1EhLi16ELi128ELi256ELb1ELi9EEvPKT_PKT0_S8_ifPKiSA_SA_iPKfiiiPfSD_PS3_PT2_iSC_SC_
                                        ; -- End function
	.set _Z39paged_attention_ll4mi_QKV_mfma16_kernelI14__hip_bfloat16hLN4vllm18Fp8KVCacheDataTypeE1EhLi16ELi128ELi256ELb1ELi9EEvPKT_PKT0_S8_ifPKiSA_SA_iPKfiiiPfSD_PS3_PT2_iSC_SC_.num_vgpr, max(3, .L__assert_fail.num_vgpr)
	.set _Z39paged_attention_ll4mi_QKV_mfma16_kernelI14__hip_bfloat16hLN4vllm18Fp8KVCacheDataTypeE1EhLi16ELi128ELi256ELb1ELi9EEvPKT_PKT0_S8_ifPKiSA_SA_iPKfiiiPfSD_PS3_PT2_iSC_SC_.num_agpr, max(0, .L__assert_fail.num_agpr)
	.set _Z39paged_attention_ll4mi_QKV_mfma16_kernelI14__hip_bfloat16hLN4vllm18Fp8KVCacheDataTypeE1EhLi16ELi128ELi256ELb1ELi9EEvPKT_PKT0_S8_ifPKiSA_SA_iPKfiiiPfSD_PS3_PT2_iSC_SC_.numbered_sgpr, max(33, .L__assert_fail.numbered_sgpr)
	.set _Z39paged_attention_ll4mi_QKV_mfma16_kernelI14__hip_bfloat16hLN4vllm18Fp8KVCacheDataTypeE1EhLi16ELi128ELi256ELb1ELi9EEvPKT_PKT0_S8_ifPKiSA_SA_iPKfiiiPfSD_PS3_PT2_iSC_SC_.num_named_barrier, max(0, .L__assert_fail.num_named_barrier)
	.set _Z39paged_attention_ll4mi_QKV_mfma16_kernelI14__hip_bfloat16hLN4vllm18Fp8KVCacheDataTypeE1EhLi16ELi128ELi256ELb1ELi9EEvPKT_PKT0_S8_ifPKiSA_SA_iPKfiiiPfSD_PS3_PT2_iSC_SC_.private_seg_size, 0+max(.L__assert_fail.private_seg_size)
	.set _Z39paged_attention_ll4mi_QKV_mfma16_kernelI14__hip_bfloat16hLN4vllm18Fp8KVCacheDataTypeE1EhLi16ELi128ELi256ELb1ELi9EEvPKT_PKT0_S8_ifPKiSA_SA_iPKfiiiPfSD_PS3_PT2_iSC_SC_.uses_vcc, or(1, .L__assert_fail.uses_vcc)
	.set _Z39paged_attention_ll4mi_QKV_mfma16_kernelI14__hip_bfloat16hLN4vllm18Fp8KVCacheDataTypeE1EhLi16ELi128ELi256ELb1ELi9EEvPKT_PKT0_S8_ifPKiSA_SA_iPKfiiiPfSD_PS3_PT2_iSC_SC_.uses_flat_scratch, or(0, .L__assert_fail.uses_flat_scratch)
	.set _Z39paged_attention_ll4mi_QKV_mfma16_kernelI14__hip_bfloat16hLN4vllm18Fp8KVCacheDataTypeE1EhLi16ELi128ELi256ELb1ELi9EEvPKT_PKT0_S8_ifPKiSA_SA_iPKfiiiPfSD_PS3_PT2_iSC_SC_.has_dyn_sized_stack, or(0, .L__assert_fail.has_dyn_sized_stack)
	.set _Z39paged_attention_ll4mi_QKV_mfma16_kernelI14__hip_bfloat16hLN4vllm18Fp8KVCacheDataTypeE1EhLi16ELi128ELi256ELb1ELi9EEvPKT_PKT0_S8_ifPKiSA_SA_iPKfiiiPfSD_PS3_PT2_iSC_SC_.has_recursion, or(0, .L__assert_fail.has_recursion)
	.set _Z39paged_attention_ll4mi_QKV_mfma16_kernelI14__hip_bfloat16hLN4vllm18Fp8KVCacheDataTypeE1EhLi16ELi128ELi256ELb1ELi9EEvPKT_PKT0_S8_ifPKiSA_SA_iPKfiiiPfSD_PS3_PT2_iSC_SC_.has_indirect_call, or(0, .L__assert_fail.has_indirect_call)
	.section	.AMDGPU.csdata,"",@progbits
; Kernel info:
; codeLenInByte = 68
; TotalNumSgprs: 36
; NumVgprs: 51
; ScratchSize: 64
; MemoryBound: 0
; FloatMode: 240
; IeeeMode: 1
; LDSByteSize: 0 bytes/workgroup (compile time only)
; SGPRBlocks: 0
; VGPRBlocks: 3
; NumSGPRsForWavesPerEU: 36
; NumVGPRsForWavesPerEU: 51
; NamedBarCnt: 0
; Occupancy: 16
; WaveLimiterHint : 1
; COMPUTE_PGM_RSRC2:SCRATCH_EN: 1
; COMPUTE_PGM_RSRC2:USER_SGPR: 2
; COMPUTE_PGM_RSRC2:TRAP_HANDLER: 0
; COMPUTE_PGM_RSRC2:TGID_X_EN: 1
; COMPUTE_PGM_RSRC2:TGID_Y_EN: 0
; COMPUTE_PGM_RSRC2:TGID_Z_EN: 0
; COMPUTE_PGM_RSRC2:TIDIG_COMP_CNT: 0
	.section	.text._Z39paged_attention_ll4mi_QKV_mfma16_kernelI14__hip_bfloat16hLN4vllm18Fp8KVCacheDataTypeE1EhLi16ELi128ELi256ELb1ELi10EEvPKT_PKT0_S8_ifPKiSA_SA_iPKfiiiPfSD_PS3_PT2_iSC_SC_,"axG",@progbits,_Z39paged_attention_ll4mi_QKV_mfma16_kernelI14__hip_bfloat16hLN4vllm18Fp8KVCacheDataTypeE1EhLi16ELi128ELi256ELb1ELi10EEvPKT_PKT0_S8_ifPKiSA_SA_iPKfiiiPfSD_PS3_PT2_iSC_SC_,comdat
	.protected	_Z39paged_attention_ll4mi_QKV_mfma16_kernelI14__hip_bfloat16hLN4vllm18Fp8KVCacheDataTypeE1EhLi16ELi128ELi256ELb1ELi10EEvPKT_PKT0_S8_ifPKiSA_SA_iPKfiiiPfSD_PS3_PT2_iSC_SC_ ; -- Begin function _Z39paged_attention_ll4mi_QKV_mfma16_kernelI14__hip_bfloat16hLN4vllm18Fp8KVCacheDataTypeE1EhLi16ELi128ELi256ELb1ELi10EEvPKT_PKT0_S8_ifPKiSA_SA_iPKfiiiPfSD_PS3_PT2_iSC_SC_
	.globl	_Z39paged_attention_ll4mi_QKV_mfma16_kernelI14__hip_bfloat16hLN4vllm18Fp8KVCacheDataTypeE1EhLi16ELi128ELi256ELb1ELi10EEvPKT_PKT0_S8_ifPKiSA_SA_iPKfiiiPfSD_PS3_PT2_iSC_SC_
	.p2align	8
	.type	_Z39paged_attention_ll4mi_QKV_mfma16_kernelI14__hip_bfloat16hLN4vllm18Fp8KVCacheDataTypeE1EhLi16ELi128ELi256ELb1ELi10EEvPKT_PKT0_S8_ifPKiSA_SA_iPKfiiiPfSD_PS3_PT2_iSC_SC_,@function
_Z39paged_attention_ll4mi_QKV_mfma16_kernelI14__hip_bfloat16hLN4vllm18Fp8KVCacheDataTypeE1EhLi16ELi128ELi256ELb1ELi10EEvPKT_PKT0_S8_ifPKiSA_SA_iPKfiiiPfSD_PS3_PT2_iSC_SC_: ; @_Z39paged_attention_ll4mi_QKV_mfma16_kernelI14__hip_bfloat16hLN4vllm18Fp8KVCacheDataTypeE1EhLi16ELi128ELi256ELb1ELi10EEvPKT_PKT0_S8_ifPKiSA_SA_iPKfiiiPfSD_PS3_PT2_iSC_SC_
; %bb.0:
	s_get_pc_i64 s[2:3]
	s_add_nc_u64 s[2:3], s[2:3], __PRETTY_FUNCTION__._Z39paged_attention_ll4mi_QKV_mfma16_kernelI14__hip_bfloat16hLN4vllm18Fp8KVCacheDataTypeE1EhLi16ELi128ELi256ELb1ELi10EEvPKT_PKT0_S8_ifPKiSA_SA_iPKfiiiPfSD_PS3_PT2_iSC_SC_@rel64+4
	s_delay_alu instid0(SALU_CYCLE_1)
	v_dual_mov_b32 v0, 0xbb3 :: v_dual_mov_b32 v1, s2
	v_mov_b32_e32 v2, s3
	s_add_nc_u64 s[8:9], s[0:1], 0x90
	s_get_pc_i64 s[0:1]
	s_add_nc_u64 s[0:1], s[0:1], __assert_fail@rel64+4
	s_mov_b32 s32, 0
	s_swap_pc_i64 s[30:31], s[0:1]
	.section	.rodata,"a",@progbits
	.p2align	6, 0x0
	.amdhsa_kernel _Z39paged_attention_ll4mi_QKV_mfma16_kernelI14__hip_bfloat16hLN4vllm18Fp8KVCacheDataTypeE1EhLi16ELi128ELi256ELb1ELi10EEvPKT_PKT0_S8_ifPKiSA_SA_iPKfiiiPfSD_PS3_PT2_iSC_SC_
		.amdhsa_group_segment_fixed_size 0
		.amdhsa_private_segment_fixed_size 64
		.amdhsa_kernarg_size 400
		.amdhsa_user_sgpr_count 2
		.amdhsa_user_sgpr_dispatch_ptr 0
		.amdhsa_user_sgpr_queue_ptr 0
		.amdhsa_user_sgpr_kernarg_segment_ptr 1
		.amdhsa_user_sgpr_dispatch_id 0
		.amdhsa_user_sgpr_kernarg_preload_length 0
		.amdhsa_user_sgpr_kernarg_preload_offset 0
		.amdhsa_user_sgpr_private_segment_size 0
		.amdhsa_wavefront_size32 1
		.amdhsa_uses_dynamic_stack 0
		.amdhsa_enable_private_segment 1
		.amdhsa_system_sgpr_workgroup_id_x 1
		.amdhsa_system_sgpr_workgroup_id_y 0
		.amdhsa_system_sgpr_workgroup_id_z 0
		.amdhsa_system_sgpr_workgroup_info 0
		.amdhsa_system_vgpr_workitem_id 0
		.amdhsa_next_free_vgpr 51
		.amdhsa_next_free_sgpr 34
		.amdhsa_named_barrier_count 0
		.amdhsa_reserve_vcc 1
		.amdhsa_float_round_mode_32 0
		.amdhsa_float_round_mode_16_64 0
		.amdhsa_float_denorm_mode_32 3
		.amdhsa_float_denorm_mode_16_64 3
		.amdhsa_fp16_overflow 0
		.amdhsa_memory_ordered 1
		.amdhsa_forward_progress 1
		.amdhsa_inst_pref_size 1
		.amdhsa_round_robin_scheduling 0
		.amdhsa_exception_fp_ieee_invalid_op 0
		.amdhsa_exception_fp_denorm_src 0
		.amdhsa_exception_fp_ieee_div_zero 0
		.amdhsa_exception_fp_ieee_overflow 0
		.amdhsa_exception_fp_ieee_underflow 0
		.amdhsa_exception_fp_ieee_inexact 0
		.amdhsa_exception_int_div_zero 0
	.end_amdhsa_kernel
	.section	.text._Z39paged_attention_ll4mi_QKV_mfma16_kernelI14__hip_bfloat16hLN4vllm18Fp8KVCacheDataTypeE1EhLi16ELi128ELi256ELb1ELi10EEvPKT_PKT0_S8_ifPKiSA_SA_iPKfiiiPfSD_PS3_PT2_iSC_SC_,"axG",@progbits,_Z39paged_attention_ll4mi_QKV_mfma16_kernelI14__hip_bfloat16hLN4vllm18Fp8KVCacheDataTypeE1EhLi16ELi128ELi256ELb1ELi10EEvPKT_PKT0_S8_ifPKiSA_SA_iPKfiiiPfSD_PS3_PT2_iSC_SC_,comdat
.Lfunc_end1259:
	.size	_Z39paged_attention_ll4mi_QKV_mfma16_kernelI14__hip_bfloat16hLN4vllm18Fp8KVCacheDataTypeE1EhLi16ELi128ELi256ELb1ELi10EEvPKT_PKT0_S8_ifPKiSA_SA_iPKfiiiPfSD_PS3_PT2_iSC_SC_, .Lfunc_end1259-_Z39paged_attention_ll4mi_QKV_mfma16_kernelI14__hip_bfloat16hLN4vllm18Fp8KVCacheDataTypeE1EhLi16ELi128ELi256ELb1ELi10EEvPKT_PKT0_S8_ifPKiSA_SA_iPKfiiiPfSD_PS3_PT2_iSC_SC_
                                        ; -- End function
	.set _Z39paged_attention_ll4mi_QKV_mfma16_kernelI14__hip_bfloat16hLN4vllm18Fp8KVCacheDataTypeE1EhLi16ELi128ELi256ELb1ELi10EEvPKT_PKT0_S8_ifPKiSA_SA_iPKfiiiPfSD_PS3_PT2_iSC_SC_.num_vgpr, max(3, .L__assert_fail.num_vgpr)
	.set _Z39paged_attention_ll4mi_QKV_mfma16_kernelI14__hip_bfloat16hLN4vllm18Fp8KVCacheDataTypeE1EhLi16ELi128ELi256ELb1ELi10EEvPKT_PKT0_S8_ifPKiSA_SA_iPKfiiiPfSD_PS3_PT2_iSC_SC_.num_agpr, max(0, .L__assert_fail.num_agpr)
	.set _Z39paged_attention_ll4mi_QKV_mfma16_kernelI14__hip_bfloat16hLN4vllm18Fp8KVCacheDataTypeE1EhLi16ELi128ELi256ELb1ELi10EEvPKT_PKT0_S8_ifPKiSA_SA_iPKfiiiPfSD_PS3_PT2_iSC_SC_.numbered_sgpr, max(33, .L__assert_fail.numbered_sgpr)
	.set _Z39paged_attention_ll4mi_QKV_mfma16_kernelI14__hip_bfloat16hLN4vllm18Fp8KVCacheDataTypeE1EhLi16ELi128ELi256ELb1ELi10EEvPKT_PKT0_S8_ifPKiSA_SA_iPKfiiiPfSD_PS3_PT2_iSC_SC_.num_named_barrier, max(0, .L__assert_fail.num_named_barrier)
	.set _Z39paged_attention_ll4mi_QKV_mfma16_kernelI14__hip_bfloat16hLN4vllm18Fp8KVCacheDataTypeE1EhLi16ELi128ELi256ELb1ELi10EEvPKT_PKT0_S8_ifPKiSA_SA_iPKfiiiPfSD_PS3_PT2_iSC_SC_.private_seg_size, 0+max(.L__assert_fail.private_seg_size)
	.set _Z39paged_attention_ll4mi_QKV_mfma16_kernelI14__hip_bfloat16hLN4vllm18Fp8KVCacheDataTypeE1EhLi16ELi128ELi256ELb1ELi10EEvPKT_PKT0_S8_ifPKiSA_SA_iPKfiiiPfSD_PS3_PT2_iSC_SC_.uses_vcc, or(1, .L__assert_fail.uses_vcc)
	.set _Z39paged_attention_ll4mi_QKV_mfma16_kernelI14__hip_bfloat16hLN4vllm18Fp8KVCacheDataTypeE1EhLi16ELi128ELi256ELb1ELi10EEvPKT_PKT0_S8_ifPKiSA_SA_iPKfiiiPfSD_PS3_PT2_iSC_SC_.uses_flat_scratch, or(0, .L__assert_fail.uses_flat_scratch)
	.set _Z39paged_attention_ll4mi_QKV_mfma16_kernelI14__hip_bfloat16hLN4vllm18Fp8KVCacheDataTypeE1EhLi16ELi128ELi256ELb1ELi10EEvPKT_PKT0_S8_ifPKiSA_SA_iPKfiiiPfSD_PS3_PT2_iSC_SC_.has_dyn_sized_stack, or(0, .L__assert_fail.has_dyn_sized_stack)
	.set _Z39paged_attention_ll4mi_QKV_mfma16_kernelI14__hip_bfloat16hLN4vllm18Fp8KVCacheDataTypeE1EhLi16ELi128ELi256ELb1ELi10EEvPKT_PKT0_S8_ifPKiSA_SA_iPKfiiiPfSD_PS3_PT2_iSC_SC_.has_recursion, or(0, .L__assert_fail.has_recursion)
	.set _Z39paged_attention_ll4mi_QKV_mfma16_kernelI14__hip_bfloat16hLN4vllm18Fp8KVCacheDataTypeE1EhLi16ELi128ELi256ELb1ELi10EEvPKT_PKT0_S8_ifPKiSA_SA_iPKfiiiPfSD_PS3_PT2_iSC_SC_.has_indirect_call, or(0, .L__assert_fail.has_indirect_call)
	.section	.AMDGPU.csdata,"",@progbits
; Kernel info:
; codeLenInByte = 68
; TotalNumSgprs: 36
; NumVgprs: 51
; ScratchSize: 64
; MemoryBound: 0
; FloatMode: 240
; IeeeMode: 1
; LDSByteSize: 0 bytes/workgroup (compile time only)
; SGPRBlocks: 0
; VGPRBlocks: 3
; NumSGPRsForWavesPerEU: 36
; NumVGPRsForWavesPerEU: 51
; NamedBarCnt: 0
; Occupancy: 16
; WaveLimiterHint : 1
; COMPUTE_PGM_RSRC2:SCRATCH_EN: 1
; COMPUTE_PGM_RSRC2:USER_SGPR: 2
; COMPUTE_PGM_RSRC2:TRAP_HANDLER: 0
; COMPUTE_PGM_RSRC2:TGID_X_EN: 1
; COMPUTE_PGM_RSRC2:TGID_Y_EN: 0
; COMPUTE_PGM_RSRC2:TGID_Z_EN: 0
; COMPUTE_PGM_RSRC2:TIDIG_COMP_CNT: 0
	.section	.text._Z39paged_attention_ll4mi_QKV_mfma16_kernelI14__hip_bfloat16hLN4vllm18Fp8KVCacheDataTypeE1EhLi16ELi128ELi256ELb1ELi11EEvPKT_PKT0_S8_ifPKiSA_SA_iPKfiiiPfSD_PS3_PT2_iSC_SC_,"axG",@progbits,_Z39paged_attention_ll4mi_QKV_mfma16_kernelI14__hip_bfloat16hLN4vllm18Fp8KVCacheDataTypeE1EhLi16ELi128ELi256ELb1ELi11EEvPKT_PKT0_S8_ifPKiSA_SA_iPKfiiiPfSD_PS3_PT2_iSC_SC_,comdat
	.protected	_Z39paged_attention_ll4mi_QKV_mfma16_kernelI14__hip_bfloat16hLN4vllm18Fp8KVCacheDataTypeE1EhLi16ELi128ELi256ELb1ELi11EEvPKT_PKT0_S8_ifPKiSA_SA_iPKfiiiPfSD_PS3_PT2_iSC_SC_ ; -- Begin function _Z39paged_attention_ll4mi_QKV_mfma16_kernelI14__hip_bfloat16hLN4vllm18Fp8KVCacheDataTypeE1EhLi16ELi128ELi256ELb1ELi11EEvPKT_PKT0_S8_ifPKiSA_SA_iPKfiiiPfSD_PS3_PT2_iSC_SC_
	.globl	_Z39paged_attention_ll4mi_QKV_mfma16_kernelI14__hip_bfloat16hLN4vllm18Fp8KVCacheDataTypeE1EhLi16ELi128ELi256ELb1ELi11EEvPKT_PKT0_S8_ifPKiSA_SA_iPKfiiiPfSD_PS3_PT2_iSC_SC_
	.p2align	8
	.type	_Z39paged_attention_ll4mi_QKV_mfma16_kernelI14__hip_bfloat16hLN4vllm18Fp8KVCacheDataTypeE1EhLi16ELi128ELi256ELb1ELi11EEvPKT_PKT0_S8_ifPKiSA_SA_iPKfiiiPfSD_PS3_PT2_iSC_SC_,@function
_Z39paged_attention_ll4mi_QKV_mfma16_kernelI14__hip_bfloat16hLN4vllm18Fp8KVCacheDataTypeE1EhLi16ELi128ELi256ELb1ELi11EEvPKT_PKT0_S8_ifPKiSA_SA_iPKfiiiPfSD_PS3_PT2_iSC_SC_: ; @_Z39paged_attention_ll4mi_QKV_mfma16_kernelI14__hip_bfloat16hLN4vllm18Fp8KVCacheDataTypeE1EhLi16ELi128ELi256ELb1ELi11EEvPKT_PKT0_S8_ifPKiSA_SA_iPKfiiiPfSD_PS3_PT2_iSC_SC_
; %bb.0:
	s_get_pc_i64 s[2:3]
	s_add_nc_u64 s[2:3], s[2:3], __PRETTY_FUNCTION__._Z39paged_attention_ll4mi_QKV_mfma16_kernelI14__hip_bfloat16hLN4vllm18Fp8KVCacheDataTypeE1EhLi16ELi128ELi256ELb1ELi11EEvPKT_PKT0_S8_ifPKiSA_SA_iPKfiiiPfSD_PS3_PT2_iSC_SC_@rel64+4
	s_delay_alu instid0(SALU_CYCLE_1)
	v_dual_mov_b32 v0, 0xbb3 :: v_dual_mov_b32 v1, s2
	v_mov_b32_e32 v2, s3
	s_add_nc_u64 s[8:9], s[0:1], 0x90
	s_get_pc_i64 s[0:1]
	s_add_nc_u64 s[0:1], s[0:1], __assert_fail@rel64+4
	s_mov_b32 s32, 0
	s_swap_pc_i64 s[30:31], s[0:1]
	.section	.rodata,"a",@progbits
	.p2align	6, 0x0
	.amdhsa_kernel _Z39paged_attention_ll4mi_QKV_mfma16_kernelI14__hip_bfloat16hLN4vllm18Fp8KVCacheDataTypeE1EhLi16ELi128ELi256ELb1ELi11EEvPKT_PKT0_S8_ifPKiSA_SA_iPKfiiiPfSD_PS3_PT2_iSC_SC_
		.amdhsa_group_segment_fixed_size 0
		.amdhsa_private_segment_fixed_size 64
		.amdhsa_kernarg_size 400
		.amdhsa_user_sgpr_count 2
		.amdhsa_user_sgpr_dispatch_ptr 0
		.amdhsa_user_sgpr_queue_ptr 0
		.amdhsa_user_sgpr_kernarg_segment_ptr 1
		.amdhsa_user_sgpr_dispatch_id 0
		.amdhsa_user_sgpr_kernarg_preload_length 0
		.amdhsa_user_sgpr_kernarg_preload_offset 0
		.amdhsa_user_sgpr_private_segment_size 0
		.amdhsa_wavefront_size32 1
		.amdhsa_uses_dynamic_stack 0
		.amdhsa_enable_private_segment 1
		.amdhsa_system_sgpr_workgroup_id_x 1
		.amdhsa_system_sgpr_workgroup_id_y 0
		.amdhsa_system_sgpr_workgroup_id_z 0
		.amdhsa_system_sgpr_workgroup_info 0
		.amdhsa_system_vgpr_workitem_id 0
		.amdhsa_next_free_vgpr 51
		.amdhsa_next_free_sgpr 34
		.amdhsa_named_barrier_count 0
		.amdhsa_reserve_vcc 1
		.amdhsa_float_round_mode_32 0
		.amdhsa_float_round_mode_16_64 0
		.amdhsa_float_denorm_mode_32 3
		.amdhsa_float_denorm_mode_16_64 3
		.amdhsa_fp16_overflow 0
		.amdhsa_memory_ordered 1
		.amdhsa_forward_progress 1
		.amdhsa_inst_pref_size 1
		.amdhsa_round_robin_scheduling 0
		.amdhsa_exception_fp_ieee_invalid_op 0
		.amdhsa_exception_fp_denorm_src 0
		.amdhsa_exception_fp_ieee_div_zero 0
		.amdhsa_exception_fp_ieee_overflow 0
		.amdhsa_exception_fp_ieee_underflow 0
		.amdhsa_exception_fp_ieee_inexact 0
		.amdhsa_exception_int_div_zero 0
	.end_amdhsa_kernel
	.section	.text._Z39paged_attention_ll4mi_QKV_mfma16_kernelI14__hip_bfloat16hLN4vllm18Fp8KVCacheDataTypeE1EhLi16ELi128ELi256ELb1ELi11EEvPKT_PKT0_S8_ifPKiSA_SA_iPKfiiiPfSD_PS3_PT2_iSC_SC_,"axG",@progbits,_Z39paged_attention_ll4mi_QKV_mfma16_kernelI14__hip_bfloat16hLN4vllm18Fp8KVCacheDataTypeE1EhLi16ELi128ELi256ELb1ELi11EEvPKT_PKT0_S8_ifPKiSA_SA_iPKfiiiPfSD_PS3_PT2_iSC_SC_,comdat
.Lfunc_end1260:
	.size	_Z39paged_attention_ll4mi_QKV_mfma16_kernelI14__hip_bfloat16hLN4vllm18Fp8KVCacheDataTypeE1EhLi16ELi128ELi256ELb1ELi11EEvPKT_PKT0_S8_ifPKiSA_SA_iPKfiiiPfSD_PS3_PT2_iSC_SC_, .Lfunc_end1260-_Z39paged_attention_ll4mi_QKV_mfma16_kernelI14__hip_bfloat16hLN4vllm18Fp8KVCacheDataTypeE1EhLi16ELi128ELi256ELb1ELi11EEvPKT_PKT0_S8_ifPKiSA_SA_iPKfiiiPfSD_PS3_PT2_iSC_SC_
                                        ; -- End function
	.set _Z39paged_attention_ll4mi_QKV_mfma16_kernelI14__hip_bfloat16hLN4vllm18Fp8KVCacheDataTypeE1EhLi16ELi128ELi256ELb1ELi11EEvPKT_PKT0_S8_ifPKiSA_SA_iPKfiiiPfSD_PS3_PT2_iSC_SC_.num_vgpr, max(3, .L__assert_fail.num_vgpr)
	.set _Z39paged_attention_ll4mi_QKV_mfma16_kernelI14__hip_bfloat16hLN4vllm18Fp8KVCacheDataTypeE1EhLi16ELi128ELi256ELb1ELi11EEvPKT_PKT0_S8_ifPKiSA_SA_iPKfiiiPfSD_PS3_PT2_iSC_SC_.num_agpr, max(0, .L__assert_fail.num_agpr)
	.set _Z39paged_attention_ll4mi_QKV_mfma16_kernelI14__hip_bfloat16hLN4vllm18Fp8KVCacheDataTypeE1EhLi16ELi128ELi256ELb1ELi11EEvPKT_PKT0_S8_ifPKiSA_SA_iPKfiiiPfSD_PS3_PT2_iSC_SC_.numbered_sgpr, max(33, .L__assert_fail.numbered_sgpr)
	.set _Z39paged_attention_ll4mi_QKV_mfma16_kernelI14__hip_bfloat16hLN4vllm18Fp8KVCacheDataTypeE1EhLi16ELi128ELi256ELb1ELi11EEvPKT_PKT0_S8_ifPKiSA_SA_iPKfiiiPfSD_PS3_PT2_iSC_SC_.num_named_barrier, max(0, .L__assert_fail.num_named_barrier)
	.set _Z39paged_attention_ll4mi_QKV_mfma16_kernelI14__hip_bfloat16hLN4vllm18Fp8KVCacheDataTypeE1EhLi16ELi128ELi256ELb1ELi11EEvPKT_PKT0_S8_ifPKiSA_SA_iPKfiiiPfSD_PS3_PT2_iSC_SC_.private_seg_size, 0+max(.L__assert_fail.private_seg_size)
	.set _Z39paged_attention_ll4mi_QKV_mfma16_kernelI14__hip_bfloat16hLN4vllm18Fp8KVCacheDataTypeE1EhLi16ELi128ELi256ELb1ELi11EEvPKT_PKT0_S8_ifPKiSA_SA_iPKfiiiPfSD_PS3_PT2_iSC_SC_.uses_vcc, or(1, .L__assert_fail.uses_vcc)
	.set _Z39paged_attention_ll4mi_QKV_mfma16_kernelI14__hip_bfloat16hLN4vllm18Fp8KVCacheDataTypeE1EhLi16ELi128ELi256ELb1ELi11EEvPKT_PKT0_S8_ifPKiSA_SA_iPKfiiiPfSD_PS3_PT2_iSC_SC_.uses_flat_scratch, or(0, .L__assert_fail.uses_flat_scratch)
	.set _Z39paged_attention_ll4mi_QKV_mfma16_kernelI14__hip_bfloat16hLN4vllm18Fp8KVCacheDataTypeE1EhLi16ELi128ELi256ELb1ELi11EEvPKT_PKT0_S8_ifPKiSA_SA_iPKfiiiPfSD_PS3_PT2_iSC_SC_.has_dyn_sized_stack, or(0, .L__assert_fail.has_dyn_sized_stack)
	.set _Z39paged_attention_ll4mi_QKV_mfma16_kernelI14__hip_bfloat16hLN4vllm18Fp8KVCacheDataTypeE1EhLi16ELi128ELi256ELb1ELi11EEvPKT_PKT0_S8_ifPKiSA_SA_iPKfiiiPfSD_PS3_PT2_iSC_SC_.has_recursion, or(0, .L__assert_fail.has_recursion)
	.set _Z39paged_attention_ll4mi_QKV_mfma16_kernelI14__hip_bfloat16hLN4vllm18Fp8KVCacheDataTypeE1EhLi16ELi128ELi256ELb1ELi11EEvPKT_PKT0_S8_ifPKiSA_SA_iPKfiiiPfSD_PS3_PT2_iSC_SC_.has_indirect_call, or(0, .L__assert_fail.has_indirect_call)
	.section	.AMDGPU.csdata,"",@progbits
; Kernel info:
; codeLenInByte = 68
; TotalNumSgprs: 36
; NumVgprs: 51
; ScratchSize: 64
; MemoryBound: 0
; FloatMode: 240
; IeeeMode: 1
; LDSByteSize: 0 bytes/workgroup (compile time only)
; SGPRBlocks: 0
; VGPRBlocks: 3
; NumSGPRsForWavesPerEU: 36
; NumVGPRsForWavesPerEU: 51
; NamedBarCnt: 0
; Occupancy: 16
; WaveLimiterHint : 1
; COMPUTE_PGM_RSRC2:SCRATCH_EN: 1
; COMPUTE_PGM_RSRC2:USER_SGPR: 2
; COMPUTE_PGM_RSRC2:TRAP_HANDLER: 0
; COMPUTE_PGM_RSRC2:TGID_X_EN: 1
; COMPUTE_PGM_RSRC2:TGID_Y_EN: 0
; COMPUTE_PGM_RSRC2:TGID_Z_EN: 0
; COMPUTE_PGM_RSRC2:TIDIG_COMP_CNT: 0
	.section	.text._Z39paged_attention_ll4mi_QKV_mfma16_kernelI14__hip_bfloat16hLN4vllm18Fp8KVCacheDataTypeE1EhLi16ELi128ELi256ELb1ELi12EEvPKT_PKT0_S8_ifPKiSA_SA_iPKfiiiPfSD_PS3_PT2_iSC_SC_,"axG",@progbits,_Z39paged_attention_ll4mi_QKV_mfma16_kernelI14__hip_bfloat16hLN4vllm18Fp8KVCacheDataTypeE1EhLi16ELi128ELi256ELb1ELi12EEvPKT_PKT0_S8_ifPKiSA_SA_iPKfiiiPfSD_PS3_PT2_iSC_SC_,comdat
	.protected	_Z39paged_attention_ll4mi_QKV_mfma16_kernelI14__hip_bfloat16hLN4vllm18Fp8KVCacheDataTypeE1EhLi16ELi128ELi256ELb1ELi12EEvPKT_PKT0_S8_ifPKiSA_SA_iPKfiiiPfSD_PS3_PT2_iSC_SC_ ; -- Begin function _Z39paged_attention_ll4mi_QKV_mfma16_kernelI14__hip_bfloat16hLN4vllm18Fp8KVCacheDataTypeE1EhLi16ELi128ELi256ELb1ELi12EEvPKT_PKT0_S8_ifPKiSA_SA_iPKfiiiPfSD_PS3_PT2_iSC_SC_
	.globl	_Z39paged_attention_ll4mi_QKV_mfma16_kernelI14__hip_bfloat16hLN4vllm18Fp8KVCacheDataTypeE1EhLi16ELi128ELi256ELb1ELi12EEvPKT_PKT0_S8_ifPKiSA_SA_iPKfiiiPfSD_PS3_PT2_iSC_SC_
	.p2align	8
	.type	_Z39paged_attention_ll4mi_QKV_mfma16_kernelI14__hip_bfloat16hLN4vllm18Fp8KVCacheDataTypeE1EhLi16ELi128ELi256ELb1ELi12EEvPKT_PKT0_S8_ifPKiSA_SA_iPKfiiiPfSD_PS3_PT2_iSC_SC_,@function
_Z39paged_attention_ll4mi_QKV_mfma16_kernelI14__hip_bfloat16hLN4vllm18Fp8KVCacheDataTypeE1EhLi16ELi128ELi256ELb1ELi12EEvPKT_PKT0_S8_ifPKiSA_SA_iPKfiiiPfSD_PS3_PT2_iSC_SC_: ; @_Z39paged_attention_ll4mi_QKV_mfma16_kernelI14__hip_bfloat16hLN4vllm18Fp8KVCacheDataTypeE1EhLi16ELi128ELi256ELb1ELi12EEvPKT_PKT0_S8_ifPKiSA_SA_iPKfiiiPfSD_PS3_PT2_iSC_SC_
; %bb.0:
	s_get_pc_i64 s[2:3]
	s_add_nc_u64 s[2:3], s[2:3], __PRETTY_FUNCTION__._Z39paged_attention_ll4mi_QKV_mfma16_kernelI14__hip_bfloat16hLN4vllm18Fp8KVCacheDataTypeE1EhLi16ELi128ELi256ELb1ELi12EEvPKT_PKT0_S8_ifPKiSA_SA_iPKfiiiPfSD_PS3_PT2_iSC_SC_@rel64+4
	s_delay_alu instid0(SALU_CYCLE_1)
	v_dual_mov_b32 v0, 0xbb3 :: v_dual_mov_b32 v1, s2
	v_mov_b32_e32 v2, s3
	s_add_nc_u64 s[8:9], s[0:1], 0x90
	s_get_pc_i64 s[0:1]
	s_add_nc_u64 s[0:1], s[0:1], __assert_fail@rel64+4
	s_mov_b32 s32, 0
	s_swap_pc_i64 s[30:31], s[0:1]
	.section	.rodata,"a",@progbits
	.p2align	6, 0x0
	.amdhsa_kernel _Z39paged_attention_ll4mi_QKV_mfma16_kernelI14__hip_bfloat16hLN4vllm18Fp8KVCacheDataTypeE1EhLi16ELi128ELi256ELb1ELi12EEvPKT_PKT0_S8_ifPKiSA_SA_iPKfiiiPfSD_PS3_PT2_iSC_SC_
		.amdhsa_group_segment_fixed_size 0
		.amdhsa_private_segment_fixed_size 64
		.amdhsa_kernarg_size 400
		.amdhsa_user_sgpr_count 2
		.amdhsa_user_sgpr_dispatch_ptr 0
		.amdhsa_user_sgpr_queue_ptr 0
		.amdhsa_user_sgpr_kernarg_segment_ptr 1
		.amdhsa_user_sgpr_dispatch_id 0
		.amdhsa_user_sgpr_kernarg_preload_length 0
		.amdhsa_user_sgpr_kernarg_preload_offset 0
		.amdhsa_user_sgpr_private_segment_size 0
		.amdhsa_wavefront_size32 1
		.amdhsa_uses_dynamic_stack 0
		.amdhsa_enable_private_segment 1
		.amdhsa_system_sgpr_workgroup_id_x 1
		.amdhsa_system_sgpr_workgroup_id_y 0
		.amdhsa_system_sgpr_workgroup_id_z 0
		.amdhsa_system_sgpr_workgroup_info 0
		.amdhsa_system_vgpr_workitem_id 0
		.amdhsa_next_free_vgpr 51
		.amdhsa_next_free_sgpr 34
		.amdhsa_named_barrier_count 0
		.amdhsa_reserve_vcc 1
		.amdhsa_float_round_mode_32 0
		.amdhsa_float_round_mode_16_64 0
		.amdhsa_float_denorm_mode_32 3
		.amdhsa_float_denorm_mode_16_64 3
		.amdhsa_fp16_overflow 0
		.amdhsa_memory_ordered 1
		.amdhsa_forward_progress 1
		.amdhsa_inst_pref_size 1
		.amdhsa_round_robin_scheduling 0
		.amdhsa_exception_fp_ieee_invalid_op 0
		.amdhsa_exception_fp_denorm_src 0
		.amdhsa_exception_fp_ieee_div_zero 0
		.amdhsa_exception_fp_ieee_overflow 0
		.amdhsa_exception_fp_ieee_underflow 0
		.amdhsa_exception_fp_ieee_inexact 0
		.amdhsa_exception_int_div_zero 0
	.end_amdhsa_kernel
	.section	.text._Z39paged_attention_ll4mi_QKV_mfma16_kernelI14__hip_bfloat16hLN4vllm18Fp8KVCacheDataTypeE1EhLi16ELi128ELi256ELb1ELi12EEvPKT_PKT0_S8_ifPKiSA_SA_iPKfiiiPfSD_PS3_PT2_iSC_SC_,"axG",@progbits,_Z39paged_attention_ll4mi_QKV_mfma16_kernelI14__hip_bfloat16hLN4vllm18Fp8KVCacheDataTypeE1EhLi16ELi128ELi256ELb1ELi12EEvPKT_PKT0_S8_ifPKiSA_SA_iPKfiiiPfSD_PS3_PT2_iSC_SC_,comdat
.Lfunc_end1261:
	.size	_Z39paged_attention_ll4mi_QKV_mfma16_kernelI14__hip_bfloat16hLN4vllm18Fp8KVCacheDataTypeE1EhLi16ELi128ELi256ELb1ELi12EEvPKT_PKT0_S8_ifPKiSA_SA_iPKfiiiPfSD_PS3_PT2_iSC_SC_, .Lfunc_end1261-_Z39paged_attention_ll4mi_QKV_mfma16_kernelI14__hip_bfloat16hLN4vllm18Fp8KVCacheDataTypeE1EhLi16ELi128ELi256ELb1ELi12EEvPKT_PKT0_S8_ifPKiSA_SA_iPKfiiiPfSD_PS3_PT2_iSC_SC_
                                        ; -- End function
	.set _Z39paged_attention_ll4mi_QKV_mfma16_kernelI14__hip_bfloat16hLN4vllm18Fp8KVCacheDataTypeE1EhLi16ELi128ELi256ELb1ELi12EEvPKT_PKT0_S8_ifPKiSA_SA_iPKfiiiPfSD_PS3_PT2_iSC_SC_.num_vgpr, max(3, .L__assert_fail.num_vgpr)
	.set _Z39paged_attention_ll4mi_QKV_mfma16_kernelI14__hip_bfloat16hLN4vllm18Fp8KVCacheDataTypeE1EhLi16ELi128ELi256ELb1ELi12EEvPKT_PKT0_S8_ifPKiSA_SA_iPKfiiiPfSD_PS3_PT2_iSC_SC_.num_agpr, max(0, .L__assert_fail.num_agpr)
	.set _Z39paged_attention_ll4mi_QKV_mfma16_kernelI14__hip_bfloat16hLN4vllm18Fp8KVCacheDataTypeE1EhLi16ELi128ELi256ELb1ELi12EEvPKT_PKT0_S8_ifPKiSA_SA_iPKfiiiPfSD_PS3_PT2_iSC_SC_.numbered_sgpr, max(33, .L__assert_fail.numbered_sgpr)
	.set _Z39paged_attention_ll4mi_QKV_mfma16_kernelI14__hip_bfloat16hLN4vllm18Fp8KVCacheDataTypeE1EhLi16ELi128ELi256ELb1ELi12EEvPKT_PKT0_S8_ifPKiSA_SA_iPKfiiiPfSD_PS3_PT2_iSC_SC_.num_named_barrier, max(0, .L__assert_fail.num_named_barrier)
	.set _Z39paged_attention_ll4mi_QKV_mfma16_kernelI14__hip_bfloat16hLN4vllm18Fp8KVCacheDataTypeE1EhLi16ELi128ELi256ELb1ELi12EEvPKT_PKT0_S8_ifPKiSA_SA_iPKfiiiPfSD_PS3_PT2_iSC_SC_.private_seg_size, 0+max(.L__assert_fail.private_seg_size)
	.set _Z39paged_attention_ll4mi_QKV_mfma16_kernelI14__hip_bfloat16hLN4vllm18Fp8KVCacheDataTypeE1EhLi16ELi128ELi256ELb1ELi12EEvPKT_PKT0_S8_ifPKiSA_SA_iPKfiiiPfSD_PS3_PT2_iSC_SC_.uses_vcc, or(1, .L__assert_fail.uses_vcc)
	.set _Z39paged_attention_ll4mi_QKV_mfma16_kernelI14__hip_bfloat16hLN4vllm18Fp8KVCacheDataTypeE1EhLi16ELi128ELi256ELb1ELi12EEvPKT_PKT0_S8_ifPKiSA_SA_iPKfiiiPfSD_PS3_PT2_iSC_SC_.uses_flat_scratch, or(0, .L__assert_fail.uses_flat_scratch)
	.set _Z39paged_attention_ll4mi_QKV_mfma16_kernelI14__hip_bfloat16hLN4vllm18Fp8KVCacheDataTypeE1EhLi16ELi128ELi256ELb1ELi12EEvPKT_PKT0_S8_ifPKiSA_SA_iPKfiiiPfSD_PS3_PT2_iSC_SC_.has_dyn_sized_stack, or(0, .L__assert_fail.has_dyn_sized_stack)
	.set _Z39paged_attention_ll4mi_QKV_mfma16_kernelI14__hip_bfloat16hLN4vllm18Fp8KVCacheDataTypeE1EhLi16ELi128ELi256ELb1ELi12EEvPKT_PKT0_S8_ifPKiSA_SA_iPKfiiiPfSD_PS3_PT2_iSC_SC_.has_recursion, or(0, .L__assert_fail.has_recursion)
	.set _Z39paged_attention_ll4mi_QKV_mfma16_kernelI14__hip_bfloat16hLN4vllm18Fp8KVCacheDataTypeE1EhLi16ELi128ELi256ELb1ELi12EEvPKT_PKT0_S8_ifPKiSA_SA_iPKfiiiPfSD_PS3_PT2_iSC_SC_.has_indirect_call, or(0, .L__assert_fail.has_indirect_call)
	.section	.AMDGPU.csdata,"",@progbits
; Kernel info:
; codeLenInByte = 68
; TotalNumSgprs: 36
; NumVgprs: 51
; ScratchSize: 64
; MemoryBound: 0
; FloatMode: 240
; IeeeMode: 1
; LDSByteSize: 0 bytes/workgroup (compile time only)
; SGPRBlocks: 0
; VGPRBlocks: 3
; NumSGPRsForWavesPerEU: 36
; NumVGPRsForWavesPerEU: 51
; NamedBarCnt: 0
; Occupancy: 16
; WaveLimiterHint : 1
; COMPUTE_PGM_RSRC2:SCRATCH_EN: 1
; COMPUTE_PGM_RSRC2:USER_SGPR: 2
; COMPUTE_PGM_RSRC2:TRAP_HANDLER: 0
; COMPUTE_PGM_RSRC2:TGID_X_EN: 1
; COMPUTE_PGM_RSRC2:TGID_Y_EN: 0
; COMPUTE_PGM_RSRC2:TGID_Z_EN: 0
; COMPUTE_PGM_RSRC2:TIDIG_COMP_CNT: 0
	.section	.text._Z39paged_attention_ll4mi_QKV_mfma16_kernelI14__hip_bfloat16hLN4vllm18Fp8KVCacheDataTypeE1EhLi16ELi128ELi256ELb1ELi13EEvPKT_PKT0_S8_ifPKiSA_SA_iPKfiiiPfSD_PS3_PT2_iSC_SC_,"axG",@progbits,_Z39paged_attention_ll4mi_QKV_mfma16_kernelI14__hip_bfloat16hLN4vllm18Fp8KVCacheDataTypeE1EhLi16ELi128ELi256ELb1ELi13EEvPKT_PKT0_S8_ifPKiSA_SA_iPKfiiiPfSD_PS3_PT2_iSC_SC_,comdat
	.protected	_Z39paged_attention_ll4mi_QKV_mfma16_kernelI14__hip_bfloat16hLN4vllm18Fp8KVCacheDataTypeE1EhLi16ELi128ELi256ELb1ELi13EEvPKT_PKT0_S8_ifPKiSA_SA_iPKfiiiPfSD_PS3_PT2_iSC_SC_ ; -- Begin function _Z39paged_attention_ll4mi_QKV_mfma16_kernelI14__hip_bfloat16hLN4vllm18Fp8KVCacheDataTypeE1EhLi16ELi128ELi256ELb1ELi13EEvPKT_PKT0_S8_ifPKiSA_SA_iPKfiiiPfSD_PS3_PT2_iSC_SC_
	.globl	_Z39paged_attention_ll4mi_QKV_mfma16_kernelI14__hip_bfloat16hLN4vllm18Fp8KVCacheDataTypeE1EhLi16ELi128ELi256ELb1ELi13EEvPKT_PKT0_S8_ifPKiSA_SA_iPKfiiiPfSD_PS3_PT2_iSC_SC_
	.p2align	8
	.type	_Z39paged_attention_ll4mi_QKV_mfma16_kernelI14__hip_bfloat16hLN4vllm18Fp8KVCacheDataTypeE1EhLi16ELi128ELi256ELb1ELi13EEvPKT_PKT0_S8_ifPKiSA_SA_iPKfiiiPfSD_PS3_PT2_iSC_SC_,@function
_Z39paged_attention_ll4mi_QKV_mfma16_kernelI14__hip_bfloat16hLN4vllm18Fp8KVCacheDataTypeE1EhLi16ELi128ELi256ELb1ELi13EEvPKT_PKT0_S8_ifPKiSA_SA_iPKfiiiPfSD_PS3_PT2_iSC_SC_: ; @_Z39paged_attention_ll4mi_QKV_mfma16_kernelI14__hip_bfloat16hLN4vllm18Fp8KVCacheDataTypeE1EhLi16ELi128ELi256ELb1ELi13EEvPKT_PKT0_S8_ifPKiSA_SA_iPKfiiiPfSD_PS3_PT2_iSC_SC_
; %bb.0:
	s_get_pc_i64 s[2:3]
	s_add_nc_u64 s[2:3], s[2:3], __PRETTY_FUNCTION__._Z39paged_attention_ll4mi_QKV_mfma16_kernelI14__hip_bfloat16hLN4vllm18Fp8KVCacheDataTypeE1EhLi16ELi128ELi256ELb1ELi13EEvPKT_PKT0_S8_ifPKiSA_SA_iPKfiiiPfSD_PS3_PT2_iSC_SC_@rel64+4
	s_delay_alu instid0(SALU_CYCLE_1)
	v_dual_mov_b32 v0, 0xbb3 :: v_dual_mov_b32 v1, s2
	v_mov_b32_e32 v2, s3
	s_add_nc_u64 s[8:9], s[0:1], 0x90
	s_get_pc_i64 s[0:1]
	s_add_nc_u64 s[0:1], s[0:1], __assert_fail@rel64+4
	s_mov_b32 s32, 0
	s_swap_pc_i64 s[30:31], s[0:1]
	.section	.rodata,"a",@progbits
	.p2align	6, 0x0
	.amdhsa_kernel _Z39paged_attention_ll4mi_QKV_mfma16_kernelI14__hip_bfloat16hLN4vllm18Fp8KVCacheDataTypeE1EhLi16ELi128ELi256ELb1ELi13EEvPKT_PKT0_S8_ifPKiSA_SA_iPKfiiiPfSD_PS3_PT2_iSC_SC_
		.amdhsa_group_segment_fixed_size 0
		.amdhsa_private_segment_fixed_size 64
		.amdhsa_kernarg_size 400
		.amdhsa_user_sgpr_count 2
		.amdhsa_user_sgpr_dispatch_ptr 0
		.amdhsa_user_sgpr_queue_ptr 0
		.amdhsa_user_sgpr_kernarg_segment_ptr 1
		.amdhsa_user_sgpr_dispatch_id 0
		.amdhsa_user_sgpr_kernarg_preload_length 0
		.amdhsa_user_sgpr_kernarg_preload_offset 0
		.amdhsa_user_sgpr_private_segment_size 0
		.amdhsa_wavefront_size32 1
		.amdhsa_uses_dynamic_stack 0
		.amdhsa_enable_private_segment 1
		.amdhsa_system_sgpr_workgroup_id_x 1
		.amdhsa_system_sgpr_workgroup_id_y 0
		.amdhsa_system_sgpr_workgroup_id_z 0
		.amdhsa_system_sgpr_workgroup_info 0
		.amdhsa_system_vgpr_workitem_id 0
		.amdhsa_next_free_vgpr 51
		.amdhsa_next_free_sgpr 34
		.amdhsa_named_barrier_count 0
		.amdhsa_reserve_vcc 1
		.amdhsa_float_round_mode_32 0
		.amdhsa_float_round_mode_16_64 0
		.amdhsa_float_denorm_mode_32 3
		.amdhsa_float_denorm_mode_16_64 3
		.amdhsa_fp16_overflow 0
		.amdhsa_memory_ordered 1
		.amdhsa_forward_progress 1
		.amdhsa_inst_pref_size 1
		.amdhsa_round_robin_scheduling 0
		.amdhsa_exception_fp_ieee_invalid_op 0
		.amdhsa_exception_fp_denorm_src 0
		.amdhsa_exception_fp_ieee_div_zero 0
		.amdhsa_exception_fp_ieee_overflow 0
		.amdhsa_exception_fp_ieee_underflow 0
		.amdhsa_exception_fp_ieee_inexact 0
		.amdhsa_exception_int_div_zero 0
	.end_amdhsa_kernel
	.section	.text._Z39paged_attention_ll4mi_QKV_mfma16_kernelI14__hip_bfloat16hLN4vllm18Fp8KVCacheDataTypeE1EhLi16ELi128ELi256ELb1ELi13EEvPKT_PKT0_S8_ifPKiSA_SA_iPKfiiiPfSD_PS3_PT2_iSC_SC_,"axG",@progbits,_Z39paged_attention_ll4mi_QKV_mfma16_kernelI14__hip_bfloat16hLN4vllm18Fp8KVCacheDataTypeE1EhLi16ELi128ELi256ELb1ELi13EEvPKT_PKT0_S8_ifPKiSA_SA_iPKfiiiPfSD_PS3_PT2_iSC_SC_,comdat
.Lfunc_end1262:
	.size	_Z39paged_attention_ll4mi_QKV_mfma16_kernelI14__hip_bfloat16hLN4vllm18Fp8KVCacheDataTypeE1EhLi16ELi128ELi256ELb1ELi13EEvPKT_PKT0_S8_ifPKiSA_SA_iPKfiiiPfSD_PS3_PT2_iSC_SC_, .Lfunc_end1262-_Z39paged_attention_ll4mi_QKV_mfma16_kernelI14__hip_bfloat16hLN4vllm18Fp8KVCacheDataTypeE1EhLi16ELi128ELi256ELb1ELi13EEvPKT_PKT0_S8_ifPKiSA_SA_iPKfiiiPfSD_PS3_PT2_iSC_SC_
                                        ; -- End function
	.set _Z39paged_attention_ll4mi_QKV_mfma16_kernelI14__hip_bfloat16hLN4vllm18Fp8KVCacheDataTypeE1EhLi16ELi128ELi256ELb1ELi13EEvPKT_PKT0_S8_ifPKiSA_SA_iPKfiiiPfSD_PS3_PT2_iSC_SC_.num_vgpr, max(3, .L__assert_fail.num_vgpr)
	.set _Z39paged_attention_ll4mi_QKV_mfma16_kernelI14__hip_bfloat16hLN4vllm18Fp8KVCacheDataTypeE1EhLi16ELi128ELi256ELb1ELi13EEvPKT_PKT0_S8_ifPKiSA_SA_iPKfiiiPfSD_PS3_PT2_iSC_SC_.num_agpr, max(0, .L__assert_fail.num_agpr)
	.set _Z39paged_attention_ll4mi_QKV_mfma16_kernelI14__hip_bfloat16hLN4vllm18Fp8KVCacheDataTypeE1EhLi16ELi128ELi256ELb1ELi13EEvPKT_PKT0_S8_ifPKiSA_SA_iPKfiiiPfSD_PS3_PT2_iSC_SC_.numbered_sgpr, max(33, .L__assert_fail.numbered_sgpr)
	.set _Z39paged_attention_ll4mi_QKV_mfma16_kernelI14__hip_bfloat16hLN4vllm18Fp8KVCacheDataTypeE1EhLi16ELi128ELi256ELb1ELi13EEvPKT_PKT0_S8_ifPKiSA_SA_iPKfiiiPfSD_PS3_PT2_iSC_SC_.num_named_barrier, max(0, .L__assert_fail.num_named_barrier)
	.set _Z39paged_attention_ll4mi_QKV_mfma16_kernelI14__hip_bfloat16hLN4vllm18Fp8KVCacheDataTypeE1EhLi16ELi128ELi256ELb1ELi13EEvPKT_PKT0_S8_ifPKiSA_SA_iPKfiiiPfSD_PS3_PT2_iSC_SC_.private_seg_size, 0+max(.L__assert_fail.private_seg_size)
	.set _Z39paged_attention_ll4mi_QKV_mfma16_kernelI14__hip_bfloat16hLN4vllm18Fp8KVCacheDataTypeE1EhLi16ELi128ELi256ELb1ELi13EEvPKT_PKT0_S8_ifPKiSA_SA_iPKfiiiPfSD_PS3_PT2_iSC_SC_.uses_vcc, or(1, .L__assert_fail.uses_vcc)
	.set _Z39paged_attention_ll4mi_QKV_mfma16_kernelI14__hip_bfloat16hLN4vllm18Fp8KVCacheDataTypeE1EhLi16ELi128ELi256ELb1ELi13EEvPKT_PKT0_S8_ifPKiSA_SA_iPKfiiiPfSD_PS3_PT2_iSC_SC_.uses_flat_scratch, or(0, .L__assert_fail.uses_flat_scratch)
	.set _Z39paged_attention_ll4mi_QKV_mfma16_kernelI14__hip_bfloat16hLN4vllm18Fp8KVCacheDataTypeE1EhLi16ELi128ELi256ELb1ELi13EEvPKT_PKT0_S8_ifPKiSA_SA_iPKfiiiPfSD_PS3_PT2_iSC_SC_.has_dyn_sized_stack, or(0, .L__assert_fail.has_dyn_sized_stack)
	.set _Z39paged_attention_ll4mi_QKV_mfma16_kernelI14__hip_bfloat16hLN4vllm18Fp8KVCacheDataTypeE1EhLi16ELi128ELi256ELb1ELi13EEvPKT_PKT0_S8_ifPKiSA_SA_iPKfiiiPfSD_PS3_PT2_iSC_SC_.has_recursion, or(0, .L__assert_fail.has_recursion)
	.set _Z39paged_attention_ll4mi_QKV_mfma16_kernelI14__hip_bfloat16hLN4vllm18Fp8KVCacheDataTypeE1EhLi16ELi128ELi256ELb1ELi13EEvPKT_PKT0_S8_ifPKiSA_SA_iPKfiiiPfSD_PS3_PT2_iSC_SC_.has_indirect_call, or(0, .L__assert_fail.has_indirect_call)
	.section	.AMDGPU.csdata,"",@progbits
; Kernel info:
; codeLenInByte = 68
; TotalNumSgprs: 36
; NumVgprs: 51
; ScratchSize: 64
; MemoryBound: 0
; FloatMode: 240
; IeeeMode: 1
; LDSByteSize: 0 bytes/workgroup (compile time only)
; SGPRBlocks: 0
; VGPRBlocks: 3
; NumSGPRsForWavesPerEU: 36
; NumVGPRsForWavesPerEU: 51
; NamedBarCnt: 0
; Occupancy: 16
; WaveLimiterHint : 1
; COMPUTE_PGM_RSRC2:SCRATCH_EN: 1
; COMPUTE_PGM_RSRC2:USER_SGPR: 2
; COMPUTE_PGM_RSRC2:TRAP_HANDLER: 0
; COMPUTE_PGM_RSRC2:TGID_X_EN: 1
; COMPUTE_PGM_RSRC2:TGID_Y_EN: 0
; COMPUTE_PGM_RSRC2:TGID_Z_EN: 0
; COMPUTE_PGM_RSRC2:TIDIG_COMP_CNT: 0
	.section	.text._Z39paged_attention_ll4mi_QKV_mfma16_kernelI14__hip_bfloat16hLN4vllm18Fp8KVCacheDataTypeE1EhLi16ELi128ELi256ELb1ELi14EEvPKT_PKT0_S8_ifPKiSA_SA_iPKfiiiPfSD_PS3_PT2_iSC_SC_,"axG",@progbits,_Z39paged_attention_ll4mi_QKV_mfma16_kernelI14__hip_bfloat16hLN4vllm18Fp8KVCacheDataTypeE1EhLi16ELi128ELi256ELb1ELi14EEvPKT_PKT0_S8_ifPKiSA_SA_iPKfiiiPfSD_PS3_PT2_iSC_SC_,comdat
	.protected	_Z39paged_attention_ll4mi_QKV_mfma16_kernelI14__hip_bfloat16hLN4vllm18Fp8KVCacheDataTypeE1EhLi16ELi128ELi256ELb1ELi14EEvPKT_PKT0_S8_ifPKiSA_SA_iPKfiiiPfSD_PS3_PT2_iSC_SC_ ; -- Begin function _Z39paged_attention_ll4mi_QKV_mfma16_kernelI14__hip_bfloat16hLN4vllm18Fp8KVCacheDataTypeE1EhLi16ELi128ELi256ELb1ELi14EEvPKT_PKT0_S8_ifPKiSA_SA_iPKfiiiPfSD_PS3_PT2_iSC_SC_
	.globl	_Z39paged_attention_ll4mi_QKV_mfma16_kernelI14__hip_bfloat16hLN4vllm18Fp8KVCacheDataTypeE1EhLi16ELi128ELi256ELb1ELi14EEvPKT_PKT0_S8_ifPKiSA_SA_iPKfiiiPfSD_PS3_PT2_iSC_SC_
	.p2align	8
	.type	_Z39paged_attention_ll4mi_QKV_mfma16_kernelI14__hip_bfloat16hLN4vllm18Fp8KVCacheDataTypeE1EhLi16ELi128ELi256ELb1ELi14EEvPKT_PKT0_S8_ifPKiSA_SA_iPKfiiiPfSD_PS3_PT2_iSC_SC_,@function
_Z39paged_attention_ll4mi_QKV_mfma16_kernelI14__hip_bfloat16hLN4vllm18Fp8KVCacheDataTypeE1EhLi16ELi128ELi256ELb1ELi14EEvPKT_PKT0_S8_ifPKiSA_SA_iPKfiiiPfSD_PS3_PT2_iSC_SC_: ; @_Z39paged_attention_ll4mi_QKV_mfma16_kernelI14__hip_bfloat16hLN4vllm18Fp8KVCacheDataTypeE1EhLi16ELi128ELi256ELb1ELi14EEvPKT_PKT0_S8_ifPKiSA_SA_iPKfiiiPfSD_PS3_PT2_iSC_SC_
; %bb.0:
	s_get_pc_i64 s[2:3]
	s_add_nc_u64 s[2:3], s[2:3], __PRETTY_FUNCTION__._Z39paged_attention_ll4mi_QKV_mfma16_kernelI14__hip_bfloat16hLN4vllm18Fp8KVCacheDataTypeE1EhLi16ELi128ELi256ELb1ELi14EEvPKT_PKT0_S8_ifPKiSA_SA_iPKfiiiPfSD_PS3_PT2_iSC_SC_@rel64+4
	s_delay_alu instid0(SALU_CYCLE_1)
	v_dual_mov_b32 v0, 0xbb3 :: v_dual_mov_b32 v1, s2
	v_mov_b32_e32 v2, s3
	s_add_nc_u64 s[8:9], s[0:1], 0x90
	s_get_pc_i64 s[0:1]
	s_add_nc_u64 s[0:1], s[0:1], __assert_fail@rel64+4
	s_mov_b32 s32, 0
	s_swap_pc_i64 s[30:31], s[0:1]
	.section	.rodata,"a",@progbits
	.p2align	6, 0x0
	.amdhsa_kernel _Z39paged_attention_ll4mi_QKV_mfma16_kernelI14__hip_bfloat16hLN4vllm18Fp8KVCacheDataTypeE1EhLi16ELi128ELi256ELb1ELi14EEvPKT_PKT0_S8_ifPKiSA_SA_iPKfiiiPfSD_PS3_PT2_iSC_SC_
		.amdhsa_group_segment_fixed_size 0
		.amdhsa_private_segment_fixed_size 64
		.amdhsa_kernarg_size 400
		.amdhsa_user_sgpr_count 2
		.amdhsa_user_sgpr_dispatch_ptr 0
		.amdhsa_user_sgpr_queue_ptr 0
		.amdhsa_user_sgpr_kernarg_segment_ptr 1
		.amdhsa_user_sgpr_dispatch_id 0
		.amdhsa_user_sgpr_kernarg_preload_length 0
		.amdhsa_user_sgpr_kernarg_preload_offset 0
		.amdhsa_user_sgpr_private_segment_size 0
		.amdhsa_wavefront_size32 1
		.amdhsa_uses_dynamic_stack 0
		.amdhsa_enable_private_segment 1
		.amdhsa_system_sgpr_workgroup_id_x 1
		.amdhsa_system_sgpr_workgroup_id_y 0
		.amdhsa_system_sgpr_workgroup_id_z 0
		.amdhsa_system_sgpr_workgroup_info 0
		.amdhsa_system_vgpr_workitem_id 0
		.amdhsa_next_free_vgpr 51
		.amdhsa_next_free_sgpr 34
		.amdhsa_named_barrier_count 0
		.amdhsa_reserve_vcc 1
		.amdhsa_float_round_mode_32 0
		.amdhsa_float_round_mode_16_64 0
		.amdhsa_float_denorm_mode_32 3
		.amdhsa_float_denorm_mode_16_64 3
		.amdhsa_fp16_overflow 0
		.amdhsa_memory_ordered 1
		.amdhsa_forward_progress 1
		.amdhsa_inst_pref_size 1
		.amdhsa_round_robin_scheduling 0
		.amdhsa_exception_fp_ieee_invalid_op 0
		.amdhsa_exception_fp_denorm_src 0
		.amdhsa_exception_fp_ieee_div_zero 0
		.amdhsa_exception_fp_ieee_overflow 0
		.amdhsa_exception_fp_ieee_underflow 0
		.amdhsa_exception_fp_ieee_inexact 0
		.amdhsa_exception_int_div_zero 0
	.end_amdhsa_kernel
	.section	.text._Z39paged_attention_ll4mi_QKV_mfma16_kernelI14__hip_bfloat16hLN4vllm18Fp8KVCacheDataTypeE1EhLi16ELi128ELi256ELb1ELi14EEvPKT_PKT0_S8_ifPKiSA_SA_iPKfiiiPfSD_PS3_PT2_iSC_SC_,"axG",@progbits,_Z39paged_attention_ll4mi_QKV_mfma16_kernelI14__hip_bfloat16hLN4vllm18Fp8KVCacheDataTypeE1EhLi16ELi128ELi256ELb1ELi14EEvPKT_PKT0_S8_ifPKiSA_SA_iPKfiiiPfSD_PS3_PT2_iSC_SC_,comdat
.Lfunc_end1263:
	.size	_Z39paged_attention_ll4mi_QKV_mfma16_kernelI14__hip_bfloat16hLN4vllm18Fp8KVCacheDataTypeE1EhLi16ELi128ELi256ELb1ELi14EEvPKT_PKT0_S8_ifPKiSA_SA_iPKfiiiPfSD_PS3_PT2_iSC_SC_, .Lfunc_end1263-_Z39paged_attention_ll4mi_QKV_mfma16_kernelI14__hip_bfloat16hLN4vllm18Fp8KVCacheDataTypeE1EhLi16ELi128ELi256ELb1ELi14EEvPKT_PKT0_S8_ifPKiSA_SA_iPKfiiiPfSD_PS3_PT2_iSC_SC_
                                        ; -- End function
	.set _Z39paged_attention_ll4mi_QKV_mfma16_kernelI14__hip_bfloat16hLN4vllm18Fp8KVCacheDataTypeE1EhLi16ELi128ELi256ELb1ELi14EEvPKT_PKT0_S8_ifPKiSA_SA_iPKfiiiPfSD_PS3_PT2_iSC_SC_.num_vgpr, max(3, .L__assert_fail.num_vgpr)
	.set _Z39paged_attention_ll4mi_QKV_mfma16_kernelI14__hip_bfloat16hLN4vllm18Fp8KVCacheDataTypeE1EhLi16ELi128ELi256ELb1ELi14EEvPKT_PKT0_S8_ifPKiSA_SA_iPKfiiiPfSD_PS3_PT2_iSC_SC_.num_agpr, max(0, .L__assert_fail.num_agpr)
	.set _Z39paged_attention_ll4mi_QKV_mfma16_kernelI14__hip_bfloat16hLN4vllm18Fp8KVCacheDataTypeE1EhLi16ELi128ELi256ELb1ELi14EEvPKT_PKT0_S8_ifPKiSA_SA_iPKfiiiPfSD_PS3_PT2_iSC_SC_.numbered_sgpr, max(33, .L__assert_fail.numbered_sgpr)
	.set _Z39paged_attention_ll4mi_QKV_mfma16_kernelI14__hip_bfloat16hLN4vllm18Fp8KVCacheDataTypeE1EhLi16ELi128ELi256ELb1ELi14EEvPKT_PKT0_S8_ifPKiSA_SA_iPKfiiiPfSD_PS3_PT2_iSC_SC_.num_named_barrier, max(0, .L__assert_fail.num_named_barrier)
	.set _Z39paged_attention_ll4mi_QKV_mfma16_kernelI14__hip_bfloat16hLN4vllm18Fp8KVCacheDataTypeE1EhLi16ELi128ELi256ELb1ELi14EEvPKT_PKT0_S8_ifPKiSA_SA_iPKfiiiPfSD_PS3_PT2_iSC_SC_.private_seg_size, 0+max(.L__assert_fail.private_seg_size)
	.set _Z39paged_attention_ll4mi_QKV_mfma16_kernelI14__hip_bfloat16hLN4vllm18Fp8KVCacheDataTypeE1EhLi16ELi128ELi256ELb1ELi14EEvPKT_PKT0_S8_ifPKiSA_SA_iPKfiiiPfSD_PS3_PT2_iSC_SC_.uses_vcc, or(1, .L__assert_fail.uses_vcc)
	.set _Z39paged_attention_ll4mi_QKV_mfma16_kernelI14__hip_bfloat16hLN4vllm18Fp8KVCacheDataTypeE1EhLi16ELi128ELi256ELb1ELi14EEvPKT_PKT0_S8_ifPKiSA_SA_iPKfiiiPfSD_PS3_PT2_iSC_SC_.uses_flat_scratch, or(0, .L__assert_fail.uses_flat_scratch)
	.set _Z39paged_attention_ll4mi_QKV_mfma16_kernelI14__hip_bfloat16hLN4vllm18Fp8KVCacheDataTypeE1EhLi16ELi128ELi256ELb1ELi14EEvPKT_PKT0_S8_ifPKiSA_SA_iPKfiiiPfSD_PS3_PT2_iSC_SC_.has_dyn_sized_stack, or(0, .L__assert_fail.has_dyn_sized_stack)
	.set _Z39paged_attention_ll4mi_QKV_mfma16_kernelI14__hip_bfloat16hLN4vllm18Fp8KVCacheDataTypeE1EhLi16ELi128ELi256ELb1ELi14EEvPKT_PKT0_S8_ifPKiSA_SA_iPKfiiiPfSD_PS3_PT2_iSC_SC_.has_recursion, or(0, .L__assert_fail.has_recursion)
	.set _Z39paged_attention_ll4mi_QKV_mfma16_kernelI14__hip_bfloat16hLN4vllm18Fp8KVCacheDataTypeE1EhLi16ELi128ELi256ELb1ELi14EEvPKT_PKT0_S8_ifPKiSA_SA_iPKfiiiPfSD_PS3_PT2_iSC_SC_.has_indirect_call, or(0, .L__assert_fail.has_indirect_call)
	.section	.AMDGPU.csdata,"",@progbits
; Kernel info:
; codeLenInByte = 68
; TotalNumSgprs: 36
; NumVgprs: 51
; ScratchSize: 64
; MemoryBound: 0
; FloatMode: 240
; IeeeMode: 1
; LDSByteSize: 0 bytes/workgroup (compile time only)
; SGPRBlocks: 0
; VGPRBlocks: 3
; NumSGPRsForWavesPerEU: 36
; NumVGPRsForWavesPerEU: 51
; NamedBarCnt: 0
; Occupancy: 16
; WaveLimiterHint : 1
; COMPUTE_PGM_RSRC2:SCRATCH_EN: 1
; COMPUTE_PGM_RSRC2:USER_SGPR: 2
; COMPUTE_PGM_RSRC2:TRAP_HANDLER: 0
; COMPUTE_PGM_RSRC2:TGID_X_EN: 1
; COMPUTE_PGM_RSRC2:TGID_Y_EN: 0
; COMPUTE_PGM_RSRC2:TGID_Z_EN: 0
; COMPUTE_PGM_RSRC2:TIDIG_COMP_CNT: 0
	.section	.text._Z39paged_attention_ll4mi_QKV_mfma16_kernelI14__hip_bfloat16hLN4vllm18Fp8KVCacheDataTypeE1EhLi16ELi128ELi256ELb1ELi15EEvPKT_PKT0_S8_ifPKiSA_SA_iPKfiiiPfSD_PS3_PT2_iSC_SC_,"axG",@progbits,_Z39paged_attention_ll4mi_QKV_mfma16_kernelI14__hip_bfloat16hLN4vllm18Fp8KVCacheDataTypeE1EhLi16ELi128ELi256ELb1ELi15EEvPKT_PKT0_S8_ifPKiSA_SA_iPKfiiiPfSD_PS3_PT2_iSC_SC_,comdat
	.protected	_Z39paged_attention_ll4mi_QKV_mfma16_kernelI14__hip_bfloat16hLN4vllm18Fp8KVCacheDataTypeE1EhLi16ELi128ELi256ELb1ELi15EEvPKT_PKT0_S8_ifPKiSA_SA_iPKfiiiPfSD_PS3_PT2_iSC_SC_ ; -- Begin function _Z39paged_attention_ll4mi_QKV_mfma16_kernelI14__hip_bfloat16hLN4vllm18Fp8KVCacheDataTypeE1EhLi16ELi128ELi256ELb1ELi15EEvPKT_PKT0_S8_ifPKiSA_SA_iPKfiiiPfSD_PS3_PT2_iSC_SC_
	.globl	_Z39paged_attention_ll4mi_QKV_mfma16_kernelI14__hip_bfloat16hLN4vllm18Fp8KVCacheDataTypeE1EhLi16ELi128ELi256ELb1ELi15EEvPKT_PKT0_S8_ifPKiSA_SA_iPKfiiiPfSD_PS3_PT2_iSC_SC_
	.p2align	8
	.type	_Z39paged_attention_ll4mi_QKV_mfma16_kernelI14__hip_bfloat16hLN4vllm18Fp8KVCacheDataTypeE1EhLi16ELi128ELi256ELb1ELi15EEvPKT_PKT0_S8_ifPKiSA_SA_iPKfiiiPfSD_PS3_PT2_iSC_SC_,@function
_Z39paged_attention_ll4mi_QKV_mfma16_kernelI14__hip_bfloat16hLN4vllm18Fp8KVCacheDataTypeE1EhLi16ELi128ELi256ELb1ELi15EEvPKT_PKT0_S8_ifPKiSA_SA_iPKfiiiPfSD_PS3_PT2_iSC_SC_: ; @_Z39paged_attention_ll4mi_QKV_mfma16_kernelI14__hip_bfloat16hLN4vllm18Fp8KVCacheDataTypeE1EhLi16ELi128ELi256ELb1ELi15EEvPKT_PKT0_S8_ifPKiSA_SA_iPKfiiiPfSD_PS3_PT2_iSC_SC_
; %bb.0:
	s_get_pc_i64 s[2:3]
	s_add_nc_u64 s[2:3], s[2:3], __PRETTY_FUNCTION__._Z39paged_attention_ll4mi_QKV_mfma16_kernelI14__hip_bfloat16hLN4vllm18Fp8KVCacheDataTypeE1EhLi16ELi128ELi256ELb1ELi15EEvPKT_PKT0_S8_ifPKiSA_SA_iPKfiiiPfSD_PS3_PT2_iSC_SC_@rel64+4
	s_delay_alu instid0(SALU_CYCLE_1)
	v_dual_mov_b32 v0, 0xbb3 :: v_dual_mov_b32 v1, s2
	v_mov_b32_e32 v2, s3
	s_add_nc_u64 s[8:9], s[0:1], 0x90
	s_get_pc_i64 s[0:1]
	s_add_nc_u64 s[0:1], s[0:1], __assert_fail@rel64+4
	s_mov_b32 s32, 0
	s_swap_pc_i64 s[30:31], s[0:1]
	.section	.rodata,"a",@progbits
	.p2align	6, 0x0
	.amdhsa_kernel _Z39paged_attention_ll4mi_QKV_mfma16_kernelI14__hip_bfloat16hLN4vllm18Fp8KVCacheDataTypeE1EhLi16ELi128ELi256ELb1ELi15EEvPKT_PKT0_S8_ifPKiSA_SA_iPKfiiiPfSD_PS3_PT2_iSC_SC_
		.amdhsa_group_segment_fixed_size 0
		.amdhsa_private_segment_fixed_size 64
		.amdhsa_kernarg_size 400
		.amdhsa_user_sgpr_count 2
		.amdhsa_user_sgpr_dispatch_ptr 0
		.amdhsa_user_sgpr_queue_ptr 0
		.amdhsa_user_sgpr_kernarg_segment_ptr 1
		.amdhsa_user_sgpr_dispatch_id 0
		.amdhsa_user_sgpr_kernarg_preload_length 0
		.amdhsa_user_sgpr_kernarg_preload_offset 0
		.amdhsa_user_sgpr_private_segment_size 0
		.amdhsa_wavefront_size32 1
		.amdhsa_uses_dynamic_stack 0
		.amdhsa_enable_private_segment 1
		.amdhsa_system_sgpr_workgroup_id_x 1
		.amdhsa_system_sgpr_workgroup_id_y 0
		.amdhsa_system_sgpr_workgroup_id_z 0
		.amdhsa_system_sgpr_workgroup_info 0
		.amdhsa_system_vgpr_workitem_id 0
		.amdhsa_next_free_vgpr 51
		.amdhsa_next_free_sgpr 34
		.amdhsa_named_barrier_count 0
		.amdhsa_reserve_vcc 1
		.amdhsa_float_round_mode_32 0
		.amdhsa_float_round_mode_16_64 0
		.amdhsa_float_denorm_mode_32 3
		.amdhsa_float_denorm_mode_16_64 3
		.amdhsa_fp16_overflow 0
		.amdhsa_memory_ordered 1
		.amdhsa_forward_progress 1
		.amdhsa_inst_pref_size 1
		.amdhsa_round_robin_scheduling 0
		.amdhsa_exception_fp_ieee_invalid_op 0
		.amdhsa_exception_fp_denorm_src 0
		.amdhsa_exception_fp_ieee_div_zero 0
		.amdhsa_exception_fp_ieee_overflow 0
		.amdhsa_exception_fp_ieee_underflow 0
		.amdhsa_exception_fp_ieee_inexact 0
		.amdhsa_exception_int_div_zero 0
	.end_amdhsa_kernel
	.section	.text._Z39paged_attention_ll4mi_QKV_mfma16_kernelI14__hip_bfloat16hLN4vllm18Fp8KVCacheDataTypeE1EhLi16ELi128ELi256ELb1ELi15EEvPKT_PKT0_S8_ifPKiSA_SA_iPKfiiiPfSD_PS3_PT2_iSC_SC_,"axG",@progbits,_Z39paged_attention_ll4mi_QKV_mfma16_kernelI14__hip_bfloat16hLN4vllm18Fp8KVCacheDataTypeE1EhLi16ELi128ELi256ELb1ELi15EEvPKT_PKT0_S8_ifPKiSA_SA_iPKfiiiPfSD_PS3_PT2_iSC_SC_,comdat
.Lfunc_end1264:
	.size	_Z39paged_attention_ll4mi_QKV_mfma16_kernelI14__hip_bfloat16hLN4vllm18Fp8KVCacheDataTypeE1EhLi16ELi128ELi256ELb1ELi15EEvPKT_PKT0_S8_ifPKiSA_SA_iPKfiiiPfSD_PS3_PT2_iSC_SC_, .Lfunc_end1264-_Z39paged_attention_ll4mi_QKV_mfma16_kernelI14__hip_bfloat16hLN4vllm18Fp8KVCacheDataTypeE1EhLi16ELi128ELi256ELb1ELi15EEvPKT_PKT0_S8_ifPKiSA_SA_iPKfiiiPfSD_PS3_PT2_iSC_SC_
                                        ; -- End function
	.set _Z39paged_attention_ll4mi_QKV_mfma16_kernelI14__hip_bfloat16hLN4vllm18Fp8KVCacheDataTypeE1EhLi16ELi128ELi256ELb1ELi15EEvPKT_PKT0_S8_ifPKiSA_SA_iPKfiiiPfSD_PS3_PT2_iSC_SC_.num_vgpr, max(3, .L__assert_fail.num_vgpr)
	.set _Z39paged_attention_ll4mi_QKV_mfma16_kernelI14__hip_bfloat16hLN4vllm18Fp8KVCacheDataTypeE1EhLi16ELi128ELi256ELb1ELi15EEvPKT_PKT0_S8_ifPKiSA_SA_iPKfiiiPfSD_PS3_PT2_iSC_SC_.num_agpr, max(0, .L__assert_fail.num_agpr)
	.set _Z39paged_attention_ll4mi_QKV_mfma16_kernelI14__hip_bfloat16hLN4vllm18Fp8KVCacheDataTypeE1EhLi16ELi128ELi256ELb1ELi15EEvPKT_PKT0_S8_ifPKiSA_SA_iPKfiiiPfSD_PS3_PT2_iSC_SC_.numbered_sgpr, max(33, .L__assert_fail.numbered_sgpr)
	.set _Z39paged_attention_ll4mi_QKV_mfma16_kernelI14__hip_bfloat16hLN4vllm18Fp8KVCacheDataTypeE1EhLi16ELi128ELi256ELb1ELi15EEvPKT_PKT0_S8_ifPKiSA_SA_iPKfiiiPfSD_PS3_PT2_iSC_SC_.num_named_barrier, max(0, .L__assert_fail.num_named_barrier)
	.set _Z39paged_attention_ll4mi_QKV_mfma16_kernelI14__hip_bfloat16hLN4vllm18Fp8KVCacheDataTypeE1EhLi16ELi128ELi256ELb1ELi15EEvPKT_PKT0_S8_ifPKiSA_SA_iPKfiiiPfSD_PS3_PT2_iSC_SC_.private_seg_size, 0+max(.L__assert_fail.private_seg_size)
	.set _Z39paged_attention_ll4mi_QKV_mfma16_kernelI14__hip_bfloat16hLN4vllm18Fp8KVCacheDataTypeE1EhLi16ELi128ELi256ELb1ELi15EEvPKT_PKT0_S8_ifPKiSA_SA_iPKfiiiPfSD_PS3_PT2_iSC_SC_.uses_vcc, or(1, .L__assert_fail.uses_vcc)
	.set _Z39paged_attention_ll4mi_QKV_mfma16_kernelI14__hip_bfloat16hLN4vllm18Fp8KVCacheDataTypeE1EhLi16ELi128ELi256ELb1ELi15EEvPKT_PKT0_S8_ifPKiSA_SA_iPKfiiiPfSD_PS3_PT2_iSC_SC_.uses_flat_scratch, or(0, .L__assert_fail.uses_flat_scratch)
	.set _Z39paged_attention_ll4mi_QKV_mfma16_kernelI14__hip_bfloat16hLN4vllm18Fp8KVCacheDataTypeE1EhLi16ELi128ELi256ELb1ELi15EEvPKT_PKT0_S8_ifPKiSA_SA_iPKfiiiPfSD_PS3_PT2_iSC_SC_.has_dyn_sized_stack, or(0, .L__assert_fail.has_dyn_sized_stack)
	.set _Z39paged_attention_ll4mi_QKV_mfma16_kernelI14__hip_bfloat16hLN4vllm18Fp8KVCacheDataTypeE1EhLi16ELi128ELi256ELb1ELi15EEvPKT_PKT0_S8_ifPKiSA_SA_iPKfiiiPfSD_PS3_PT2_iSC_SC_.has_recursion, or(0, .L__assert_fail.has_recursion)
	.set _Z39paged_attention_ll4mi_QKV_mfma16_kernelI14__hip_bfloat16hLN4vllm18Fp8KVCacheDataTypeE1EhLi16ELi128ELi256ELb1ELi15EEvPKT_PKT0_S8_ifPKiSA_SA_iPKfiiiPfSD_PS3_PT2_iSC_SC_.has_indirect_call, or(0, .L__assert_fail.has_indirect_call)
	.section	.AMDGPU.csdata,"",@progbits
; Kernel info:
; codeLenInByte = 68
; TotalNumSgprs: 36
; NumVgprs: 51
; ScratchSize: 64
; MemoryBound: 0
; FloatMode: 240
; IeeeMode: 1
; LDSByteSize: 0 bytes/workgroup (compile time only)
; SGPRBlocks: 0
; VGPRBlocks: 3
; NumSGPRsForWavesPerEU: 36
; NumVGPRsForWavesPerEU: 51
; NamedBarCnt: 0
; Occupancy: 16
; WaveLimiterHint : 1
; COMPUTE_PGM_RSRC2:SCRATCH_EN: 1
; COMPUTE_PGM_RSRC2:USER_SGPR: 2
; COMPUTE_PGM_RSRC2:TRAP_HANDLER: 0
; COMPUTE_PGM_RSRC2:TGID_X_EN: 1
; COMPUTE_PGM_RSRC2:TGID_Y_EN: 0
; COMPUTE_PGM_RSRC2:TGID_Z_EN: 0
; COMPUTE_PGM_RSRC2:TIDIG_COMP_CNT: 0
	.section	.text._Z39paged_attention_ll4mi_QKV_mfma16_kernelI14__hip_bfloat16hLN4vllm18Fp8KVCacheDataTypeE1EhLi16ELi128ELi256ELb1ELi16EEvPKT_PKT0_S8_ifPKiSA_SA_iPKfiiiPfSD_PS3_PT2_iSC_SC_,"axG",@progbits,_Z39paged_attention_ll4mi_QKV_mfma16_kernelI14__hip_bfloat16hLN4vllm18Fp8KVCacheDataTypeE1EhLi16ELi128ELi256ELb1ELi16EEvPKT_PKT0_S8_ifPKiSA_SA_iPKfiiiPfSD_PS3_PT2_iSC_SC_,comdat
	.protected	_Z39paged_attention_ll4mi_QKV_mfma16_kernelI14__hip_bfloat16hLN4vllm18Fp8KVCacheDataTypeE1EhLi16ELi128ELi256ELb1ELi16EEvPKT_PKT0_S8_ifPKiSA_SA_iPKfiiiPfSD_PS3_PT2_iSC_SC_ ; -- Begin function _Z39paged_attention_ll4mi_QKV_mfma16_kernelI14__hip_bfloat16hLN4vllm18Fp8KVCacheDataTypeE1EhLi16ELi128ELi256ELb1ELi16EEvPKT_PKT0_S8_ifPKiSA_SA_iPKfiiiPfSD_PS3_PT2_iSC_SC_
	.globl	_Z39paged_attention_ll4mi_QKV_mfma16_kernelI14__hip_bfloat16hLN4vllm18Fp8KVCacheDataTypeE1EhLi16ELi128ELi256ELb1ELi16EEvPKT_PKT0_S8_ifPKiSA_SA_iPKfiiiPfSD_PS3_PT2_iSC_SC_
	.p2align	8
	.type	_Z39paged_attention_ll4mi_QKV_mfma16_kernelI14__hip_bfloat16hLN4vllm18Fp8KVCacheDataTypeE1EhLi16ELi128ELi256ELb1ELi16EEvPKT_PKT0_S8_ifPKiSA_SA_iPKfiiiPfSD_PS3_PT2_iSC_SC_,@function
_Z39paged_attention_ll4mi_QKV_mfma16_kernelI14__hip_bfloat16hLN4vllm18Fp8KVCacheDataTypeE1EhLi16ELi128ELi256ELb1ELi16EEvPKT_PKT0_S8_ifPKiSA_SA_iPKfiiiPfSD_PS3_PT2_iSC_SC_: ; @_Z39paged_attention_ll4mi_QKV_mfma16_kernelI14__hip_bfloat16hLN4vllm18Fp8KVCacheDataTypeE1EhLi16ELi128ELi256ELb1ELi16EEvPKT_PKT0_S8_ifPKiSA_SA_iPKfiiiPfSD_PS3_PT2_iSC_SC_
; %bb.0:
	s_get_pc_i64 s[2:3]
	s_add_nc_u64 s[2:3], s[2:3], __PRETTY_FUNCTION__._Z39paged_attention_ll4mi_QKV_mfma16_kernelI14__hip_bfloat16hLN4vllm18Fp8KVCacheDataTypeE1EhLi16ELi128ELi256ELb1ELi16EEvPKT_PKT0_S8_ifPKiSA_SA_iPKfiiiPfSD_PS3_PT2_iSC_SC_@rel64+4
	s_delay_alu instid0(SALU_CYCLE_1)
	v_dual_mov_b32 v0, 0xbb3 :: v_dual_mov_b32 v1, s2
	v_mov_b32_e32 v2, s3
	s_add_nc_u64 s[8:9], s[0:1], 0x90
	s_get_pc_i64 s[0:1]
	s_add_nc_u64 s[0:1], s[0:1], __assert_fail@rel64+4
	s_mov_b32 s32, 0
	s_swap_pc_i64 s[30:31], s[0:1]
	.section	.rodata,"a",@progbits
	.p2align	6, 0x0
	.amdhsa_kernel _Z39paged_attention_ll4mi_QKV_mfma16_kernelI14__hip_bfloat16hLN4vllm18Fp8KVCacheDataTypeE1EhLi16ELi128ELi256ELb1ELi16EEvPKT_PKT0_S8_ifPKiSA_SA_iPKfiiiPfSD_PS3_PT2_iSC_SC_
		.amdhsa_group_segment_fixed_size 0
		.amdhsa_private_segment_fixed_size 64
		.amdhsa_kernarg_size 400
		.amdhsa_user_sgpr_count 2
		.amdhsa_user_sgpr_dispatch_ptr 0
		.amdhsa_user_sgpr_queue_ptr 0
		.amdhsa_user_sgpr_kernarg_segment_ptr 1
		.amdhsa_user_sgpr_dispatch_id 0
		.amdhsa_user_sgpr_kernarg_preload_length 0
		.amdhsa_user_sgpr_kernarg_preload_offset 0
		.amdhsa_user_sgpr_private_segment_size 0
		.amdhsa_wavefront_size32 1
		.amdhsa_uses_dynamic_stack 0
		.amdhsa_enable_private_segment 1
		.amdhsa_system_sgpr_workgroup_id_x 1
		.amdhsa_system_sgpr_workgroup_id_y 0
		.amdhsa_system_sgpr_workgroup_id_z 0
		.amdhsa_system_sgpr_workgroup_info 0
		.amdhsa_system_vgpr_workitem_id 0
		.amdhsa_next_free_vgpr 51
		.amdhsa_next_free_sgpr 34
		.amdhsa_named_barrier_count 0
		.amdhsa_reserve_vcc 1
		.amdhsa_float_round_mode_32 0
		.amdhsa_float_round_mode_16_64 0
		.amdhsa_float_denorm_mode_32 3
		.amdhsa_float_denorm_mode_16_64 3
		.amdhsa_fp16_overflow 0
		.amdhsa_memory_ordered 1
		.amdhsa_forward_progress 1
		.amdhsa_inst_pref_size 1
		.amdhsa_round_robin_scheduling 0
		.amdhsa_exception_fp_ieee_invalid_op 0
		.amdhsa_exception_fp_denorm_src 0
		.amdhsa_exception_fp_ieee_div_zero 0
		.amdhsa_exception_fp_ieee_overflow 0
		.amdhsa_exception_fp_ieee_underflow 0
		.amdhsa_exception_fp_ieee_inexact 0
		.amdhsa_exception_int_div_zero 0
	.end_amdhsa_kernel
	.section	.text._Z39paged_attention_ll4mi_QKV_mfma16_kernelI14__hip_bfloat16hLN4vllm18Fp8KVCacheDataTypeE1EhLi16ELi128ELi256ELb1ELi16EEvPKT_PKT0_S8_ifPKiSA_SA_iPKfiiiPfSD_PS3_PT2_iSC_SC_,"axG",@progbits,_Z39paged_attention_ll4mi_QKV_mfma16_kernelI14__hip_bfloat16hLN4vllm18Fp8KVCacheDataTypeE1EhLi16ELi128ELi256ELb1ELi16EEvPKT_PKT0_S8_ifPKiSA_SA_iPKfiiiPfSD_PS3_PT2_iSC_SC_,comdat
.Lfunc_end1265:
	.size	_Z39paged_attention_ll4mi_QKV_mfma16_kernelI14__hip_bfloat16hLN4vllm18Fp8KVCacheDataTypeE1EhLi16ELi128ELi256ELb1ELi16EEvPKT_PKT0_S8_ifPKiSA_SA_iPKfiiiPfSD_PS3_PT2_iSC_SC_, .Lfunc_end1265-_Z39paged_attention_ll4mi_QKV_mfma16_kernelI14__hip_bfloat16hLN4vllm18Fp8KVCacheDataTypeE1EhLi16ELi128ELi256ELb1ELi16EEvPKT_PKT0_S8_ifPKiSA_SA_iPKfiiiPfSD_PS3_PT2_iSC_SC_
                                        ; -- End function
	.set _Z39paged_attention_ll4mi_QKV_mfma16_kernelI14__hip_bfloat16hLN4vllm18Fp8KVCacheDataTypeE1EhLi16ELi128ELi256ELb1ELi16EEvPKT_PKT0_S8_ifPKiSA_SA_iPKfiiiPfSD_PS3_PT2_iSC_SC_.num_vgpr, max(3, .L__assert_fail.num_vgpr)
	.set _Z39paged_attention_ll4mi_QKV_mfma16_kernelI14__hip_bfloat16hLN4vllm18Fp8KVCacheDataTypeE1EhLi16ELi128ELi256ELb1ELi16EEvPKT_PKT0_S8_ifPKiSA_SA_iPKfiiiPfSD_PS3_PT2_iSC_SC_.num_agpr, max(0, .L__assert_fail.num_agpr)
	.set _Z39paged_attention_ll4mi_QKV_mfma16_kernelI14__hip_bfloat16hLN4vllm18Fp8KVCacheDataTypeE1EhLi16ELi128ELi256ELb1ELi16EEvPKT_PKT0_S8_ifPKiSA_SA_iPKfiiiPfSD_PS3_PT2_iSC_SC_.numbered_sgpr, max(33, .L__assert_fail.numbered_sgpr)
	.set _Z39paged_attention_ll4mi_QKV_mfma16_kernelI14__hip_bfloat16hLN4vllm18Fp8KVCacheDataTypeE1EhLi16ELi128ELi256ELb1ELi16EEvPKT_PKT0_S8_ifPKiSA_SA_iPKfiiiPfSD_PS3_PT2_iSC_SC_.num_named_barrier, max(0, .L__assert_fail.num_named_barrier)
	.set _Z39paged_attention_ll4mi_QKV_mfma16_kernelI14__hip_bfloat16hLN4vllm18Fp8KVCacheDataTypeE1EhLi16ELi128ELi256ELb1ELi16EEvPKT_PKT0_S8_ifPKiSA_SA_iPKfiiiPfSD_PS3_PT2_iSC_SC_.private_seg_size, 0+max(.L__assert_fail.private_seg_size)
	.set _Z39paged_attention_ll4mi_QKV_mfma16_kernelI14__hip_bfloat16hLN4vllm18Fp8KVCacheDataTypeE1EhLi16ELi128ELi256ELb1ELi16EEvPKT_PKT0_S8_ifPKiSA_SA_iPKfiiiPfSD_PS3_PT2_iSC_SC_.uses_vcc, or(1, .L__assert_fail.uses_vcc)
	.set _Z39paged_attention_ll4mi_QKV_mfma16_kernelI14__hip_bfloat16hLN4vllm18Fp8KVCacheDataTypeE1EhLi16ELi128ELi256ELb1ELi16EEvPKT_PKT0_S8_ifPKiSA_SA_iPKfiiiPfSD_PS3_PT2_iSC_SC_.uses_flat_scratch, or(0, .L__assert_fail.uses_flat_scratch)
	.set _Z39paged_attention_ll4mi_QKV_mfma16_kernelI14__hip_bfloat16hLN4vllm18Fp8KVCacheDataTypeE1EhLi16ELi128ELi256ELb1ELi16EEvPKT_PKT0_S8_ifPKiSA_SA_iPKfiiiPfSD_PS3_PT2_iSC_SC_.has_dyn_sized_stack, or(0, .L__assert_fail.has_dyn_sized_stack)
	.set _Z39paged_attention_ll4mi_QKV_mfma16_kernelI14__hip_bfloat16hLN4vllm18Fp8KVCacheDataTypeE1EhLi16ELi128ELi256ELb1ELi16EEvPKT_PKT0_S8_ifPKiSA_SA_iPKfiiiPfSD_PS3_PT2_iSC_SC_.has_recursion, or(0, .L__assert_fail.has_recursion)
	.set _Z39paged_attention_ll4mi_QKV_mfma16_kernelI14__hip_bfloat16hLN4vllm18Fp8KVCacheDataTypeE1EhLi16ELi128ELi256ELb1ELi16EEvPKT_PKT0_S8_ifPKiSA_SA_iPKfiiiPfSD_PS3_PT2_iSC_SC_.has_indirect_call, or(0, .L__assert_fail.has_indirect_call)
	.section	.AMDGPU.csdata,"",@progbits
; Kernel info:
; codeLenInByte = 68
; TotalNumSgprs: 36
; NumVgprs: 51
; ScratchSize: 64
; MemoryBound: 0
; FloatMode: 240
; IeeeMode: 1
; LDSByteSize: 0 bytes/workgroup (compile time only)
; SGPRBlocks: 0
; VGPRBlocks: 3
; NumSGPRsForWavesPerEU: 36
; NumVGPRsForWavesPerEU: 51
; NamedBarCnt: 0
; Occupancy: 16
; WaveLimiterHint : 1
; COMPUTE_PGM_RSRC2:SCRATCH_EN: 1
; COMPUTE_PGM_RSRC2:USER_SGPR: 2
; COMPUTE_PGM_RSRC2:TRAP_HANDLER: 0
; COMPUTE_PGM_RSRC2:TGID_X_EN: 1
; COMPUTE_PGM_RSRC2:TGID_Y_EN: 0
; COMPUTE_PGM_RSRC2:TGID_Z_EN: 0
; COMPUTE_PGM_RSRC2:TIDIG_COMP_CNT: 0
	.section	.text._Z39paged_attention_ll4mi_QKV_mfma16_kernelI14__hip_bfloat16hLN4vllm18Fp8KVCacheDataTypeE1EhLi16ELi128ELi256ELb1ELi1EEvPKT_PKT0_S8_ifPKiSA_SA_iPKfiiiPfSD_PS3_PT2_iSC_SC_,"axG",@progbits,_Z39paged_attention_ll4mi_QKV_mfma16_kernelI14__hip_bfloat16hLN4vllm18Fp8KVCacheDataTypeE1EhLi16ELi128ELi256ELb1ELi1EEvPKT_PKT0_S8_ifPKiSA_SA_iPKfiiiPfSD_PS3_PT2_iSC_SC_,comdat
	.protected	_Z39paged_attention_ll4mi_QKV_mfma16_kernelI14__hip_bfloat16hLN4vllm18Fp8KVCacheDataTypeE1EhLi16ELi128ELi256ELb1ELi1EEvPKT_PKT0_S8_ifPKiSA_SA_iPKfiiiPfSD_PS3_PT2_iSC_SC_ ; -- Begin function _Z39paged_attention_ll4mi_QKV_mfma16_kernelI14__hip_bfloat16hLN4vllm18Fp8KVCacheDataTypeE1EhLi16ELi128ELi256ELb1ELi1EEvPKT_PKT0_S8_ifPKiSA_SA_iPKfiiiPfSD_PS3_PT2_iSC_SC_
	.globl	_Z39paged_attention_ll4mi_QKV_mfma16_kernelI14__hip_bfloat16hLN4vllm18Fp8KVCacheDataTypeE1EhLi16ELi128ELi256ELb1ELi1EEvPKT_PKT0_S8_ifPKiSA_SA_iPKfiiiPfSD_PS3_PT2_iSC_SC_
	.p2align	8
	.type	_Z39paged_attention_ll4mi_QKV_mfma16_kernelI14__hip_bfloat16hLN4vllm18Fp8KVCacheDataTypeE1EhLi16ELi128ELi256ELb1ELi1EEvPKT_PKT0_S8_ifPKiSA_SA_iPKfiiiPfSD_PS3_PT2_iSC_SC_,@function
_Z39paged_attention_ll4mi_QKV_mfma16_kernelI14__hip_bfloat16hLN4vllm18Fp8KVCacheDataTypeE1EhLi16ELi128ELi256ELb1ELi1EEvPKT_PKT0_S8_ifPKiSA_SA_iPKfiiiPfSD_PS3_PT2_iSC_SC_: ; @_Z39paged_attention_ll4mi_QKV_mfma16_kernelI14__hip_bfloat16hLN4vllm18Fp8KVCacheDataTypeE1EhLi16ELi128ELi256ELb1ELi1EEvPKT_PKT0_S8_ifPKiSA_SA_iPKfiiiPfSD_PS3_PT2_iSC_SC_
; %bb.0:
	s_get_pc_i64 s[2:3]
	s_add_nc_u64 s[2:3], s[2:3], __PRETTY_FUNCTION__._Z39paged_attention_ll4mi_QKV_mfma16_kernelI14__hip_bfloat16hLN4vllm18Fp8KVCacheDataTypeE1EhLi16ELi128ELi256ELb1ELi1EEvPKT_PKT0_S8_ifPKiSA_SA_iPKfiiiPfSD_PS3_PT2_iSC_SC_@rel64+4
	s_delay_alu instid0(SALU_CYCLE_1)
	v_dual_mov_b32 v0, 0xbb3 :: v_dual_mov_b32 v1, s2
	v_mov_b32_e32 v2, s3
	s_add_nc_u64 s[8:9], s[0:1], 0x90
	s_get_pc_i64 s[0:1]
	s_add_nc_u64 s[0:1], s[0:1], __assert_fail@rel64+4
	s_mov_b32 s32, 0
	s_swap_pc_i64 s[30:31], s[0:1]
	.section	.rodata,"a",@progbits
	.p2align	6, 0x0
	.amdhsa_kernel _Z39paged_attention_ll4mi_QKV_mfma16_kernelI14__hip_bfloat16hLN4vllm18Fp8KVCacheDataTypeE1EhLi16ELi128ELi256ELb1ELi1EEvPKT_PKT0_S8_ifPKiSA_SA_iPKfiiiPfSD_PS3_PT2_iSC_SC_
		.amdhsa_group_segment_fixed_size 0
		.amdhsa_private_segment_fixed_size 64
		.amdhsa_kernarg_size 400
		.amdhsa_user_sgpr_count 2
		.amdhsa_user_sgpr_dispatch_ptr 0
		.amdhsa_user_sgpr_queue_ptr 0
		.amdhsa_user_sgpr_kernarg_segment_ptr 1
		.amdhsa_user_sgpr_dispatch_id 0
		.amdhsa_user_sgpr_kernarg_preload_length 0
		.amdhsa_user_sgpr_kernarg_preload_offset 0
		.amdhsa_user_sgpr_private_segment_size 0
		.amdhsa_wavefront_size32 1
		.amdhsa_uses_dynamic_stack 0
		.amdhsa_enable_private_segment 1
		.amdhsa_system_sgpr_workgroup_id_x 1
		.amdhsa_system_sgpr_workgroup_id_y 0
		.amdhsa_system_sgpr_workgroup_id_z 0
		.amdhsa_system_sgpr_workgroup_info 0
		.amdhsa_system_vgpr_workitem_id 0
		.amdhsa_next_free_vgpr 51
		.amdhsa_next_free_sgpr 34
		.amdhsa_named_barrier_count 0
		.amdhsa_reserve_vcc 1
		.amdhsa_float_round_mode_32 0
		.amdhsa_float_round_mode_16_64 0
		.amdhsa_float_denorm_mode_32 3
		.amdhsa_float_denorm_mode_16_64 3
		.amdhsa_fp16_overflow 0
		.amdhsa_memory_ordered 1
		.amdhsa_forward_progress 1
		.amdhsa_inst_pref_size 1
		.amdhsa_round_robin_scheduling 0
		.amdhsa_exception_fp_ieee_invalid_op 0
		.amdhsa_exception_fp_denorm_src 0
		.amdhsa_exception_fp_ieee_div_zero 0
		.amdhsa_exception_fp_ieee_overflow 0
		.amdhsa_exception_fp_ieee_underflow 0
		.amdhsa_exception_fp_ieee_inexact 0
		.amdhsa_exception_int_div_zero 0
	.end_amdhsa_kernel
	.section	.text._Z39paged_attention_ll4mi_QKV_mfma16_kernelI14__hip_bfloat16hLN4vllm18Fp8KVCacheDataTypeE1EhLi16ELi128ELi256ELb1ELi1EEvPKT_PKT0_S8_ifPKiSA_SA_iPKfiiiPfSD_PS3_PT2_iSC_SC_,"axG",@progbits,_Z39paged_attention_ll4mi_QKV_mfma16_kernelI14__hip_bfloat16hLN4vllm18Fp8KVCacheDataTypeE1EhLi16ELi128ELi256ELb1ELi1EEvPKT_PKT0_S8_ifPKiSA_SA_iPKfiiiPfSD_PS3_PT2_iSC_SC_,comdat
.Lfunc_end1266:
	.size	_Z39paged_attention_ll4mi_QKV_mfma16_kernelI14__hip_bfloat16hLN4vllm18Fp8KVCacheDataTypeE1EhLi16ELi128ELi256ELb1ELi1EEvPKT_PKT0_S8_ifPKiSA_SA_iPKfiiiPfSD_PS3_PT2_iSC_SC_, .Lfunc_end1266-_Z39paged_attention_ll4mi_QKV_mfma16_kernelI14__hip_bfloat16hLN4vllm18Fp8KVCacheDataTypeE1EhLi16ELi128ELi256ELb1ELi1EEvPKT_PKT0_S8_ifPKiSA_SA_iPKfiiiPfSD_PS3_PT2_iSC_SC_
                                        ; -- End function
	.set _Z39paged_attention_ll4mi_QKV_mfma16_kernelI14__hip_bfloat16hLN4vllm18Fp8KVCacheDataTypeE1EhLi16ELi128ELi256ELb1ELi1EEvPKT_PKT0_S8_ifPKiSA_SA_iPKfiiiPfSD_PS3_PT2_iSC_SC_.num_vgpr, max(3, .L__assert_fail.num_vgpr)
	.set _Z39paged_attention_ll4mi_QKV_mfma16_kernelI14__hip_bfloat16hLN4vllm18Fp8KVCacheDataTypeE1EhLi16ELi128ELi256ELb1ELi1EEvPKT_PKT0_S8_ifPKiSA_SA_iPKfiiiPfSD_PS3_PT2_iSC_SC_.num_agpr, max(0, .L__assert_fail.num_agpr)
	.set _Z39paged_attention_ll4mi_QKV_mfma16_kernelI14__hip_bfloat16hLN4vllm18Fp8KVCacheDataTypeE1EhLi16ELi128ELi256ELb1ELi1EEvPKT_PKT0_S8_ifPKiSA_SA_iPKfiiiPfSD_PS3_PT2_iSC_SC_.numbered_sgpr, max(33, .L__assert_fail.numbered_sgpr)
	.set _Z39paged_attention_ll4mi_QKV_mfma16_kernelI14__hip_bfloat16hLN4vllm18Fp8KVCacheDataTypeE1EhLi16ELi128ELi256ELb1ELi1EEvPKT_PKT0_S8_ifPKiSA_SA_iPKfiiiPfSD_PS3_PT2_iSC_SC_.num_named_barrier, max(0, .L__assert_fail.num_named_barrier)
	.set _Z39paged_attention_ll4mi_QKV_mfma16_kernelI14__hip_bfloat16hLN4vllm18Fp8KVCacheDataTypeE1EhLi16ELi128ELi256ELb1ELi1EEvPKT_PKT0_S8_ifPKiSA_SA_iPKfiiiPfSD_PS3_PT2_iSC_SC_.private_seg_size, 0+max(.L__assert_fail.private_seg_size)
	.set _Z39paged_attention_ll4mi_QKV_mfma16_kernelI14__hip_bfloat16hLN4vllm18Fp8KVCacheDataTypeE1EhLi16ELi128ELi256ELb1ELi1EEvPKT_PKT0_S8_ifPKiSA_SA_iPKfiiiPfSD_PS3_PT2_iSC_SC_.uses_vcc, or(1, .L__assert_fail.uses_vcc)
	.set _Z39paged_attention_ll4mi_QKV_mfma16_kernelI14__hip_bfloat16hLN4vllm18Fp8KVCacheDataTypeE1EhLi16ELi128ELi256ELb1ELi1EEvPKT_PKT0_S8_ifPKiSA_SA_iPKfiiiPfSD_PS3_PT2_iSC_SC_.uses_flat_scratch, or(0, .L__assert_fail.uses_flat_scratch)
	.set _Z39paged_attention_ll4mi_QKV_mfma16_kernelI14__hip_bfloat16hLN4vllm18Fp8KVCacheDataTypeE1EhLi16ELi128ELi256ELb1ELi1EEvPKT_PKT0_S8_ifPKiSA_SA_iPKfiiiPfSD_PS3_PT2_iSC_SC_.has_dyn_sized_stack, or(0, .L__assert_fail.has_dyn_sized_stack)
	.set _Z39paged_attention_ll4mi_QKV_mfma16_kernelI14__hip_bfloat16hLN4vllm18Fp8KVCacheDataTypeE1EhLi16ELi128ELi256ELb1ELi1EEvPKT_PKT0_S8_ifPKiSA_SA_iPKfiiiPfSD_PS3_PT2_iSC_SC_.has_recursion, or(0, .L__assert_fail.has_recursion)
	.set _Z39paged_attention_ll4mi_QKV_mfma16_kernelI14__hip_bfloat16hLN4vllm18Fp8KVCacheDataTypeE1EhLi16ELi128ELi256ELb1ELi1EEvPKT_PKT0_S8_ifPKiSA_SA_iPKfiiiPfSD_PS3_PT2_iSC_SC_.has_indirect_call, or(0, .L__assert_fail.has_indirect_call)
	.section	.AMDGPU.csdata,"",@progbits
; Kernel info:
; codeLenInByte = 68
; TotalNumSgprs: 36
; NumVgprs: 51
; ScratchSize: 64
; MemoryBound: 0
; FloatMode: 240
; IeeeMode: 1
; LDSByteSize: 0 bytes/workgroup (compile time only)
; SGPRBlocks: 0
; VGPRBlocks: 3
; NumSGPRsForWavesPerEU: 36
; NumVGPRsForWavesPerEU: 51
; NamedBarCnt: 0
; Occupancy: 16
; WaveLimiterHint : 1
; COMPUTE_PGM_RSRC2:SCRATCH_EN: 1
; COMPUTE_PGM_RSRC2:USER_SGPR: 2
; COMPUTE_PGM_RSRC2:TRAP_HANDLER: 0
; COMPUTE_PGM_RSRC2:TGID_X_EN: 1
; COMPUTE_PGM_RSRC2:TGID_Y_EN: 0
; COMPUTE_PGM_RSRC2:TGID_Z_EN: 0
; COMPUTE_PGM_RSRC2:TIDIG_COMP_CNT: 0
	.section	.text._Z39paged_attention_ll4mi_QKV_mfma16_kernelI14__hip_bfloat16hLN4vllm18Fp8KVCacheDataTypeE1EhLi16ELi128ELi256ELb1ELi2EEvPKT_PKT0_S8_ifPKiSA_SA_iPKfiiiPfSD_PS3_PT2_iSC_SC_,"axG",@progbits,_Z39paged_attention_ll4mi_QKV_mfma16_kernelI14__hip_bfloat16hLN4vllm18Fp8KVCacheDataTypeE1EhLi16ELi128ELi256ELb1ELi2EEvPKT_PKT0_S8_ifPKiSA_SA_iPKfiiiPfSD_PS3_PT2_iSC_SC_,comdat
	.protected	_Z39paged_attention_ll4mi_QKV_mfma16_kernelI14__hip_bfloat16hLN4vllm18Fp8KVCacheDataTypeE1EhLi16ELi128ELi256ELb1ELi2EEvPKT_PKT0_S8_ifPKiSA_SA_iPKfiiiPfSD_PS3_PT2_iSC_SC_ ; -- Begin function _Z39paged_attention_ll4mi_QKV_mfma16_kernelI14__hip_bfloat16hLN4vllm18Fp8KVCacheDataTypeE1EhLi16ELi128ELi256ELb1ELi2EEvPKT_PKT0_S8_ifPKiSA_SA_iPKfiiiPfSD_PS3_PT2_iSC_SC_
	.globl	_Z39paged_attention_ll4mi_QKV_mfma16_kernelI14__hip_bfloat16hLN4vllm18Fp8KVCacheDataTypeE1EhLi16ELi128ELi256ELb1ELi2EEvPKT_PKT0_S8_ifPKiSA_SA_iPKfiiiPfSD_PS3_PT2_iSC_SC_
	.p2align	8
	.type	_Z39paged_attention_ll4mi_QKV_mfma16_kernelI14__hip_bfloat16hLN4vllm18Fp8KVCacheDataTypeE1EhLi16ELi128ELi256ELb1ELi2EEvPKT_PKT0_S8_ifPKiSA_SA_iPKfiiiPfSD_PS3_PT2_iSC_SC_,@function
_Z39paged_attention_ll4mi_QKV_mfma16_kernelI14__hip_bfloat16hLN4vllm18Fp8KVCacheDataTypeE1EhLi16ELi128ELi256ELb1ELi2EEvPKT_PKT0_S8_ifPKiSA_SA_iPKfiiiPfSD_PS3_PT2_iSC_SC_: ; @_Z39paged_attention_ll4mi_QKV_mfma16_kernelI14__hip_bfloat16hLN4vllm18Fp8KVCacheDataTypeE1EhLi16ELi128ELi256ELb1ELi2EEvPKT_PKT0_S8_ifPKiSA_SA_iPKfiiiPfSD_PS3_PT2_iSC_SC_
; %bb.0:
	s_get_pc_i64 s[2:3]
	s_add_nc_u64 s[2:3], s[2:3], __PRETTY_FUNCTION__._Z39paged_attention_ll4mi_QKV_mfma16_kernelI14__hip_bfloat16hLN4vllm18Fp8KVCacheDataTypeE1EhLi16ELi128ELi256ELb1ELi2EEvPKT_PKT0_S8_ifPKiSA_SA_iPKfiiiPfSD_PS3_PT2_iSC_SC_@rel64+4
	s_delay_alu instid0(SALU_CYCLE_1)
	v_dual_mov_b32 v0, 0xbb3 :: v_dual_mov_b32 v1, s2
	v_mov_b32_e32 v2, s3
	s_add_nc_u64 s[8:9], s[0:1], 0x90
	s_get_pc_i64 s[0:1]
	s_add_nc_u64 s[0:1], s[0:1], __assert_fail@rel64+4
	s_mov_b32 s32, 0
	s_swap_pc_i64 s[30:31], s[0:1]
	.section	.rodata,"a",@progbits
	.p2align	6, 0x0
	.amdhsa_kernel _Z39paged_attention_ll4mi_QKV_mfma16_kernelI14__hip_bfloat16hLN4vllm18Fp8KVCacheDataTypeE1EhLi16ELi128ELi256ELb1ELi2EEvPKT_PKT0_S8_ifPKiSA_SA_iPKfiiiPfSD_PS3_PT2_iSC_SC_
		.amdhsa_group_segment_fixed_size 0
		.amdhsa_private_segment_fixed_size 64
		.amdhsa_kernarg_size 400
		.amdhsa_user_sgpr_count 2
		.amdhsa_user_sgpr_dispatch_ptr 0
		.amdhsa_user_sgpr_queue_ptr 0
		.amdhsa_user_sgpr_kernarg_segment_ptr 1
		.amdhsa_user_sgpr_dispatch_id 0
		.amdhsa_user_sgpr_kernarg_preload_length 0
		.amdhsa_user_sgpr_kernarg_preload_offset 0
		.amdhsa_user_sgpr_private_segment_size 0
		.amdhsa_wavefront_size32 1
		.amdhsa_uses_dynamic_stack 0
		.amdhsa_enable_private_segment 1
		.amdhsa_system_sgpr_workgroup_id_x 1
		.amdhsa_system_sgpr_workgroup_id_y 0
		.amdhsa_system_sgpr_workgroup_id_z 0
		.amdhsa_system_sgpr_workgroup_info 0
		.amdhsa_system_vgpr_workitem_id 0
		.amdhsa_next_free_vgpr 51
		.amdhsa_next_free_sgpr 34
		.amdhsa_named_barrier_count 0
		.amdhsa_reserve_vcc 1
		.amdhsa_float_round_mode_32 0
		.amdhsa_float_round_mode_16_64 0
		.amdhsa_float_denorm_mode_32 3
		.amdhsa_float_denorm_mode_16_64 3
		.amdhsa_fp16_overflow 0
		.amdhsa_memory_ordered 1
		.amdhsa_forward_progress 1
		.amdhsa_inst_pref_size 1
		.amdhsa_round_robin_scheduling 0
		.amdhsa_exception_fp_ieee_invalid_op 0
		.amdhsa_exception_fp_denorm_src 0
		.amdhsa_exception_fp_ieee_div_zero 0
		.amdhsa_exception_fp_ieee_overflow 0
		.amdhsa_exception_fp_ieee_underflow 0
		.amdhsa_exception_fp_ieee_inexact 0
		.amdhsa_exception_int_div_zero 0
	.end_amdhsa_kernel
	.section	.text._Z39paged_attention_ll4mi_QKV_mfma16_kernelI14__hip_bfloat16hLN4vllm18Fp8KVCacheDataTypeE1EhLi16ELi128ELi256ELb1ELi2EEvPKT_PKT0_S8_ifPKiSA_SA_iPKfiiiPfSD_PS3_PT2_iSC_SC_,"axG",@progbits,_Z39paged_attention_ll4mi_QKV_mfma16_kernelI14__hip_bfloat16hLN4vllm18Fp8KVCacheDataTypeE1EhLi16ELi128ELi256ELb1ELi2EEvPKT_PKT0_S8_ifPKiSA_SA_iPKfiiiPfSD_PS3_PT2_iSC_SC_,comdat
.Lfunc_end1267:
	.size	_Z39paged_attention_ll4mi_QKV_mfma16_kernelI14__hip_bfloat16hLN4vllm18Fp8KVCacheDataTypeE1EhLi16ELi128ELi256ELb1ELi2EEvPKT_PKT0_S8_ifPKiSA_SA_iPKfiiiPfSD_PS3_PT2_iSC_SC_, .Lfunc_end1267-_Z39paged_attention_ll4mi_QKV_mfma16_kernelI14__hip_bfloat16hLN4vllm18Fp8KVCacheDataTypeE1EhLi16ELi128ELi256ELb1ELi2EEvPKT_PKT0_S8_ifPKiSA_SA_iPKfiiiPfSD_PS3_PT2_iSC_SC_
                                        ; -- End function
	.set _Z39paged_attention_ll4mi_QKV_mfma16_kernelI14__hip_bfloat16hLN4vllm18Fp8KVCacheDataTypeE1EhLi16ELi128ELi256ELb1ELi2EEvPKT_PKT0_S8_ifPKiSA_SA_iPKfiiiPfSD_PS3_PT2_iSC_SC_.num_vgpr, max(3, .L__assert_fail.num_vgpr)
	.set _Z39paged_attention_ll4mi_QKV_mfma16_kernelI14__hip_bfloat16hLN4vllm18Fp8KVCacheDataTypeE1EhLi16ELi128ELi256ELb1ELi2EEvPKT_PKT0_S8_ifPKiSA_SA_iPKfiiiPfSD_PS3_PT2_iSC_SC_.num_agpr, max(0, .L__assert_fail.num_agpr)
	.set _Z39paged_attention_ll4mi_QKV_mfma16_kernelI14__hip_bfloat16hLN4vllm18Fp8KVCacheDataTypeE1EhLi16ELi128ELi256ELb1ELi2EEvPKT_PKT0_S8_ifPKiSA_SA_iPKfiiiPfSD_PS3_PT2_iSC_SC_.numbered_sgpr, max(33, .L__assert_fail.numbered_sgpr)
	.set _Z39paged_attention_ll4mi_QKV_mfma16_kernelI14__hip_bfloat16hLN4vllm18Fp8KVCacheDataTypeE1EhLi16ELi128ELi256ELb1ELi2EEvPKT_PKT0_S8_ifPKiSA_SA_iPKfiiiPfSD_PS3_PT2_iSC_SC_.num_named_barrier, max(0, .L__assert_fail.num_named_barrier)
	.set _Z39paged_attention_ll4mi_QKV_mfma16_kernelI14__hip_bfloat16hLN4vllm18Fp8KVCacheDataTypeE1EhLi16ELi128ELi256ELb1ELi2EEvPKT_PKT0_S8_ifPKiSA_SA_iPKfiiiPfSD_PS3_PT2_iSC_SC_.private_seg_size, 0+max(.L__assert_fail.private_seg_size)
	.set _Z39paged_attention_ll4mi_QKV_mfma16_kernelI14__hip_bfloat16hLN4vllm18Fp8KVCacheDataTypeE1EhLi16ELi128ELi256ELb1ELi2EEvPKT_PKT0_S8_ifPKiSA_SA_iPKfiiiPfSD_PS3_PT2_iSC_SC_.uses_vcc, or(1, .L__assert_fail.uses_vcc)
	.set _Z39paged_attention_ll4mi_QKV_mfma16_kernelI14__hip_bfloat16hLN4vllm18Fp8KVCacheDataTypeE1EhLi16ELi128ELi256ELb1ELi2EEvPKT_PKT0_S8_ifPKiSA_SA_iPKfiiiPfSD_PS3_PT2_iSC_SC_.uses_flat_scratch, or(0, .L__assert_fail.uses_flat_scratch)
	.set _Z39paged_attention_ll4mi_QKV_mfma16_kernelI14__hip_bfloat16hLN4vllm18Fp8KVCacheDataTypeE1EhLi16ELi128ELi256ELb1ELi2EEvPKT_PKT0_S8_ifPKiSA_SA_iPKfiiiPfSD_PS3_PT2_iSC_SC_.has_dyn_sized_stack, or(0, .L__assert_fail.has_dyn_sized_stack)
	.set _Z39paged_attention_ll4mi_QKV_mfma16_kernelI14__hip_bfloat16hLN4vllm18Fp8KVCacheDataTypeE1EhLi16ELi128ELi256ELb1ELi2EEvPKT_PKT0_S8_ifPKiSA_SA_iPKfiiiPfSD_PS3_PT2_iSC_SC_.has_recursion, or(0, .L__assert_fail.has_recursion)
	.set _Z39paged_attention_ll4mi_QKV_mfma16_kernelI14__hip_bfloat16hLN4vllm18Fp8KVCacheDataTypeE1EhLi16ELi128ELi256ELb1ELi2EEvPKT_PKT0_S8_ifPKiSA_SA_iPKfiiiPfSD_PS3_PT2_iSC_SC_.has_indirect_call, or(0, .L__assert_fail.has_indirect_call)
	.section	.AMDGPU.csdata,"",@progbits
; Kernel info:
; codeLenInByte = 68
; TotalNumSgprs: 36
; NumVgprs: 51
; ScratchSize: 64
; MemoryBound: 0
; FloatMode: 240
; IeeeMode: 1
; LDSByteSize: 0 bytes/workgroup (compile time only)
; SGPRBlocks: 0
; VGPRBlocks: 3
; NumSGPRsForWavesPerEU: 36
; NumVGPRsForWavesPerEU: 51
; NamedBarCnt: 0
; Occupancy: 16
; WaveLimiterHint : 1
; COMPUTE_PGM_RSRC2:SCRATCH_EN: 1
; COMPUTE_PGM_RSRC2:USER_SGPR: 2
; COMPUTE_PGM_RSRC2:TRAP_HANDLER: 0
; COMPUTE_PGM_RSRC2:TGID_X_EN: 1
; COMPUTE_PGM_RSRC2:TGID_Y_EN: 0
; COMPUTE_PGM_RSRC2:TGID_Z_EN: 0
; COMPUTE_PGM_RSRC2:TIDIG_COMP_CNT: 0
	.section	.text._Z39paged_attention_ll4mi_QKV_mfma16_kernelI14__hip_bfloat16hLN4vllm18Fp8KVCacheDataTypeE1EhLi16ELi128ELi256ELb1ELi3EEvPKT_PKT0_S8_ifPKiSA_SA_iPKfiiiPfSD_PS3_PT2_iSC_SC_,"axG",@progbits,_Z39paged_attention_ll4mi_QKV_mfma16_kernelI14__hip_bfloat16hLN4vllm18Fp8KVCacheDataTypeE1EhLi16ELi128ELi256ELb1ELi3EEvPKT_PKT0_S8_ifPKiSA_SA_iPKfiiiPfSD_PS3_PT2_iSC_SC_,comdat
	.protected	_Z39paged_attention_ll4mi_QKV_mfma16_kernelI14__hip_bfloat16hLN4vllm18Fp8KVCacheDataTypeE1EhLi16ELi128ELi256ELb1ELi3EEvPKT_PKT0_S8_ifPKiSA_SA_iPKfiiiPfSD_PS3_PT2_iSC_SC_ ; -- Begin function _Z39paged_attention_ll4mi_QKV_mfma16_kernelI14__hip_bfloat16hLN4vllm18Fp8KVCacheDataTypeE1EhLi16ELi128ELi256ELb1ELi3EEvPKT_PKT0_S8_ifPKiSA_SA_iPKfiiiPfSD_PS3_PT2_iSC_SC_
	.globl	_Z39paged_attention_ll4mi_QKV_mfma16_kernelI14__hip_bfloat16hLN4vllm18Fp8KVCacheDataTypeE1EhLi16ELi128ELi256ELb1ELi3EEvPKT_PKT0_S8_ifPKiSA_SA_iPKfiiiPfSD_PS3_PT2_iSC_SC_
	.p2align	8
	.type	_Z39paged_attention_ll4mi_QKV_mfma16_kernelI14__hip_bfloat16hLN4vllm18Fp8KVCacheDataTypeE1EhLi16ELi128ELi256ELb1ELi3EEvPKT_PKT0_S8_ifPKiSA_SA_iPKfiiiPfSD_PS3_PT2_iSC_SC_,@function
_Z39paged_attention_ll4mi_QKV_mfma16_kernelI14__hip_bfloat16hLN4vllm18Fp8KVCacheDataTypeE1EhLi16ELi128ELi256ELb1ELi3EEvPKT_PKT0_S8_ifPKiSA_SA_iPKfiiiPfSD_PS3_PT2_iSC_SC_: ; @_Z39paged_attention_ll4mi_QKV_mfma16_kernelI14__hip_bfloat16hLN4vllm18Fp8KVCacheDataTypeE1EhLi16ELi128ELi256ELb1ELi3EEvPKT_PKT0_S8_ifPKiSA_SA_iPKfiiiPfSD_PS3_PT2_iSC_SC_
; %bb.0:
	s_get_pc_i64 s[2:3]
	s_add_nc_u64 s[2:3], s[2:3], __PRETTY_FUNCTION__._Z39paged_attention_ll4mi_QKV_mfma16_kernelI14__hip_bfloat16hLN4vllm18Fp8KVCacheDataTypeE1EhLi16ELi128ELi256ELb1ELi3EEvPKT_PKT0_S8_ifPKiSA_SA_iPKfiiiPfSD_PS3_PT2_iSC_SC_@rel64+4
	s_delay_alu instid0(SALU_CYCLE_1)
	v_dual_mov_b32 v0, 0xbb3 :: v_dual_mov_b32 v1, s2
	v_mov_b32_e32 v2, s3
	s_add_nc_u64 s[8:9], s[0:1], 0x90
	s_get_pc_i64 s[0:1]
	s_add_nc_u64 s[0:1], s[0:1], __assert_fail@rel64+4
	s_mov_b32 s32, 0
	s_swap_pc_i64 s[30:31], s[0:1]
	.section	.rodata,"a",@progbits
	.p2align	6, 0x0
	.amdhsa_kernel _Z39paged_attention_ll4mi_QKV_mfma16_kernelI14__hip_bfloat16hLN4vllm18Fp8KVCacheDataTypeE1EhLi16ELi128ELi256ELb1ELi3EEvPKT_PKT0_S8_ifPKiSA_SA_iPKfiiiPfSD_PS3_PT2_iSC_SC_
		.amdhsa_group_segment_fixed_size 0
		.amdhsa_private_segment_fixed_size 64
		.amdhsa_kernarg_size 400
		.amdhsa_user_sgpr_count 2
		.amdhsa_user_sgpr_dispatch_ptr 0
		.amdhsa_user_sgpr_queue_ptr 0
		.amdhsa_user_sgpr_kernarg_segment_ptr 1
		.amdhsa_user_sgpr_dispatch_id 0
		.amdhsa_user_sgpr_kernarg_preload_length 0
		.amdhsa_user_sgpr_kernarg_preload_offset 0
		.amdhsa_user_sgpr_private_segment_size 0
		.amdhsa_wavefront_size32 1
		.amdhsa_uses_dynamic_stack 0
		.amdhsa_enable_private_segment 1
		.amdhsa_system_sgpr_workgroup_id_x 1
		.amdhsa_system_sgpr_workgroup_id_y 0
		.amdhsa_system_sgpr_workgroup_id_z 0
		.amdhsa_system_sgpr_workgroup_info 0
		.amdhsa_system_vgpr_workitem_id 0
		.amdhsa_next_free_vgpr 51
		.amdhsa_next_free_sgpr 34
		.amdhsa_named_barrier_count 0
		.amdhsa_reserve_vcc 1
		.amdhsa_float_round_mode_32 0
		.amdhsa_float_round_mode_16_64 0
		.amdhsa_float_denorm_mode_32 3
		.amdhsa_float_denorm_mode_16_64 3
		.amdhsa_fp16_overflow 0
		.amdhsa_memory_ordered 1
		.amdhsa_forward_progress 1
		.amdhsa_inst_pref_size 1
		.amdhsa_round_robin_scheduling 0
		.amdhsa_exception_fp_ieee_invalid_op 0
		.amdhsa_exception_fp_denorm_src 0
		.amdhsa_exception_fp_ieee_div_zero 0
		.amdhsa_exception_fp_ieee_overflow 0
		.amdhsa_exception_fp_ieee_underflow 0
		.amdhsa_exception_fp_ieee_inexact 0
		.amdhsa_exception_int_div_zero 0
	.end_amdhsa_kernel
	.section	.text._Z39paged_attention_ll4mi_QKV_mfma16_kernelI14__hip_bfloat16hLN4vllm18Fp8KVCacheDataTypeE1EhLi16ELi128ELi256ELb1ELi3EEvPKT_PKT0_S8_ifPKiSA_SA_iPKfiiiPfSD_PS3_PT2_iSC_SC_,"axG",@progbits,_Z39paged_attention_ll4mi_QKV_mfma16_kernelI14__hip_bfloat16hLN4vllm18Fp8KVCacheDataTypeE1EhLi16ELi128ELi256ELb1ELi3EEvPKT_PKT0_S8_ifPKiSA_SA_iPKfiiiPfSD_PS3_PT2_iSC_SC_,comdat
.Lfunc_end1268:
	.size	_Z39paged_attention_ll4mi_QKV_mfma16_kernelI14__hip_bfloat16hLN4vllm18Fp8KVCacheDataTypeE1EhLi16ELi128ELi256ELb1ELi3EEvPKT_PKT0_S8_ifPKiSA_SA_iPKfiiiPfSD_PS3_PT2_iSC_SC_, .Lfunc_end1268-_Z39paged_attention_ll4mi_QKV_mfma16_kernelI14__hip_bfloat16hLN4vllm18Fp8KVCacheDataTypeE1EhLi16ELi128ELi256ELb1ELi3EEvPKT_PKT0_S8_ifPKiSA_SA_iPKfiiiPfSD_PS3_PT2_iSC_SC_
                                        ; -- End function
	.set _Z39paged_attention_ll4mi_QKV_mfma16_kernelI14__hip_bfloat16hLN4vllm18Fp8KVCacheDataTypeE1EhLi16ELi128ELi256ELb1ELi3EEvPKT_PKT0_S8_ifPKiSA_SA_iPKfiiiPfSD_PS3_PT2_iSC_SC_.num_vgpr, max(3, .L__assert_fail.num_vgpr)
	.set _Z39paged_attention_ll4mi_QKV_mfma16_kernelI14__hip_bfloat16hLN4vllm18Fp8KVCacheDataTypeE1EhLi16ELi128ELi256ELb1ELi3EEvPKT_PKT0_S8_ifPKiSA_SA_iPKfiiiPfSD_PS3_PT2_iSC_SC_.num_agpr, max(0, .L__assert_fail.num_agpr)
	.set _Z39paged_attention_ll4mi_QKV_mfma16_kernelI14__hip_bfloat16hLN4vllm18Fp8KVCacheDataTypeE1EhLi16ELi128ELi256ELb1ELi3EEvPKT_PKT0_S8_ifPKiSA_SA_iPKfiiiPfSD_PS3_PT2_iSC_SC_.numbered_sgpr, max(33, .L__assert_fail.numbered_sgpr)
	.set _Z39paged_attention_ll4mi_QKV_mfma16_kernelI14__hip_bfloat16hLN4vllm18Fp8KVCacheDataTypeE1EhLi16ELi128ELi256ELb1ELi3EEvPKT_PKT0_S8_ifPKiSA_SA_iPKfiiiPfSD_PS3_PT2_iSC_SC_.num_named_barrier, max(0, .L__assert_fail.num_named_barrier)
	.set _Z39paged_attention_ll4mi_QKV_mfma16_kernelI14__hip_bfloat16hLN4vllm18Fp8KVCacheDataTypeE1EhLi16ELi128ELi256ELb1ELi3EEvPKT_PKT0_S8_ifPKiSA_SA_iPKfiiiPfSD_PS3_PT2_iSC_SC_.private_seg_size, 0+max(.L__assert_fail.private_seg_size)
	.set _Z39paged_attention_ll4mi_QKV_mfma16_kernelI14__hip_bfloat16hLN4vllm18Fp8KVCacheDataTypeE1EhLi16ELi128ELi256ELb1ELi3EEvPKT_PKT0_S8_ifPKiSA_SA_iPKfiiiPfSD_PS3_PT2_iSC_SC_.uses_vcc, or(1, .L__assert_fail.uses_vcc)
	.set _Z39paged_attention_ll4mi_QKV_mfma16_kernelI14__hip_bfloat16hLN4vllm18Fp8KVCacheDataTypeE1EhLi16ELi128ELi256ELb1ELi3EEvPKT_PKT0_S8_ifPKiSA_SA_iPKfiiiPfSD_PS3_PT2_iSC_SC_.uses_flat_scratch, or(0, .L__assert_fail.uses_flat_scratch)
	.set _Z39paged_attention_ll4mi_QKV_mfma16_kernelI14__hip_bfloat16hLN4vllm18Fp8KVCacheDataTypeE1EhLi16ELi128ELi256ELb1ELi3EEvPKT_PKT0_S8_ifPKiSA_SA_iPKfiiiPfSD_PS3_PT2_iSC_SC_.has_dyn_sized_stack, or(0, .L__assert_fail.has_dyn_sized_stack)
	.set _Z39paged_attention_ll4mi_QKV_mfma16_kernelI14__hip_bfloat16hLN4vllm18Fp8KVCacheDataTypeE1EhLi16ELi128ELi256ELb1ELi3EEvPKT_PKT0_S8_ifPKiSA_SA_iPKfiiiPfSD_PS3_PT2_iSC_SC_.has_recursion, or(0, .L__assert_fail.has_recursion)
	.set _Z39paged_attention_ll4mi_QKV_mfma16_kernelI14__hip_bfloat16hLN4vllm18Fp8KVCacheDataTypeE1EhLi16ELi128ELi256ELb1ELi3EEvPKT_PKT0_S8_ifPKiSA_SA_iPKfiiiPfSD_PS3_PT2_iSC_SC_.has_indirect_call, or(0, .L__assert_fail.has_indirect_call)
	.section	.AMDGPU.csdata,"",@progbits
; Kernel info:
; codeLenInByte = 68
; TotalNumSgprs: 36
; NumVgprs: 51
; ScratchSize: 64
; MemoryBound: 0
; FloatMode: 240
; IeeeMode: 1
; LDSByteSize: 0 bytes/workgroup (compile time only)
; SGPRBlocks: 0
; VGPRBlocks: 3
; NumSGPRsForWavesPerEU: 36
; NumVGPRsForWavesPerEU: 51
; NamedBarCnt: 0
; Occupancy: 16
; WaveLimiterHint : 1
; COMPUTE_PGM_RSRC2:SCRATCH_EN: 1
; COMPUTE_PGM_RSRC2:USER_SGPR: 2
; COMPUTE_PGM_RSRC2:TRAP_HANDLER: 0
; COMPUTE_PGM_RSRC2:TGID_X_EN: 1
; COMPUTE_PGM_RSRC2:TGID_Y_EN: 0
; COMPUTE_PGM_RSRC2:TGID_Z_EN: 0
; COMPUTE_PGM_RSRC2:TIDIG_COMP_CNT: 0
	.section	.text._Z39paged_attention_ll4mi_QKV_mfma16_kernelI14__hip_bfloat16hLN4vllm18Fp8KVCacheDataTypeE1EhLi16ELi128ELi256ELb1ELi4EEvPKT_PKT0_S8_ifPKiSA_SA_iPKfiiiPfSD_PS3_PT2_iSC_SC_,"axG",@progbits,_Z39paged_attention_ll4mi_QKV_mfma16_kernelI14__hip_bfloat16hLN4vllm18Fp8KVCacheDataTypeE1EhLi16ELi128ELi256ELb1ELi4EEvPKT_PKT0_S8_ifPKiSA_SA_iPKfiiiPfSD_PS3_PT2_iSC_SC_,comdat
	.protected	_Z39paged_attention_ll4mi_QKV_mfma16_kernelI14__hip_bfloat16hLN4vllm18Fp8KVCacheDataTypeE1EhLi16ELi128ELi256ELb1ELi4EEvPKT_PKT0_S8_ifPKiSA_SA_iPKfiiiPfSD_PS3_PT2_iSC_SC_ ; -- Begin function _Z39paged_attention_ll4mi_QKV_mfma16_kernelI14__hip_bfloat16hLN4vllm18Fp8KVCacheDataTypeE1EhLi16ELi128ELi256ELb1ELi4EEvPKT_PKT0_S8_ifPKiSA_SA_iPKfiiiPfSD_PS3_PT2_iSC_SC_
	.globl	_Z39paged_attention_ll4mi_QKV_mfma16_kernelI14__hip_bfloat16hLN4vllm18Fp8KVCacheDataTypeE1EhLi16ELi128ELi256ELb1ELi4EEvPKT_PKT0_S8_ifPKiSA_SA_iPKfiiiPfSD_PS3_PT2_iSC_SC_
	.p2align	8
	.type	_Z39paged_attention_ll4mi_QKV_mfma16_kernelI14__hip_bfloat16hLN4vllm18Fp8KVCacheDataTypeE1EhLi16ELi128ELi256ELb1ELi4EEvPKT_PKT0_S8_ifPKiSA_SA_iPKfiiiPfSD_PS3_PT2_iSC_SC_,@function
_Z39paged_attention_ll4mi_QKV_mfma16_kernelI14__hip_bfloat16hLN4vllm18Fp8KVCacheDataTypeE1EhLi16ELi128ELi256ELb1ELi4EEvPKT_PKT0_S8_ifPKiSA_SA_iPKfiiiPfSD_PS3_PT2_iSC_SC_: ; @_Z39paged_attention_ll4mi_QKV_mfma16_kernelI14__hip_bfloat16hLN4vllm18Fp8KVCacheDataTypeE1EhLi16ELi128ELi256ELb1ELi4EEvPKT_PKT0_S8_ifPKiSA_SA_iPKfiiiPfSD_PS3_PT2_iSC_SC_
; %bb.0:
	s_get_pc_i64 s[2:3]
	s_add_nc_u64 s[2:3], s[2:3], __PRETTY_FUNCTION__._Z39paged_attention_ll4mi_QKV_mfma16_kernelI14__hip_bfloat16hLN4vllm18Fp8KVCacheDataTypeE1EhLi16ELi128ELi256ELb1ELi4EEvPKT_PKT0_S8_ifPKiSA_SA_iPKfiiiPfSD_PS3_PT2_iSC_SC_@rel64+4
	s_delay_alu instid0(SALU_CYCLE_1)
	v_dual_mov_b32 v0, 0xbb3 :: v_dual_mov_b32 v1, s2
	v_mov_b32_e32 v2, s3
	s_add_nc_u64 s[8:9], s[0:1], 0x90
	s_get_pc_i64 s[0:1]
	s_add_nc_u64 s[0:1], s[0:1], __assert_fail@rel64+4
	s_mov_b32 s32, 0
	s_swap_pc_i64 s[30:31], s[0:1]
	.section	.rodata,"a",@progbits
	.p2align	6, 0x0
	.amdhsa_kernel _Z39paged_attention_ll4mi_QKV_mfma16_kernelI14__hip_bfloat16hLN4vllm18Fp8KVCacheDataTypeE1EhLi16ELi128ELi256ELb1ELi4EEvPKT_PKT0_S8_ifPKiSA_SA_iPKfiiiPfSD_PS3_PT2_iSC_SC_
		.amdhsa_group_segment_fixed_size 0
		.amdhsa_private_segment_fixed_size 64
		.amdhsa_kernarg_size 400
		.amdhsa_user_sgpr_count 2
		.amdhsa_user_sgpr_dispatch_ptr 0
		.amdhsa_user_sgpr_queue_ptr 0
		.amdhsa_user_sgpr_kernarg_segment_ptr 1
		.amdhsa_user_sgpr_dispatch_id 0
		.amdhsa_user_sgpr_kernarg_preload_length 0
		.amdhsa_user_sgpr_kernarg_preload_offset 0
		.amdhsa_user_sgpr_private_segment_size 0
		.amdhsa_wavefront_size32 1
		.amdhsa_uses_dynamic_stack 0
		.amdhsa_enable_private_segment 1
		.amdhsa_system_sgpr_workgroup_id_x 1
		.amdhsa_system_sgpr_workgroup_id_y 0
		.amdhsa_system_sgpr_workgroup_id_z 0
		.amdhsa_system_sgpr_workgroup_info 0
		.amdhsa_system_vgpr_workitem_id 0
		.amdhsa_next_free_vgpr 51
		.amdhsa_next_free_sgpr 34
		.amdhsa_named_barrier_count 0
		.amdhsa_reserve_vcc 1
		.amdhsa_float_round_mode_32 0
		.amdhsa_float_round_mode_16_64 0
		.amdhsa_float_denorm_mode_32 3
		.amdhsa_float_denorm_mode_16_64 3
		.amdhsa_fp16_overflow 0
		.amdhsa_memory_ordered 1
		.amdhsa_forward_progress 1
		.amdhsa_inst_pref_size 1
		.amdhsa_round_robin_scheduling 0
		.amdhsa_exception_fp_ieee_invalid_op 0
		.amdhsa_exception_fp_denorm_src 0
		.amdhsa_exception_fp_ieee_div_zero 0
		.amdhsa_exception_fp_ieee_overflow 0
		.amdhsa_exception_fp_ieee_underflow 0
		.amdhsa_exception_fp_ieee_inexact 0
		.amdhsa_exception_int_div_zero 0
	.end_amdhsa_kernel
	.section	.text._Z39paged_attention_ll4mi_QKV_mfma16_kernelI14__hip_bfloat16hLN4vllm18Fp8KVCacheDataTypeE1EhLi16ELi128ELi256ELb1ELi4EEvPKT_PKT0_S8_ifPKiSA_SA_iPKfiiiPfSD_PS3_PT2_iSC_SC_,"axG",@progbits,_Z39paged_attention_ll4mi_QKV_mfma16_kernelI14__hip_bfloat16hLN4vllm18Fp8KVCacheDataTypeE1EhLi16ELi128ELi256ELb1ELi4EEvPKT_PKT0_S8_ifPKiSA_SA_iPKfiiiPfSD_PS3_PT2_iSC_SC_,comdat
.Lfunc_end1269:
	.size	_Z39paged_attention_ll4mi_QKV_mfma16_kernelI14__hip_bfloat16hLN4vllm18Fp8KVCacheDataTypeE1EhLi16ELi128ELi256ELb1ELi4EEvPKT_PKT0_S8_ifPKiSA_SA_iPKfiiiPfSD_PS3_PT2_iSC_SC_, .Lfunc_end1269-_Z39paged_attention_ll4mi_QKV_mfma16_kernelI14__hip_bfloat16hLN4vllm18Fp8KVCacheDataTypeE1EhLi16ELi128ELi256ELb1ELi4EEvPKT_PKT0_S8_ifPKiSA_SA_iPKfiiiPfSD_PS3_PT2_iSC_SC_
                                        ; -- End function
	.set _Z39paged_attention_ll4mi_QKV_mfma16_kernelI14__hip_bfloat16hLN4vllm18Fp8KVCacheDataTypeE1EhLi16ELi128ELi256ELb1ELi4EEvPKT_PKT0_S8_ifPKiSA_SA_iPKfiiiPfSD_PS3_PT2_iSC_SC_.num_vgpr, max(3, .L__assert_fail.num_vgpr)
	.set _Z39paged_attention_ll4mi_QKV_mfma16_kernelI14__hip_bfloat16hLN4vllm18Fp8KVCacheDataTypeE1EhLi16ELi128ELi256ELb1ELi4EEvPKT_PKT0_S8_ifPKiSA_SA_iPKfiiiPfSD_PS3_PT2_iSC_SC_.num_agpr, max(0, .L__assert_fail.num_agpr)
	.set _Z39paged_attention_ll4mi_QKV_mfma16_kernelI14__hip_bfloat16hLN4vllm18Fp8KVCacheDataTypeE1EhLi16ELi128ELi256ELb1ELi4EEvPKT_PKT0_S8_ifPKiSA_SA_iPKfiiiPfSD_PS3_PT2_iSC_SC_.numbered_sgpr, max(33, .L__assert_fail.numbered_sgpr)
	.set _Z39paged_attention_ll4mi_QKV_mfma16_kernelI14__hip_bfloat16hLN4vllm18Fp8KVCacheDataTypeE1EhLi16ELi128ELi256ELb1ELi4EEvPKT_PKT0_S8_ifPKiSA_SA_iPKfiiiPfSD_PS3_PT2_iSC_SC_.num_named_barrier, max(0, .L__assert_fail.num_named_barrier)
	.set _Z39paged_attention_ll4mi_QKV_mfma16_kernelI14__hip_bfloat16hLN4vllm18Fp8KVCacheDataTypeE1EhLi16ELi128ELi256ELb1ELi4EEvPKT_PKT0_S8_ifPKiSA_SA_iPKfiiiPfSD_PS3_PT2_iSC_SC_.private_seg_size, 0+max(.L__assert_fail.private_seg_size)
	.set _Z39paged_attention_ll4mi_QKV_mfma16_kernelI14__hip_bfloat16hLN4vllm18Fp8KVCacheDataTypeE1EhLi16ELi128ELi256ELb1ELi4EEvPKT_PKT0_S8_ifPKiSA_SA_iPKfiiiPfSD_PS3_PT2_iSC_SC_.uses_vcc, or(1, .L__assert_fail.uses_vcc)
	.set _Z39paged_attention_ll4mi_QKV_mfma16_kernelI14__hip_bfloat16hLN4vllm18Fp8KVCacheDataTypeE1EhLi16ELi128ELi256ELb1ELi4EEvPKT_PKT0_S8_ifPKiSA_SA_iPKfiiiPfSD_PS3_PT2_iSC_SC_.uses_flat_scratch, or(0, .L__assert_fail.uses_flat_scratch)
	.set _Z39paged_attention_ll4mi_QKV_mfma16_kernelI14__hip_bfloat16hLN4vllm18Fp8KVCacheDataTypeE1EhLi16ELi128ELi256ELb1ELi4EEvPKT_PKT0_S8_ifPKiSA_SA_iPKfiiiPfSD_PS3_PT2_iSC_SC_.has_dyn_sized_stack, or(0, .L__assert_fail.has_dyn_sized_stack)
	.set _Z39paged_attention_ll4mi_QKV_mfma16_kernelI14__hip_bfloat16hLN4vllm18Fp8KVCacheDataTypeE1EhLi16ELi128ELi256ELb1ELi4EEvPKT_PKT0_S8_ifPKiSA_SA_iPKfiiiPfSD_PS3_PT2_iSC_SC_.has_recursion, or(0, .L__assert_fail.has_recursion)
	.set _Z39paged_attention_ll4mi_QKV_mfma16_kernelI14__hip_bfloat16hLN4vllm18Fp8KVCacheDataTypeE1EhLi16ELi128ELi256ELb1ELi4EEvPKT_PKT0_S8_ifPKiSA_SA_iPKfiiiPfSD_PS3_PT2_iSC_SC_.has_indirect_call, or(0, .L__assert_fail.has_indirect_call)
	.section	.AMDGPU.csdata,"",@progbits
; Kernel info:
; codeLenInByte = 68
; TotalNumSgprs: 36
; NumVgprs: 51
; ScratchSize: 64
; MemoryBound: 0
; FloatMode: 240
; IeeeMode: 1
; LDSByteSize: 0 bytes/workgroup (compile time only)
; SGPRBlocks: 0
; VGPRBlocks: 3
; NumSGPRsForWavesPerEU: 36
; NumVGPRsForWavesPerEU: 51
; NamedBarCnt: 0
; Occupancy: 16
; WaveLimiterHint : 1
; COMPUTE_PGM_RSRC2:SCRATCH_EN: 1
; COMPUTE_PGM_RSRC2:USER_SGPR: 2
; COMPUTE_PGM_RSRC2:TRAP_HANDLER: 0
; COMPUTE_PGM_RSRC2:TGID_X_EN: 1
; COMPUTE_PGM_RSRC2:TGID_Y_EN: 0
; COMPUTE_PGM_RSRC2:TGID_Z_EN: 0
; COMPUTE_PGM_RSRC2:TIDIG_COMP_CNT: 0
	.section	.text._Z38paged_attention_ll4mi_QKV_mfma4_kernelI14__hip_bfloat16hLN4vllm18Fp8KVCacheDataTypeE1EhLi16ELi128ELi256ELb0ELi1EEvPKT_PKT0_S8_ifPKiSA_SA_iPKfiiiPfSD_PS3_PT2_iSC_SC_,"axG",@progbits,_Z38paged_attention_ll4mi_QKV_mfma4_kernelI14__hip_bfloat16hLN4vllm18Fp8KVCacheDataTypeE1EhLi16ELi128ELi256ELb0ELi1EEvPKT_PKT0_S8_ifPKiSA_SA_iPKfiiiPfSD_PS3_PT2_iSC_SC_,comdat
	.protected	_Z38paged_attention_ll4mi_QKV_mfma4_kernelI14__hip_bfloat16hLN4vllm18Fp8KVCacheDataTypeE1EhLi16ELi128ELi256ELb0ELi1EEvPKT_PKT0_S8_ifPKiSA_SA_iPKfiiiPfSD_PS3_PT2_iSC_SC_ ; -- Begin function _Z38paged_attention_ll4mi_QKV_mfma4_kernelI14__hip_bfloat16hLN4vllm18Fp8KVCacheDataTypeE1EhLi16ELi128ELi256ELb0ELi1EEvPKT_PKT0_S8_ifPKiSA_SA_iPKfiiiPfSD_PS3_PT2_iSC_SC_
	.globl	_Z38paged_attention_ll4mi_QKV_mfma4_kernelI14__hip_bfloat16hLN4vllm18Fp8KVCacheDataTypeE1EhLi16ELi128ELi256ELb0ELi1EEvPKT_PKT0_S8_ifPKiSA_SA_iPKfiiiPfSD_PS3_PT2_iSC_SC_
	.p2align	8
	.type	_Z38paged_attention_ll4mi_QKV_mfma4_kernelI14__hip_bfloat16hLN4vllm18Fp8KVCacheDataTypeE1EhLi16ELi128ELi256ELb0ELi1EEvPKT_PKT0_S8_ifPKiSA_SA_iPKfiiiPfSD_PS3_PT2_iSC_SC_,@function
_Z38paged_attention_ll4mi_QKV_mfma4_kernelI14__hip_bfloat16hLN4vllm18Fp8KVCacheDataTypeE1EhLi16ELi128ELi256ELb0ELi1EEvPKT_PKT0_S8_ifPKiSA_SA_iPKfiiiPfSD_PS3_PT2_iSC_SC_: ; @_Z38paged_attention_ll4mi_QKV_mfma4_kernelI14__hip_bfloat16hLN4vllm18Fp8KVCacheDataTypeE1EhLi16ELi128ELi256ELb0ELi1EEvPKT_PKT0_S8_ifPKiSA_SA_iPKfiiiPfSD_PS3_PT2_iSC_SC_
; %bb.0:
	s_get_pc_i64 s[2:3]
	s_add_nc_u64 s[2:3], s[2:3], __PRETTY_FUNCTION__._Z38paged_attention_ll4mi_QKV_mfma4_kernelI14__hip_bfloat16hLN4vllm18Fp8KVCacheDataTypeE1EhLi16ELi128ELi256ELb0ELi1EEvPKT_PKT0_S8_ifPKiSA_SA_iPKfiiiPfSD_PS3_PT2_iSC_SC_@rel64+4
	s_delay_alu instid0(SALU_CYCLE_1)
	v_dual_mov_b32 v0, 0xbce :: v_dual_mov_b32 v1, s2
	v_mov_b32_e32 v2, s3
	s_add_nc_u64 s[8:9], s[0:1], 0x90
	s_get_pc_i64 s[0:1]
	s_add_nc_u64 s[0:1], s[0:1], __assert_fail@rel64+4
	s_mov_b32 s32, 0
	s_swap_pc_i64 s[30:31], s[0:1]
	.section	.rodata,"a",@progbits
	.p2align	6, 0x0
	.amdhsa_kernel _Z38paged_attention_ll4mi_QKV_mfma4_kernelI14__hip_bfloat16hLN4vllm18Fp8KVCacheDataTypeE1EhLi16ELi128ELi256ELb0ELi1EEvPKT_PKT0_S8_ifPKiSA_SA_iPKfiiiPfSD_PS3_PT2_iSC_SC_
		.amdhsa_group_segment_fixed_size 0
		.amdhsa_private_segment_fixed_size 64
		.amdhsa_kernarg_size 400
		.amdhsa_user_sgpr_count 2
		.amdhsa_user_sgpr_dispatch_ptr 0
		.amdhsa_user_sgpr_queue_ptr 0
		.amdhsa_user_sgpr_kernarg_segment_ptr 1
		.amdhsa_user_sgpr_dispatch_id 0
		.amdhsa_user_sgpr_kernarg_preload_length 0
		.amdhsa_user_sgpr_kernarg_preload_offset 0
		.amdhsa_user_sgpr_private_segment_size 0
		.amdhsa_wavefront_size32 1
		.amdhsa_uses_dynamic_stack 0
		.amdhsa_enable_private_segment 1
		.amdhsa_system_sgpr_workgroup_id_x 1
		.amdhsa_system_sgpr_workgroup_id_y 0
		.amdhsa_system_sgpr_workgroup_id_z 0
		.amdhsa_system_sgpr_workgroup_info 0
		.amdhsa_system_vgpr_workitem_id 0
		.amdhsa_next_free_vgpr 51
		.amdhsa_next_free_sgpr 34
		.amdhsa_named_barrier_count 0
		.amdhsa_reserve_vcc 1
		.amdhsa_float_round_mode_32 0
		.amdhsa_float_round_mode_16_64 0
		.amdhsa_float_denorm_mode_32 3
		.amdhsa_float_denorm_mode_16_64 3
		.amdhsa_fp16_overflow 0
		.amdhsa_memory_ordered 1
		.amdhsa_forward_progress 1
		.amdhsa_inst_pref_size 1
		.amdhsa_round_robin_scheduling 0
		.amdhsa_exception_fp_ieee_invalid_op 0
		.amdhsa_exception_fp_denorm_src 0
		.amdhsa_exception_fp_ieee_div_zero 0
		.amdhsa_exception_fp_ieee_overflow 0
		.amdhsa_exception_fp_ieee_underflow 0
		.amdhsa_exception_fp_ieee_inexact 0
		.amdhsa_exception_int_div_zero 0
	.end_amdhsa_kernel
	.section	.text._Z38paged_attention_ll4mi_QKV_mfma4_kernelI14__hip_bfloat16hLN4vllm18Fp8KVCacheDataTypeE1EhLi16ELi128ELi256ELb0ELi1EEvPKT_PKT0_S8_ifPKiSA_SA_iPKfiiiPfSD_PS3_PT2_iSC_SC_,"axG",@progbits,_Z38paged_attention_ll4mi_QKV_mfma4_kernelI14__hip_bfloat16hLN4vllm18Fp8KVCacheDataTypeE1EhLi16ELi128ELi256ELb0ELi1EEvPKT_PKT0_S8_ifPKiSA_SA_iPKfiiiPfSD_PS3_PT2_iSC_SC_,comdat
.Lfunc_end1270:
	.size	_Z38paged_attention_ll4mi_QKV_mfma4_kernelI14__hip_bfloat16hLN4vllm18Fp8KVCacheDataTypeE1EhLi16ELi128ELi256ELb0ELi1EEvPKT_PKT0_S8_ifPKiSA_SA_iPKfiiiPfSD_PS3_PT2_iSC_SC_, .Lfunc_end1270-_Z38paged_attention_ll4mi_QKV_mfma4_kernelI14__hip_bfloat16hLN4vllm18Fp8KVCacheDataTypeE1EhLi16ELi128ELi256ELb0ELi1EEvPKT_PKT0_S8_ifPKiSA_SA_iPKfiiiPfSD_PS3_PT2_iSC_SC_
                                        ; -- End function
	.set _Z38paged_attention_ll4mi_QKV_mfma4_kernelI14__hip_bfloat16hLN4vllm18Fp8KVCacheDataTypeE1EhLi16ELi128ELi256ELb0ELi1EEvPKT_PKT0_S8_ifPKiSA_SA_iPKfiiiPfSD_PS3_PT2_iSC_SC_.num_vgpr, max(3, .L__assert_fail.num_vgpr)
	.set _Z38paged_attention_ll4mi_QKV_mfma4_kernelI14__hip_bfloat16hLN4vllm18Fp8KVCacheDataTypeE1EhLi16ELi128ELi256ELb0ELi1EEvPKT_PKT0_S8_ifPKiSA_SA_iPKfiiiPfSD_PS3_PT2_iSC_SC_.num_agpr, max(0, .L__assert_fail.num_agpr)
	.set _Z38paged_attention_ll4mi_QKV_mfma4_kernelI14__hip_bfloat16hLN4vllm18Fp8KVCacheDataTypeE1EhLi16ELi128ELi256ELb0ELi1EEvPKT_PKT0_S8_ifPKiSA_SA_iPKfiiiPfSD_PS3_PT2_iSC_SC_.numbered_sgpr, max(33, .L__assert_fail.numbered_sgpr)
	.set _Z38paged_attention_ll4mi_QKV_mfma4_kernelI14__hip_bfloat16hLN4vllm18Fp8KVCacheDataTypeE1EhLi16ELi128ELi256ELb0ELi1EEvPKT_PKT0_S8_ifPKiSA_SA_iPKfiiiPfSD_PS3_PT2_iSC_SC_.num_named_barrier, max(0, .L__assert_fail.num_named_barrier)
	.set _Z38paged_attention_ll4mi_QKV_mfma4_kernelI14__hip_bfloat16hLN4vllm18Fp8KVCacheDataTypeE1EhLi16ELi128ELi256ELb0ELi1EEvPKT_PKT0_S8_ifPKiSA_SA_iPKfiiiPfSD_PS3_PT2_iSC_SC_.private_seg_size, 0+max(.L__assert_fail.private_seg_size)
	.set _Z38paged_attention_ll4mi_QKV_mfma4_kernelI14__hip_bfloat16hLN4vllm18Fp8KVCacheDataTypeE1EhLi16ELi128ELi256ELb0ELi1EEvPKT_PKT0_S8_ifPKiSA_SA_iPKfiiiPfSD_PS3_PT2_iSC_SC_.uses_vcc, or(1, .L__assert_fail.uses_vcc)
	.set _Z38paged_attention_ll4mi_QKV_mfma4_kernelI14__hip_bfloat16hLN4vllm18Fp8KVCacheDataTypeE1EhLi16ELi128ELi256ELb0ELi1EEvPKT_PKT0_S8_ifPKiSA_SA_iPKfiiiPfSD_PS3_PT2_iSC_SC_.uses_flat_scratch, or(0, .L__assert_fail.uses_flat_scratch)
	.set _Z38paged_attention_ll4mi_QKV_mfma4_kernelI14__hip_bfloat16hLN4vllm18Fp8KVCacheDataTypeE1EhLi16ELi128ELi256ELb0ELi1EEvPKT_PKT0_S8_ifPKiSA_SA_iPKfiiiPfSD_PS3_PT2_iSC_SC_.has_dyn_sized_stack, or(0, .L__assert_fail.has_dyn_sized_stack)
	.set _Z38paged_attention_ll4mi_QKV_mfma4_kernelI14__hip_bfloat16hLN4vllm18Fp8KVCacheDataTypeE1EhLi16ELi128ELi256ELb0ELi1EEvPKT_PKT0_S8_ifPKiSA_SA_iPKfiiiPfSD_PS3_PT2_iSC_SC_.has_recursion, or(0, .L__assert_fail.has_recursion)
	.set _Z38paged_attention_ll4mi_QKV_mfma4_kernelI14__hip_bfloat16hLN4vllm18Fp8KVCacheDataTypeE1EhLi16ELi128ELi256ELb0ELi1EEvPKT_PKT0_S8_ifPKiSA_SA_iPKfiiiPfSD_PS3_PT2_iSC_SC_.has_indirect_call, or(0, .L__assert_fail.has_indirect_call)
	.section	.AMDGPU.csdata,"",@progbits
; Kernel info:
; codeLenInByte = 68
; TotalNumSgprs: 36
; NumVgprs: 51
; ScratchSize: 64
; MemoryBound: 0
; FloatMode: 240
; IeeeMode: 1
; LDSByteSize: 0 bytes/workgroup (compile time only)
; SGPRBlocks: 0
; VGPRBlocks: 3
; NumSGPRsForWavesPerEU: 36
; NumVGPRsForWavesPerEU: 51
; NamedBarCnt: 0
; Occupancy: 16
; WaveLimiterHint : 1
; COMPUTE_PGM_RSRC2:SCRATCH_EN: 1
; COMPUTE_PGM_RSRC2:USER_SGPR: 2
; COMPUTE_PGM_RSRC2:TRAP_HANDLER: 0
; COMPUTE_PGM_RSRC2:TGID_X_EN: 1
; COMPUTE_PGM_RSRC2:TGID_Y_EN: 0
; COMPUTE_PGM_RSRC2:TGID_Z_EN: 0
; COMPUTE_PGM_RSRC2:TIDIG_COMP_CNT: 0
	.section	.text._Z38paged_attention_ll4mi_QKV_mfma4_kernelI14__hip_bfloat16hLN4vllm18Fp8KVCacheDataTypeE1EhLi16ELi128ELi256ELb0ELi2EEvPKT_PKT0_S8_ifPKiSA_SA_iPKfiiiPfSD_PS3_PT2_iSC_SC_,"axG",@progbits,_Z38paged_attention_ll4mi_QKV_mfma4_kernelI14__hip_bfloat16hLN4vllm18Fp8KVCacheDataTypeE1EhLi16ELi128ELi256ELb0ELi2EEvPKT_PKT0_S8_ifPKiSA_SA_iPKfiiiPfSD_PS3_PT2_iSC_SC_,comdat
	.protected	_Z38paged_attention_ll4mi_QKV_mfma4_kernelI14__hip_bfloat16hLN4vllm18Fp8KVCacheDataTypeE1EhLi16ELi128ELi256ELb0ELi2EEvPKT_PKT0_S8_ifPKiSA_SA_iPKfiiiPfSD_PS3_PT2_iSC_SC_ ; -- Begin function _Z38paged_attention_ll4mi_QKV_mfma4_kernelI14__hip_bfloat16hLN4vllm18Fp8KVCacheDataTypeE1EhLi16ELi128ELi256ELb0ELi2EEvPKT_PKT0_S8_ifPKiSA_SA_iPKfiiiPfSD_PS3_PT2_iSC_SC_
	.globl	_Z38paged_attention_ll4mi_QKV_mfma4_kernelI14__hip_bfloat16hLN4vllm18Fp8KVCacheDataTypeE1EhLi16ELi128ELi256ELb0ELi2EEvPKT_PKT0_S8_ifPKiSA_SA_iPKfiiiPfSD_PS3_PT2_iSC_SC_
	.p2align	8
	.type	_Z38paged_attention_ll4mi_QKV_mfma4_kernelI14__hip_bfloat16hLN4vllm18Fp8KVCacheDataTypeE1EhLi16ELi128ELi256ELb0ELi2EEvPKT_PKT0_S8_ifPKiSA_SA_iPKfiiiPfSD_PS3_PT2_iSC_SC_,@function
_Z38paged_attention_ll4mi_QKV_mfma4_kernelI14__hip_bfloat16hLN4vllm18Fp8KVCacheDataTypeE1EhLi16ELi128ELi256ELb0ELi2EEvPKT_PKT0_S8_ifPKiSA_SA_iPKfiiiPfSD_PS3_PT2_iSC_SC_: ; @_Z38paged_attention_ll4mi_QKV_mfma4_kernelI14__hip_bfloat16hLN4vllm18Fp8KVCacheDataTypeE1EhLi16ELi128ELi256ELb0ELi2EEvPKT_PKT0_S8_ifPKiSA_SA_iPKfiiiPfSD_PS3_PT2_iSC_SC_
; %bb.0:
	s_get_pc_i64 s[2:3]
	s_add_nc_u64 s[2:3], s[2:3], __PRETTY_FUNCTION__._Z38paged_attention_ll4mi_QKV_mfma4_kernelI14__hip_bfloat16hLN4vllm18Fp8KVCacheDataTypeE1EhLi16ELi128ELi256ELb0ELi2EEvPKT_PKT0_S8_ifPKiSA_SA_iPKfiiiPfSD_PS3_PT2_iSC_SC_@rel64+4
	s_delay_alu instid0(SALU_CYCLE_1)
	v_dual_mov_b32 v0, 0xbce :: v_dual_mov_b32 v1, s2
	v_mov_b32_e32 v2, s3
	s_add_nc_u64 s[8:9], s[0:1], 0x90
	s_get_pc_i64 s[0:1]
	s_add_nc_u64 s[0:1], s[0:1], __assert_fail@rel64+4
	s_mov_b32 s32, 0
	s_swap_pc_i64 s[30:31], s[0:1]
	.section	.rodata,"a",@progbits
	.p2align	6, 0x0
	.amdhsa_kernel _Z38paged_attention_ll4mi_QKV_mfma4_kernelI14__hip_bfloat16hLN4vllm18Fp8KVCacheDataTypeE1EhLi16ELi128ELi256ELb0ELi2EEvPKT_PKT0_S8_ifPKiSA_SA_iPKfiiiPfSD_PS3_PT2_iSC_SC_
		.amdhsa_group_segment_fixed_size 0
		.amdhsa_private_segment_fixed_size 64
		.amdhsa_kernarg_size 400
		.amdhsa_user_sgpr_count 2
		.amdhsa_user_sgpr_dispatch_ptr 0
		.amdhsa_user_sgpr_queue_ptr 0
		.amdhsa_user_sgpr_kernarg_segment_ptr 1
		.amdhsa_user_sgpr_dispatch_id 0
		.amdhsa_user_sgpr_kernarg_preload_length 0
		.amdhsa_user_sgpr_kernarg_preload_offset 0
		.amdhsa_user_sgpr_private_segment_size 0
		.amdhsa_wavefront_size32 1
		.amdhsa_uses_dynamic_stack 0
		.amdhsa_enable_private_segment 1
		.amdhsa_system_sgpr_workgroup_id_x 1
		.amdhsa_system_sgpr_workgroup_id_y 0
		.amdhsa_system_sgpr_workgroup_id_z 0
		.amdhsa_system_sgpr_workgroup_info 0
		.amdhsa_system_vgpr_workitem_id 0
		.amdhsa_next_free_vgpr 51
		.amdhsa_next_free_sgpr 34
		.amdhsa_named_barrier_count 0
		.amdhsa_reserve_vcc 1
		.amdhsa_float_round_mode_32 0
		.amdhsa_float_round_mode_16_64 0
		.amdhsa_float_denorm_mode_32 3
		.amdhsa_float_denorm_mode_16_64 3
		.amdhsa_fp16_overflow 0
		.amdhsa_memory_ordered 1
		.amdhsa_forward_progress 1
		.amdhsa_inst_pref_size 1
		.amdhsa_round_robin_scheduling 0
		.amdhsa_exception_fp_ieee_invalid_op 0
		.amdhsa_exception_fp_denorm_src 0
		.amdhsa_exception_fp_ieee_div_zero 0
		.amdhsa_exception_fp_ieee_overflow 0
		.amdhsa_exception_fp_ieee_underflow 0
		.amdhsa_exception_fp_ieee_inexact 0
		.amdhsa_exception_int_div_zero 0
	.end_amdhsa_kernel
	.section	.text._Z38paged_attention_ll4mi_QKV_mfma4_kernelI14__hip_bfloat16hLN4vllm18Fp8KVCacheDataTypeE1EhLi16ELi128ELi256ELb0ELi2EEvPKT_PKT0_S8_ifPKiSA_SA_iPKfiiiPfSD_PS3_PT2_iSC_SC_,"axG",@progbits,_Z38paged_attention_ll4mi_QKV_mfma4_kernelI14__hip_bfloat16hLN4vllm18Fp8KVCacheDataTypeE1EhLi16ELi128ELi256ELb0ELi2EEvPKT_PKT0_S8_ifPKiSA_SA_iPKfiiiPfSD_PS3_PT2_iSC_SC_,comdat
.Lfunc_end1271:
	.size	_Z38paged_attention_ll4mi_QKV_mfma4_kernelI14__hip_bfloat16hLN4vllm18Fp8KVCacheDataTypeE1EhLi16ELi128ELi256ELb0ELi2EEvPKT_PKT0_S8_ifPKiSA_SA_iPKfiiiPfSD_PS3_PT2_iSC_SC_, .Lfunc_end1271-_Z38paged_attention_ll4mi_QKV_mfma4_kernelI14__hip_bfloat16hLN4vllm18Fp8KVCacheDataTypeE1EhLi16ELi128ELi256ELb0ELi2EEvPKT_PKT0_S8_ifPKiSA_SA_iPKfiiiPfSD_PS3_PT2_iSC_SC_
                                        ; -- End function
	.set _Z38paged_attention_ll4mi_QKV_mfma4_kernelI14__hip_bfloat16hLN4vllm18Fp8KVCacheDataTypeE1EhLi16ELi128ELi256ELb0ELi2EEvPKT_PKT0_S8_ifPKiSA_SA_iPKfiiiPfSD_PS3_PT2_iSC_SC_.num_vgpr, max(3, .L__assert_fail.num_vgpr)
	.set _Z38paged_attention_ll4mi_QKV_mfma4_kernelI14__hip_bfloat16hLN4vllm18Fp8KVCacheDataTypeE1EhLi16ELi128ELi256ELb0ELi2EEvPKT_PKT0_S8_ifPKiSA_SA_iPKfiiiPfSD_PS3_PT2_iSC_SC_.num_agpr, max(0, .L__assert_fail.num_agpr)
	.set _Z38paged_attention_ll4mi_QKV_mfma4_kernelI14__hip_bfloat16hLN4vllm18Fp8KVCacheDataTypeE1EhLi16ELi128ELi256ELb0ELi2EEvPKT_PKT0_S8_ifPKiSA_SA_iPKfiiiPfSD_PS3_PT2_iSC_SC_.numbered_sgpr, max(33, .L__assert_fail.numbered_sgpr)
	.set _Z38paged_attention_ll4mi_QKV_mfma4_kernelI14__hip_bfloat16hLN4vllm18Fp8KVCacheDataTypeE1EhLi16ELi128ELi256ELb0ELi2EEvPKT_PKT0_S8_ifPKiSA_SA_iPKfiiiPfSD_PS3_PT2_iSC_SC_.num_named_barrier, max(0, .L__assert_fail.num_named_barrier)
	.set _Z38paged_attention_ll4mi_QKV_mfma4_kernelI14__hip_bfloat16hLN4vllm18Fp8KVCacheDataTypeE1EhLi16ELi128ELi256ELb0ELi2EEvPKT_PKT0_S8_ifPKiSA_SA_iPKfiiiPfSD_PS3_PT2_iSC_SC_.private_seg_size, 0+max(.L__assert_fail.private_seg_size)
	.set _Z38paged_attention_ll4mi_QKV_mfma4_kernelI14__hip_bfloat16hLN4vllm18Fp8KVCacheDataTypeE1EhLi16ELi128ELi256ELb0ELi2EEvPKT_PKT0_S8_ifPKiSA_SA_iPKfiiiPfSD_PS3_PT2_iSC_SC_.uses_vcc, or(1, .L__assert_fail.uses_vcc)
	.set _Z38paged_attention_ll4mi_QKV_mfma4_kernelI14__hip_bfloat16hLN4vllm18Fp8KVCacheDataTypeE1EhLi16ELi128ELi256ELb0ELi2EEvPKT_PKT0_S8_ifPKiSA_SA_iPKfiiiPfSD_PS3_PT2_iSC_SC_.uses_flat_scratch, or(0, .L__assert_fail.uses_flat_scratch)
	.set _Z38paged_attention_ll4mi_QKV_mfma4_kernelI14__hip_bfloat16hLN4vllm18Fp8KVCacheDataTypeE1EhLi16ELi128ELi256ELb0ELi2EEvPKT_PKT0_S8_ifPKiSA_SA_iPKfiiiPfSD_PS3_PT2_iSC_SC_.has_dyn_sized_stack, or(0, .L__assert_fail.has_dyn_sized_stack)
	.set _Z38paged_attention_ll4mi_QKV_mfma4_kernelI14__hip_bfloat16hLN4vllm18Fp8KVCacheDataTypeE1EhLi16ELi128ELi256ELb0ELi2EEvPKT_PKT0_S8_ifPKiSA_SA_iPKfiiiPfSD_PS3_PT2_iSC_SC_.has_recursion, or(0, .L__assert_fail.has_recursion)
	.set _Z38paged_attention_ll4mi_QKV_mfma4_kernelI14__hip_bfloat16hLN4vllm18Fp8KVCacheDataTypeE1EhLi16ELi128ELi256ELb0ELi2EEvPKT_PKT0_S8_ifPKiSA_SA_iPKfiiiPfSD_PS3_PT2_iSC_SC_.has_indirect_call, or(0, .L__assert_fail.has_indirect_call)
	.section	.AMDGPU.csdata,"",@progbits
; Kernel info:
; codeLenInByte = 68
; TotalNumSgprs: 36
; NumVgprs: 51
; ScratchSize: 64
; MemoryBound: 0
; FloatMode: 240
; IeeeMode: 1
; LDSByteSize: 0 bytes/workgroup (compile time only)
; SGPRBlocks: 0
; VGPRBlocks: 3
; NumSGPRsForWavesPerEU: 36
; NumVGPRsForWavesPerEU: 51
; NamedBarCnt: 0
; Occupancy: 16
; WaveLimiterHint : 1
; COMPUTE_PGM_RSRC2:SCRATCH_EN: 1
; COMPUTE_PGM_RSRC2:USER_SGPR: 2
; COMPUTE_PGM_RSRC2:TRAP_HANDLER: 0
; COMPUTE_PGM_RSRC2:TGID_X_EN: 1
; COMPUTE_PGM_RSRC2:TGID_Y_EN: 0
; COMPUTE_PGM_RSRC2:TGID_Z_EN: 0
; COMPUTE_PGM_RSRC2:TIDIG_COMP_CNT: 0
	.section	.text._Z38paged_attention_ll4mi_QKV_mfma4_kernelI14__hip_bfloat16hLN4vllm18Fp8KVCacheDataTypeE1EhLi16ELi128ELi256ELb0ELi3EEvPKT_PKT0_S8_ifPKiSA_SA_iPKfiiiPfSD_PS3_PT2_iSC_SC_,"axG",@progbits,_Z38paged_attention_ll4mi_QKV_mfma4_kernelI14__hip_bfloat16hLN4vllm18Fp8KVCacheDataTypeE1EhLi16ELi128ELi256ELb0ELi3EEvPKT_PKT0_S8_ifPKiSA_SA_iPKfiiiPfSD_PS3_PT2_iSC_SC_,comdat
	.protected	_Z38paged_attention_ll4mi_QKV_mfma4_kernelI14__hip_bfloat16hLN4vllm18Fp8KVCacheDataTypeE1EhLi16ELi128ELi256ELb0ELi3EEvPKT_PKT0_S8_ifPKiSA_SA_iPKfiiiPfSD_PS3_PT2_iSC_SC_ ; -- Begin function _Z38paged_attention_ll4mi_QKV_mfma4_kernelI14__hip_bfloat16hLN4vllm18Fp8KVCacheDataTypeE1EhLi16ELi128ELi256ELb0ELi3EEvPKT_PKT0_S8_ifPKiSA_SA_iPKfiiiPfSD_PS3_PT2_iSC_SC_
	.globl	_Z38paged_attention_ll4mi_QKV_mfma4_kernelI14__hip_bfloat16hLN4vllm18Fp8KVCacheDataTypeE1EhLi16ELi128ELi256ELb0ELi3EEvPKT_PKT0_S8_ifPKiSA_SA_iPKfiiiPfSD_PS3_PT2_iSC_SC_
	.p2align	8
	.type	_Z38paged_attention_ll4mi_QKV_mfma4_kernelI14__hip_bfloat16hLN4vllm18Fp8KVCacheDataTypeE1EhLi16ELi128ELi256ELb0ELi3EEvPKT_PKT0_S8_ifPKiSA_SA_iPKfiiiPfSD_PS3_PT2_iSC_SC_,@function
_Z38paged_attention_ll4mi_QKV_mfma4_kernelI14__hip_bfloat16hLN4vllm18Fp8KVCacheDataTypeE1EhLi16ELi128ELi256ELb0ELi3EEvPKT_PKT0_S8_ifPKiSA_SA_iPKfiiiPfSD_PS3_PT2_iSC_SC_: ; @_Z38paged_attention_ll4mi_QKV_mfma4_kernelI14__hip_bfloat16hLN4vllm18Fp8KVCacheDataTypeE1EhLi16ELi128ELi256ELb0ELi3EEvPKT_PKT0_S8_ifPKiSA_SA_iPKfiiiPfSD_PS3_PT2_iSC_SC_
; %bb.0:
	s_get_pc_i64 s[2:3]
	s_add_nc_u64 s[2:3], s[2:3], __PRETTY_FUNCTION__._Z38paged_attention_ll4mi_QKV_mfma4_kernelI14__hip_bfloat16hLN4vllm18Fp8KVCacheDataTypeE1EhLi16ELi128ELi256ELb0ELi3EEvPKT_PKT0_S8_ifPKiSA_SA_iPKfiiiPfSD_PS3_PT2_iSC_SC_@rel64+4
	s_delay_alu instid0(SALU_CYCLE_1)
	v_dual_mov_b32 v0, 0xbce :: v_dual_mov_b32 v1, s2
	v_mov_b32_e32 v2, s3
	s_add_nc_u64 s[8:9], s[0:1], 0x90
	s_get_pc_i64 s[0:1]
	s_add_nc_u64 s[0:1], s[0:1], __assert_fail@rel64+4
	s_mov_b32 s32, 0
	s_swap_pc_i64 s[30:31], s[0:1]
	.section	.rodata,"a",@progbits
	.p2align	6, 0x0
	.amdhsa_kernel _Z38paged_attention_ll4mi_QKV_mfma4_kernelI14__hip_bfloat16hLN4vllm18Fp8KVCacheDataTypeE1EhLi16ELi128ELi256ELb0ELi3EEvPKT_PKT0_S8_ifPKiSA_SA_iPKfiiiPfSD_PS3_PT2_iSC_SC_
		.amdhsa_group_segment_fixed_size 0
		.amdhsa_private_segment_fixed_size 64
		.amdhsa_kernarg_size 400
		.amdhsa_user_sgpr_count 2
		.amdhsa_user_sgpr_dispatch_ptr 0
		.amdhsa_user_sgpr_queue_ptr 0
		.amdhsa_user_sgpr_kernarg_segment_ptr 1
		.amdhsa_user_sgpr_dispatch_id 0
		.amdhsa_user_sgpr_kernarg_preload_length 0
		.amdhsa_user_sgpr_kernarg_preload_offset 0
		.amdhsa_user_sgpr_private_segment_size 0
		.amdhsa_wavefront_size32 1
		.amdhsa_uses_dynamic_stack 0
		.amdhsa_enable_private_segment 1
		.amdhsa_system_sgpr_workgroup_id_x 1
		.amdhsa_system_sgpr_workgroup_id_y 0
		.amdhsa_system_sgpr_workgroup_id_z 0
		.amdhsa_system_sgpr_workgroup_info 0
		.amdhsa_system_vgpr_workitem_id 0
		.amdhsa_next_free_vgpr 51
		.amdhsa_next_free_sgpr 34
		.amdhsa_named_barrier_count 0
		.amdhsa_reserve_vcc 1
		.amdhsa_float_round_mode_32 0
		.amdhsa_float_round_mode_16_64 0
		.amdhsa_float_denorm_mode_32 3
		.amdhsa_float_denorm_mode_16_64 3
		.amdhsa_fp16_overflow 0
		.amdhsa_memory_ordered 1
		.amdhsa_forward_progress 1
		.amdhsa_inst_pref_size 1
		.amdhsa_round_robin_scheduling 0
		.amdhsa_exception_fp_ieee_invalid_op 0
		.amdhsa_exception_fp_denorm_src 0
		.amdhsa_exception_fp_ieee_div_zero 0
		.amdhsa_exception_fp_ieee_overflow 0
		.amdhsa_exception_fp_ieee_underflow 0
		.amdhsa_exception_fp_ieee_inexact 0
		.amdhsa_exception_int_div_zero 0
	.end_amdhsa_kernel
	.section	.text._Z38paged_attention_ll4mi_QKV_mfma4_kernelI14__hip_bfloat16hLN4vllm18Fp8KVCacheDataTypeE1EhLi16ELi128ELi256ELb0ELi3EEvPKT_PKT0_S8_ifPKiSA_SA_iPKfiiiPfSD_PS3_PT2_iSC_SC_,"axG",@progbits,_Z38paged_attention_ll4mi_QKV_mfma4_kernelI14__hip_bfloat16hLN4vllm18Fp8KVCacheDataTypeE1EhLi16ELi128ELi256ELb0ELi3EEvPKT_PKT0_S8_ifPKiSA_SA_iPKfiiiPfSD_PS3_PT2_iSC_SC_,comdat
.Lfunc_end1272:
	.size	_Z38paged_attention_ll4mi_QKV_mfma4_kernelI14__hip_bfloat16hLN4vllm18Fp8KVCacheDataTypeE1EhLi16ELi128ELi256ELb0ELi3EEvPKT_PKT0_S8_ifPKiSA_SA_iPKfiiiPfSD_PS3_PT2_iSC_SC_, .Lfunc_end1272-_Z38paged_attention_ll4mi_QKV_mfma4_kernelI14__hip_bfloat16hLN4vllm18Fp8KVCacheDataTypeE1EhLi16ELi128ELi256ELb0ELi3EEvPKT_PKT0_S8_ifPKiSA_SA_iPKfiiiPfSD_PS3_PT2_iSC_SC_
                                        ; -- End function
	.set _Z38paged_attention_ll4mi_QKV_mfma4_kernelI14__hip_bfloat16hLN4vllm18Fp8KVCacheDataTypeE1EhLi16ELi128ELi256ELb0ELi3EEvPKT_PKT0_S8_ifPKiSA_SA_iPKfiiiPfSD_PS3_PT2_iSC_SC_.num_vgpr, max(3, .L__assert_fail.num_vgpr)
	.set _Z38paged_attention_ll4mi_QKV_mfma4_kernelI14__hip_bfloat16hLN4vllm18Fp8KVCacheDataTypeE1EhLi16ELi128ELi256ELb0ELi3EEvPKT_PKT0_S8_ifPKiSA_SA_iPKfiiiPfSD_PS3_PT2_iSC_SC_.num_agpr, max(0, .L__assert_fail.num_agpr)
	.set _Z38paged_attention_ll4mi_QKV_mfma4_kernelI14__hip_bfloat16hLN4vllm18Fp8KVCacheDataTypeE1EhLi16ELi128ELi256ELb0ELi3EEvPKT_PKT0_S8_ifPKiSA_SA_iPKfiiiPfSD_PS3_PT2_iSC_SC_.numbered_sgpr, max(33, .L__assert_fail.numbered_sgpr)
	.set _Z38paged_attention_ll4mi_QKV_mfma4_kernelI14__hip_bfloat16hLN4vllm18Fp8KVCacheDataTypeE1EhLi16ELi128ELi256ELb0ELi3EEvPKT_PKT0_S8_ifPKiSA_SA_iPKfiiiPfSD_PS3_PT2_iSC_SC_.num_named_barrier, max(0, .L__assert_fail.num_named_barrier)
	.set _Z38paged_attention_ll4mi_QKV_mfma4_kernelI14__hip_bfloat16hLN4vllm18Fp8KVCacheDataTypeE1EhLi16ELi128ELi256ELb0ELi3EEvPKT_PKT0_S8_ifPKiSA_SA_iPKfiiiPfSD_PS3_PT2_iSC_SC_.private_seg_size, 0+max(.L__assert_fail.private_seg_size)
	.set _Z38paged_attention_ll4mi_QKV_mfma4_kernelI14__hip_bfloat16hLN4vllm18Fp8KVCacheDataTypeE1EhLi16ELi128ELi256ELb0ELi3EEvPKT_PKT0_S8_ifPKiSA_SA_iPKfiiiPfSD_PS3_PT2_iSC_SC_.uses_vcc, or(1, .L__assert_fail.uses_vcc)
	.set _Z38paged_attention_ll4mi_QKV_mfma4_kernelI14__hip_bfloat16hLN4vllm18Fp8KVCacheDataTypeE1EhLi16ELi128ELi256ELb0ELi3EEvPKT_PKT0_S8_ifPKiSA_SA_iPKfiiiPfSD_PS3_PT2_iSC_SC_.uses_flat_scratch, or(0, .L__assert_fail.uses_flat_scratch)
	.set _Z38paged_attention_ll4mi_QKV_mfma4_kernelI14__hip_bfloat16hLN4vllm18Fp8KVCacheDataTypeE1EhLi16ELi128ELi256ELb0ELi3EEvPKT_PKT0_S8_ifPKiSA_SA_iPKfiiiPfSD_PS3_PT2_iSC_SC_.has_dyn_sized_stack, or(0, .L__assert_fail.has_dyn_sized_stack)
	.set _Z38paged_attention_ll4mi_QKV_mfma4_kernelI14__hip_bfloat16hLN4vllm18Fp8KVCacheDataTypeE1EhLi16ELi128ELi256ELb0ELi3EEvPKT_PKT0_S8_ifPKiSA_SA_iPKfiiiPfSD_PS3_PT2_iSC_SC_.has_recursion, or(0, .L__assert_fail.has_recursion)
	.set _Z38paged_attention_ll4mi_QKV_mfma4_kernelI14__hip_bfloat16hLN4vllm18Fp8KVCacheDataTypeE1EhLi16ELi128ELi256ELb0ELi3EEvPKT_PKT0_S8_ifPKiSA_SA_iPKfiiiPfSD_PS3_PT2_iSC_SC_.has_indirect_call, or(0, .L__assert_fail.has_indirect_call)
	.section	.AMDGPU.csdata,"",@progbits
; Kernel info:
; codeLenInByte = 68
; TotalNumSgprs: 36
; NumVgprs: 51
; ScratchSize: 64
; MemoryBound: 0
; FloatMode: 240
; IeeeMode: 1
; LDSByteSize: 0 bytes/workgroup (compile time only)
; SGPRBlocks: 0
; VGPRBlocks: 3
; NumSGPRsForWavesPerEU: 36
; NumVGPRsForWavesPerEU: 51
; NamedBarCnt: 0
; Occupancy: 16
; WaveLimiterHint : 1
; COMPUTE_PGM_RSRC2:SCRATCH_EN: 1
; COMPUTE_PGM_RSRC2:USER_SGPR: 2
; COMPUTE_PGM_RSRC2:TRAP_HANDLER: 0
; COMPUTE_PGM_RSRC2:TGID_X_EN: 1
; COMPUTE_PGM_RSRC2:TGID_Y_EN: 0
; COMPUTE_PGM_RSRC2:TGID_Z_EN: 0
; COMPUTE_PGM_RSRC2:TIDIG_COMP_CNT: 0
	.section	.text._Z38paged_attention_ll4mi_QKV_mfma4_kernelI14__hip_bfloat16hLN4vllm18Fp8KVCacheDataTypeE1EhLi16ELi128ELi256ELb0ELi4EEvPKT_PKT0_S8_ifPKiSA_SA_iPKfiiiPfSD_PS3_PT2_iSC_SC_,"axG",@progbits,_Z38paged_attention_ll4mi_QKV_mfma4_kernelI14__hip_bfloat16hLN4vllm18Fp8KVCacheDataTypeE1EhLi16ELi128ELi256ELb0ELi4EEvPKT_PKT0_S8_ifPKiSA_SA_iPKfiiiPfSD_PS3_PT2_iSC_SC_,comdat
	.protected	_Z38paged_attention_ll4mi_QKV_mfma4_kernelI14__hip_bfloat16hLN4vllm18Fp8KVCacheDataTypeE1EhLi16ELi128ELi256ELb0ELi4EEvPKT_PKT0_S8_ifPKiSA_SA_iPKfiiiPfSD_PS3_PT2_iSC_SC_ ; -- Begin function _Z38paged_attention_ll4mi_QKV_mfma4_kernelI14__hip_bfloat16hLN4vllm18Fp8KVCacheDataTypeE1EhLi16ELi128ELi256ELb0ELi4EEvPKT_PKT0_S8_ifPKiSA_SA_iPKfiiiPfSD_PS3_PT2_iSC_SC_
	.globl	_Z38paged_attention_ll4mi_QKV_mfma4_kernelI14__hip_bfloat16hLN4vllm18Fp8KVCacheDataTypeE1EhLi16ELi128ELi256ELb0ELi4EEvPKT_PKT0_S8_ifPKiSA_SA_iPKfiiiPfSD_PS3_PT2_iSC_SC_
	.p2align	8
	.type	_Z38paged_attention_ll4mi_QKV_mfma4_kernelI14__hip_bfloat16hLN4vllm18Fp8KVCacheDataTypeE1EhLi16ELi128ELi256ELb0ELi4EEvPKT_PKT0_S8_ifPKiSA_SA_iPKfiiiPfSD_PS3_PT2_iSC_SC_,@function
_Z38paged_attention_ll4mi_QKV_mfma4_kernelI14__hip_bfloat16hLN4vllm18Fp8KVCacheDataTypeE1EhLi16ELi128ELi256ELb0ELi4EEvPKT_PKT0_S8_ifPKiSA_SA_iPKfiiiPfSD_PS3_PT2_iSC_SC_: ; @_Z38paged_attention_ll4mi_QKV_mfma4_kernelI14__hip_bfloat16hLN4vllm18Fp8KVCacheDataTypeE1EhLi16ELi128ELi256ELb0ELi4EEvPKT_PKT0_S8_ifPKiSA_SA_iPKfiiiPfSD_PS3_PT2_iSC_SC_
; %bb.0:
	s_get_pc_i64 s[2:3]
	s_add_nc_u64 s[2:3], s[2:3], __PRETTY_FUNCTION__._Z38paged_attention_ll4mi_QKV_mfma4_kernelI14__hip_bfloat16hLN4vllm18Fp8KVCacheDataTypeE1EhLi16ELi128ELi256ELb0ELi4EEvPKT_PKT0_S8_ifPKiSA_SA_iPKfiiiPfSD_PS3_PT2_iSC_SC_@rel64+4
	s_delay_alu instid0(SALU_CYCLE_1)
	v_dual_mov_b32 v0, 0xbce :: v_dual_mov_b32 v1, s2
	v_mov_b32_e32 v2, s3
	s_add_nc_u64 s[8:9], s[0:1], 0x90
	s_get_pc_i64 s[0:1]
	s_add_nc_u64 s[0:1], s[0:1], __assert_fail@rel64+4
	s_mov_b32 s32, 0
	s_swap_pc_i64 s[30:31], s[0:1]
	.section	.rodata,"a",@progbits
	.p2align	6, 0x0
	.amdhsa_kernel _Z38paged_attention_ll4mi_QKV_mfma4_kernelI14__hip_bfloat16hLN4vllm18Fp8KVCacheDataTypeE1EhLi16ELi128ELi256ELb0ELi4EEvPKT_PKT0_S8_ifPKiSA_SA_iPKfiiiPfSD_PS3_PT2_iSC_SC_
		.amdhsa_group_segment_fixed_size 0
		.amdhsa_private_segment_fixed_size 64
		.amdhsa_kernarg_size 400
		.amdhsa_user_sgpr_count 2
		.amdhsa_user_sgpr_dispatch_ptr 0
		.amdhsa_user_sgpr_queue_ptr 0
		.amdhsa_user_sgpr_kernarg_segment_ptr 1
		.amdhsa_user_sgpr_dispatch_id 0
		.amdhsa_user_sgpr_kernarg_preload_length 0
		.amdhsa_user_sgpr_kernarg_preload_offset 0
		.amdhsa_user_sgpr_private_segment_size 0
		.amdhsa_wavefront_size32 1
		.amdhsa_uses_dynamic_stack 0
		.amdhsa_enable_private_segment 1
		.amdhsa_system_sgpr_workgroup_id_x 1
		.amdhsa_system_sgpr_workgroup_id_y 0
		.amdhsa_system_sgpr_workgroup_id_z 0
		.amdhsa_system_sgpr_workgroup_info 0
		.amdhsa_system_vgpr_workitem_id 0
		.amdhsa_next_free_vgpr 51
		.amdhsa_next_free_sgpr 34
		.amdhsa_named_barrier_count 0
		.amdhsa_reserve_vcc 1
		.amdhsa_float_round_mode_32 0
		.amdhsa_float_round_mode_16_64 0
		.amdhsa_float_denorm_mode_32 3
		.amdhsa_float_denorm_mode_16_64 3
		.amdhsa_fp16_overflow 0
		.amdhsa_memory_ordered 1
		.amdhsa_forward_progress 1
		.amdhsa_inst_pref_size 1
		.amdhsa_round_robin_scheduling 0
		.amdhsa_exception_fp_ieee_invalid_op 0
		.amdhsa_exception_fp_denorm_src 0
		.amdhsa_exception_fp_ieee_div_zero 0
		.amdhsa_exception_fp_ieee_overflow 0
		.amdhsa_exception_fp_ieee_underflow 0
		.amdhsa_exception_fp_ieee_inexact 0
		.amdhsa_exception_int_div_zero 0
	.end_amdhsa_kernel
	.section	.text._Z38paged_attention_ll4mi_QKV_mfma4_kernelI14__hip_bfloat16hLN4vllm18Fp8KVCacheDataTypeE1EhLi16ELi128ELi256ELb0ELi4EEvPKT_PKT0_S8_ifPKiSA_SA_iPKfiiiPfSD_PS3_PT2_iSC_SC_,"axG",@progbits,_Z38paged_attention_ll4mi_QKV_mfma4_kernelI14__hip_bfloat16hLN4vllm18Fp8KVCacheDataTypeE1EhLi16ELi128ELi256ELb0ELi4EEvPKT_PKT0_S8_ifPKiSA_SA_iPKfiiiPfSD_PS3_PT2_iSC_SC_,comdat
.Lfunc_end1273:
	.size	_Z38paged_attention_ll4mi_QKV_mfma4_kernelI14__hip_bfloat16hLN4vllm18Fp8KVCacheDataTypeE1EhLi16ELi128ELi256ELb0ELi4EEvPKT_PKT0_S8_ifPKiSA_SA_iPKfiiiPfSD_PS3_PT2_iSC_SC_, .Lfunc_end1273-_Z38paged_attention_ll4mi_QKV_mfma4_kernelI14__hip_bfloat16hLN4vllm18Fp8KVCacheDataTypeE1EhLi16ELi128ELi256ELb0ELi4EEvPKT_PKT0_S8_ifPKiSA_SA_iPKfiiiPfSD_PS3_PT2_iSC_SC_
                                        ; -- End function
	.set _Z38paged_attention_ll4mi_QKV_mfma4_kernelI14__hip_bfloat16hLN4vllm18Fp8KVCacheDataTypeE1EhLi16ELi128ELi256ELb0ELi4EEvPKT_PKT0_S8_ifPKiSA_SA_iPKfiiiPfSD_PS3_PT2_iSC_SC_.num_vgpr, max(3, .L__assert_fail.num_vgpr)
	.set _Z38paged_attention_ll4mi_QKV_mfma4_kernelI14__hip_bfloat16hLN4vllm18Fp8KVCacheDataTypeE1EhLi16ELi128ELi256ELb0ELi4EEvPKT_PKT0_S8_ifPKiSA_SA_iPKfiiiPfSD_PS3_PT2_iSC_SC_.num_agpr, max(0, .L__assert_fail.num_agpr)
	.set _Z38paged_attention_ll4mi_QKV_mfma4_kernelI14__hip_bfloat16hLN4vllm18Fp8KVCacheDataTypeE1EhLi16ELi128ELi256ELb0ELi4EEvPKT_PKT0_S8_ifPKiSA_SA_iPKfiiiPfSD_PS3_PT2_iSC_SC_.numbered_sgpr, max(33, .L__assert_fail.numbered_sgpr)
	.set _Z38paged_attention_ll4mi_QKV_mfma4_kernelI14__hip_bfloat16hLN4vllm18Fp8KVCacheDataTypeE1EhLi16ELi128ELi256ELb0ELi4EEvPKT_PKT0_S8_ifPKiSA_SA_iPKfiiiPfSD_PS3_PT2_iSC_SC_.num_named_barrier, max(0, .L__assert_fail.num_named_barrier)
	.set _Z38paged_attention_ll4mi_QKV_mfma4_kernelI14__hip_bfloat16hLN4vllm18Fp8KVCacheDataTypeE1EhLi16ELi128ELi256ELb0ELi4EEvPKT_PKT0_S8_ifPKiSA_SA_iPKfiiiPfSD_PS3_PT2_iSC_SC_.private_seg_size, 0+max(.L__assert_fail.private_seg_size)
	.set _Z38paged_attention_ll4mi_QKV_mfma4_kernelI14__hip_bfloat16hLN4vllm18Fp8KVCacheDataTypeE1EhLi16ELi128ELi256ELb0ELi4EEvPKT_PKT0_S8_ifPKiSA_SA_iPKfiiiPfSD_PS3_PT2_iSC_SC_.uses_vcc, or(1, .L__assert_fail.uses_vcc)
	.set _Z38paged_attention_ll4mi_QKV_mfma4_kernelI14__hip_bfloat16hLN4vllm18Fp8KVCacheDataTypeE1EhLi16ELi128ELi256ELb0ELi4EEvPKT_PKT0_S8_ifPKiSA_SA_iPKfiiiPfSD_PS3_PT2_iSC_SC_.uses_flat_scratch, or(0, .L__assert_fail.uses_flat_scratch)
	.set _Z38paged_attention_ll4mi_QKV_mfma4_kernelI14__hip_bfloat16hLN4vllm18Fp8KVCacheDataTypeE1EhLi16ELi128ELi256ELb0ELi4EEvPKT_PKT0_S8_ifPKiSA_SA_iPKfiiiPfSD_PS3_PT2_iSC_SC_.has_dyn_sized_stack, or(0, .L__assert_fail.has_dyn_sized_stack)
	.set _Z38paged_attention_ll4mi_QKV_mfma4_kernelI14__hip_bfloat16hLN4vllm18Fp8KVCacheDataTypeE1EhLi16ELi128ELi256ELb0ELi4EEvPKT_PKT0_S8_ifPKiSA_SA_iPKfiiiPfSD_PS3_PT2_iSC_SC_.has_recursion, or(0, .L__assert_fail.has_recursion)
	.set _Z38paged_attention_ll4mi_QKV_mfma4_kernelI14__hip_bfloat16hLN4vllm18Fp8KVCacheDataTypeE1EhLi16ELi128ELi256ELb0ELi4EEvPKT_PKT0_S8_ifPKiSA_SA_iPKfiiiPfSD_PS3_PT2_iSC_SC_.has_indirect_call, or(0, .L__assert_fail.has_indirect_call)
	.section	.AMDGPU.csdata,"",@progbits
; Kernel info:
; codeLenInByte = 68
; TotalNumSgprs: 36
; NumVgprs: 51
; ScratchSize: 64
; MemoryBound: 0
; FloatMode: 240
; IeeeMode: 1
; LDSByteSize: 0 bytes/workgroup (compile time only)
; SGPRBlocks: 0
; VGPRBlocks: 3
; NumSGPRsForWavesPerEU: 36
; NumVGPRsForWavesPerEU: 51
; NamedBarCnt: 0
; Occupancy: 16
; WaveLimiterHint : 1
; COMPUTE_PGM_RSRC2:SCRATCH_EN: 1
; COMPUTE_PGM_RSRC2:USER_SGPR: 2
; COMPUTE_PGM_RSRC2:TRAP_HANDLER: 0
; COMPUTE_PGM_RSRC2:TGID_X_EN: 1
; COMPUTE_PGM_RSRC2:TGID_Y_EN: 0
; COMPUTE_PGM_RSRC2:TGID_Z_EN: 0
; COMPUTE_PGM_RSRC2:TIDIG_COMP_CNT: 0
	.section	.text._Z39paged_attention_ll4mi_QKV_mfma16_kernelI14__hip_bfloat16hLN4vllm18Fp8KVCacheDataTypeE1EhLi16ELi128ELi256ELb0ELi5EEvPKT_PKT0_S8_ifPKiSA_SA_iPKfiiiPfSD_PS3_PT2_iSC_SC_,"axG",@progbits,_Z39paged_attention_ll4mi_QKV_mfma16_kernelI14__hip_bfloat16hLN4vllm18Fp8KVCacheDataTypeE1EhLi16ELi128ELi256ELb0ELi5EEvPKT_PKT0_S8_ifPKiSA_SA_iPKfiiiPfSD_PS3_PT2_iSC_SC_,comdat
	.protected	_Z39paged_attention_ll4mi_QKV_mfma16_kernelI14__hip_bfloat16hLN4vllm18Fp8KVCacheDataTypeE1EhLi16ELi128ELi256ELb0ELi5EEvPKT_PKT0_S8_ifPKiSA_SA_iPKfiiiPfSD_PS3_PT2_iSC_SC_ ; -- Begin function _Z39paged_attention_ll4mi_QKV_mfma16_kernelI14__hip_bfloat16hLN4vllm18Fp8KVCacheDataTypeE1EhLi16ELi128ELi256ELb0ELi5EEvPKT_PKT0_S8_ifPKiSA_SA_iPKfiiiPfSD_PS3_PT2_iSC_SC_
	.globl	_Z39paged_attention_ll4mi_QKV_mfma16_kernelI14__hip_bfloat16hLN4vllm18Fp8KVCacheDataTypeE1EhLi16ELi128ELi256ELb0ELi5EEvPKT_PKT0_S8_ifPKiSA_SA_iPKfiiiPfSD_PS3_PT2_iSC_SC_
	.p2align	8
	.type	_Z39paged_attention_ll4mi_QKV_mfma16_kernelI14__hip_bfloat16hLN4vllm18Fp8KVCacheDataTypeE1EhLi16ELi128ELi256ELb0ELi5EEvPKT_PKT0_S8_ifPKiSA_SA_iPKfiiiPfSD_PS3_PT2_iSC_SC_,@function
_Z39paged_attention_ll4mi_QKV_mfma16_kernelI14__hip_bfloat16hLN4vllm18Fp8KVCacheDataTypeE1EhLi16ELi128ELi256ELb0ELi5EEvPKT_PKT0_S8_ifPKiSA_SA_iPKfiiiPfSD_PS3_PT2_iSC_SC_: ; @_Z39paged_attention_ll4mi_QKV_mfma16_kernelI14__hip_bfloat16hLN4vllm18Fp8KVCacheDataTypeE1EhLi16ELi128ELi256ELb0ELi5EEvPKT_PKT0_S8_ifPKiSA_SA_iPKfiiiPfSD_PS3_PT2_iSC_SC_
; %bb.0:
	s_get_pc_i64 s[2:3]
	s_add_nc_u64 s[2:3], s[2:3], __PRETTY_FUNCTION__._Z39paged_attention_ll4mi_QKV_mfma16_kernelI14__hip_bfloat16hLN4vllm18Fp8KVCacheDataTypeE1EhLi16ELi128ELi256ELb0ELi5EEvPKT_PKT0_S8_ifPKiSA_SA_iPKfiiiPfSD_PS3_PT2_iSC_SC_@rel64+4
	s_delay_alu instid0(SALU_CYCLE_1)
	v_dual_mov_b32 v0, 0xbb3 :: v_dual_mov_b32 v1, s2
	v_mov_b32_e32 v2, s3
	s_add_nc_u64 s[8:9], s[0:1], 0x90
	s_get_pc_i64 s[0:1]
	s_add_nc_u64 s[0:1], s[0:1], __assert_fail@rel64+4
	s_mov_b32 s32, 0
	s_swap_pc_i64 s[30:31], s[0:1]
	.section	.rodata,"a",@progbits
	.p2align	6, 0x0
	.amdhsa_kernel _Z39paged_attention_ll4mi_QKV_mfma16_kernelI14__hip_bfloat16hLN4vllm18Fp8KVCacheDataTypeE1EhLi16ELi128ELi256ELb0ELi5EEvPKT_PKT0_S8_ifPKiSA_SA_iPKfiiiPfSD_PS3_PT2_iSC_SC_
		.amdhsa_group_segment_fixed_size 0
		.amdhsa_private_segment_fixed_size 64
		.amdhsa_kernarg_size 400
		.amdhsa_user_sgpr_count 2
		.amdhsa_user_sgpr_dispatch_ptr 0
		.amdhsa_user_sgpr_queue_ptr 0
		.amdhsa_user_sgpr_kernarg_segment_ptr 1
		.amdhsa_user_sgpr_dispatch_id 0
		.amdhsa_user_sgpr_kernarg_preload_length 0
		.amdhsa_user_sgpr_kernarg_preload_offset 0
		.amdhsa_user_sgpr_private_segment_size 0
		.amdhsa_wavefront_size32 1
		.amdhsa_uses_dynamic_stack 0
		.amdhsa_enable_private_segment 1
		.amdhsa_system_sgpr_workgroup_id_x 1
		.amdhsa_system_sgpr_workgroup_id_y 0
		.amdhsa_system_sgpr_workgroup_id_z 0
		.amdhsa_system_sgpr_workgroup_info 0
		.amdhsa_system_vgpr_workitem_id 0
		.amdhsa_next_free_vgpr 51
		.amdhsa_next_free_sgpr 34
		.amdhsa_named_barrier_count 0
		.amdhsa_reserve_vcc 1
		.amdhsa_float_round_mode_32 0
		.amdhsa_float_round_mode_16_64 0
		.amdhsa_float_denorm_mode_32 3
		.amdhsa_float_denorm_mode_16_64 3
		.amdhsa_fp16_overflow 0
		.amdhsa_memory_ordered 1
		.amdhsa_forward_progress 1
		.amdhsa_inst_pref_size 1
		.amdhsa_round_robin_scheduling 0
		.amdhsa_exception_fp_ieee_invalid_op 0
		.amdhsa_exception_fp_denorm_src 0
		.amdhsa_exception_fp_ieee_div_zero 0
		.amdhsa_exception_fp_ieee_overflow 0
		.amdhsa_exception_fp_ieee_underflow 0
		.amdhsa_exception_fp_ieee_inexact 0
		.amdhsa_exception_int_div_zero 0
	.end_amdhsa_kernel
	.section	.text._Z39paged_attention_ll4mi_QKV_mfma16_kernelI14__hip_bfloat16hLN4vllm18Fp8KVCacheDataTypeE1EhLi16ELi128ELi256ELb0ELi5EEvPKT_PKT0_S8_ifPKiSA_SA_iPKfiiiPfSD_PS3_PT2_iSC_SC_,"axG",@progbits,_Z39paged_attention_ll4mi_QKV_mfma16_kernelI14__hip_bfloat16hLN4vllm18Fp8KVCacheDataTypeE1EhLi16ELi128ELi256ELb0ELi5EEvPKT_PKT0_S8_ifPKiSA_SA_iPKfiiiPfSD_PS3_PT2_iSC_SC_,comdat
.Lfunc_end1274:
	.size	_Z39paged_attention_ll4mi_QKV_mfma16_kernelI14__hip_bfloat16hLN4vllm18Fp8KVCacheDataTypeE1EhLi16ELi128ELi256ELb0ELi5EEvPKT_PKT0_S8_ifPKiSA_SA_iPKfiiiPfSD_PS3_PT2_iSC_SC_, .Lfunc_end1274-_Z39paged_attention_ll4mi_QKV_mfma16_kernelI14__hip_bfloat16hLN4vllm18Fp8KVCacheDataTypeE1EhLi16ELi128ELi256ELb0ELi5EEvPKT_PKT0_S8_ifPKiSA_SA_iPKfiiiPfSD_PS3_PT2_iSC_SC_
                                        ; -- End function
	.set _Z39paged_attention_ll4mi_QKV_mfma16_kernelI14__hip_bfloat16hLN4vllm18Fp8KVCacheDataTypeE1EhLi16ELi128ELi256ELb0ELi5EEvPKT_PKT0_S8_ifPKiSA_SA_iPKfiiiPfSD_PS3_PT2_iSC_SC_.num_vgpr, max(3, .L__assert_fail.num_vgpr)
	.set _Z39paged_attention_ll4mi_QKV_mfma16_kernelI14__hip_bfloat16hLN4vllm18Fp8KVCacheDataTypeE1EhLi16ELi128ELi256ELb0ELi5EEvPKT_PKT0_S8_ifPKiSA_SA_iPKfiiiPfSD_PS3_PT2_iSC_SC_.num_agpr, max(0, .L__assert_fail.num_agpr)
	.set _Z39paged_attention_ll4mi_QKV_mfma16_kernelI14__hip_bfloat16hLN4vllm18Fp8KVCacheDataTypeE1EhLi16ELi128ELi256ELb0ELi5EEvPKT_PKT0_S8_ifPKiSA_SA_iPKfiiiPfSD_PS3_PT2_iSC_SC_.numbered_sgpr, max(33, .L__assert_fail.numbered_sgpr)
	.set _Z39paged_attention_ll4mi_QKV_mfma16_kernelI14__hip_bfloat16hLN4vllm18Fp8KVCacheDataTypeE1EhLi16ELi128ELi256ELb0ELi5EEvPKT_PKT0_S8_ifPKiSA_SA_iPKfiiiPfSD_PS3_PT2_iSC_SC_.num_named_barrier, max(0, .L__assert_fail.num_named_barrier)
	.set _Z39paged_attention_ll4mi_QKV_mfma16_kernelI14__hip_bfloat16hLN4vllm18Fp8KVCacheDataTypeE1EhLi16ELi128ELi256ELb0ELi5EEvPKT_PKT0_S8_ifPKiSA_SA_iPKfiiiPfSD_PS3_PT2_iSC_SC_.private_seg_size, 0+max(.L__assert_fail.private_seg_size)
	.set _Z39paged_attention_ll4mi_QKV_mfma16_kernelI14__hip_bfloat16hLN4vllm18Fp8KVCacheDataTypeE1EhLi16ELi128ELi256ELb0ELi5EEvPKT_PKT0_S8_ifPKiSA_SA_iPKfiiiPfSD_PS3_PT2_iSC_SC_.uses_vcc, or(1, .L__assert_fail.uses_vcc)
	.set _Z39paged_attention_ll4mi_QKV_mfma16_kernelI14__hip_bfloat16hLN4vllm18Fp8KVCacheDataTypeE1EhLi16ELi128ELi256ELb0ELi5EEvPKT_PKT0_S8_ifPKiSA_SA_iPKfiiiPfSD_PS3_PT2_iSC_SC_.uses_flat_scratch, or(0, .L__assert_fail.uses_flat_scratch)
	.set _Z39paged_attention_ll4mi_QKV_mfma16_kernelI14__hip_bfloat16hLN4vllm18Fp8KVCacheDataTypeE1EhLi16ELi128ELi256ELb0ELi5EEvPKT_PKT0_S8_ifPKiSA_SA_iPKfiiiPfSD_PS3_PT2_iSC_SC_.has_dyn_sized_stack, or(0, .L__assert_fail.has_dyn_sized_stack)
	.set _Z39paged_attention_ll4mi_QKV_mfma16_kernelI14__hip_bfloat16hLN4vllm18Fp8KVCacheDataTypeE1EhLi16ELi128ELi256ELb0ELi5EEvPKT_PKT0_S8_ifPKiSA_SA_iPKfiiiPfSD_PS3_PT2_iSC_SC_.has_recursion, or(0, .L__assert_fail.has_recursion)
	.set _Z39paged_attention_ll4mi_QKV_mfma16_kernelI14__hip_bfloat16hLN4vllm18Fp8KVCacheDataTypeE1EhLi16ELi128ELi256ELb0ELi5EEvPKT_PKT0_S8_ifPKiSA_SA_iPKfiiiPfSD_PS3_PT2_iSC_SC_.has_indirect_call, or(0, .L__assert_fail.has_indirect_call)
	.section	.AMDGPU.csdata,"",@progbits
; Kernel info:
; codeLenInByte = 68
; TotalNumSgprs: 36
; NumVgprs: 51
; ScratchSize: 64
; MemoryBound: 0
; FloatMode: 240
; IeeeMode: 1
; LDSByteSize: 0 bytes/workgroup (compile time only)
; SGPRBlocks: 0
; VGPRBlocks: 3
; NumSGPRsForWavesPerEU: 36
; NumVGPRsForWavesPerEU: 51
; NamedBarCnt: 0
; Occupancy: 16
; WaveLimiterHint : 1
; COMPUTE_PGM_RSRC2:SCRATCH_EN: 1
; COMPUTE_PGM_RSRC2:USER_SGPR: 2
; COMPUTE_PGM_RSRC2:TRAP_HANDLER: 0
; COMPUTE_PGM_RSRC2:TGID_X_EN: 1
; COMPUTE_PGM_RSRC2:TGID_Y_EN: 0
; COMPUTE_PGM_RSRC2:TGID_Z_EN: 0
; COMPUTE_PGM_RSRC2:TIDIG_COMP_CNT: 0
	.section	.text._Z39paged_attention_ll4mi_QKV_mfma16_kernelI14__hip_bfloat16hLN4vllm18Fp8KVCacheDataTypeE1EhLi16ELi128ELi256ELb0ELi6EEvPKT_PKT0_S8_ifPKiSA_SA_iPKfiiiPfSD_PS3_PT2_iSC_SC_,"axG",@progbits,_Z39paged_attention_ll4mi_QKV_mfma16_kernelI14__hip_bfloat16hLN4vllm18Fp8KVCacheDataTypeE1EhLi16ELi128ELi256ELb0ELi6EEvPKT_PKT0_S8_ifPKiSA_SA_iPKfiiiPfSD_PS3_PT2_iSC_SC_,comdat
	.protected	_Z39paged_attention_ll4mi_QKV_mfma16_kernelI14__hip_bfloat16hLN4vllm18Fp8KVCacheDataTypeE1EhLi16ELi128ELi256ELb0ELi6EEvPKT_PKT0_S8_ifPKiSA_SA_iPKfiiiPfSD_PS3_PT2_iSC_SC_ ; -- Begin function _Z39paged_attention_ll4mi_QKV_mfma16_kernelI14__hip_bfloat16hLN4vllm18Fp8KVCacheDataTypeE1EhLi16ELi128ELi256ELb0ELi6EEvPKT_PKT0_S8_ifPKiSA_SA_iPKfiiiPfSD_PS3_PT2_iSC_SC_
	.globl	_Z39paged_attention_ll4mi_QKV_mfma16_kernelI14__hip_bfloat16hLN4vllm18Fp8KVCacheDataTypeE1EhLi16ELi128ELi256ELb0ELi6EEvPKT_PKT0_S8_ifPKiSA_SA_iPKfiiiPfSD_PS3_PT2_iSC_SC_
	.p2align	8
	.type	_Z39paged_attention_ll4mi_QKV_mfma16_kernelI14__hip_bfloat16hLN4vllm18Fp8KVCacheDataTypeE1EhLi16ELi128ELi256ELb0ELi6EEvPKT_PKT0_S8_ifPKiSA_SA_iPKfiiiPfSD_PS3_PT2_iSC_SC_,@function
_Z39paged_attention_ll4mi_QKV_mfma16_kernelI14__hip_bfloat16hLN4vllm18Fp8KVCacheDataTypeE1EhLi16ELi128ELi256ELb0ELi6EEvPKT_PKT0_S8_ifPKiSA_SA_iPKfiiiPfSD_PS3_PT2_iSC_SC_: ; @_Z39paged_attention_ll4mi_QKV_mfma16_kernelI14__hip_bfloat16hLN4vllm18Fp8KVCacheDataTypeE1EhLi16ELi128ELi256ELb0ELi6EEvPKT_PKT0_S8_ifPKiSA_SA_iPKfiiiPfSD_PS3_PT2_iSC_SC_
; %bb.0:
	s_get_pc_i64 s[2:3]
	s_add_nc_u64 s[2:3], s[2:3], __PRETTY_FUNCTION__._Z39paged_attention_ll4mi_QKV_mfma16_kernelI14__hip_bfloat16hLN4vllm18Fp8KVCacheDataTypeE1EhLi16ELi128ELi256ELb0ELi6EEvPKT_PKT0_S8_ifPKiSA_SA_iPKfiiiPfSD_PS3_PT2_iSC_SC_@rel64+4
	s_delay_alu instid0(SALU_CYCLE_1)
	v_dual_mov_b32 v0, 0xbb3 :: v_dual_mov_b32 v1, s2
	v_mov_b32_e32 v2, s3
	s_add_nc_u64 s[8:9], s[0:1], 0x90
	s_get_pc_i64 s[0:1]
	s_add_nc_u64 s[0:1], s[0:1], __assert_fail@rel64+4
	s_mov_b32 s32, 0
	s_swap_pc_i64 s[30:31], s[0:1]
	.section	.rodata,"a",@progbits
	.p2align	6, 0x0
	.amdhsa_kernel _Z39paged_attention_ll4mi_QKV_mfma16_kernelI14__hip_bfloat16hLN4vllm18Fp8KVCacheDataTypeE1EhLi16ELi128ELi256ELb0ELi6EEvPKT_PKT0_S8_ifPKiSA_SA_iPKfiiiPfSD_PS3_PT2_iSC_SC_
		.amdhsa_group_segment_fixed_size 0
		.amdhsa_private_segment_fixed_size 64
		.amdhsa_kernarg_size 400
		.amdhsa_user_sgpr_count 2
		.amdhsa_user_sgpr_dispatch_ptr 0
		.amdhsa_user_sgpr_queue_ptr 0
		.amdhsa_user_sgpr_kernarg_segment_ptr 1
		.amdhsa_user_sgpr_dispatch_id 0
		.amdhsa_user_sgpr_kernarg_preload_length 0
		.amdhsa_user_sgpr_kernarg_preload_offset 0
		.amdhsa_user_sgpr_private_segment_size 0
		.amdhsa_wavefront_size32 1
		.amdhsa_uses_dynamic_stack 0
		.amdhsa_enable_private_segment 1
		.amdhsa_system_sgpr_workgroup_id_x 1
		.amdhsa_system_sgpr_workgroup_id_y 0
		.amdhsa_system_sgpr_workgroup_id_z 0
		.amdhsa_system_sgpr_workgroup_info 0
		.amdhsa_system_vgpr_workitem_id 0
		.amdhsa_next_free_vgpr 51
		.amdhsa_next_free_sgpr 34
		.amdhsa_named_barrier_count 0
		.amdhsa_reserve_vcc 1
		.amdhsa_float_round_mode_32 0
		.amdhsa_float_round_mode_16_64 0
		.amdhsa_float_denorm_mode_32 3
		.amdhsa_float_denorm_mode_16_64 3
		.amdhsa_fp16_overflow 0
		.amdhsa_memory_ordered 1
		.amdhsa_forward_progress 1
		.amdhsa_inst_pref_size 1
		.amdhsa_round_robin_scheduling 0
		.amdhsa_exception_fp_ieee_invalid_op 0
		.amdhsa_exception_fp_denorm_src 0
		.amdhsa_exception_fp_ieee_div_zero 0
		.amdhsa_exception_fp_ieee_overflow 0
		.amdhsa_exception_fp_ieee_underflow 0
		.amdhsa_exception_fp_ieee_inexact 0
		.amdhsa_exception_int_div_zero 0
	.end_amdhsa_kernel
	.section	.text._Z39paged_attention_ll4mi_QKV_mfma16_kernelI14__hip_bfloat16hLN4vllm18Fp8KVCacheDataTypeE1EhLi16ELi128ELi256ELb0ELi6EEvPKT_PKT0_S8_ifPKiSA_SA_iPKfiiiPfSD_PS3_PT2_iSC_SC_,"axG",@progbits,_Z39paged_attention_ll4mi_QKV_mfma16_kernelI14__hip_bfloat16hLN4vllm18Fp8KVCacheDataTypeE1EhLi16ELi128ELi256ELb0ELi6EEvPKT_PKT0_S8_ifPKiSA_SA_iPKfiiiPfSD_PS3_PT2_iSC_SC_,comdat
.Lfunc_end1275:
	.size	_Z39paged_attention_ll4mi_QKV_mfma16_kernelI14__hip_bfloat16hLN4vllm18Fp8KVCacheDataTypeE1EhLi16ELi128ELi256ELb0ELi6EEvPKT_PKT0_S8_ifPKiSA_SA_iPKfiiiPfSD_PS3_PT2_iSC_SC_, .Lfunc_end1275-_Z39paged_attention_ll4mi_QKV_mfma16_kernelI14__hip_bfloat16hLN4vllm18Fp8KVCacheDataTypeE1EhLi16ELi128ELi256ELb0ELi6EEvPKT_PKT0_S8_ifPKiSA_SA_iPKfiiiPfSD_PS3_PT2_iSC_SC_
                                        ; -- End function
	.set _Z39paged_attention_ll4mi_QKV_mfma16_kernelI14__hip_bfloat16hLN4vllm18Fp8KVCacheDataTypeE1EhLi16ELi128ELi256ELb0ELi6EEvPKT_PKT0_S8_ifPKiSA_SA_iPKfiiiPfSD_PS3_PT2_iSC_SC_.num_vgpr, max(3, .L__assert_fail.num_vgpr)
	.set _Z39paged_attention_ll4mi_QKV_mfma16_kernelI14__hip_bfloat16hLN4vllm18Fp8KVCacheDataTypeE1EhLi16ELi128ELi256ELb0ELi6EEvPKT_PKT0_S8_ifPKiSA_SA_iPKfiiiPfSD_PS3_PT2_iSC_SC_.num_agpr, max(0, .L__assert_fail.num_agpr)
	.set _Z39paged_attention_ll4mi_QKV_mfma16_kernelI14__hip_bfloat16hLN4vllm18Fp8KVCacheDataTypeE1EhLi16ELi128ELi256ELb0ELi6EEvPKT_PKT0_S8_ifPKiSA_SA_iPKfiiiPfSD_PS3_PT2_iSC_SC_.numbered_sgpr, max(33, .L__assert_fail.numbered_sgpr)
	.set _Z39paged_attention_ll4mi_QKV_mfma16_kernelI14__hip_bfloat16hLN4vllm18Fp8KVCacheDataTypeE1EhLi16ELi128ELi256ELb0ELi6EEvPKT_PKT0_S8_ifPKiSA_SA_iPKfiiiPfSD_PS3_PT2_iSC_SC_.num_named_barrier, max(0, .L__assert_fail.num_named_barrier)
	.set _Z39paged_attention_ll4mi_QKV_mfma16_kernelI14__hip_bfloat16hLN4vllm18Fp8KVCacheDataTypeE1EhLi16ELi128ELi256ELb0ELi6EEvPKT_PKT0_S8_ifPKiSA_SA_iPKfiiiPfSD_PS3_PT2_iSC_SC_.private_seg_size, 0+max(.L__assert_fail.private_seg_size)
	.set _Z39paged_attention_ll4mi_QKV_mfma16_kernelI14__hip_bfloat16hLN4vllm18Fp8KVCacheDataTypeE1EhLi16ELi128ELi256ELb0ELi6EEvPKT_PKT0_S8_ifPKiSA_SA_iPKfiiiPfSD_PS3_PT2_iSC_SC_.uses_vcc, or(1, .L__assert_fail.uses_vcc)
	.set _Z39paged_attention_ll4mi_QKV_mfma16_kernelI14__hip_bfloat16hLN4vllm18Fp8KVCacheDataTypeE1EhLi16ELi128ELi256ELb0ELi6EEvPKT_PKT0_S8_ifPKiSA_SA_iPKfiiiPfSD_PS3_PT2_iSC_SC_.uses_flat_scratch, or(0, .L__assert_fail.uses_flat_scratch)
	.set _Z39paged_attention_ll4mi_QKV_mfma16_kernelI14__hip_bfloat16hLN4vllm18Fp8KVCacheDataTypeE1EhLi16ELi128ELi256ELb0ELi6EEvPKT_PKT0_S8_ifPKiSA_SA_iPKfiiiPfSD_PS3_PT2_iSC_SC_.has_dyn_sized_stack, or(0, .L__assert_fail.has_dyn_sized_stack)
	.set _Z39paged_attention_ll4mi_QKV_mfma16_kernelI14__hip_bfloat16hLN4vllm18Fp8KVCacheDataTypeE1EhLi16ELi128ELi256ELb0ELi6EEvPKT_PKT0_S8_ifPKiSA_SA_iPKfiiiPfSD_PS3_PT2_iSC_SC_.has_recursion, or(0, .L__assert_fail.has_recursion)
	.set _Z39paged_attention_ll4mi_QKV_mfma16_kernelI14__hip_bfloat16hLN4vllm18Fp8KVCacheDataTypeE1EhLi16ELi128ELi256ELb0ELi6EEvPKT_PKT0_S8_ifPKiSA_SA_iPKfiiiPfSD_PS3_PT2_iSC_SC_.has_indirect_call, or(0, .L__assert_fail.has_indirect_call)
	.section	.AMDGPU.csdata,"",@progbits
; Kernel info:
; codeLenInByte = 68
; TotalNumSgprs: 36
; NumVgprs: 51
; ScratchSize: 64
; MemoryBound: 0
; FloatMode: 240
; IeeeMode: 1
; LDSByteSize: 0 bytes/workgroup (compile time only)
; SGPRBlocks: 0
; VGPRBlocks: 3
; NumSGPRsForWavesPerEU: 36
; NumVGPRsForWavesPerEU: 51
; NamedBarCnt: 0
; Occupancy: 16
; WaveLimiterHint : 1
; COMPUTE_PGM_RSRC2:SCRATCH_EN: 1
; COMPUTE_PGM_RSRC2:USER_SGPR: 2
; COMPUTE_PGM_RSRC2:TRAP_HANDLER: 0
; COMPUTE_PGM_RSRC2:TGID_X_EN: 1
; COMPUTE_PGM_RSRC2:TGID_Y_EN: 0
; COMPUTE_PGM_RSRC2:TGID_Z_EN: 0
; COMPUTE_PGM_RSRC2:TIDIG_COMP_CNT: 0
	.section	.text._Z39paged_attention_ll4mi_QKV_mfma16_kernelI14__hip_bfloat16hLN4vllm18Fp8KVCacheDataTypeE1EhLi16ELi128ELi256ELb0ELi7EEvPKT_PKT0_S8_ifPKiSA_SA_iPKfiiiPfSD_PS3_PT2_iSC_SC_,"axG",@progbits,_Z39paged_attention_ll4mi_QKV_mfma16_kernelI14__hip_bfloat16hLN4vllm18Fp8KVCacheDataTypeE1EhLi16ELi128ELi256ELb0ELi7EEvPKT_PKT0_S8_ifPKiSA_SA_iPKfiiiPfSD_PS3_PT2_iSC_SC_,comdat
	.protected	_Z39paged_attention_ll4mi_QKV_mfma16_kernelI14__hip_bfloat16hLN4vllm18Fp8KVCacheDataTypeE1EhLi16ELi128ELi256ELb0ELi7EEvPKT_PKT0_S8_ifPKiSA_SA_iPKfiiiPfSD_PS3_PT2_iSC_SC_ ; -- Begin function _Z39paged_attention_ll4mi_QKV_mfma16_kernelI14__hip_bfloat16hLN4vllm18Fp8KVCacheDataTypeE1EhLi16ELi128ELi256ELb0ELi7EEvPKT_PKT0_S8_ifPKiSA_SA_iPKfiiiPfSD_PS3_PT2_iSC_SC_
	.globl	_Z39paged_attention_ll4mi_QKV_mfma16_kernelI14__hip_bfloat16hLN4vllm18Fp8KVCacheDataTypeE1EhLi16ELi128ELi256ELb0ELi7EEvPKT_PKT0_S8_ifPKiSA_SA_iPKfiiiPfSD_PS3_PT2_iSC_SC_
	.p2align	8
	.type	_Z39paged_attention_ll4mi_QKV_mfma16_kernelI14__hip_bfloat16hLN4vllm18Fp8KVCacheDataTypeE1EhLi16ELi128ELi256ELb0ELi7EEvPKT_PKT0_S8_ifPKiSA_SA_iPKfiiiPfSD_PS3_PT2_iSC_SC_,@function
_Z39paged_attention_ll4mi_QKV_mfma16_kernelI14__hip_bfloat16hLN4vllm18Fp8KVCacheDataTypeE1EhLi16ELi128ELi256ELb0ELi7EEvPKT_PKT0_S8_ifPKiSA_SA_iPKfiiiPfSD_PS3_PT2_iSC_SC_: ; @_Z39paged_attention_ll4mi_QKV_mfma16_kernelI14__hip_bfloat16hLN4vllm18Fp8KVCacheDataTypeE1EhLi16ELi128ELi256ELb0ELi7EEvPKT_PKT0_S8_ifPKiSA_SA_iPKfiiiPfSD_PS3_PT2_iSC_SC_
; %bb.0:
	s_get_pc_i64 s[2:3]
	s_add_nc_u64 s[2:3], s[2:3], __PRETTY_FUNCTION__._Z39paged_attention_ll4mi_QKV_mfma16_kernelI14__hip_bfloat16hLN4vllm18Fp8KVCacheDataTypeE1EhLi16ELi128ELi256ELb0ELi7EEvPKT_PKT0_S8_ifPKiSA_SA_iPKfiiiPfSD_PS3_PT2_iSC_SC_@rel64+4
	s_delay_alu instid0(SALU_CYCLE_1)
	v_dual_mov_b32 v0, 0xbb3 :: v_dual_mov_b32 v1, s2
	v_mov_b32_e32 v2, s3
	s_add_nc_u64 s[8:9], s[0:1], 0x90
	s_get_pc_i64 s[0:1]
	s_add_nc_u64 s[0:1], s[0:1], __assert_fail@rel64+4
	s_mov_b32 s32, 0
	s_swap_pc_i64 s[30:31], s[0:1]
	.section	.rodata,"a",@progbits
	.p2align	6, 0x0
	.amdhsa_kernel _Z39paged_attention_ll4mi_QKV_mfma16_kernelI14__hip_bfloat16hLN4vllm18Fp8KVCacheDataTypeE1EhLi16ELi128ELi256ELb0ELi7EEvPKT_PKT0_S8_ifPKiSA_SA_iPKfiiiPfSD_PS3_PT2_iSC_SC_
		.amdhsa_group_segment_fixed_size 0
		.amdhsa_private_segment_fixed_size 64
		.amdhsa_kernarg_size 400
		.amdhsa_user_sgpr_count 2
		.amdhsa_user_sgpr_dispatch_ptr 0
		.amdhsa_user_sgpr_queue_ptr 0
		.amdhsa_user_sgpr_kernarg_segment_ptr 1
		.amdhsa_user_sgpr_dispatch_id 0
		.amdhsa_user_sgpr_kernarg_preload_length 0
		.amdhsa_user_sgpr_kernarg_preload_offset 0
		.amdhsa_user_sgpr_private_segment_size 0
		.amdhsa_wavefront_size32 1
		.amdhsa_uses_dynamic_stack 0
		.amdhsa_enable_private_segment 1
		.amdhsa_system_sgpr_workgroup_id_x 1
		.amdhsa_system_sgpr_workgroup_id_y 0
		.amdhsa_system_sgpr_workgroup_id_z 0
		.amdhsa_system_sgpr_workgroup_info 0
		.amdhsa_system_vgpr_workitem_id 0
		.amdhsa_next_free_vgpr 51
		.amdhsa_next_free_sgpr 34
		.amdhsa_named_barrier_count 0
		.amdhsa_reserve_vcc 1
		.amdhsa_float_round_mode_32 0
		.amdhsa_float_round_mode_16_64 0
		.amdhsa_float_denorm_mode_32 3
		.amdhsa_float_denorm_mode_16_64 3
		.amdhsa_fp16_overflow 0
		.amdhsa_memory_ordered 1
		.amdhsa_forward_progress 1
		.amdhsa_inst_pref_size 1
		.amdhsa_round_robin_scheduling 0
		.amdhsa_exception_fp_ieee_invalid_op 0
		.amdhsa_exception_fp_denorm_src 0
		.amdhsa_exception_fp_ieee_div_zero 0
		.amdhsa_exception_fp_ieee_overflow 0
		.amdhsa_exception_fp_ieee_underflow 0
		.amdhsa_exception_fp_ieee_inexact 0
		.amdhsa_exception_int_div_zero 0
	.end_amdhsa_kernel
	.section	.text._Z39paged_attention_ll4mi_QKV_mfma16_kernelI14__hip_bfloat16hLN4vllm18Fp8KVCacheDataTypeE1EhLi16ELi128ELi256ELb0ELi7EEvPKT_PKT0_S8_ifPKiSA_SA_iPKfiiiPfSD_PS3_PT2_iSC_SC_,"axG",@progbits,_Z39paged_attention_ll4mi_QKV_mfma16_kernelI14__hip_bfloat16hLN4vllm18Fp8KVCacheDataTypeE1EhLi16ELi128ELi256ELb0ELi7EEvPKT_PKT0_S8_ifPKiSA_SA_iPKfiiiPfSD_PS3_PT2_iSC_SC_,comdat
.Lfunc_end1276:
	.size	_Z39paged_attention_ll4mi_QKV_mfma16_kernelI14__hip_bfloat16hLN4vllm18Fp8KVCacheDataTypeE1EhLi16ELi128ELi256ELb0ELi7EEvPKT_PKT0_S8_ifPKiSA_SA_iPKfiiiPfSD_PS3_PT2_iSC_SC_, .Lfunc_end1276-_Z39paged_attention_ll4mi_QKV_mfma16_kernelI14__hip_bfloat16hLN4vllm18Fp8KVCacheDataTypeE1EhLi16ELi128ELi256ELb0ELi7EEvPKT_PKT0_S8_ifPKiSA_SA_iPKfiiiPfSD_PS3_PT2_iSC_SC_
                                        ; -- End function
	.set _Z39paged_attention_ll4mi_QKV_mfma16_kernelI14__hip_bfloat16hLN4vllm18Fp8KVCacheDataTypeE1EhLi16ELi128ELi256ELb0ELi7EEvPKT_PKT0_S8_ifPKiSA_SA_iPKfiiiPfSD_PS3_PT2_iSC_SC_.num_vgpr, max(3, .L__assert_fail.num_vgpr)
	.set _Z39paged_attention_ll4mi_QKV_mfma16_kernelI14__hip_bfloat16hLN4vllm18Fp8KVCacheDataTypeE1EhLi16ELi128ELi256ELb0ELi7EEvPKT_PKT0_S8_ifPKiSA_SA_iPKfiiiPfSD_PS3_PT2_iSC_SC_.num_agpr, max(0, .L__assert_fail.num_agpr)
	.set _Z39paged_attention_ll4mi_QKV_mfma16_kernelI14__hip_bfloat16hLN4vllm18Fp8KVCacheDataTypeE1EhLi16ELi128ELi256ELb0ELi7EEvPKT_PKT0_S8_ifPKiSA_SA_iPKfiiiPfSD_PS3_PT2_iSC_SC_.numbered_sgpr, max(33, .L__assert_fail.numbered_sgpr)
	.set _Z39paged_attention_ll4mi_QKV_mfma16_kernelI14__hip_bfloat16hLN4vllm18Fp8KVCacheDataTypeE1EhLi16ELi128ELi256ELb0ELi7EEvPKT_PKT0_S8_ifPKiSA_SA_iPKfiiiPfSD_PS3_PT2_iSC_SC_.num_named_barrier, max(0, .L__assert_fail.num_named_barrier)
	.set _Z39paged_attention_ll4mi_QKV_mfma16_kernelI14__hip_bfloat16hLN4vllm18Fp8KVCacheDataTypeE1EhLi16ELi128ELi256ELb0ELi7EEvPKT_PKT0_S8_ifPKiSA_SA_iPKfiiiPfSD_PS3_PT2_iSC_SC_.private_seg_size, 0+max(.L__assert_fail.private_seg_size)
	.set _Z39paged_attention_ll4mi_QKV_mfma16_kernelI14__hip_bfloat16hLN4vllm18Fp8KVCacheDataTypeE1EhLi16ELi128ELi256ELb0ELi7EEvPKT_PKT0_S8_ifPKiSA_SA_iPKfiiiPfSD_PS3_PT2_iSC_SC_.uses_vcc, or(1, .L__assert_fail.uses_vcc)
	.set _Z39paged_attention_ll4mi_QKV_mfma16_kernelI14__hip_bfloat16hLN4vllm18Fp8KVCacheDataTypeE1EhLi16ELi128ELi256ELb0ELi7EEvPKT_PKT0_S8_ifPKiSA_SA_iPKfiiiPfSD_PS3_PT2_iSC_SC_.uses_flat_scratch, or(0, .L__assert_fail.uses_flat_scratch)
	.set _Z39paged_attention_ll4mi_QKV_mfma16_kernelI14__hip_bfloat16hLN4vllm18Fp8KVCacheDataTypeE1EhLi16ELi128ELi256ELb0ELi7EEvPKT_PKT0_S8_ifPKiSA_SA_iPKfiiiPfSD_PS3_PT2_iSC_SC_.has_dyn_sized_stack, or(0, .L__assert_fail.has_dyn_sized_stack)
	.set _Z39paged_attention_ll4mi_QKV_mfma16_kernelI14__hip_bfloat16hLN4vllm18Fp8KVCacheDataTypeE1EhLi16ELi128ELi256ELb0ELi7EEvPKT_PKT0_S8_ifPKiSA_SA_iPKfiiiPfSD_PS3_PT2_iSC_SC_.has_recursion, or(0, .L__assert_fail.has_recursion)
	.set _Z39paged_attention_ll4mi_QKV_mfma16_kernelI14__hip_bfloat16hLN4vllm18Fp8KVCacheDataTypeE1EhLi16ELi128ELi256ELb0ELi7EEvPKT_PKT0_S8_ifPKiSA_SA_iPKfiiiPfSD_PS3_PT2_iSC_SC_.has_indirect_call, or(0, .L__assert_fail.has_indirect_call)
	.section	.AMDGPU.csdata,"",@progbits
; Kernel info:
; codeLenInByte = 68
; TotalNumSgprs: 36
; NumVgprs: 51
; ScratchSize: 64
; MemoryBound: 0
; FloatMode: 240
; IeeeMode: 1
; LDSByteSize: 0 bytes/workgroup (compile time only)
; SGPRBlocks: 0
; VGPRBlocks: 3
; NumSGPRsForWavesPerEU: 36
; NumVGPRsForWavesPerEU: 51
; NamedBarCnt: 0
; Occupancy: 16
; WaveLimiterHint : 1
; COMPUTE_PGM_RSRC2:SCRATCH_EN: 1
; COMPUTE_PGM_RSRC2:USER_SGPR: 2
; COMPUTE_PGM_RSRC2:TRAP_HANDLER: 0
; COMPUTE_PGM_RSRC2:TGID_X_EN: 1
; COMPUTE_PGM_RSRC2:TGID_Y_EN: 0
; COMPUTE_PGM_RSRC2:TGID_Z_EN: 0
; COMPUTE_PGM_RSRC2:TIDIG_COMP_CNT: 0
	.section	.text._Z39paged_attention_ll4mi_QKV_mfma16_kernelI14__hip_bfloat16hLN4vllm18Fp8KVCacheDataTypeE1EhLi16ELi128ELi256ELb0ELi8EEvPKT_PKT0_S8_ifPKiSA_SA_iPKfiiiPfSD_PS3_PT2_iSC_SC_,"axG",@progbits,_Z39paged_attention_ll4mi_QKV_mfma16_kernelI14__hip_bfloat16hLN4vllm18Fp8KVCacheDataTypeE1EhLi16ELi128ELi256ELb0ELi8EEvPKT_PKT0_S8_ifPKiSA_SA_iPKfiiiPfSD_PS3_PT2_iSC_SC_,comdat
	.protected	_Z39paged_attention_ll4mi_QKV_mfma16_kernelI14__hip_bfloat16hLN4vllm18Fp8KVCacheDataTypeE1EhLi16ELi128ELi256ELb0ELi8EEvPKT_PKT0_S8_ifPKiSA_SA_iPKfiiiPfSD_PS3_PT2_iSC_SC_ ; -- Begin function _Z39paged_attention_ll4mi_QKV_mfma16_kernelI14__hip_bfloat16hLN4vllm18Fp8KVCacheDataTypeE1EhLi16ELi128ELi256ELb0ELi8EEvPKT_PKT0_S8_ifPKiSA_SA_iPKfiiiPfSD_PS3_PT2_iSC_SC_
	.globl	_Z39paged_attention_ll4mi_QKV_mfma16_kernelI14__hip_bfloat16hLN4vllm18Fp8KVCacheDataTypeE1EhLi16ELi128ELi256ELb0ELi8EEvPKT_PKT0_S8_ifPKiSA_SA_iPKfiiiPfSD_PS3_PT2_iSC_SC_
	.p2align	8
	.type	_Z39paged_attention_ll4mi_QKV_mfma16_kernelI14__hip_bfloat16hLN4vllm18Fp8KVCacheDataTypeE1EhLi16ELi128ELi256ELb0ELi8EEvPKT_PKT0_S8_ifPKiSA_SA_iPKfiiiPfSD_PS3_PT2_iSC_SC_,@function
_Z39paged_attention_ll4mi_QKV_mfma16_kernelI14__hip_bfloat16hLN4vllm18Fp8KVCacheDataTypeE1EhLi16ELi128ELi256ELb0ELi8EEvPKT_PKT0_S8_ifPKiSA_SA_iPKfiiiPfSD_PS3_PT2_iSC_SC_: ; @_Z39paged_attention_ll4mi_QKV_mfma16_kernelI14__hip_bfloat16hLN4vllm18Fp8KVCacheDataTypeE1EhLi16ELi128ELi256ELb0ELi8EEvPKT_PKT0_S8_ifPKiSA_SA_iPKfiiiPfSD_PS3_PT2_iSC_SC_
; %bb.0:
	s_get_pc_i64 s[2:3]
	s_add_nc_u64 s[2:3], s[2:3], __PRETTY_FUNCTION__._Z39paged_attention_ll4mi_QKV_mfma16_kernelI14__hip_bfloat16hLN4vllm18Fp8KVCacheDataTypeE1EhLi16ELi128ELi256ELb0ELi8EEvPKT_PKT0_S8_ifPKiSA_SA_iPKfiiiPfSD_PS3_PT2_iSC_SC_@rel64+4
	s_delay_alu instid0(SALU_CYCLE_1)
	v_dual_mov_b32 v0, 0xbb3 :: v_dual_mov_b32 v1, s2
	v_mov_b32_e32 v2, s3
	s_add_nc_u64 s[8:9], s[0:1], 0x90
	s_get_pc_i64 s[0:1]
	s_add_nc_u64 s[0:1], s[0:1], __assert_fail@rel64+4
	s_mov_b32 s32, 0
	s_swap_pc_i64 s[30:31], s[0:1]
	.section	.rodata,"a",@progbits
	.p2align	6, 0x0
	.amdhsa_kernel _Z39paged_attention_ll4mi_QKV_mfma16_kernelI14__hip_bfloat16hLN4vllm18Fp8KVCacheDataTypeE1EhLi16ELi128ELi256ELb0ELi8EEvPKT_PKT0_S8_ifPKiSA_SA_iPKfiiiPfSD_PS3_PT2_iSC_SC_
		.amdhsa_group_segment_fixed_size 0
		.amdhsa_private_segment_fixed_size 64
		.amdhsa_kernarg_size 400
		.amdhsa_user_sgpr_count 2
		.amdhsa_user_sgpr_dispatch_ptr 0
		.amdhsa_user_sgpr_queue_ptr 0
		.amdhsa_user_sgpr_kernarg_segment_ptr 1
		.amdhsa_user_sgpr_dispatch_id 0
		.amdhsa_user_sgpr_kernarg_preload_length 0
		.amdhsa_user_sgpr_kernarg_preload_offset 0
		.amdhsa_user_sgpr_private_segment_size 0
		.amdhsa_wavefront_size32 1
		.amdhsa_uses_dynamic_stack 0
		.amdhsa_enable_private_segment 1
		.amdhsa_system_sgpr_workgroup_id_x 1
		.amdhsa_system_sgpr_workgroup_id_y 0
		.amdhsa_system_sgpr_workgroup_id_z 0
		.amdhsa_system_sgpr_workgroup_info 0
		.amdhsa_system_vgpr_workitem_id 0
		.amdhsa_next_free_vgpr 51
		.amdhsa_next_free_sgpr 34
		.amdhsa_named_barrier_count 0
		.amdhsa_reserve_vcc 1
		.amdhsa_float_round_mode_32 0
		.amdhsa_float_round_mode_16_64 0
		.amdhsa_float_denorm_mode_32 3
		.amdhsa_float_denorm_mode_16_64 3
		.amdhsa_fp16_overflow 0
		.amdhsa_memory_ordered 1
		.amdhsa_forward_progress 1
		.amdhsa_inst_pref_size 1
		.amdhsa_round_robin_scheduling 0
		.amdhsa_exception_fp_ieee_invalid_op 0
		.amdhsa_exception_fp_denorm_src 0
		.amdhsa_exception_fp_ieee_div_zero 0
		.amdhsa_exception_fp_ieee_overflow 0
		.amdhsa_exception_fp_ieee_underflow 0
		.amdhsa_exception_fp_ieee_inexact 0
		.amdhsa_exception_int_div_zero 0
	.end_amdhsa_kernel
	.section	.text._Z39paged_attention_ll4mi_QKV_mfma16_kernelI14__hip_bfloat16hLN4vllm18Fp8KVCacheDataTypeE1EhLi16ELi128ELi256ELb0ELi8EEvPKT_PKT0_S8_ifPKiSA_SA_iPKfiiiPfSD_PS3_PT2_iSC_SC_,"axG",@progbits,_Z39paged_attention_ll4mi_QKV_mfma16_kernelI14__hip_bfloat16hLN4vllm18Fp8KVCacheDataTypeE1EhLi16ELi128ELi256ELb0ELi8EEvPKT_PKT0_S8_ifPKiSA_SA_iPKfiiiPfSD_PS3_PT2_iSC_SC_,comdat
.Lfunc_end1277:
	.size	_Z39paged_attention_ll4mi_QKV_mfma16_kernelI14__hip_bfloat16hLN4vllm18Fp8KVCacheDataTypeE1EhLi16ELi128ELi256ELb0ELi8EEvPKT_PKT0_S8_ifPKiSA_SA_iPKfiiiPfSD_PS3_PT2_iSC_SC_, .Lfunc_end1277-_Z39paged_attention_ll4mi_QKV_mfma16_kernelI14__hip_bfloat16hLN4vllm18Fp8KVCacheDataTypeE1EhLi16ELi128ELi256ELb0ELi8EEvPKT_PKT0_S8_ifPKiSA_SA_iPKfiiiPfSD_PS3_PT2_iSC_SC_
                                        ; -- End function
	.set _Z39paged_attention_ll4mi_QKV_mfma16_kernelI14__hip_bfloat16hLN4vllm18Fp8KVCacheDataTypeE1EhLi16ELi128ELi256ELb0ELi8EEvPKT_PKT0_S8_ifPKiSA_SA_iPKfiiiPfSD_PS3_PT2_iSC_SC_.num_vgpr, max(3, .L__assert_fail.num_vgpr)
	.set _Z39paged_attention_ll4mi_QKV_mfma16_kernelI14__hip_bfloat16hLN4vllm18Fp8KVCacheDataTypeE1EhLi16ELi128ELi256ELb0ELi8EEvPKT_PKT0_S8_ifPKiSA_SA_iPKfiiiPfSD_PS3_PT2_iSC_SC_.num_agpr, max(0, .L__assert_fail.num_agpr)
	.set _Z39paged_attention_ll4mi_QKV_mfma16_kernelI14__hip_bfloat16hLN4vllm18Fp8KVCacheDataTypeE1EhLi16ELi128ELi256ELb0ELi8EEvPKT_PKT0_S8_ifPKiSA_SA_iPKfiiiPfSD_PS3_PT2_iSC_SC_.numbered_sgpr, max(33, .L__assert_fail.numbered_sgpr)
	.set _Z39paged_attention_ll4mi_QKV_mfma16_kernelI14__hip_bfloat16hLN4vllm18Fp8KVCacheDataTypeE1EhLi16ELi128ELi256ELb0ELi8EEvPKT_PKT0_S8_ifPKiSA_SA_iPKfiiiPfSD_PS3_PT2_iSC_SC_.num_named_barrier, max(0, .L__assert_fail.num_named_barrier)
	.set _Z39paged_attention_ll4mi_QKV_mfma16_kernelI14__hip_bfloat16hLN4vllm18Fp8KVCacheDataTypeE1EhLi16ELi128ELi256ELb0ELi8EEvPKT_PKT0_S8_ifPKiSA_SA_iPKfiiiPfSD_PS3_PT2_iSC_SC_.private_seg_size, 0+max(.L__assert_fail.private_seg_size)
	.set _Z39paged_attention_ll4mi_QKV_mfma16_kernelI14__hip_bfloat16hLN4vllm18Fp8KVCacheDataTypeE1EhLi16ELi128ELi256ELb0ELi8EEvPKT_PKT0_S8_ifPKiSA_SA_iPKfiiiPfSD_PS3_PT2_iSC_SC_.uses_vcc, or(1, .L__assert_fail.uses_vcc)
	.set _Z39paged_attention_ll4mi_QKV_mfma16_kernelI14__hip_bfloat16hLN4vllm18Fp8KVCacheDataTypeE1EhLi16ELi128ELi256ELb0ELi8EEvPKT_PKT0_S8_ifPKiSA_SA_iPKfiiiPfSD_PS3_PT2_iSC_SC_.uses_flat_scratch, or(0, .L__assert_fail.uses_flat_scratch)
	.set _Z39paged_attention_ll4mi_QKV_mfma16_kernelI14__hip_bfloat16hLN4vllm18Fp8KVCacheDataTypeE1EhLi16ELi128ELi256ELb0ELi8EEvPKT_PKT0_S8_ifPKiSA_SA_iPKfiiiPfSD_PS3_PT2_iSC_SC_.has_dyn_sized_stack, or(0, .L__assert_fail.has_dyn_sized_stack)
	.set _Z39paged_attention_ll4mi_QKV_mfma16_kernelI14__hip_bfloat16hLN4vllm18Fp8KVCacheDataTypeE1EhLi16ELi128ELi256ELb0ELi8EEvPKT_PKT0_S8_ifPKiSA_SA_iPKfiiiPfSD_PS3_PT2_iSC_SC_.has_recursion, or(0, .L__assert_fail.has_recursion)
	.set _Z39paged_attention_ll4mi_QKV_mfma16_kernelI14__hip_bfloat16hLN4vllm18Fp8KVCacheDataTypeE1EhLi16ELi128ELi256ELb0ELi8EEvPKT_PKT0_S8_ifPKiSA_SA_iPKfiiiPfSD_PS3_PT2_iSC_SC_.has_indirect_call, or(0, .L__assert_fail.has_indirect_call)
	.section	.AMDGPU.csdata,"",@progbits
; Kernel info:
; codeLenInByte = 68
; TotalNumSgprs: 36
; NumVgprs: 51
; ScratchSize: 64
; MemoryBound: 0
; FloatMode: 240
; IeeeMode: 1
; LDSByteSize: 0 bytes/workgroup (compile time only)
; SGPRBlocks: 0
; VGPRBlocks: 3
; NumSGPRsForWavesPerEU: 36
; NumVGPRsForWavesPerEU: 51
; NamedBarCnt: 0
; Occupancy: 16
; WaveLimiterHint : 1
; COMPUTE_PGM_RSRC2:SCRATCH_EN: 1
; COMPUTE_PGM_RSRC2:USER_SGPR: 2
; COMPUTE_PGM_RSRC2:TRAP_HANDLER: 0
; COMPUTE_PGM_RSRC2:TGID_X_EN: 1
; COMPUTE_PGM_RSRC2:TGID_Y_EN: 0
; COMPUTE_PGM_RSRC2:TGID_Z_EN: 0
; COMPUTE_PGM_RSRC2:TIDIG_COMP_CNT: 0
	.section	.text._Z39paged_attention_ll4mi_QKV_mfma16_kernelI14__hip_bfloat16hLN4vllm18Fp8KVCacheDataTypeE1EhLi16ELi128ELi256ELb0ELi9EEvPKT_PKT0_S8_ifPKiSA_SA_iPKfiiiPfSD_PS3_PT2_iSC_SC_,"axG",@progbits,_Z39paged_attention_ll4mi_QKV_mfma16_kernelI14__hip_bfloat16hLN4vllm18Fp8KVCacheDataTypeE1EhLi16ELi128ELi256ELb0ELi9EEvPKT_PKT0_S8_ifPKiSA_SA_iPKfiiiPfSD_PS3_PT2_iSC_SC_,comdat
	.protected	_Z39paged_attention_ll4mi_QKV_mfma16_kernelI14__hip_bfloat16hLN4vllm18Fp8KVCacheDataTypeE1EhLi16ELi128ELi256ELb0ELi9EEvPKT_PKT0_S8_ifPKiSA_SA_iPKfiiiPfSD_PS3_PT2_iSC_SC_ ; -- Begin function _Z39paged_attention_ll4mi_QKV_mfma16_kernelI14__hip_bfloat16hLN4vllm18Fp8KVCacheDataTypeE1EhLi16ELi128ELi256ELb0ELi9EEvPKT_PKT0_S8_ifPKiSA_SA_iPKfiiiPfSD_PS3_PT2_iSC_SC_
	.globl	_Z39paged_attention_ll4mi_QKV_mfma16_kernelI14__hip_bfloat16hLN4vllm18Fp8KVCacheDataTypeE1EhLi16ELi128ELi256ELb0ELi9EEvPKT_PKT0_S8_ifPKiSA_SA_iPKfiiiPfSD_PS3_PT2_iSC_SC_
	.p2align	8
	.type	_Z39paged_attention_ll4mi_QKV_mfma16_kernelI14__hip_bfloat16hLN4vllm18Fp8KVCacheDataTypeE1EhLi16ELi128ELi256ELb0ELi9EEvPKT_PKT0_S8_ifPKiSA_SA_iPKfiiiPfSD_PS3_PT2_iSC_SC_,@function
_Z39paged_attention_ll4mi_QKV_mfma16_kernelI14__hip_bfloat16hLN4vllm18Fp8KVCacheDataTypeE1EhLi16ELi128ELi256ELb0ELi9EEvPKT_PKT0_S8_ifPKiSA_SA_iPKfiiiPfSD_PS3_PT2_iSC_SC_: ; @_Z39paged_attention_ll4mi_QKV_mfma16_kernelI14__hip_bfloat16hLN4vllm18Fp8KVCacheDataTypeE1EhLi16ELi128ELi256ELb0ELi9EEvPKT_PKT0_S8_ifPKiSA_SA_iPKfiiiPfSD_PS3_PT2_iSC_SC_
; %bb.0:
	s_get_pc_i64 s[2:3]
	s_add_nc_u64 s[2:3], s[2:3], __PRETTY_FUNCTION__._Z39paged_attention_ll4mi_QKV_mfma16_kernelI14__hip_bfloat16hLN4vllm18Fp8KVCacheDataTypeE1EhLi16ELi128ELi256ELb0ELi9EEvPKT_PKT0_S8_ifPKiSA_SA_iPKfiiiPfSD_PS3_PT2_iSC_SC_@rel64+4
	s_delay_alu instid0(SALU_CYCLE_1)
	v_dual_mov_b32 v0, 0xbb3 :: v_dual_mov_b32 v1, s2
	v_mov_b32_e32 v2, s3
	s_add_nc_u64 s[8:9], s[0:1], 0x90
	s_get_pc_i64 s[0:1]
	s_add_nc_u64 s[0:1], s[0:1], __assert_fail@rel64+4
	s_mov_b32 s32, 0
	s_swap_pc_i64 s[30:31], s[0:1]
	.section	.rodata,"a",@progbits
	.p2align	6, 0x0
	.amdhsa_kernel _Z39paged_attention_ll4mi_QKV_mfma16_kernelI14__hip_bfloat16hLN4vllm18Fp8KVCacheDataTypeE1EhLi16ELi128ELi256ELb0ELi9EEvPKT_PKT0_S8_ifPKiSA_SA_iPKfiiiPfSD_PS3_PT2_iSC_SC_
		.amdhsa_group_segment_fixed_size 0
		.amdhsa_private_segment_fixed_size 64
		.amdhsa_kernarg_size 400
		.amdhsa_user_sgpr_count 2
		.amdhsa_user_sgpr_dispatch_ptr 0
		.amdhsa_user_sgpr_queue_ptr 0
		.amdhsa_user_sgpr_kernarg_segment_ptr 1
		.amdhsa_user_sgpr_dispatch_id 0
		.amdhsa_user_sgpr_kernarg_preload_length 0
		.amdhsa_user_sgpr_kernarg_preload_offset 0
		.amdhsa_user_sgpr_private_segment_size 0
		.amdhsa_wavefront_size32 1
		.amdhsa_uses_dynamic_stack 0
		.amdhsa_enable_private_segment 1
		.amdhsa_system_sgpr_workgroup_id_x 1
		.amdhsa_system_sgpr_workgroup_id_y 0
		.amdhsa_system_sgpr_workgroup_id_z 0
		.amdhsa_system_sgpr_workgroup_info 0
		.amdhsa_system_vgpr_workitem_id 0
		.amdhsa_next_free_vgpr 51
		.amdhsa_next_free_sgpr 34
		.amdhsa_named_barrier_count 0
		.amdhsa_reserve_vcc 1
		.amdhsa_float_round_mode_32 0
		.amdhsa_float_round_mode_16_64 0
		.amdhsa_float_denorm_mode_32 3
		.amdhsa_float_denorm_mode_16_64 3
		.amdhsa_fp16_overflow 0
		.amdhsa_memory_ordered 1
		.amdhsa_forward_progress 1
		.amdhsa_inst_pref_size 1
		.amdhsa_round_robin_scheduling 0
		.amdhsa_exception_fp_ieee_invalid_op 0
		.amdhsa_exception_fp_denorm_src 0
		.amdhsa_exception_fp_ieee_div_zero 0
		.amdhsa_exception_fp_ieee_overflow 0
		.amdhsa_exception_fp_ieee_underflow 0
		.amdhsa_exception_fp_ieee_inexact 0
		.amdhsa_exception_int_div_zero 0
	.end_amdhsa_kernel
	.section	.text._Z39paged_attention_ll4mi_QKV_mfma16_kernelI14__hip_bfloat16hLN4vllm18Fp8KVCacheDataTypeE1EhLi16ELi128ELi256ELb0ELi9EEvPKT_PKT0_S8_ifPKiSA_SA_iPKfiiiPfSD_PS3_PT2_iSC_SC_,"axG",@progbits,_Z39paged_attention_ll4mi_QKV_mfma16_kernelI14__hip_bfloat16hLN4vllm18Fp8KVCacheDataTypeE1EhLi16ELi128ELi256ELb0ELi9EEvPKT_PKT0_S8_ifPKiSA_SA_iPKfiiiPfSD_PS3_PT2_iSC_SC_,comdat
.Lfunc_end1278:
	.size	_Z39paged_attention_ll4mi_QKV_mfma16_kernelI14__hip_bfloat16hLN4vllm18Fp8KVCacheDataTypeE1EhLi16ELi128ELi256ELb0ELi9EEvPKT_PKT0_S8_ifPKiSA_SA_iPKfiiiPfSD_PS3_PT2_iSC_SC_, .Lfunc_end1278-_Z39paged_attention_ll4mi_QKV_mfma16_kernelI14__hip_bfloat16hLN4vllm18Fp8KVCacheDataTypeE1EhLi16ELi128ELi256ELb0ELi9EEvPKT_PKT0_S8_ifPKiSA_SA_iPKfiiiPfSD_PS3_PT2_iSC_SC_
                                        ; -- End function
	.set _Z39paged_attention_ll4mi_QKV_mfma16_kernelI14__hip_bfloat16hLN4vllm18Fp8KVCacheDataTypeE1EhLi16ELi128ELi256ELb0ELi9EEvPKT_PKT0_S8_ifPKiSA_SA_iPKfiiiPfSD_PS3_PT2_iSC_SC_.num_vgpr, max(3, .L__assert_fail.num_vgpr)
	.set _Z39paged_attention_ll4mi_QKV_mfma16_kernelI14__hip_bfloat16hLN4vllm18Fp8KVCacheDataTypeE1EhLi16ELi128ELi256ELb0ELi9EEvPKT_PKT0_S8_ifPKiSA_SA_iPKfiiiPfSD_PS3_PT2_iSC_SC_.num_agpr, max(0, .L__assert_fail.num_agpr)
	.set _Z39paged_attention_ll4mi_QKV_mfma16_kernelI14__hip_bfloat16hLN4vllm18Fp8KVCacheDataTypeE1EhLi16ELi128ELi256ELb0ELi9EEvPKT_PKT0_S8_ifPKiSA_SA_iPKfiiiPfSD_PS3_PT2_iSC_SC_.numbered_sgpr, max(33, .L__assert_fail.numbered_sgpr)
	.set _Z39paged_attention_ll4mi_QKV_mfma16_kernelI14__hip_bfloat16hLN4vllm18Fp8KVCacheDataTypeE1EhLi16ELi128ELi256ELb0ELi9EEvPKT_PKT0_S8_ifPKiSA_SA_iPKfiiiPfSD_PS3_PT2_iSC_SC_.num_named_barrier, max(0, .L__assert_fail.num_named_barrier)
	.set _Z39paged_attention_ll4mi_QKV_mfma16_kernelI14__hip_bfloat16hLN4vllm18Fp8KVCacheDataTypeE1EhLi16ELi128ELi256ELb0ELi9EEvPKT_PKT0_S8_ifPKiSA_SA_iPKfiiiPfSD_PS3_PT2_iSC_SC_.private_seg_size, 0+max(.L__assert_fail.private_seg_size)
	.set _Z39paged_attention_ll4mi_QKV_mfma16_kernelI14__hip_bfloat16hLN4vllm18Fp8KVCacheDataTypeE1EhLi16ELi128ELi256ELb0ELi9EEvPKT_PKT0_S8_ifPKiSA_SA_iPKfiiiPfSD_PS3_PT2_iSC_SC_.uses_vcc, or(1, .L__assert_fail.uses_vcc)
	.set _Z39paged_attention_ll4mi_QKV_mfma16_kernelI14__hip_bfloat16hLN4vllm18Fp8KVCacheDataTypeE1EhLi16ELi128ELi256ELb0ELi9EEvPKT_PKT0_S8_ifPKiSA_SA_iPKfiiiPfSD_PS3_PT2_iSC_SC_.uses_flat_scratch, or(0, .L__assert_fail.uses_flat_scratch)
	.set _Z39paged_attention_ll4mi_QKV_mfma16_kernelI14__hip_bfloat16hLN4vllm18Fp8KVCacheDataTypeE1EhLi16ELi128ELi256ELb0ELi9EEvPKT_PKT0_S8_ifPKiSA_SA_iPKfiiiPfSD_PS3_PT2_iSC_SC_.has_dyn_sized_stack, or(0, .L__assert_fail.has_dyn_sized_stack)
	.set _Z39paged_attention_ll4mi_QKV_mfma16_kernelI14__hip_bfloat16hLN4vllm18Fp8KVCacheDataTypeE1EhLi16ELi128ELi256ELb0ELi9EEvPKT_PKT0_S8_ifPKiSA_SA_iPKfiiiPfSD_PS3_PT2_iSC_SC_.has_recursion, or(0, .L__assert_fail.has_recursion)
	.set _Z39paged_attention_ll4mi_QKV_mfma16_kernelI14__hip_bfloat16hLN4vllm18Fp8KVCacheDataTypeE1EhLi16ELi128ELi256ELb0ELi9EEvPKT_PKT0_S8_ifPKiSA_SA_iPKfiiiPfSD_PS3_PT2_iSC_SC_.has_indirect_call, or(0, .L__assert_fail.has_indirect_call)
	.section	.AMDGPU.csdata,"",@progbits
; Kernel info:
; codeLenInByte = 68
; TotalNumSgprs: 36
; NumVgprs: 51
; ScratchSize: 64
; MemoryBound: 0
; FloatMode: 240
; IeeeMode: 1
; LDSByteSize: 0 bytes/workgroup (compile time only)
; SGPRBlocks: 0
; VGPRBlocks: 3
; NumSGPRsForWavesPerEU: 36
; NumVGPRsForWavesPerEU: 51
; NamedBarCnt: 0
; Occupancy: 16
; WaveLimiterHint : 1
; COMPUTE_PGM_RSRC2:SCRATCH_EN: 1
; COMPUTE_PGM_RSRC2:USER_SGPR: 2
; COMPUTE_PGM_RSRC2:TRAP_HANDLER: 0
; COMPUTE_PGM_RSRC2:TGID_X_EN: 1
; COMPUTE_PGM_RSRC2:TGID_Y_EN: 0
; COMPUTE_PGM_RSRC2:TGID_Z_EN: 0
; COMPUTE_PGM_RSRC2:TIDIG_COMP_CNT: 0
	.section	.text._Z39paged_attention_ll4mi_QKV_mfma16_kernelI14__hip_bfloat16hLN4vllm18Fp8KVCacheDataTypeE1EhLi16ELi128ELi256ELb0ELi10EEvPKT_PKT0_S8_ifPKiSA_SA_iPKfiiiPfSD_PS3_PT2_iSC_SC_,"axG",@progbits,_Z39paged_attention_ll4mi_QKV_mfma16_kernelI14__hip_bfloat16hLN4vllm18Fp8KVCacheDataTypeE1EhLi16ELi128ELi256ELb0ELi10EEvPKT_PKT0_S8_ifPKiSA_SA_iPKfiiiPfSD_PS3_PT2_iSC_SC_,comdat
	.protected	_Z39paged_attention_ll4mi_QKV_mfma16_kernelI14__hip_bfloat16hLN4vllm18Fp8KVCacheDataTypeE1EhLi16ELi128ELi256ELb0ELi10EEvPKT_PKT0_S8_ifPKiSA_SA_iPKfiiiPfSD_PS3_PT2_iSC_SC_ ; -- Begin function _Z39paged_attention_ll4mi_QKV_mfma16_kernelI14__hip_bfloat16hLN4vllm18Fp8KVCacheDataTypeE1EhLi16ELi128ELi256ELb0ELi10EEvPKT_PKT0_S8_ifPKiSA_SA_iPKfiiiPfSD_PS3_PT2_iSC_SC_
	.globl	_Z39paged_attention_ll4mi_QKV_mfma16_kernelI14__hip_bfloat16hLN4vllm18Fp8KVCacheDataTypeE1EhLi16ELi128ELi256ELb0ELi10EEvPKT_PKT0_S8_ifPKiSA_SA_iPKfiiiPfSD_PS3_PT2_iSC_SC_
	.p2align	8
	.type	_Z39paged_attention_ll4mi_QKV_mfma16_kernelI14__hip_bfloat16hLN4vllm18Fp8KVCacheDataTypeE1EhLi16ELi128ELi256ELb0ELi10EEvPKT_PKT0_S8_ifPKiSA_SA_iPKfiiiPfSD_PS3_PT2_iSC_SC_,@function
_Z39paged_attention_ll4mi_QKV_mfma16_kernelI14__hip_bfloat16hLN4vllm18Fp8KVCacheDataTypeE1EhLi16ELi128ELi256ELb0ELi10EEvPKT_PKT0_S8_ifPKiSA_SA_iPKfiiiPfSD_PS3_PT2_iSC_SC_: ; @_Z39paged_attention_ll4mi_QKV_mfma16_kernelI14__hip_bfloat16hLN4vllm18Fp8KVCacheDataTypeE1EhLi16ELi128ELi256ELb0ELi10EEvPKT_PKT0_S8_ifPKiSA_SA_iPKfiiiPfSD_PS3_PT2_iSC_SC_
; %bb.0:
	s_get_pc_i64 s[2:3]
	s_add_nc_u64 s[2:3], s[2:3], __PRETTY_FUNCTION__._Z39paged_attention_ll4mi_QKV_mfma16_kernelI14__hip_bfloat16hLN4vllm18Fp8KVCacheDataTypeE1EhLi16ELi128ELi256ELb0ELi10EEvPKT_PKT0_S8_ifPKiSA_SA_iPKfiiiPfSD_PS3_PT2_iSC_SC_@rel64+4
	s_delay_alu instid0(SALU_CYCLE_1)
	v_dual_mov_b32 v0, 0xbb3 :: v_dual_mov_b32 v1, s2
	v_mov_b32_e32 v2, s3
	s_add_nc_u64 s[8:9], s[0:1], 0x90
	s_get_pc_i64 s[0:1]
	s_add_nc_u64 s[0:1], s[0:1], __assert_fail@rel64+4
	s_mov_b32 s32, 0
	s_swap_pc_i64 s[30:31], s[0:1]
	.section	.rodata,"a",@progbits
	.p2align	6, 0x0
	.amdhsa_kernel _Z39paged_attention_ll4mi_QKV_mfma16_kernelI14__hip_bfloat16hLN4vllm18Fp8KVCacheDataTypeE1EhLi16ELi128ELi256ELb0ELi10EEvPKT_PKT0_S8_ifPKiSA_SA_iPKfiiiPfSD_PS3_PT2_iSC_SC_
		.amdhsa_group_segment_fixed_size 0
		.amdhsa_private_segment_fixed_size 64
		.amdhsa_kernarg_size 400
		.amdhsa_user_sgpr_count 2
		.amdhsa_user_sgpr_dispatch_ptr 0
		.amdhsa_user_sgpr_queue_ptr 0
		.amdhsa_user_sgpr_kernarg_segment_ptr 1
		.amdhsa_user_sgpr_dispatch_id 0
		.amdhsa_user_sgpr_kernarg_preload_length 0
		.amdhsa_user_sgpr_kernarg_preload_offset 0
		.amdhsa_user_sgpr_private_segment_size 0
		.amdhsa_wavefront_size32 1
		.amdhsa_uses_dynamic_stack 0
		.amdhsa_enable_private_segment 1
		.amdhsa_system_sgpr_workgroup_id_x 1
		.amdhsa_system_sgpr_workgroup_id_y 0
		.amdhsa_system_sgpr_workgroup_id_z 0
		.amdhsa_system_sgpr_workgroup_info 0
		.amdhsa_system_vgpr_workitem_id 0
		.amdhsa_next_free_vgpr 51
		.amdhsa_next_free_sgpr 34
		.amdhsa_named_barrier_count 0
		.amdhsa_reserve_vcc 1
		.amdhsa_float_round_mode_32 0
		.amdhsa_float_round_mode_16_64 0
		.amdhsa_float_denorm_mode_32 3
		.amdhsa_float_denorm_mode_16_64 3
		.amdhsa_fp16_overflow 0
		.amdhsa_memory_ordered 1
		.amdhsa_forward_progress 1
		.amdhsa_inst_pref_size 1
		.amdhsa_round_robin_scheduling 0
		.amdhsa_exception_fp_ieee_invalid_op 0
		.amdhsa_exception_fp_denorm_src 0
		.amdhsa_exception_fp_ieee_div_zero 0
		.amdhsa_exception_fp_ieee_overflow 0
		.amdhsa_exception_fp_ieee_underflow 0
		.amdhsa_exception_fp_ieee_inexact 0
		.amdhsa_exception_int_div_zero 0
	.end_amdhsa_kernel
	.section	.text._Z39paged_attention_ll4mi_QKV_mfma16_kernelI14__hip_bfloat16hLN4vllm18Fp8KVCacheDataTypeE1EhLi16ELi128ELi256ELb0ELi10EEvPKT_PKT0_S8_ifPKiSA_SA_iPKfiiiPfSD_PS3_PT2_iSC_SC_,"axG",@progbits,_Z39paged_attention_ll4mi_QKV_mfma16_kernelI14__hip_bfloat16hLN4vllm18Fp8KVCacheDataTypeE1EhLi16ELi128ELi256ELb0ELi10EEvPKT_PKT0_S8_ifPKiSA_SA_iPKfiiiPfSD_PS3_PT2_iSC_SC_,comdat
.Lfunc_end1279:
	.size	_Z39paged_attention_ll4mi_QKV_mfma16_kernelI14__hip_bfloat16hLN4vllm18Fp8KVCacheDataTypeE1EhLi16ELi128ELi256ELb0ELi10EEvPKT_PKT0_S8_ifPKiSA_SA_iPKfiiiPfSD_PS3_PT2_iSC_SC_, .Lfunc_end1279-_Z39paged_attention_ll4mi_QKV_mfma16_kernelI14__hip_bfloat16hLN4vllm18Fp8KVCacheDataTypeE1EhLi16ELi128ELi256ELb0ELi10EEvPKT_PKT0_S8_ifPKiSA_SA_iPKfiiiPfSD_PS3_PT2_iSC_SC_
                                        ; -- End function
	.set _Z39paged_attention_ll4mi_QKV_mfma16_kernelI14__hip_bfloat16hLN4vllm18Fp8KVCacheDataTypeE1EhLi16ELi128ELi256ELb0ELi10EEvPKT_PKT0_S8_ifPKiSA_SA_iPKfiiiPfSD_PS3_PT2_iSC_SC_.num_vgpr, max(3, .L__assert_fail.num_vgpr)
	.set _Z39paged_attention_ll4mi_QKV_mfma16_kernelI14__hip_bfloat16hLN4vllm18Fp8KVCacheDataTypeE1EhLi16ELi128ELi256ELb0ELi10EEvPKT_PKT0_S8_ifPKiSA_SA_iPKfiiiPfSD_PS3_PT2_iSC_SC_.num_agpr, max(0, .L__assert_fail.num_agpr)
	.set _Z39paged_attention_ll4mi_QKV_mfma16_kernelI14__hip_bfloat16hLN4vllm18Fp8KVCacheDataTypeE1EhLi16ELi128ELi256ELb0ELi10EEvPKT_PKT0_S8_ifPKiSA_SA_iPKfiiiPfSD_PS3_PT2_iSC_SC_.numbered_sgpr, max(33, .L__assert_fail.numbered_sgpr)
	.set _Z39paged_attention_ll4mi_QKV_mfma16_kernelI14__hip_bfloat16hLN4vllm18Fp8KVCacheDataTypeE1EhLi16ELi128ELi256ELb0ELi10EEvPKT_PKT0_S8_ifPKiSA_SA_iPKfiiiPfSD_PS3_PT2_iSC_SC_.num_named_barrier, max(0, .L__assert_fail.num_named_barrier)
	.set _Z39paged_attention_ll4mi_QKV_mfma16_kernelI14__hip_bfloat16hLN4vllm18Fp8KVCacheDataTypeE1EhLi16ELi128ELi256ELb0ELi10EEvPKT_PKT0_S8_ifPKiSA_SA_iPKfiiiPfSD_PS3_PT2_iSC_SC_.private_seg_size, 0+max(.L__assert_fail.private_seg_size)
	.set _Z39paged_attention_ll4mi_QKV_mfma16_kernelI14__hip_bfloat16hLN4vllm18Fp8KVCacheDataTypeE1EhLi16ELi128ELi256ELb0ELi10EEvPKT_PKT0_S8_ifPKiSA_SA_iPKfiiiPfSD_PS3_PT2_iSC_SC_.uses_vcc, or(1, .L__assert_fail.uses_vcc)
	.set _Z39paged_attention_ll4mi_QKV_mfma16_kernelI14__hip_bfloat16hLN4vllm18Fp8KVCacheDataTypeE1EhLi16ELi128ELi256ELb0ELi10EEvPKT_PKT0_S8_ifPKiSA_SA_iPKfiiiPfSD_PS3_PT2_iSC_SC_.uses_flat_scratch, or(0, .L__assert_fail.uses_flat_scratch)
	.set _Z39paged_attention_ll4mi_QKV_mfma16_kernelI14__hip_bfloat16hLN4vllm18Fp8KVCacheDataTypeE1EhLi16ELi128ELi256ELb0ELi10EEvPKT_PKT0_S8_ifPKiSA_SA_iPKfiiiPfSD_PS3_PT2_iSC_SC_.has_dyn_sized_stack, or(0, .L__assert_fail.has_dyn_sized_stack)
	.set _Z39paged_attention_ll4mi_QKV_mfma16_kernelI14__hip_bfloat16hLN4vllm18Fp8KVCacheDataTypeE1EhLi16ELi128ELi256ELb0ELi10EEvPKT_PKT0_S8_ifPKiSA_SA_iPKfiiiPfSD_PS3_PT2_iSC_SC_.has_recursion, or(0, .L__assert_fail.has_recursion)
	.set _Z39paged_attention_ll4mi_QKV_mfma16_kernelI14__hip_bfloat16hLN4vllm18Fp8KVCacheDataTypeE1EhLi16ELi128ELi256ELb0ELi10EEvPKT_PKT0_S8_ifPKiSA_SA_iPKfiiiPfSD_PS3_PT2_iSC_SC_.has_indirect_call, or(0, .L__assert_fail.has_indirect_call)
	.section	.AMDGPU.csdata,"",@progbits
; Kernel info:
; codeLenInByte = 68
; TotalNumSgprs: 36
; NumVgprs: 51
; ScratchSize: 64
; MemoryBound: 0
; FloatMode: 240
; IeeeMode: 1
; LDSByteSize: 0 bytes/workgroup (compile time only)
; SGPRBlocks: 0
; VGPRBlocks: 3
; NumSGPRsForWavesPerEU: 36
; NumVGPRsForWavesPerEU: 51
; NamedBarCnt: 0
; Occupancy: 16
; WaveLimiterHint : 1
; COMPUTE_PGM_RSRC2:SCRATCH_EN: 1
; COMPUTE_PGM_RSRC2:USER_SGPR: 2
; COMPUTE_PGM_RSRC2:TRAP_HANDLER: 0
; COMPUTE_PGM_RSRC2:TGID_X_EN: 1
; COMPUTE_PGM_RSRC2:TGID_Y_EN: 0
; COMPUTE_PGM_RSRC2:TGID_Z_EN: 0
; COMPUTE_PGM_RSRC2:TIDIG_COMP_CNT: 0
	.section	.text._Z39paged_attention_ll4mi_QKV_mfma16_kernelI14__hip_bfloat16hLN4vllm18Fp8KVCacheDataTypeE1EhLi16ELi128ELi256ELb0ELi11EEvPKT_PKT0_S8_ifPKiSA_SA_iPKfiiiPfSD_PS3_PT2_iSC_SC_,"axG",@progbits,_Z39paged_attention_ll4mi_QKV_mfma16_kernelI14__hip_bfloat16hLN4vllm18Fp8KVCacheDataTypeE1EhLi16ELi128ELi256ELb0ELi11EEvPKT_PKT0_S8_ifPKiSA_SA_iPKfiiiPfSD_PS3_PT2_iSC_SC_,comdat
	.protected	_Z39paged_attention_ll4mi_QKV_mfma16_kernelI14__hip_bfloat16hLN4vllm18Fp8KVCacheDataTypeE1EhLi16ELi128ELi256ELb0ELi11EEvPKT_PKT0_S8_ifPKiSA_SA_iPKfiiiPfSD_PS3_PT2_iSC_SC_ ; -- Begin function _Z39paged_attention_ll4mi_QKV_mfma16_kernelI14__hip_bfloat16hLN4vllm18Fp8KVCacheDataTypeE1EhLi16ELi128ELi256ELb0ELi11EEvPKT_PKT0_S8_ifPKiSA_SA_iPKfiiiPfSD_PS3_PT2_iSC_SC_
	.globl	_Z39paged_attention_ll4mi_QKV_mfma16_kernelI14__hip_bfloat16hLN4vllm18Fp8KVCacheDataTypeE1EhLi16ELi128ELi256ELb0ELi11EEvPKT_PKT0_S8_ifPKiSA_SA_iPKfiiiPfSD_PS3_PT2_iSC_SC_
	.p2align	8
	.type	_Z39paged_attention_ll4mi_QKV_mfma16_kernelI14__hip_bfloat16hLN4vllm18Fp8KVCacheDataTypeE1EhLi16ELi128ELi256ELb0ELi11EEvPKT_PKT0_S8_ifPKiSA_SA_iPKfiiiPfSD_PS3_PT2_iSC_SC_,@function
_Z39paged_attention_ll4mi_QKV_mfma16_kernelI14__hip_bfloat16hLN4vllm18Fp8KVCacheDataTypeE1EhLi16ELi128ELi256ELb0ELi11EEvPKT_PKT0_S8_ifPKiSA_SA_iPKfiiiPfSD_PS3_PT2_iSC_SC_: ; @_Z39paged_attention_ll4mi_QKV_mfma16_kernelI14__hip_bfloat16hLN4vllm18Fp8KVCacheDataTypeE1EhLi16ELi128ELi256ELb0ELi11EEvPKT_PKT0_S8_ifPKiSA_SA_iPKfiiiPfSD_PS3_PT2_iSC_SC_
; %bb.0:
	s_get_pc_i64 s[2:3]
	s_add_nc_u64 s[2:3], s[2:3], __PRETTY_FUNCTION__._Z39paged_attention_ll4mi_QKV_mfma16_kernelI14__hip_bfloat16hLN4vllm18Fp8KVCacheDataTypeE1EhLi16ELi128ELi256ELb0ELi11EEvPKT_PKT0_S8_ifPKiSA_SA_iPKfiiiPfSD_PS3_PT2_iSC_SC_@rel64+4
	s_delay_alu instid0(SALU_CYCLE_1)
	v_dual_mov_b32 v0, 0xbb3 :: v_dual_mov_b32 v1, s2
	v_mov_b32_e32 v2, s3
	s_add_nc_u64 s[8:9], s[0:1], 0x90
	s_get_pc_i64 s[0:1]
	s_add_nc_u64 s[0:1], s[0:1], __assert_fail@rel64+4
	s_mov_b32 s32, 0
	s_swap_pc_i64 s[30:31], s[0:1]
	.section	.rodata,"a",@progbits
	.p2align	6, 0x0
	.amdhsa_kernel _Z39paged_attention_ll4mi_QKV_mfma16_kernelI14__hip_bfloat16hLN4vllm18Fp8KVCacheDataTypeE1EhLi16ELi128ELi256ELb0ELi11EEvPKT_PKT0_S8_ifPKiSA_SA_iPKfiiiPfSD_PS3_PT2_iSC_SC_
		.amdhsa_group_segment_fixed_size 0
		.amdhsa_private_segment_fixed_size 64
		.amdhsa_kernarg_size 400
		.amdhsa_user_sgpr_count 2
		.amdhsa_user_sgpr_dispatch_ptr 0
		.amdhsa_user_sgpr_queue_ptr 0
		.amdhsa_user_sgpr_kernarg_segment_ptr 1
		.amdhsa_user_sgpr_dispatch_id 0
		.amdhsa_user_sgpr_kernarg_preload_length 0
		.amdhsa_user_sgpr_kernarg_preload_offset 0
		.amdhsa_user_sgpr_private_segment_size 0
		.amdhsa_wavefront_size32 1
		.amdhsa_uses_dynamic_stack 0
		.amdhsa_enable_private_segment 1
		.amdhsa_system_sgpr_workgroup_id_x 1
		.amdhsa_system_sgpr_workgroup_id_y 0
		.amdhsa_system_sgpr_workgroup_id_z 0
		.amdhsa_system_sgpr_workgroup_info 0
		.amdhsa_system_vgpr_workitem_id 0
		.amdhsa_next_free_vgpr 51
		.amdhsa_next_free_sgpr 34
		.amdhsa_named_barrier_count 0
		.amdhsa_reserve_vcc 1
		.amdhsa_float_round_mode_32 0
		.amdhsa_float_round_mode_16_64 0
		.amdhsa_float_denorm_mode_32 3
		.amdhsa_float_denorm_mode_16_64 3
		.amdhsa_fp16_overflow 0
		.amdhsa_memory_ordered 1
		.amdhsa_forward_progress 1
		.amdhsa_inst_pref_size 1
		.amdhsa_round_robin_scheduling 0
		.amdhsa_exception_fp_ieee_invalid_op 0
		.amdhsa_exception_fp_denorm_src 0
		.amdhsa_exception_fp_ieee_div_zero 0
		.amdhsa_exception_fp_ieee_overflow 0
		.amdhsa_exception_fp_ieee_underflow 0
		.amdhsa_exception_fp_ieee_inexact 0
		.amdhsa_exception_int_div_zero 0
	.end_amdhsa_kernel
	.section	.text._Z39paged_attention_ll4mi_QKV_mfma16_kernelI14__hip_bfloat16hLN4vllm18Fp8KVCacheDataTypeE1EhLi16ELi128ELi256ELb0ELi11EEvPKT_PKT0_S8_ifPKiSA_SA_iPKfiiiPfSD_PS3_PT2_iSC_SC_,"axG",@progbits,_Z39paged_attention_ll4mi_QKV_mfma16_kernelI14__hip_bfloat16hLN4vllm18Fp8KVCacheDataTypeE1EhLi16ELi128ELi256ELb0ELi11EEvPKT_PKT0_S8_ifPKiSA_SA_iPKfiiiPfSD_PS3_PT2_iSC_SC_,comdat
.Lfunc_end1280:
	.size	_Z39paged_attention_ll4mi_QKV_mfma16_kernelI14__hip_bfloat16hLN4vllm18Fp8KVCacheDataTypeE1EhLi16ELi128ELi256ELb0ELi11EEvPKT_PKT0_S8_ifPKiSA_SA_iPKfiiiPfSD_PS3_PT2_iSC_SC_, .Lfunc_end1280-_Z39paged_attention_ll4mi_QKV_mfma16_kernelI14__hip_bfloat16hLN4vllm18Fp8KVCacheDataTypeE1EhLi16ELi128ELi256ELb0ELi11EEvPKT_PKT0_S8_ifPKiSA_SA_iPKfiiiPfSD_PS3_PT2_iSC_SC_
                                        ; -- End function
	.set _Z39paged_attention_ll4mi_QKV_mfma16_kernelI14__hip_bfloat16hLN4vllm18Fp8KVCacheDataTypeE1EhLi16ELi128ELi256ELb0ELi11EEvPKT_PKT0_S8_ifPKiSA_SA_iPKfiiiPfSD_PS3_PT2_iSC_SC_.num_vgpr, max(3, .L__assert_fail.num_vgpr)
	.set _Z39paged_attention_ll4mi_QKV_mfma16_kernelI14__hip_bfloat16hLN4vllm18Fp8KVCacheDataTypeE1EhLi16ELi128ELi256ELb0ELi11EEvPKT_PKT0_S8_ifPKiSA_SA_iPKfiiiPfSD_PS3_PT2_iSC_SC_.num_agpr, max(0, .L__assert_fail.num_agpr)
	.set _Z39paged_attention_ll4mi_QKV_mfma16_kernelI14__hip_bfloat16hLN4vllm18Fp8KVCacheDataTypeE1EhLi16ELi128ELi256ELb0ELi11EEvPKT_PKT0_S8_ifPKiSA_SA_iPKfiiiPfSD_PS3_PT2_iSC_SC_.numbered_sgpr, max(33, .L__assert_fail.numbered_sgpr)
	.set _Z39paged_attention_ll4mi_QKV_mfma16_kernelI14__hip_bfloat16hLN4vllm18Fp8KVCacheDataTypeE1EhLi16ELi128ELi256ELb0ELi11EEvPKT_PKT0_S8_ifPKiSA_SA_iPKfiiiPfSD_PS3_PT2_iSC_SC_.num_named_barrier, max(0, .L__assert_fail.num_named_barrier)
	.set _Z39paged_attention_ll4mi_QKV_mfma16_kernelI14__hip_bfloat16hLN4vllm18Fp8KVCacheDataTypeE1EhLi16ELi128ELi256ELb0ELi11EEvPKT_PKT0_S8_ifPKiSA_SA_iPKfiiiPfSD_PS3_PT2_iSC_SC_.private_seg_size, 0+max(.L__assert_fail.private_seg_size)
	.set _Z39paged_attention_ll4mi_QKV_mfma16_kernelI14__hip_bfloat16hLN4vllm18Fp8KVCacheDataTypeE1EhLi16ELi128ELi256ELb0ELi11EEvPKT_PKT0_S8_ifPKiSA_SA_iPKfiiiPfSD_PS3_PT2_iSC_SC_.uses_vcc, or(1, .L__assert_fail.uses_vcc)
	.set _Z39paged_attention_ll4mi_QKV_mfma16_kernelI14__hip_bfloat16hLN4vllm18Fp8KVCacheDataTypeE1EhLi16ELi128ELi256ELb0ELi11EEvPKT_PKT0_S8_ifPKiSA_SA_iPKfiiiPfSD_PS3_PT2_iSC_SC_.uses_flat_scratch, or(0, .L__assert_fail.uses_flat_scratch)
	.set _Z39paged_attention_ll4mi_QKV_mfma16_kernelI14__hip_bfloat16hLN4vllm18Fp8KVCacheDataTypeE1EhLi16ELi128ELi256ELb0ELi11EEvPKT_PKT0_S8_ifPKiSA_SA_iPKfiiiPfSD_PS3_PT2_iSC_SC_.has_dyn_sized_stack, or(0, .L__assert_fail.has_dyn_sized_stack)
	.set _Z39paged_attention_ll4mi_QKV_mfma16_kernelI14__hip_bfloat16hLN4vllm18Fp8KVCacheDataTypeE1EhLi16ELi128ELi256ELb0ELi11EEvPKT_PKT0_S8_ifPKiSA_SA_iPKfiiiPfSD_PS3_PT2_iSC_SC_.has_recursion, or(0, .L__assert_fail.has_recursion)
	.set _Z39paged_attention_ll4mi_QKV_mfma16_kernelI14__hip_bfloat16hLN4vllm18Fp8KVCacheDataTypeE1EhLi16ELi128ELi256ELb0ELi11EEvPKT_PKT0_S8_ifPKiSA_SA_iPKfiiiPfSD_PS3_PT2_iSC_SC_.has_indirect_call, or(0, .L__assert_fail.has_indirect_call)
	.section	.AMDGPU.csdata,"",@progbits
; Kernel info:
; codeLenInByte = 68
; TotalNumSgprs: 36
; NumVgprs: 51
; ScratchSize: 64
; MemoryBound: 0
; FloatMode: 240
; IeeeMode: 1
; LDSByteSize: 0 bytes/workgroup (compile time only)
; SGPRBlocks: 0
; VGPRBlocks: 3
; NumSGPRsForWavesPerEU: 36
; NumVGPRsForWavesPerEU: 51
; NamedBarCnt: 0
; Occupancy: 16
; WaveLimiterHint : 1
; COMPUTE_PGM_RSRC2:SCRATCH_EN: 1
; COMPUTE_PGM_RSRC2:USER_SGPR: 2
; COMPUTE_PGM_RSRC2:TRAP_HANDLER: 0
; COMPUTE_PGM_RSRC2:TGID_X_EN: 1
; COMPUTE_PGM_RSRC2:TGID_Y_EN: 0
; COMPUTE_PGM_RSRC2:TGID_Z_EN: 0
; COMPUTE_PGM_RSRC2:TIDIG_COMP_CNT: 0
	.section	.text._Z39paged_attention_ll4mi_QKV_mfma16_kernelI14__hip_bfloat16hLN4vllm18Fp8KVCacheDataTypeE1EhLi16ELi128ELi256ELb0ELi12EEvPKT_PKT0_S8_ifPKiSA_SA_iPKfiiiPfSD_PS3_PT2_iSC_SC_,"axG",@progbits,_Z39paged_attention_ll4mi_QKV_mfma16_kernelI14__hip_bfloat16hLN4vllm18Fp8KVCacheDataTypeE1EhLi16ELi128ELi256ELb0ELi12EEvPKT_PKT0_S8_ifPKiSA_SA_iPKfiiiPfSD_PS3_PT2_iSC_SC_,comdat
	.protected	_Z39paged_attention_ll4mi_QKV_mfma16_kernelI14__hip_bfloat16hLN4vllm18Fp8KVCacheDataTypeE1EhLi16ELi128ELi256ELb0ELi12EEvPKT_PKT0_S8_ifPKiSA_SA_iPKfiiiPfSD_PS3_PT2_iSC_SC_ ; -- Begin function _Z39paged_attention_ll4mi_QKV_mfma16_kernelI14__hip_bfloat16hLN4vllm18Fp8KVCacheDataTypeE1EhLi16ELi128ELi256ELb0ELi12EEvPKT_PKT0_S8_ifPKiSA_SA_iPKfiiiPfSD_PS3_PT2_iSC_SC_
	.globl	_Z39paged_attention_ll4mi_QKV_mfma16_kernelI14__hip_bfloat16hLN4vllm18Fp8KVCacheDataTypeE1EhLi16ELi128ELi256ELb0ELi12EEvPKT_PKT0_S8_ifPKiSA_SA_iPKfiiiPfSD_PS3_PT2_iSC_SC_
	.p2align	8
	.type	_Z39paged_attention_ll4mi_QKV_mfma16_kernelI14__hip_bfloat16hLN4vllm18Fp8KVCacheDataTypeE1EhLi16ELi128ELi256ELb0ELi12EEvPKT_PKT0_S8_ifPKiSA_SA_iPKfiiiPfSD_PS3_PT2_iSC_SC_,@function
_Z39paged_attention_ll4mi_QKV_mfma16_kernelI14__hip_bfloat16hLN4vllm18Fp8KVCacheDataTypeE1EhLi16ELi128ELi256ELb0ELi12EEvPKT_PKT0_S8_ifPKiSA_SA_iPKfiiiPfSD_PS3_PT2_iSC_SC_: ; @_Z39paged_attention_ll4mi_QKV_mfma16_kernelI14__hip_bfloat16hLN4vllm18Fp8KVCacheDataTypeE1EhLi16ELi128ELi256ELb0ELi12EEvPKT_PKT0_S8_ifPKiSA_SA_iPKfiiiPfSD_PS3_PT2_iSC_SC_
; %bb.0:
	s_get_pc_i64 s[2:3]
	s_add_nc_u64 s[2:3], s[2:3], __PRETTY_FUNCTION__._Z39paged_attention_ll4mi_QKV_mfma16_kernelI14__hip_bfloat16hLN4vllm18Fp8KVCacheDataTypeE1EhLi16ELi128ELi256ELb0ELi12EEvPKT_PKT0_S8_ifPKiSA_SA_iPKfiiiPfSD_PS3_PT2_iSC_SC_@rel64+4
	s_delay_alu instid0(SALU_CYCLE_1)
	v_dual_mov_b32 v0, 0xbb3 :: v_dual_mov_b32 v1, s2
	v_mov_b32_e32 v2, s3
	s_add_nc_u64 s[8:9], s[0:1], 0x90
	s_get_pc_i64 s[0:1]
	s_add_nc_u64 s[0:1], s[0:1], __assert_fail@rel64+4
	s_mov_b32 s32, 0
	s_swap_pc_i64 s[30:31], s[0:1]
	.section	.rodata,"a",@progbits
	.p2align	6, 0x0
	.amdhsa_kernel _Z39paged_attention_ll4mi_QKV_mfma16_kernelI14__hip_bfloat16hLN4vllm18Fp8KVCacheDataTypeE1EhLi16ELi128ELi256ELb0ELi12EEvPKT_PKT0_S8_ifPKiSA_SA_iPKfiiiPfSD_PS3_PT2_iSC_SC_
		.amdhsa_group_segment_fixed_size 0
		.amdhsa_private_segment_fixed_size 64
		.amdhsa_kernarg_size 400
		.amdhsa_user_sgpr_count 2
		.amdhsa_user_sgpr_dispatch_ptr 0
		.amdhsa_user_sgpr_queue_ptr 0
		.amdhsa_user_sgpr_kernarg_segment_ptr 1
		.amdhsa_user_sgpr_dispatch_id 0
		.amdhsa_user_sgpr_kernarg_preload_length 0
		.amdhsa_user_sgpr_kernarg_preload_offset 0
		.amdhsa_user_sgpr_private_segment_size 0
		.amdhsa_wavefront_size32 1
		.amdhsa_uses_dynamic_stack 0
		.amdhsa_enable_private_segment 1
		.amdhsa_system_sgpr_workgroup_id_x 1
		.amdhsa_system_sgpr_workgroup_id_y 0
		.amdhsa_system_sgpr_workgroup_id_z 0
		.amdhsa_system_sgpr_workgroup_info 0
		.amdhsa_system_vgpr_workitem_id 0
		.amdhsa_next_free_vgpr 51
		.amdhsa_next_free_sgpr 34
		.amdhsa_named_barrier_count 0
		.amdhsa_reserve_vcc 1
		.amdhsa_float_round_mode_32 0
		.amdhsa_float_round_mode_16_64 0
		.amdhsa_float_denorm_mode_32 3
		.amdhsa_float_denorm_mode_16_64 3
		.amdhsa_fp16_overflow 0
		.amdhsa_memory_ordered 1
		.amdhsa_forward_progress 1
		.amdhsa_inst_pref_size 1
		.amdhsa_round_robin_scheduling 0
		.amdhsa_exception_fp_ieee_invalid_op 0
		.amdhsa_exception_fp_denorm_src 0
		.amdhsa_exception_fp_ieee_div_zero 0
		.amdhsa_exception_fp_ieee_overflow 0
		.amdhsa_exception_fp_ieee_underflow 0
		.amdhsa_exception_fp_ieee_inexact 0
		.amdhsa_exception_int_div_zero 0
	.end_amdhsa_kernel
	.section	.text._Z39paged_attention_ll4mi_QKV_mfma16_kernelI14__hip_bfloat16hLN4vllm18Fp8KVCacheDataTypeE1EhLi16ELi128ELi256ELb0ELi12EEvPKT_PKT0_S8_ifPKiSA_SA_iPKfiiiPfSD_PS3_PT2_iSC_SC_,"axG",@progbits,_Z39paged_attention_ll4mi_QKV_mfma16_kernelI14__hip_bfloat16hLN4vllm18Fp8KVCacheDataTypeE1EhLi16ELi128ELi256ELb0ELi12EEvPKT_PKT0_S8_ifPKiSA_SA_iPKfiiiPfSD_PS3_PT2_iSC_SC_,comdat
.Lfunc_end1281:
	.size	_Z39paged_attention_ll4mi_QKV_mfma16_kernelI14__hip_bfloat16hLN4vllm18Fp8KVCacheDataTypeE1EhLi16ELi128ELi256ELb0ELi12EEvPKT_PKT0_S8_ifPKiSA_SA_iPKfiiiPfSD_PS3_PT2_iSC_SC_, .Lfunc_end1281-_Z39paged_attention_ll4mi_QKV_mfma16_kernelI14__hip_bfloat16hLN4vllm18Fp8KVCacheDataTypeE1EhLi16ELi128ELi256ELb0ELi12EEvPKT_PKT0_S8_ifPKiSA_SA_iPKfiiiPfSD_PS3_PT2_iSC_SC_
                                        ; -- End function
	.set _Z39paged_attention_ll4mi_QKV_mfma16_kernelI14__hip_bfloat16hLN4vllm18Fp8KVCacheDataTypeE1EhLi16ELi128ELi256ELb0ELi12EEvPKT_PKT0_S8_ifPKiSA_SA_iPKfiiiPfSD_PS3_PT2_iSC_SC_.num_vgpr, max(3, .L__assert_fail.num_vgpr)
	.set _Z39paged_attention_ll4mi_QKV_mfma16_kernelI14__hip_bfloat16hLN4vllm18Fp8KVCacheDataTypeE1EhLi16ELi128ELi256ELb0ELi12EEvPKT_PKT0_S8_ifPKiSA_SA_iPKfiiiPfSD_PS3_PT2_iSC_SC_.num_agpr, max(0, .L__assert_fail.num_agpr)
	.set _Z39paged_attention_ll4mi_QKV_mfma16_kernelI14__hip_bfloat16hLN4vllm18Fp8KVCacheDataTypeE1EhLi16ELi128ELi256ELb0ELi12EEvPKT_PKT0_S8_ifPKiSA_SA_iPKfiiiPfSD_PS3_PT2_iSC_SC_.numbered_sgpr, max(33, .L__assert_fail.numbered_sgpr)
	.set _Z39paged_attention_ll4mi_QKV_mfma16_kernelI14__hip_bfloat16hLN4vllm18Fp8KVCacheDataTypeE1EhLi16ELi128ELi256ELb0ELi12EEvPKT_PKT0_S8_ifPKiSA_SA_iPKfiiiPfSD_PS3_PT2_iSC_SC_.num_named_barrier, max(0, .L__assert_fail.num_named_barrier)
	.set _Z39paged_attention_ll4mi_QKV_mfma16_kernelI14__hip_bfloat16hLN4vllm18Fp8KVCacheDataTypeE1EhLi16ELi128ELi256ELb0ELi12EEvPKT_PKT0_S8_ifPKiSA_SA_iPKfiiiPfSD_PS3_PT2_iSC_SC_.private_seg_size, 0+max(.L__assert_fail.private_seg_size)
	.set _Z39paged_attention_ll4mi_QKV_mfma16_kernelI14__hip_bfloat16hLN4vllm18Fp8KVCacheDataTypeE1EhLi16ELi128ELi256ELb0ELi12EEvPKT_PKT0_S8_ifPKiSA_SA_iPKfiiiPfSD_PS3_PT2_iSC_SC_.uses_vcc, or(1, .L__assert_fail.uses_vcc)
	.set _Z39paged_attention_ll4mi_QKV_mfma16_kernelI14__hip_bfloat16hLN4vllm18Fp8KVCacheDataTypeE1EhLi16ELi128ELi256ELb0ELi12EEvPKT_PKT0_S8_ifPKiSA_SA_iPKfiiiPfSD_PS3_PT2_iSC_SC_.uses_flat_scratch, or(0, .L__assert_fail.uses_flat_scratch)
	.set _Z39paged_attention_ll4mi_QKV_mfma16_kernelI14__hip_bfloat16hLN4vllm18Fp8KVCacheDataTypeE1EhLi16ELi128ELi256ELb0ELi12EEvPKT_PKT0_S8_ifPKiSA_SA_iPKfiiiPfSD_PS3_PT2_iSC_SC_.has_dyn_sized_stack, or(0, .L__assert_fail.has_dyn_sized_stack)
	.set _Z39paged_attention_ll4mi_QKV_mfma16_kernelI14__hip_bfloat16hLN4vllm18Fp8KVCacheDataTypeE1EhLi16ELi128ELi256ELb0ELi12EEvPKT_PKT0_S8_ifPKiSA_SA_iPKfiiiPfSD_PS3_PT2_iSC_SC_.has_recursion, or(0, .L__assert_fail.has_recursion)
	.set _Z39paged_attention_ll4mi_QKV_mfma16_kernelI14__hip_bfloat16hLN4vllm18Fp8KVCacheDataTypeE1EhLi16ELi128ELi256ELb0ELi12EEvPKT_PKT0_S8_ifPKiSA_SA_iPKfiiiPfSD_PS3_PT2_iSC_SC_.has_indirect_call, or(0, .L__assert_fail.has_indirect_call)
	.section	.AMDGPU.csdata,"",@progbits
; Kernel info:
; codeLenInByte = 68
; TotalNumSgprs: 36
; NumVgprs: 51
; ScratchSize: 64
; MemoryBound: 0
; FloatMode: 240
; IeeeMode: 1
; LDSByteSize: 0 bytes/workgroup (compile time only)
; SGPRBlocks: 0
; VGPRBlocks: 3
; NumSGPRsForWavesPerEU: 36
; NumVGPRsForWavesPerEU: 51
; NamedBarCnt: 0
; Occupancy: 16
; WaveLimiterHint : 1
; COMPUTE_PGM_RSRC2:SCRATCH_EN: 1
; COMPUTE_PGM_RSRC2:USER_SGPR: 2
; COMPUTE_PGM_RSRC2:TRAP_HANDLER: 0
; COMPUTE_PGM_RSRC2:TGID_X_EN: 1
; COMPUTE_PGM_RSRC2:TGID_Y_EN: 0
; COMPUTE_PGM_RSRC2:TGID_Z_EN: 0
; COMPUTE_PGM_RSRC2:TIDIG_COMP_CNT: 0
	.section	.text._Z39paged_attention_ll4mi_QKV_mfma16_kernelI14__hip_bfloat16hLN4vllm18Fp8KVCacheDataTypeE1EhLi16ELi128ELi256ELb0ELi13EEvPKT_PKT0_S8_ifPKiSA_SA_iPKfiiiPfSD_PS3_PT2_iSC_SC_,"axG",@progbits,_Z39paged_attention_ll4mi_QKV_mfma16_kernelI14__hip_bfloat16hLN4vllm18Fp8KVCacheDataTypeE1EhLi16ELi128ELi256ELb0ELi13EEvPKT_PKT0_S8_ifPKiSA_SA_iPKfiiiPfSD_PS3_PT2_iSC_SC_,comdat
	.protected	_Z39paged_attention_ll4mi_QKV_mfma16_kernelI14__hip_bfloat16hLN4vllm18Fp8KVCacheDataTypeE1EhLi16ELi128ELi256ELb0ELi13EEvPKT_PKT0_S8_ifPKiSA_SA_iPKfiiiPfSD_PS3_PT2_iSC_SC_ ; -- Begin function _Z39paged_attention_ll4mi_QKV_mfma16_kernelI14__hip_bfloat16hLN4vllm18Fp8KVCacheDataTypeE1EhLi16ELi128ELi256ELb0ELi13EEvPKT_PKT0_S8_ifPKiSA_SA_iPKfiiiPfSD_PS3_PT2_iSC_SC_
	.globl	_Z39paged_attention_ll4mi_QKV_mfma16_kernelI14__hip_bfloat16hLN4vllm18Fp8KVCacheDataTypeE1EhLi16ELi128ELi256ELb0ELi13EEvPKT_PKT0_S8_ifPKiSA_SA_iPKfiiiPfSD_PS3_PT2_iSC_SC_
	.p2align	8
	.type	_Z39paged_attention_ll4mi_QKV_mfma16_kernelI14__hip_bfloat16hLN4vllm18Fp8KVCacheDataTypeE1EhLi16ELi128ELi256ELb0ELi13EEvPKT_PKT0_S8_ifPKiSA_SA_iPKfiiiPfSD_PS3_PT2_iSC_SC_,@function
_Z39paged_attention_ll4mi_QKV_mfma16_kernelI14__hip_bfloat16hLN4vllm18Fp8KVCacheDataTypeE1EhLi16ELi128ELi256ELb0ELi13EEvPKT_PKT0_S8_ifPKiSA_SA_iPKfiiiPfSD_PS3_PT2_iSC_SC_: ; @_Z39paged_attention_ll4mi_QKV_mfma16_kernelI14__hip_bfloat16hLN4vllm18Fp8KVCacheDataTypeE1EhLi16ELi128ELi256ELb0ELi13EEvPKT_PKT0_S8_ifPKiSA_SA_iPKfiiiPfSD_PS3_PT2_iSC_SC_
; %bb.0:
	s_get_pc_i64 s[2:3]
	s_add_nc_u64 s[2:3], s[2:3], __PRETTY_FUNCTION__._Z39paged_attention_ll4mi_QKV_mfma16_kernelI14__hip_bfloat16hLN4vllm18Fp8KVCacheDataTypeE1EhLi16ELi128ELi256ELb0ELi13EEvPKT_PKT0_S8_ifPKiSA_SA_iPKfiiiPfSD_PS3_PT2_iSC_SC_@rel64+4
	s_delay_alu instid0(SALU_CYCLE_1)
	v_dual_mov_b32 v0, 0xbb3 :: v_dual_mov_b32 v1, s2
	v_mov_b32_e32 v2, s3
	s_add_nc_u64 s[8:9], s[0:1], 0x90
	s_get_pc_i64 s[0:1]
	s_add_nc_u64 s[0:1], s[0:1], __assert_fail@rel64+4
	s_mov_b32 s32, 0
	s_swap_pc_i64 s[30:31], s[0:1]
	.section	.rodata,"a",@progbits
	.p2align	6, 0x0
	.amdhsa_kernel _Z39paged_attention_ll4mi_QKV_mfma16_kernelI14__hip_bfloat16hLN4vllm18Fp8KVCacheDataTypeE1EhLi16ELi128ELi256ELb0ELi13EEvPKT_PKT0_S8_ifPKiSA_SA_iPKfiiiPfSD_PS3_PT2_iSC_SC_
		.amdhsa_group_segment_fixed_size 0
		.amdhsa_private_segment_fixed_size 64
		.amdhsa_kernarg_size 400
		.amdhsa_user_sgpr_count 2
		.amdhsa_user_sgpr_dispatch_ptr 0
		.amdhsa_user_sgpr_queue_ptr 0
		.amdhsa_user_sgpr_kernarg_segment_ptr 1
		.amdhsa_user_sgpr_dispatch_id 0
		.amdhsa_user_sgpr_kernarg_preload_length 0
		.amdhsa_user_sgpr_kernarg_preload_offset 0
		.amdhsa_user_sgpr_private_segment_size 0
		.amdhsa_wavefront_size32 1
		.amdhsa_uses_dynamic_stack 0
		.amdhsa_enable_private_segment 1
		.amdhsa_system_sgpr_workgroup_id_x 1
		.amdhsa_system_sgpr_workgroup_id_y 0
		.amdhsa_system_sgpr_workgroup_id_z 0
		.amdhsa_system_sgpr_workgroup_info 0
		.amdhsa_system_vgpr_workitem_id 0
		.amdhsa_next_free_vgpr 51
		.amdhsa_next_free_sgpr 34
		.amdhsa_named_barrier_count 0
		.amdhsa_reserve_vcc 1
		.amdhsa_float_round_mode_32 0
		.amdhsa_float_round_mode_16_64 0
		.amdhsa_float_denorm_mode_32 3
		.amdhsa_float_denorm_mode_16_64 3
		.amdhsa_fp16_overflow 0
		.amdhsa_memory_ordered 1
		.amdhsa_forward_progress 1
		.amdhsa_inst_pref_size 1
		.amdhsa_round_robin_scheduling 0
		.amdhsa_exception_fp_ieee_invalid_op 0
		.amdhsa_exception_fp_denorm_src 0
		.amdhsa_exception_fp_ieee_div_zero 0
		.amdhsa_exception_fp_ieee_overflow 0
		.amdhsa_exception_fp_ieee_underflow 0
		.amdhsa_exception_fp_ieee_inexact 0
		.amdhsa_exception_int_div_zero 0
	.end_amdhsa_kernel
	.section	.text._Z39paged_attention_ll4mi_QKV_mfma16_kernelI14__hip_bfloat16hLN4vllm18Fp8KVCacheDataTypeE1EhLi16ELi128ELi256ELb0ELi13EEvPKT_PKT0_S8_ifPKiSA_SA_iPKfiiiPfSD_PS3_PT2_iSC_SC_,"axG",@progbits,_Z39paged_attention_ll4mi_QKV_mfma16_kernelI14__hip_bfloat16hLN4vllm18Fp8KVCacheDataTypeE1EhLi16ELi128ELi256ELb0ELi13EEvPKT_PKT0_S8_ifPKiSA_SA_iPKfiiiPfSD_PS3_PT2_iSC_SC_,comdat
.Lfunc_end1282:
	.size	_Z39paged_attention_ll4mi_QKV_mfma16_kernelI14__hip_bfloat16hLN4vllm18Fp8KVCacheDataTypeE1EhLi16ELi128ELi256ELb0ELi13EEvPKT_PKT0_S8_ifPKiSA_SA_iPKfiiiPfSD_PS3_PT2_iSC_SC_, .Lfunc_end1282-_Z39paged_attention_ll4mi_QKV_mfma16_kernelI14__hip_bfloat16hLN4vllm18Fp8KVCacheDataTypeE1EhLi16ELi128ELi256ELb0ELi13EEvPKT_PKT0_S8_ifPKiSA_SA_iPKfiiiPfSD_PS3_PT2_iSC_SC_
                                        ; -- End function
	.set _Z39paged_attention_ll4mi_QKV_mfma16_kernelI14__hip_bfloat16hLN4vllm18Fp8KVCacheDataTypeE1EhLi16ELi128ELi256ELb0ELi13EEvPKT_PKT0_S8_ifPKiSA_SA_iPKfiiiPfSD_PS3_PT2_iSC_SC_.num_vgpr, max(3, .L__assert_fail.num_vgpr)
	.set _Z39paged_attention_ll4mi_QKV_mfma16_kernelI14__hip_bfloat16hLN4vllm18Fp8KVCacheDataTypeE1EhLi16ELi128ELi256ELb0ELi13EEvPKT_PKT0_S8_ifPKiSA_SA_iPKfiiiPfSD_PS3_PT2_iSC_SC_.num_agpr, max(0, .L__assert_fail.num_agpr)
	.set _Z39paged_attention_ll4mi_QKV_mfma16_kernelI14__hip_bfloat16hLN4vllm18Fp8KVCacheDataTypeE1EhLi16ELi128ELi256ELb0ELi13EEvPKT_PKT0_S8_ifPKiSA_SA_iPKfiiiPfSD_PS3_PT2_iSC_SC_.numbered_sgpr, max(33, .L__assert_fail.numbered_sgpr)
	.set _Z39paged_attention_ll4mi_QKV_mfma16_kernelI14__hip_bfloat16hLN4vllm18Fp8KVCacheDataTypeE1EhLi16ELi128ELi256ELb0ELi13EEvPKT_PKT0_S8_ifPKiSA_SA_iPKfiiiPfSD_PS3_PT2_iSC_SC_.num_named_barrier, max(0, .L__assert_fail.num_named_barrier)
	.set _Z39paged_attention_ll4mi_QKV_mfma16_kernelI14__hip_bfloat16hLN4vllm18Fp8KVCacheDataTypeE1EhLi16ELi128ELi256ELb0ELi13EEvPKT_PKT0_S8_ifPKiSA_SA_iPKfiiiPfSD_PS3_PT2_iSC_SC_.private_seg_size, 0+max(.L__assert_fail.private_seg_size)
	.set _Z39paged_attention_ll4mi_QKV_mfma16_kernelI14__hip_bfloat16hLN4vllm18Fp8KVCacheDataTypeE1EhLi16ELi128ELi256ELb0ELi13EEvPKT_PKT0_S8_ifPKiSA_SA_iPKfiiiPfSD_PS3_PT2_iSC_SC_.uses_vcc, or(1, .L__assert_fail.uses_vcc)
	.set _Z39paged_attention_ll4mi_QKV_mfma16_kernelI14__hip_bfloat16hLN4vllm18Fp8KVCacheDataTypeE1EhLi16ELi128ELi256ELb0ELi13EEvPKT_PKT0_S8_ifPKiSA_SA_iPKfiiiPfSD_PS3_PT2_iSC_SC_.uses_flat_scratch, or(0, .L__assert_fail.uses_flat_scratch)
	.set _Z39paged_attention_ll4mi_QKV_mfma16_kernelI14__hip_bfloat16hLN4vllm18Fp8KVCacheDataTypeE1EhLi16ELi128ELi256ELb0ELi13EEvPKT_PKT0_S8_ifPKiSA_SA_iPKfiiiPfSD_PS3_PT2_iSC_SC_.has_dyn_sized_stack, or(0, .L__assert_fail.has_dyn_sized_stack)
	.set _Z39paged_attention_ll4mi_QKV_mfma16_kernelI14__hip_bfloat16hLN4vllm18Fp8KVCacheDataTypeE1EhLi16ELi128ELi256ELb0ELi13EEvPKT_PKT0_S8_ifPKiSA_SA_iPKfiiiPfSD_PS3_PT2_iSC_SC_.has_recursion, or(0, .L__assert_fail.has_recursion)
	.set _Z39paged_attention_ll4mi_QKV_mfma16_kernelI14__hip_bfloat16hLN4vllm18Fp8KVCacheDataTypeE1EhLi16ELi128ELi256ELb0ELi13EEvPKT_PKT0_S8_ifPKiSA_SA_iPKfiiiPfSD_PS3_PT2_iSC_SC_.has_indirect_call, or(0, .L__assert_fail.has_indirect_call)
	.section	.AMDGPU.csdata,"",@progbits
; Kernel info:
; codeLenInByte = 68
; TotalNumSgprs: 36
; NumVgprs: 51
; ScratchSize: 64
; MemoryBound: 0
; FloatMode: 240
; IeeeMode: 1
; LDSByteSize: 0 bytes/workgroup (compile time only)
; SGPRBlocks: 0
; VGPRBlocks: 3
; NumSGPRsForWavesPerEU: 36
; NumVGPRsForWavesPerEU: 51
; NamedBarCnt: 0
; Occupancy: 16
; WaveLimiterHint : 1
; COMPUTE_PGM_RSRC2:SCRATCH_EN: 1
; COMPUTE_PGM_RSRC2:USER_SGPR: 2
; COMPUTE_PGM_RSRC2:TRAP_HANDLER: 0
; COMPUTE_PGM_RSRC2:TGID_X_EN: 1
; COMPUTE_PGM_RSRC2:TGID_Y_EN: 0
; COMPUTE_PGM_RSRC2:TGID_Z_EN: 0
; COMPUTE_PGM_RSRC2:TIDIG_COMP_CNT: 0
	.section	.text._Z39paged_attention_ll4mi_QKV_mfma16_kernelI14__hip_bfloat16hLN4vllm18Fp8KVCacheDataTypeE1EhLi16ELi128ELi256ELb0ELi14EEvPKT_PKT0_S8_ifPKiSA_SA_iPKfiiiPfSD_PS3_PT2_iSC_SC_,"axG",@progbits,_Z39paged_attention_ll4mi_QKV_mfma16_kernelI14__hip_bfloat16hLN4vllm18Fp8KVCacheDataTypeE1EhLi16ELi128ELi256ELb0ELi14EEvPKT_PKT0_S8_ifPKiSA_SA_iPKfiiiPfSD_PS3_PT2_iSC_SC_,comdat
	.protected	_Z39paged_attention_ll4mi_QKV_mfma16_kernelI14__hip_bfloat16hLN4vllm18Fp8KVCacheDataTypeE1EhLi16ELi128ELi256ELb0ELi14EEvPKT_PKT0_S8_ifPKiSA_SA_iPKfiiiPfSD_PS3_PT2_iSC_SC_ ; -- Begin function _Z39paged_attention_ll4mi_QKV_mfma16_kernelI14__hip_bfloat16hLN4vllm18Fp8KVCacheDataTypeE1EhLi16ELi128ELi256ELb0ELi14EEvPKT_PKT0_S8_ifPKiSA_SA_iPKfiiiPfSD_PS3_PT2_iSC_SC_
	.globl	_Z39paged_attention_ll4mi_QKV_mfma16_kernelI14__hip_bfloat16hLN4vllm18Fp8KVCacheDataTypeE1EhLi16ELi128ELi256ELb0ELi14EEvPKT_PKT0_S8_ifPKiSA_SA_iPKfiiiPfSD_PS3_PT2_iSC_SC_
	.p2align	8
	.type	_Z39paged_attention_ll4mi_QKV_mfma16_kernelI14__hip_bfloat16hLN4vllm18Fp8KVCacheDataTypeE1EhLi16ELi128ELi256ELb0ELi14EEvPKT_PKT0_S8_ifPKiSA_SA_iPKfiiiPfSD_PS3_PT2_iSC_SC_,@function
_Z39paged_attention_ll4mi_QKV_mfma16_kernelI14__hip_bfloat16hLN4vllm18Fp8KVCacheDataTypeE1EhLi16ELi128ELi256ELb0ELi14EEvPKT_PKT0_S8_ifPKiSA_SA_iPKfiiiPfSD_PS3_PT2_iSC_SC_: ; @_Z39paged_attention_ll4mi_QKV_mfma16_kernelI14__hip_bfloat16hLN4vllm18Fp8KVCacheDataTypeE1EhLi16ELi128ELi256ELb0ELi14EEvPKT_PKT0_S8_ifPKiSA_SA_iPKfiiiPfSD_PS3_PT2_iSC_SC_
; %bb.0:
	s_get_pc_i64 s[2:3]
	s_add_nc_u64 s[2:3], s[2:3], __PRETTY_FUNCTION__._Z39paged_attention_ll4mi_QKV_mfma16_kernelI14__hip_bfloat16hLN4vllm18Fp8KVCacheDataTypeE1EhLi16ELi128ELi256ELb0ELi14EEvPKT_PKT0_S8_ifPKiSA_SA_iPKfiiiPfSD_PS3_PT2_iSC_SC_@rel64+4
	s_delay_alu instid0(SALU_CYCLE_1)
	v_dual_mov_b32 v0, 0xbb3 :: v_dual_mov_b32 v1, s2
	v_mov_b32_e32 v2, s3
	s_add_nc_u64 s[8:9], s[0:1], 0x90
	s_get_pc_i64 s[0:1]
	s_add_nc_u64 s[0:1], s[0:1], __assert_fail@rel64+4
	s_mov_b32 s32, 0
	s_swap_pc_i64 s[30:31], s[0:1]
	.section	.rodata,"a",@progbits
	.p2align	6, 0x0
	.amdhsa_kernel _Z39paged_attention_ll4mi_QKV_mfma16_kernelI14__hip_bfloat16hLN4vllm18Fp8KVCacheDataTypeE1EhLi16ELi128ELi256ELb0ELi14EEvPKT_PKT0_S8_ifPKiSA_SA_iPKfiiiPfSD_PS3_PT2_iSC_SC_
		.amdhsa_group_segment_fixed_size 0
		.amdhsa_private_segment_fixed_size 64
		.amdhsa_kernarg_size 400
		.amdhsa_user_sgpr_count 2
		.amdhsa_user_sgpr_dispatch_ptr 0
		.amdhsa_user_sgpr_queue_ptr 0
		.amdhsa_user_sgpr_kernarg_segment_ptr 1
		.amdhsa_user_sgpr_dispatch_id 0
		.amdhsa_user_sgpr_kernarg_preload_length 0
		.amdhsa_user_sgpr_kernarg_preload_offset 0
		.amdhsa_user_sgpr_private_segment_size 0
		.amdhsa_wavefront_size32 1
		.amdhsa_uses_dynamic_stack 0
		.amdhsa_enable_private_segment 1
		.amdhsa_system_sgpr_workgroup_id_x 1
		.amdhsa_system_sgpr_workgroup_id_y 0
		.amdhsa_system_sgpr_workgroup_id_z 0
		.amdhsa_system_sgpr_workgroup_info 0
		.amdhsa_system_vgpr_workitem_id 0
		.amdhsa_next_free_vgpr 51
		.amdhsa_next_free_sgpr 34
		.amdhsa_named_barrier_count 0
		.amdhsa_reserve_vcc 1
		.amdhsa_float_round_mode_32 0
		.amdhsa_float_round_mode_16_64 0
		.amdhsa_float_denorm_mode_32 3
		.amdhsa_float_denorm_mode_16_64 3
		.amdhsa_fp16_overflow 0
		.amdhsa_memory_ordered 1
		.amdhsa_forward_progress 1
		.amdhsa_inst_pref_size 1
		.amdhsa_round_robin_scheduling 0
		.amdhsa_exception_fp_ieee_invalid_op 0
		.amdhsa_exception_fp_denorm_src 0
		.amdhsa_exception_fp_ieee_div_zero 0
		.amdhsa_exception_fp_ieee_overflow 0
		.amdhsa_exception_fp_ieee_underflow 0
		.amdhsa_exception_fp_ieee_inexact 0
		.amdhsa_exception_int_div_zero 0
	.end_amdhsa_kernel
	.section	.text._Z39paged_attention_ll4mi_QKV_mfma16_kernelI14__hip_bfloat16hLN4vllm18Fp8KVCacheDataTypeE1EhLi16ELi128ELi256ELb0ELi14EEvPKT_PKT0_S8_ifPKiSA_SA_iPKfiiiPfSD_PS3_PT2_iSC_SC_,"axG",@progbits,_Z39paged_attention_ll4mi_QKV_mfma16_kernelI14__hip_bfloat16hLN4vllm18Fp8KVCacheDataTypeE1EhLi16ELi128ELi256ELb0ELi14EEvPKT_PKT0_S8_ifPKiSA_SA_iPKfiiiPfSD_PS3_PT2_iSC_SC_,comdat
.Lfunc_end1283:
	.size	_Z39paged_attention_ll4mi_QKV_mfma16_kernelI14__hip_bfloat16hLN4vllm18Fp8KVCacheDataTypeE1EhLi16ELi128ELi256ELb0ELi14EEvPKT_PKT0_S8_ifPKiSA_SA_iPKfiiiPfSD_PS3_PT2_iSC_SC_, .Lfunc_end1283-_Z39paged_attention_ll4mi_QKV_mfma16_kernelI14__hip_bfloat16hLN4vllm18Fp8KVCacheDataTypeE1EhLi16ELi128ELi256ELb0ELi14EEvPKT_PKT0_S8_ifPKiSA_SA_iPKfiiiPfSD_PS3_PT2_iSC_SC_
                                        ; -- End function
	.set _Z39paged_attention_ll4mi_QKV_mfma16_kernelI14__hip_bfloat16hLN4vllm18Fp8KVCacheDataTypeE1EhLi16ELi128ELi256ELb0ELi14EEvPKT_PKT0_S8_ifPKiSA_SA_iPKfiiiPfSD_PS3_PT2_iSC_SC_.num_vgpr, max(3, .L__assert_fail.num_vgpr)
	.set _Z39paged_attention_ll4mi_QKV_mfma16_kernelI14__hip_bfloat16hLN4vllm18Fp8KVCacheDataTypeE1EhLi16ELi128ELi256ELb0ELi14EEvPKT_PKT0_S8_ifPKiSA_SA_iPKfiiiPfSD_PS3_PT2_iSC_SC_.num_agpr, max(0, .L__assert_fail.num_agpr)
	.set _Z39paged_attention_ll4mi_QKV_mfma16_kernelI14__hip_bfloat16hLN4vllm18Fp8KVCacheDataTypeE1EhLi16ELi128ELi256ELb0ELi14EEvPKT_PKT0_S8_ifPKiSA_SA_iPKfiiiPfSD_PS3_PT2_iSC_SC_.numbered_sgpr, max(33, .L__assert_fail.numbered_sgpr)
	.set _Z39paged_attention_ll4mi_QKV_mfma16_kernelI14__hip_bfloat16hLN4vllm18Fp8KVCacheDataTypeE1EhLi16ELi128ELi256ELb0ELi14EEvPKT_PKT0_S8_ifPKiSA_SA_iPKfiiiPfSD_PS3_PT2_iSC_SC_.num_named_barrier, max(0, .L__assert_fail.num_named_barrier)
	.set _Z39paged_attention_ll4mi_QKV_mfma16_kernelI14__hip_bfloat16hLN4vllm18Fp8KVCacheDataTypeE1EhLi16ELi128ELi256ELb0ELi14EEvPKT_PKT0_S8_ifPKiSA_SA_iPKfiiiPfSD_PS3_PT2_iSC_SC_.private_seg_size, 0+max(.L__assert_fail.private_seg_size)
	.set _Z39paged_attention_ll4mi_QKV_mfma16_kernelI14__hip_bfloat16hLN4vllm18Fp8KVCacheDataTypeE1EhLi16ELi128ELi256ELb0ELi14EEvPKT_PKT0_S8_ifPKiSA_SA_iPKfiiiPfSD_PS3_PT2_iSC_SC_.uses_vcc, or(1, .L__assert_fail.uses_vcc)
	.set _Z39paged_attention_ll4mi_QKV_mfma16_kernelI14__hip_bfloat16hLN4vllm18Fp8KVCacheDataTypeE1EhLi16ELi128ELi256ELb0ELi14EEvPKT_PKT0_S8_ifPKiSA_SA_iPKfiiiPfSD_PS3_PT2_iSC_SC_.uses_flat_scratch, or(0, .L__assert_fail.uses_flat_scratch)
	.set _Z39paged_attention_ll4mi_QKV_mfma16_kernelI14__hip_bfloat16hLN4vllm18Fp8KVCacheDataTypeE1EhLi16ELi128ELi256ELb0ELi14EEvPKT_PKT0_S8_ifPKiSA_SA_iPKfiiiPfSD_PS3_PT2_iSC_SC_.has_dyn_sized_stack, or(0, .L__assert_fail.has_dyn_sized_stack)
	.set _Z39paged_attention_ll4mi_QKV_mfma16_kernelI14__hip_bfloat16hLN4vllm18Fp8KVCacheDataTypeE1EhLi16ELi128ELi256ELb0ELi14EEvPKT_PKT0_S8_ifPKiSA_SA_iPKfiiiPfSD_PS3_PT2_iSC_SC_.has_recursion, or(0, .L__assert_fail.has_recursion)
	.set _Z39paged_attention_ll4mi_QKV_mfma16_kernelI14__hip_bfloat16hLN4vllm18Fp8KVCacheDataTypeE1EhLi16ELi128ELi256ELb0ELi14EEvPKT_PKT0_S8_ifPKiSA_SA_iPKfiiiPfSD_PS3_PT2_iSC_SC_.has_indirect_call, or(0, .L__assert_fail.has_indirect_call)
	.section	.AMDGPU.csdata,"",@progbits
; Kernel info:
; codeLenInByte = 68
; TotalNumSgprs: 36
; NumVgprs: 51
; ScratchSize: 64
; MemoryBound: 0
; FloatMode: 240
; IeeeMode: 1
; LDSByteSize: 0 bytes/workgroup (compile time only)
; SGPRBlocks: 0
; VGPRBlocks: 3
; NumSGPRsForWavesPerEU: 36
; NumVGPRsForWavesPerEU: 51
; NamedBarCnt: 0
; Occupancy: 16
; WaveLimiterHint : 1
; COMPUTE_PGM_RSRC2:SCRATCH_EN: 1
; COMPUTE_PGM_RSRC2:USER_SGPR: 2
; COMPUTE_PGM_RSRC2:TRAP_HANDLER: 0
; COMPUTE_PGM_RSRC2:TGID_X_EN: 1
; COMPUTE_PGM_RSRC2:TGID_Y_EN: 0
; COMPUTE_PGM_RSRC2:TGID_Z_EN: 0
; COMPUTE_PGM_RSRC2:TIDIG_COMP_CNT: 0
	.section	.text._Z39paged_attention_ll4mi_QKV_mfma16_kernelI14__hip_bfloat16hLN4vllm18Fp8KVCacheDataTypeE1EhLi16ELi128ELi256ELb0ELi15EEvPKT_PKT0_S8_ifPKiSA_SA_iPKfiiiPfSD_PS3_PT2_iSC_SC_,"axG",@progbits,_Z39paged_attention_ll4mi_QKV_mfma16_kernelI14__hip_bfloat16hLN4vllm18Fp8KVCacheDataTypeE1EhLi16ELi128ELi256ELb0ELi15EEvPKT_PKT0_S8_ifPKiSA_SA_iPKfiiiPfSD_PS3_PT2_iSC_SC_,comdat
	.protected	_Z39paged_attention_ll4mi_QKV_mfma16_kernelI14__hip_bfloat16hLN4vllm18Fp8KVCacheDataTypeE1EhLi16ELi128ELi256ELb0ELi15EEvPKT_PKT0_S8_ifPKiSA_SA_iPKfiiiPfSD_PS3_PT2_iSC_SC_ ; -- Begin function _Z39paged_attention_ll4mi_QKV_mfma16_kernelI14__hip_bfloat16hLN4vllm18Fp8KVCacheDataTypeE1EhLi16ELi128ELi256ELb0ELi15EEvPKT_PKT0_S8_ifPKiSA_SA_iPKfiiiPfSD_PS3_PT2_iSC_SC_
	.globl	_Z39paged_attention_ll4mi_QKV_mfma16_kernelI14__hip_bfloat16hLN4vllm18Fp8KVCacheDataTypeE1EhLi16ELi128ELi256ELb0ELi15EEvPKT_PKT0_S8_ifPKiSA_SA_iPKfiiiPfSD_PS3_PT2_iSC_SC_
	.p2align	8
	.type	_Z39paged_attention_ll4mi_QKV_mfma16_kernelI14__hip_bfloat16hLN4vllm18Fp8KVCacheDataTypeE1EhLi16ELi128ELi256ELb0ELi15EEvPKT_PKT0_S8_ifPKiSA_SA_iPKfiiiPfSD_PS3_PT2_iSC_SC_,@function
_Z39paged_attention_ll4mi_QKV_mfma16_kernelI14__hip_bfloat16hLN4vllm18Fp8KVCacheDataTypeE1EhLi16ELi128ELi256ELb0ELi15EEvPKT_PKT0_S8_ifPKiSA_SA_iPKfiiiPfSD_PS3_PT2_iSC_SC_: ; @_Z39paged_attention_ll4mi_QKV_mfma16_kernelI14__hip_bfloat16hLN4vllm18Fp8KVCacheDataTypeE1EhLi16ELi128ELi256ELb0ELi15EEvPKT_PKT0_S8_ifPKiSA_SA_iPKfiiiPfSD_PS3_PT2_iSC_SC_
; %bb.0:
	s_get_pc_i64 s[2:3]
	s_add_nc_u64 s[2:3], s[2:3], __PRETTY_FUNCTION__._Z39paged_attention_ll4mi_QKV_mfma16_kernelI14__hip_bfloat16hLN4vllm18Fp8KVCacheDataTypeE1EhLi16ELi128ELi256ELb0ELi15EEvPKT_PKT0_S8_ifPKiSA_SA_iPKfiiiPfSD_PS3_PT2_iSC_SC_@rel64+4
	s_delay_alu instid0(SALU_CYCLE_1)
	v_dual_mov_b32 v0, 0xbb3 :: v_dual_mov_b32 v1, s2
	v_mov_b32_e32 v2, s3
	s_add_nc_u64 s[8:9], s[0:1], 0x90
	s_get_pc_i64 s[0:1]
	s_add_nc_u64 s[0:1], s[0:1], __assert_fail@rel64+4
	s_mov_b32 s32, 0
	s_swap_pc_i64 s[30:31], s[0:1]
	.section	.rodata,"a",@progbits
	.p2align	6, 0x0
	.amdhsa_kernel _Z39paged_attention_ll4mi_QKV_mfma16_kernelI14__hip_bfloat16hLN4vllm18Fp8KVCacheDataTypeE1EhLi16ELi128ELi256ELb0ELi15EEvPKT_PKT0_S8_ifPKiSA_SA_iPKfiiiPfSD_PS3_PT2_iSC_SC_
		.amdhsa_group_segment_fixed_size 0
		.amdhsa_private_segment_fixed_size 64
		.amdhsa_kernarg_size 400
		.amdhsa_user_sgpr_count 2
		.amdhsa_user_sgpr_dispatch_ptr 0
		.amdhsa_user_sgpr_queue_ptr 0
		.amdhsa_user_sgpr_kernarg_segment_ptr 1
		.amdhsa_user_sgpr_dispatch_id 0
		.amdhsa_user_sgpr_kernarg_preload_length 0
		.amdhsa_user_sgpr_kernarg_preload_offset 0
		.amdhsa_user_sgpr_private_segment_size 0
		.amdhsa_wavefront_size32 1
		.amdhsa_uses_dynamic_stack 0
		.amdhsa_enable_private_segment 1
		.amdhsa_system_sgpr_workgroup_id_x 1
		.amdhsa_system_sgpr_workgroup_id_y 0
		.amdhsa_system_sgpr_workgroup_id_z 0
		.amdhsa_system_sgpr_workgroup_info 0
		.amdhsa_system_vgpr_workitem_id 0
		.amdhsa_next_free_vgpr 51
		.amdhsa_next_free_sgpr 34
		.amdhsa_named_barrier_count 0
		.amdhsa_reserve_vcc 1
		.amdhsa_float_round_mode_32 0
		.amdhsa_float_round_mode_16_64 0
		.amdhsa_float_denorm_mode_32 3
		.amdhsa_float_denorm_mode_16_64 3
		.amdhsa_fp16_overflow 0
		.amdhsa_memory_ordered 1
		.amdhsa_forward_progress 1
		.amdhsa_inst_pref_size 1
		.amdhsa_round_robin_scheduling 0
		.amdhsa_exception_fp_ieee_invalid_op 0
		.amdhsa_exception_fp_denorm_src 0
		.amdhsa_exception_fp_ieee_div_zero 0
		.amdhsa_exception_fp_ieee_overflow 0
		.amdhsa_exception_fp_ieee_underflow 0
		.amdhsa_exception_fp_ieee_inexact 0
		.amdhsa_exception_int_div_zero 0
	.end_amdhsa_kernel
	.section	.text._Z39paged_attention_ll4mi_QKV_mfma16_kernelI14__hip_bfloat16hLN4vllm18Fp8KVCacheDataTypeE1EhLi16ELi128ELi256ELb0ELi15EEvPKT_PKT0_S8_ifPKiSA_SA_iPKfiiiPfSD_PS3_PT2_iSC_SC_,"axG",@progbits,_Z39paged_attention_ll4mi_QKV_mfma16_kernelI14__hip_bfloat16hLN4vllm18Fp8KVCacheDataTypeE1EhLi16ELi128ELi256ELb0ELi15EEvPKT_PKT0_S8_ifPKiSA_SA_iPKfiiiPfSD_PS3_PT2_iSC_SC_,comdat
.Lfunc_end1284:
	.size	_Z39paged_attention_ll4mi_QKV_mfma16_kernelI14__hip_bfloat16hLN4vllm18Fp8KVCacheDataTypeE1EhLi16ELi128ELi256ELb0ELi15EEvPKT_PKT0_S8_ifPKiSA_SA_iPKfiiiPfSD_PS3_PT2_iSC_SC_, .Lfunc_end1284-_Z39paged_attention_ll4mi_QKV_mfma16_kernelI14__hip_bfloat16hLN4vllm18Fp8KVCacheDataTypeE1EhLi16ELi128ELi256ELb0ELi15EEvPKT_PKT0_S8_ifPKiSA_SA_iPKfiiiPfSD_PS3_PT2_iSC_SC_
                                        ; -- End function
	.set _Z39paged_attention_ll4mi_QKV_mfma16_kernelI14__hip_bfloat16hLN4vllm18Fp8KVCacheDataTypeE1EhLi16ELi128ELi256ELb0ELi15EEvPKT_PKT0_S8_ifPKiSA_SA_iPKfiiiPfSD_PS3_PT2_iSC_SC_.num_vgpr, max(3, .L__assert_fail.num_vgpr)
	.set _Z39paged_attention_ll4mi_QKV_mfma16_kernelI14__hip_bfloat16hLN4vllm18Fp8KVCacheDataTypeE1EhLi16ELi128ELi256ELb0ELi15EEvPKT_PKT0_S8_ifPKiSA_SA_iPKfiiiPfSD_PS3_PT2_iSC_SC_.num_agpr, max(0, .L__assert_fail.num_agpr)
	.set _Z39paged_attention_ll4mi_QKV_mfma16_kernelI14__hip_bfloat16hLN4vllm18Fp8KVCacheDataTypeE1EhLi16ELi128ELi256ELb0ELi15EEvPKT_PKT0_S8_ifPKiSA_SA_iPKfiiiPfSD_PS3_PT2_iSC_SC_.numbered_sgpr, max(33, .L__assert_fail.numbered_sgpr)
	.set _Z39paged_attention_ll4mi_QKV_mfma16_kernelI14__hip_bfloat16hLN4vllm18Fp8KVCacheDataTypeE1EhLi16ELi128ELi256ELb0ELi15EEvPKT_PKT0_S8_ifPKiSA_SA_iPKfiiiPfSD_PS3_PT2_iSC_SC_.num_named_barrier, max(0, .L__assert_fail.num_named_barrier)
	.set _Z39paged_attention_ll4mi_QKV_mfma16_kernelI14__hip_bfloat16hLN4vllm18Fp8KVCacheDataTypeE1EhLi16ELi128ELi256ELb0ELi15EEvPKT_PKT0_S8_ifPKiSA_SA_iPKfiiiPfSD_PS3_PT2_iSC_SC_.private_seg_size, 0+max(.L__assert_fail.private_seg_size)
	.set _Z39paged_attention_ll4mi_QKV_mfma16_kernelI14__hip_bfloat16hLN4vllm18Fp8KVCacheDataTypeE1EhLi16ELi128ELi256ELb0ELi15EEvPKT_PKT0_S8_ifPKiSA_SA_iPKfiiiPfSD_PS3_PT2_iSC_SC_.uses_vcc, or(1, .L__assert_fail.uses_vcc)
	.set _Z39paged_attention_ll4mi_QKV_mfma16_kernelI14__hip_bfloat16hLN4vllm18Fp8KVCacheDataTypeE1EhLi16ELi128ELi256ELb0ELi15EEvPKT_PKT0_S8_ifPKiSA_SA_iPKfiiiPfSD_PS3_PT2_iSC_SC_.uses_flat_scratch, or(0, .L__assert_fail.uses_flat_scratch)
	.set _Z39paged_attention_ll4mi_QKV_mfma16_kernelI14__hip_bfloat16hLN4vllm18Fp8KVCacheDataTypeE1EhLi16ELi128ELi256ELb0ELi15EEvPKT_PKT0_S8_ifPKiSA_SA_iPKfiiiPfSD_PS3_PT2_iSC_SC_.has_dyn_sized_stack, or(0, .L__assert_fail.has_dyn_sized_stack)
	.set _Z39paged_attention_ll4mi_QKV_mfma16_kernelI14__hip_bfloat16hLN4vllm18Fp8KVCacheDataTypeE1EhLi16ELi128ELi256ELb0ELi15EEvPKT_PKT0_S8_ifPKiSA_SA_iPKfiiiPfSD_PS3_PT2_iSC_SC_.has_recursion, or(0, .L__assert_fail.has_recursion)
	.set _Z39paged_attention_ll4mi_QKV_mfma16_kernelI14__hip_bfloat16hLN4vllm18Fp8KVCacheDataTypeE1EhLi16ELi128ELi256ELb0ELi15EEvPKT_PKT0_S8_ifPKiSA_SA_iPKfiiiPfSD_PS3_PT2_iSC_SC_.has_indirect_call, or(0, .L__assert_fail.has_indirect_call)
	.section	.AMDGPU.csdata,"",@progbits
; Kernel info:
; codeLenInByte = 68
; TotalNumSgprs: 36
; NumVgprs: 51
; ScratchSize: 64
; MemoryBound: 0
; FloatMode: 240
; IeeeMode: 1
; LDSByteSize: 0 bytes/workgroup (compile time only)
; SGPRBlocks: 0
; VGPRBlocks: 3
; NumSGPRsForWavesPerEU: 36
; NumVGPRsForWavesPerEU: 51
; NamedBarCnt: 0
; Occupancy: 16
; WaveLimiterHint : 1
; COMPUTE_PGM_RSRC2:SCRATCH_EN: 1
; COMPUTE_PGM_RSRC2:USER_SGPR: 2
; COMPUTE_PGM_RSRC2:TRAP_HANDLER: 0
; COMPUTE_PGM_RSRC2:TGID_X_EN: 1
; COMPUTE_PGM_RSRC2:TGID_Y_EN: 0
; COMPUTE_PGM_RSRC2:TGID_Z_EN: 0
; COMPUTE_PGM_RSRC2:TIDIG_COMP_CNT: 0
	.section	.text._Z39paged_attention_ll4mi_QKV_mfma16_kernelI14__hip_bfloat16hLN4vllm18Fp8KVCacheDataTypeE1EhLi16ELi128ELi256ELb0ELi16EEvPKT_PKT0_S8_ifPKiSA_SA_iPKfiiiPfSD_PS3_PT2_iSC_SC_,"axG",@progbits,_Z39paged_attention_ll4mi_QKV_mfma16_kernelI14__hip_bfloat16hLN4vllm18Fp8KVCacheDataTypeE1EhLi16ELi128ELi256ELb0ELi16EEvPKT_PKT0_S8_ifPKiSA_SA_iPKfiiiPfSD_PS3_PT2_iSC_SC_,comdat
	.protected	_Z39paged_attention_ll4mi_QKV_mfma16_kernelI14__hip_bfloat16hLN4vllm18Fp8KVCacheDataTypeE1EhLi16ELi128ELi256ELb0ELi16EEvPKT_PKT0_S8_ifPKiSA_SA_iPKfiiiPfSD_PS3_PT2_iSC_SC_ ; -- Begin function _Z39paged_attention_ll4mi_QKV_mfma16_kernelI14__hip_bfloat16hLN4vllm18Fp8KVCacheDataTypeE1EhLi16ELi128ELi256ELb0ELi16EEvPKT_PKT0_S8_ifPKiSA_SA_iPKfiiiPfSD_PS3_PT2_iSC_SC_
	.globl	_Z39paged_attention_ll4mi_QKV_mfma16_kernelI14__hip_bfloat16hLN4vllm18Fp8KVCacheDataTypeE1EhLi16ELi128ELi256ELb0ELi16EEvPKT_PKT0_S8_ifPKiSA_SA_iPKfiiiPfSD_PS3_PT2_iSC_SC_
	.p2align	8
	.type	_Z39paged_attention_ll4mi_QKV_mfma16_kernelI14__hip_bfloat16hLN4vllm18Fp8KVCacheDataTypeE1EhLi16ELi128ELi256ELb0ELi16EEvPKT_PKT0_S8_ifPKiSA_SA_iPKfiiiPfSD_PS3_PT2_iSC_SC_,@function
_Z39paged_attention_ll4mi_QKV_mfma16_kernelI14__hip_bfloat16hLN4vllm18Fp8KVCacheDataTypeE1EhLi16ELi128ELi256ELb0ELi16EEvPKT_PKT0_S8_ifPKiSA_SA_iPKfiiiPfSD_PS3_PT2_iSC_SC_: ; @_Z39paged_attention_ll4mi_QKV_mfma16_kernelI14__hip_bfloat16hLN4vllm18Fp8KVCacheDataTypeE1EhLi16ELi128ELi256ELb0ELi16EEvPKT_PKT0_S8_ifPKiSA_SA_iPKfiiiPfSD_PS3_PT2_iSC_SC_
; %bb.0:
	s_get_pc_i64 s[2:3]
	s_add_nc_u64 s[2:3], s[2:3], __PRETTY_FUNCTION__._Z39paged_attention_ll4mi_QKV_mfma16_kernelI14__hip_bfloat16hLN4vllm18Fp8KVCacheDataTypeE1EhLi16ELi128ELi256ELb0ELi16EEvPKT_PKT0_S8_ifPKiSA_SA_iPKfiiiPfSD_PS3_PT2_iSC_SC_@rel64+4
	s_delay_alu instid0(SALU_CYCLE_1)
	v_dual_mov_b32 v0, 0xbb3 :: v_dual_mov_b32 v1, s2
	v_mov_b32_e32 v2, s3
	s_add_nc_u64 s[8:9], s[0:1], 0x90
	s_get_pc_i64 s[0:1]
	s_add_nc_u64 s[0:1], s[0:1], __assert_fail@rel64+4
	s_mov_b32 s32, 0
	s_swap_pc_i64 s[30:31], s[0:1]
	.section	.rodata,"a",@progbits
	.p2align	6, 0x0
	.amdhsa_kernel _Z39paged_attention_ll4mi_QKV_mfma16_kernelI14__hip_bfloat16hLN4vllm18Fp8KVCacheDataTypeE1EhLi16ELi128ELi256ELb0ELi16EEvPKT_PKT0_S8_ifPKiSA_SA_iPKfiiiPfSD_PS3_PT2_iSC_SC_
		.amdhsa_group_segment_fixed_size 0
		.amdhsa_private_segment_fixed_size 64
		.amdhsa_kernarg_size 400
		.amdhsa_user_sgpr_count 2
		.amdhsa_user_sgpr_dispatch_ptr 0
		.amdhsa_user_sgpr_queue_ptr 0
		.amdhsa_user_sgpr_kernarg_segment_ptr 1
		.amdhsa_user_sgpr_dispatch_id 0
		.amdhsa_user_sgpr_kernarg_preload_length 0
		.amdhsa_user_sgpr_kernarg_preload_offset 0
		.amdhsa_user_sgpr_private_segment_size 0
		.amdhsa_wavefront_size32 1
		.amdhsa_uses_dynamic_stack 0
		.amdhsa_enable_private_segment 1
		.amdhsa_system_sgpr_workgroup_id_x 1
		.amdhsa_system_sgpr_workgroup_id_y 0
		.amdhsa_system_sgpr_workgroup_id_z 0
		.amdhsa_system_sgpr_workgroup_info 0
		.amdhsa_system_vgpr_workitem_id 0
		.amdhsa_next_free_vgpr 51
		.amdhsa_next_free_sgpr 34
		.amdhsa_named_barrier_count 0
		.amdhsa_reserve_vcc 1
		.amdhsa_float_round_mode_32 0
		.amdhsa_float_round_mode_16_64 0
		.amdhsa_float_denorm_mode_32 3
		.amdhsa_float_denorm_mode_16_64 3
		.amdhsa_fp16_overflow 0
		.amdhsa_memory_ordered 1
		.amdhsa_forward_progress 1
		.amdhsa_inst_pref_size 1
		.amdhsa_round_robin_scheduling 0
		.amdhsa_exception_fp_ieee_invalid_op 0
		.amdhsa_exception_fp_denorm_src 0
		.amdhsa_exception_fp_ieee_div_zero 0
		.amdhsa_exception_fp_ieee_overflow 0
		.amdhsa_exception_fp_ieee_underflow 0
		.amdhsa_exception_fp_ieee_inexact 0
		.amdhsa_exception_int_div_zero 0
	.end_amdhsa_kernel
	.section	.text._Z39paged_attention_ll4mi_QKV_mfma16_kernelI14__hip_bfloat16hLN4vllm18Fp8KVCacheDataTypeE1EhLi16ELi128ELi256ELb0ELi16EEvPKT_PKT0_S8_ifPKiSA_SA_iPKfiiiPfSD_PS3_PT2_iSC_SC_,"axG",@progbits,_Z39paged_attention_ll4mi_QKV_mfma16_kernelI14__hip_bfloat16hLN4vllm18Fp8KVCacheDataTypeE1EhLi16ELi128ELi256ELb0ELi16EEvPKT_PKT0_S8_ifPKiSA_SA_iPKfiiiPfSD_PS3_PT2_iSC_SC_,comdat
.Lfunc_end1285:
	.size	_Z39paged_attention_ll4mi_QKV_mfma16_kernelI14__hip_bfloat16hLN4vllm18Fp8KVCacheDataTypeE1EhLi16ELi128ELi256ELb0ELi16EEvPKT_PKT0_S8_ifPKiSA_SA_iPKfiiiPfSD_PS3_PT2_iSC_SC_, .Lfunc_end1285-_Z39paged_attention_ll4mi_QKV_mfma16_kernelI14__hip_bfloat16hLN4vllm18Fp8KVCacheDataTypeE1EhLi16ELi128ELi256ELb0ELi16EEvPKT_PKT0_S8_ifPKiSA_SA_iPKfiiiPfSD_PS3_PT2_iSC_SC_
                                        ; -- End function
	.set _Z39paged_attention_ll4mi_QKV_mfma16_kernelI14__hip_bfloat16hLN4vllm18Fp8KVCacheDataTypeE1EhLi16ELi128ELi256ELb0ELi16EEvPKT_PKT0_S8_ifPKiSA_SA_iPKfiiiPfSD_PS3_PT2_iSC_SC_.num_vgpr, max(3, .L__assert_fail.num_vgpr)
	.set _Z39paged_attention_ll4mi_QKV_mfma16_kernelI14__hip_bfloat16hLN4vllm18Fp8KVCacheDataTypeE1EhLi16ELi128ELi256ELb0ELi16EEvPKT_PKT0_S8_ifPKiSA_SA_iPKfiiiPfSD_PS3_PT2_iSC_SC_.num_agpr, max(0, .L__assert_fail.num_agpr)
	.set _Z39paged_attention_ll4mi_QKV_mfma16_kernelI14__hip_bfloat16hLN4vllm18Fp8KVCacheDataTypeE1EhLi16ELi128ELi256ELb0ELi16EEvPKT_PKT0_S8_ifPKiSA_SA_iPKfiiiPfSD_PS3_PT2_iSC_SC_.numbered_sgpr, max(33, .L__assert_fail.numbered_sgpr)
	.set _Z39paged_attention_ll4mi_QKV_mfma16_kernelI14__hip_bfloat16hLN4vllm18Fp8KVCacheDataTypeE1EhLi16ELi128ELi256ELb0ELi16EEvPKT_PKT0_S8_ifPKiSA_SA_iPKfiiiPfSD_PS3_PT2_iSC_SC_.num_named_barrier, max(0, .L__assert_fail.num_named_barrier)
	.set _Z39paged_attention_ll4mi_QKV_mfma16_kernelI14__hip_bfloat16hLN4vllm18Fp8KVCacheDataTypeE1EhLi16ELi128ELi256ELb0ELi16EEvPKT_PKT0_S8_ifPKiSA_SA_iPKfiiiPfSD_PS3_PT2_iSC_SC_.private_seg_size, 0+max(.L__assert_fail.private_seg_size)
	.set _Z39paged_attention_ll4mi_QKV_mfma16_kernelI14__hip_bfloat16hLN4vllm18Fp8KVCacheDataTypeE1EhLi16ELi128ELi256ELb0ELi16EEvPKT_PKT0_S8_ifPKiSA_SA_iPKfiiiPfSD_PS3_PT2_iSC_SC_.uses_vcc, or(1, .L__assert_fail.uses_vcc)
	.set _Z39paged_attention_ll4mi_QKV_mfma16_kernelI14__hip_bfloat16hLN4vllm18Fp8KVCacheDataTypeE1EhLi16ELi128ELi256ELb0ELi16EEvPKT_PKT0_S8_ifPKiSA_SA_iPKfiiiPfSD_PS3_PT2_iSC_SC_.uses_flat_scratch, or(0, .L__assert_fail.uses_flat_scratch)
	.set _Z39paged_attention_ll4mi_QKV_mfma16_kernelI14__hip_bfloat16hLN4vllm18Fp8KVCacheDataTypeE1EhLi16ELi128ELi256ELb0ELi16EEvPKT_PKT0_S8_ifPKiSA_SA_iPKfiiiPfSD_PS3_PT2_iSC_SC_.has_dyn_sized_stack, or(0, .L__assert_fail.has_dyn_sized_stack)
	.set _Z39paged_attention_ll4mi_QKV_mfma16_kernelI14__hip_bfloat16hLN4vllm18Fp8KVCacheDataTypeE1EhLi16ELi128ELi256ELb0ELi16EEvPKT_PKT0_S8_ifPKiSA_SA_iPKfiiiPfSD_PS3_PT2_iSC_SC_.has_recursion, or(0, .L__assert_fail.has_recursion)
	.set _Z39paged_attention_ll4mi_QKV_mfma16_kernelI14__hip_bfloat16hLN4vllm18Fp8KVCacheDataTypeE1EhLi16ELi128ELi256ELb0ELi16EEvPKT_PKT0_S8_ifPKiSA_SA_iPKfiiiPfSD_PS3_PT2_iSC_SC_.has_indirect_call, or(0, .L__assert_fail.has_indirect_call)
	.section	.AMDGPU.csdata,"",@progbits
; Kernel info:
; codeLenInByte = 68
; TotalNumSgprs: 36
; NumVgprs: 51
; ScratchSize: 64
; MemoryBound: 0
; FloatMode: 240
; IeeeMode: 1
; LDSByteSize: 0 bytes/workgroup (compile time only)
; SGPRBlocks: 0
; VGPRBlocks: 3
; NumSGPRsForWavesPerEU: 36
; NumVGPRsForWavesPerEU: 51
; NamedBarCnt: 0
; Occupancy: 16
; WaveLimiterHint : 1
; COMPUTE_PGM_RSRC2:SCRATCH_EN: 1
; COMPUTE_PGM_RSRC2:USER_SGPR: 2
; COMPUTE_PGM_RSRC2:TRAP_HANDLER: 0
; COMPUTE_PGM_RSRC2:TGID_X_EN: 1
; COMPUTE_PGM_RSRC2:TGID_Y_EN: 0
; COMPUTE_PGM_RSRC2:TGID_Z_EN: 0
; COMPUTE_PGM_RSRC2:TIDIG_COMP_CNT: 0
	.section	.text._Z39paged_attention_ll4mi_QKV_mfma16_kernelI14__hip_bfloat16hLN4vllm18Fp8KVCacheDataTypeE1EhLi16ELi128ELi256ELb0ELi1EEvPKT_PKT0_S8_ifPKiSA_SA_iPKfiiiPfSD_PS3_PT2_iSC_SC_,"axG",@progbits,_Z39paged_attention_ll4mi_QKV_mfma16_kernelI14__hip_bfloat16hLN4vllm18Fp8KVCacheDataTypeE1EhLi16ELi128ELi256ELb0ELi1EEvPKT_PKT0_S8_ifPKiSA_SA_iPKfiiiPfSD_PS3_PT2_iSC_SC_,comdat
	.protected	_Z39paged_attention_ll4mi_QKV_mfma16_kernelI14__hip_bfloat16hLN4vllm18Fp8KVCacheDataTypeE1EhLi16ELi128ELi256ELb0ELi1EEvPKT_PKT0_S8_ifPKiSA_SA_iPKfiiiPfSD_PS3_PT2_iSC_SC_ ; -- Begin function _Z39paged_attention_ll4mi_QKV_mfma16_kernelI14__hip_bfloat16hLN4vllm18Fp8KVCacheDataTypeE1EhLi16ELi128ELi256ELb0ELi1EEvPKT_PKT0_S8_ifPKiSA_SA_iPKfiiiPfSD_PS3_PT2_iSC_SC_
	.globl	_Z39paged_attention_ll4mi_QKV_mfma16_kernelI14__hip_bfloat16hLN4vllm18Fp8KVCacheDataTypeE1EhLi16ELi128ELi256ELb0ELi1EEvPKT_PKT0_S8_ifPKiSA_SA_iPKfiiiPfSD_PS3_PT2_iSC_SC_
	.p2align	8
	.type	_Z39paged_attention_ll4mi_QKV_mfma16_kernelI14__hip_bfloat16hLN4vllm18Fp8KVCacheDataTypeE1EhLi16ELi128ELi256ELb0ELi1EEvPKT_PKT0_S8_ifPKiSA_SA_iPKfiiiPfSD_PS3_PT2_iSC_SC_,@function
_Z39paged_attention_ll4mi_QKV_mfma16_kernelI14__hip_bfloat16hLN4vllm18Fp8KVCacheDataTypeE1EhLi16ELi128ELi256ELb0ELi1EEvPKT_PKT0_S8_ifPKiSA_SA_iPKfiiiPfSD_PS3_PT2_iSC_SC_: ; @_Z39paged_attention_ll4mi_QKV_mfma16_kernelI14__hip_bfloat16hLN4vllm18Fp8KVCacheDataTypeE1EhLi16ELi128ELi256ELb0ELi1EEvPKT_PKT0_S8_ifPKiSA_SA_iPKfiiiPfSD_PS3_PT2_iSC_SC_
; %bb.0:
	s_get_pc_i64 s[2:3]
	s_add_nc_u64 s[2:3], s[2:3], __PRETTY_FUNCTION__._Z39paged_attention_ll4mi_QKV_mfma16_kernelI14__hip_bfloat16hLN4vllm18Fp8KVCacheDataTypeE1EhLi16ELi128ELi256ELb0ELi1EEvPKT_PKT0_S8_ifPKiSA_SA_iPKfiiiPfSD_PS3_PT2_iSC_SC_@rel64+4
	s_delay_alu instid0(SALU_CYCLE_1)
	v_dual_mov_b32 v0, 0xbb3 :: v_dual_mov_b32 v1, s2
	v_mov_b32_e32 v2, s3
	s_add_nc_u64 s[8:9], s[0:1], 0x90
	s_get_pc_i64 s[0:1]
	s_add_nc_u64 s[0:1], s[0:1], __assert_fail@rel64+4
	s_mov_b32 s32, 0
	s_swap_pc_i64 s[30:31], s[0:1]
	.section	.rodata,"a",@progbits
	.p2align	6, 0x0
	.amdhsa_kernel _Z39paged_attention_ll4mi_QKV_mfma16_kernelI14__hip_bfloat16hLN4vllm18Fp8KVCacheDataTypeE1EhLi16ELi128ELi256ELb0ELi1EEvPKT_PKT0_S8_ifPKiSA_SA_iPKfiiiPfSD_PS3_PT2_iSC_SC_
		.amdhsa_group_segment_fixed_size 0
		.amdhsa_private_segment_fixed_size 64
		.amdhsa_kernarg_size 400
		.amdhsa_user_sgpr_count 2
		.amdhsa_user_sgpr_dispatch_ptr 0
		.amdhsa_user_sgpr_queue_ptr 0
		.amdhsa_user_sgpr_kernarg_segment_ptr 1
		.amdhsa_user_sgpr_dispatch_id 0
		.amdhsa_user_sgpr_kernarg_preload_length 0
		.amdhsa_user_sgpr_kernarg_preload_offset 0
		.amdhsa_user_sgpr_private_segment_size 0
		.amdhsa_wavefront_size32 1
		.amdhsa_uses_dynamic_stack 0
		.amdhsa_enable_private_segment 1
		.amdhsa_system_sgpr_workgroup_id_x 1
		.amdhsa_system_sgpr_workgroup_id_y 0
		.amdhsa_system_sgpr_workgroup_id_z 0
		.amdhsa_system_sgpr_workgroup_info 0
		.amdhsa_system_vgpr_workitem_id 0
		.amdhsa_next_free_vgpr 51
		.amdhsa_next_free_sgpr 34
		.amdhsa_named_barrier_count 0
		.amdhsa_reserve_vcc 1
		.amdhsa_float_round_mode_32 0
		.amdhsa_float_round_mode_16_64 0
		.amdhsa_float_denorm_mode_32 3
		.amdhsa_float_denorm_mode_16_64 3
		.amdhsa_fp16_overflow 0
		.amdhsa_memory_ordered 1
		.amdhsa_forward_progress 1
		.amdhsa_inst_pref_size 1
		.amdhsa_round_robin_scheduling 0
		.amdhsa_exception_fp_ieee_invalid_op 0
		.amdhsa_exception_fp_denorm_src 0
		.amdhsa_exception_fp_ieee_div_zero 0
		.amdhsa_exception_fp_ieee_overflow 0
		.amdhsa_exception_fp_ieee_underflow 0
		.amdhsa_exception_fp_ieee_inexact 0
		.amdhsa_exception_int_div_zero 0
	.end_amdhsa_kernel
	.section	.text._Z39paged_attention_ll4mi_QKV_mfma16_kernelI14__hip_bfloat16hLN4vllm18Fp8KVCacheDataTypeE1EhLi16ELi128ELi256ELb0ELi1EEvPKT_PKT0_S8_ifPKiSA_SA_iPKfiiiPfSD_PS3_PT2_iSC_SC_,"axG",@progbits,_Z39paged_attention_ll4mi_QKV_mfma16_kernelI14__hip_bfloat16hLN4vllm18Fp8KVCacheDataTypeE1EhLi16ELi128ELi256ELb0ELi1EEvPKT_PKT0_S8_ifPKiSA_SA_iPKfiiiPfSD_PS3_PT2_iSC_SC_,comdat
.Lfunc_end1286:
	.size	_Z39paged_attention_ll4mi_QKV_mfma16_kernelI14__hip_bfloat16hLN4vllm18Fp8KVCacheDataTypeE1EhLi16ELi128ELi256ELb0ELi1EEvPKT_PKT0_S8_ifPKiSA_SA_iPKfiiiPfSD_PS3_PT2_iSC_SC_, .Lfunc_end1286-_Z39paged_attention_ll4mi_QKV_mfma16_kernelI14__hip_bfloat16hLN4vllm18Fp8KVCacheDataTypeE1EhLi16ELi128ELi256ELb0ELi1EEvPKT_PKT0_S8_ifPKiSA_SA_iPKfiiiPfSD_PS3_PT2_iSC_SC_
                                        ; -- End function
	.set _Z39paged_attention_ll4mi_QKV_mfma16_kernelI14__hip_bfloat16hLN4vllm18Fp8KVCacheDataTypeE1EhLi16ELi128ELi256ELb0ELi1EEvPKT_PKT0_S8_ifPKiSA_SA_iPKfiiiPfSD_PS3_PT2_iSC_SC_.num_vgpr, max(3, .L__assert_fail.num_vgpr)
	.set _Z39paged_attention_ll4mi_QKV_mfma16_kernelI14__hip_bfloat16hLN4vllm18Fp8KVCacheDataTypeE1EhLi16ELi128ELi256ELb0ELi1EEvPKT_PKT0_S8_ifPKiSA_SA_iPKfiiiPfSD_PS3_PT2_iSC_SC_.num_agpr, max(0, .L__assert_fail.num_agpr)
	.set _Z39paged_attention_ll4mi_QKV_mfma16_kernelI14__hip_bfloat16hLN4vllm18Fp8KVCacheDataTypeE1EhLi16ELi128ELi256ELb0ELi1EEvPKT_PKT0_S8_ifPKiSA_SA_iPKfiiiPfSD_PS3_PT2_iSC_SC_.numbered_sgpr, max(33, .L__assert_fail.numbered_sgpr)
	.set _Z39paged_attention_ll4mi_QKV_mfma16_kernelI14__hip_bfloat16hLN4vllm18Fp8KVCacheDataTypeE1EhLi16ELi128ELi256ELb0ELi1EEvPKT_PKT0_S8_ifPKiSA_SA_iPKfiiiPfSD_PS3_PT2_iSC_SC_.num_named_barrier, max(0, .L__assert_fail.num_named_barrier)
	.set _Z39paged_attention_ll4mi_QKV_mfma16_kernelI14__hip_bfloat16hLN4vllm18Fp8KVCacheDataTypeE1EhLi16ELi128ELi256ELb0ELi1EEvPKT_PKT0_S8_ifPKiSA_SA_iPKfiiiPfSD_PS3_PT2_iSC_SC_.private_seg_size, 0+max(.L__assert_fail.private_seg_size)
	.set _Z39paged_attention_ll4mi_QKV_mfma16_kernelI14__hip_bfloat16hLN4vllm18Fp8KVCacheDataTypeE1EhLi16ELi128ELi256ELb0ELi1EEvPKT_PKT0_S8_ifPKiSA_SA_iPKfiiiPfSD_PS3_PT2_iSC_SC_.uses_vcc, or(1, .L__assert_fail.uses_vcc)
	.set _Z39paged_attention_ll4mi_QKV_mfma16_kernelI14__hip_bfloat16hLN4vllm18Fp8KVCacheDataTypeE1EhLi16ELi128ELi256ELb0ELi1EEvPKT_PKT0_S8_ifPKiSA_SA_iPKfiiiPfSD_PS3_PT2_iSC_SC_.uses_flat_scratch, or(0, .L__assert_fail.uses_flat_scratch)
	.set _Z39paged_attention_ll4mi_QKV_mfma16_kernelI14__hip_bfloat16hLN4vllm18Fp8KVCacheDataTypeE1EhLi16ELi128ELi256ELb0ELi1EEvPKT_PKT0_S8_ifPKiSA_SA_iPKfiiiPfSD_PS3_PT2_iSC_SC_.has_dyn_sized_stack, or(0, .L__assert_fail.has_dyn_sized_stack)
	.set _Z39paged_attention_ll4mi_QKV_mfma16_kernelI14__hip_bfloat16hLN4vllm18Fp8KVCacheDataTypeE1EhLi16ELi128ELi256ELb0ELi1EEvPKT_PKT0_S8_ifPKiSA_SA_iPKfiiiPfSD_PS3_PT2_iSC_SC_.has_recursion, or(0, .L__assert_fail.has_recursion)
	.set _Z39paged_attention_ll4mi_QKV_mfma16_kernelI14__hip_bfloat16hLN4vllm18Fp8KVCacheDataTypeE1EhLi16ELi128ELi256ELb0ELi1EEvPKT_PKT0_S8_ifPKiSA_SA_iPKfiiiPfSD_PS3_PT2_iSC_SC_.has_indirect_call, or(0, .L__assert_fail.has_indirect_call)
	.section	.AMDGPU.csdata,"",@progbits
; Kernel info:
; codeLenInByte = 68
; TotalNumSgprs: 36
; NumVgprs: 51
; ScratchSize: 64
; MemoryBound: 0
; FloatMode: 240
; IeeeMode: 1
; LDSByteSize: 0 bytes/workgroup (compile time only)
; SGPRBlocks: 0
; VGPRBlocks: 3
; NumSGPRsForWavesPerEU: 36
; NumVGPRsForWavesPerEU: 51
; NamedBarCnt: 0
; Occupancy: 16
; WaveLimiterHint : 1
; COMPUTE_PGM_RSRC2:SCRATCH_EN: 1
; COMPUTE_PGM_RSRC2:USER_SGPR: 2
; COMPUTE_PGM_RSRC2:TRAP_HANDLER: 0
; COMPUTE_PGM_RSRC2:TGID_X_EN: 1
; COMPUTE_PGM_RSRC2:TGID_Y_EN: 0
; COMPUTE_PGM_RSRC2:TGID_Z_EN: 0
; COMPUTE_PGM_RSRC2:TIDIG_COMP_CNT: 0
	.section	.text._Z39paged_attention_ll4mi_QKV_mfma16_kernelI14__hip_bfloat16hLN4vllm18Fp8KVCacheDataTypeE1EhLi16ELi128ELi256ELb0ELi2EEvPKT_PKT0_S8_ifPKiSA_SA_iPKfiiiPfSD_PS3_PT2_iSC_SC_,"axG",@progbits,_Z39paged_attention_ll4mi_QKV_mfma16_kernelI14__hip_bfloat16hLN4vllm18Fp8KVCacheDataTypeE1EhLi16ELi128ELi256ELb0ELi2EEvPKT_PKT0_S8_ifPKiSA_SA_iPKfiiiPfSD_PS3_PT2_iSC_SC_,comdat
	.protected	_Z39paged_attention_ll4mi_QKV_mfma16_kernelI14__hip_bfloat16hLN4vllm18Fp8KVCacheDataTypeE1EhLi16ELi128ELi256ELb0ELi2EEvPKT_PKT0_S8_ifPKiSA_SA_iPKfiiiPfSD_PS3_PT2_iSC_SC_ ; -- Begin function _Z39paged_attention_ll4mi_QKV_mfma16_kernelI14__hip_bfloat16hLN4vllm18Fp8KVCacheDataTypeE1EhLi16ELi128ELi256ELb0ELi2EEvPKT_PKT0_S8_ifPKiSA_SA_iPKfiiiPfSD_PS3_PT2_iSC_SC_
	.globl	_Z39paged_attention_ll4mi_QKV_mfma16_kernelI14__hip_bfloat16hLN4vllm18Fp8KVCacheDataTypeE1EhLi16ELi128ELi256ELb0ELi2EEvPKT_PKT0_S8_ifPKiSA_SA_iPKfiiiPfSD_PS3_PT2_iSC_SC_
	.p2align	8
	.type	_Z39paged_attention_ll4mi_QKV_mfma16_kernelI14__hip_bfloat16hLN4vllm18Fp8KVCacheDataTypeE1EhLi16ELi128ELi256ELb0ELi2EEvPKT_PKT0_S8_ifPKiSA_SA_iPKfiiiPfSD_PS3_PT2_iSC_SC_,@function
_Z39paged_attention_ll4mi_QKV_mfma16_kernelI14__hip_bfloat16hLN4vllm18Fp8KVCacheDataTypeE1EhLi16ELi128ELi256ELb0ELi2EEvPKT_PKT0_S8_ifPKiSA_SA_iPKfiiiPfSD_PS3_PT2_iSC_SC_: ; @_Z39paged_attention_ll4mi_QKV_mfma16_kernelI14__hip_bfloat16hLN4vllm18Fp8KVCacheDataTypeE1EhLi16ELi128ELi256ELb0ELi2EEvPKT_PKT0_S8_ifPKiSA_SA_iPKfiiiPfSD_PS3_PT2_iSC_SC_
; %bb.0:
	s_get_pc_i64 s[2:3]
	s_add_nc_u64 s[2:3], s[2:3], __PRETTY_FUNCTION__._Z39paged_attention_ll4mi_QKV_mfma16_kernelI14__hip_bfloat16hLN4vllm18Fp8KVCacheDataTypeE1EhLi16ELi128ELi256ELb0ELi2EEvPKT_PKT0_S8_ifPKiSA_SA_iPKfiiiPfSD_PS3_PT2_iSC_SC_@rel64+4
	s_delay_alu instid0(SALU_CYCLE_1)
	v_dual_mov_b32 v0, 0xbb3 :: v_dual_mov_b32 v1, s2
	v_mov_b32_e32 v2, s3
	s_add_nc_u64 s[8:9], s[0:1], 0x90
	s_get_pc_i64 s[0:1]
	s_add_nc_u64 s[0:1], s[0:1], __assert_fail@rel64+4
	s_mov_b32 s32, 0
	s_swap_pc_i64 s[30:31], s[0:1]
	.section	.rodata,"a",@progbits
	.p2align	6, 0x0
	.amdhsa_kernel _Z39paged_attention_ll4mi_QKV_mfma16_kernelI14__hip_bfloat16hLN4vllm18Fp8KVCacheDataTypeE1EhLi16ELi128ELi256ELb0ELi2EEvPKT_PKT0_S8_ifPKiSA_SA_iPKfiiiPfSD_PS3_PT2_iSC_SC_
		.amdhsa_group_segment_fixed_size 0
		.amdhsa_private_segment_fixed_size 64
		.amdhsa_kernarg_size 400
		.amdhsa_user_sgpr_count 2
		.amdhsa_user_sgpr_dispatch_ptr 0
		.amdhsa_user_sgpr_queue_ptr 0
		.amdhsa_user_sgpr_kernarg_segment_ptr 1
		.amdhsa_user_sgpr_dispatch_id 0
		.amdhsa_user_sgpr_kernarg_preload_length 0
		.amdhsa_user_sgpr_kernarg_preload_offset 0
		.amdhsa_user_sgpr_private_segment_size 0
		.amdhsa_wavefront_size32 1
		.amdhsa_uses_dynamic_stack 0
		.amdhsa_enable_private_segment 1
		.amdhsa_system_sgpr_workgroup_id_x 1
		.amdhsa_system_sgpr_workgroup_id_y 0
		.amdhsa_system_sgpr_workgroup_id_z 0
		.amdhsa_system_sgpr_workgroup_info 0
		.amdhsa_system_vgpr_workitem_id 0
		.amdhsa_next_free_vgpr 51
		.amdhsa_next_free_sgpr 34
		.amdhsa_named_barrier_count 0
		.amdhsa_reserve_vcc 1
		.amdhsa_float_round_mode_32 0
		.amdhsa_float_round_mode_16_64 0
		.amdhsa_float_denorm_mode_32 3
		.amdhsa_float_denorm_mode_16_64 3
		.amdhsa_fp16_overflow 0
		.amdhsa_memory_ordered 1
		.amdhsa_forward_progress 1
		.amdhsa_inst_pref_size 1
		.amdhsa_round_robin_scheduling 0
		.amdhsa_exception_fp_ieee_invalid_op 0
		.amdhsa_exception_fp_denorm_src 0
		.amdhsa_exception_fp_ieee_div_zero 0
		.amdhsa_exception_fp_ieee_overflow 0
		.amdhsa_exception_fp_ieee_underflow 0
		.amdhsa_exception_fp_ieee_inexact 0
		.amdhsa_exception_int_div_zero 0
	.end_amdhsa_kernel
	.section	.text._Z39paged_attention_ll4mi_QKV_mfma16_kernelI14__hip_bfloat16hLN4vllm18Fp8KVCacheDataTypeE1EhLi16ELi128ELi256ELb0ELi2EEvPKT_PKT0_S8_ifPKiSA_SA_iPKfiiiPfSD_PS3_PT2_iSC_SC_,"axG",@progbits,_Z39paged_attention_ll4mi_QKV_mfma16_kernelI14__hip_bfloat16hLN4vllm18Fp8KVCacheDataTypeE1EhLi16ELi128ELi256ELb0ELi2EEvPKT_PKT0_S8_ifPKiSA_SA_iPKfiiiPfSD_PS3_PT2_iSC_SC_,comdat
.Lfunc_end1287:
	.size	_Z39paged_attention_ll4mi_QKV_mfma16_kernelI14__hip_bfloat16hLN4vllm18Fp8KVCacheDataTypeE1EhLi16ELi128ELi256ELb0ELi2EEvPKT_PKT0_S8_ifPKiSA_SA_iPKfiiiPfSD_PS3_PT2_iSC_SC_, .Lfunc_end1287-_Z39paged_attention_ll4mi_QKV_mfma16_kernelI14__hip_bfloat16hLN4vllm18Fp8KVCacheDataTypeE1EhLi16ELi128ELi256ELb0ELi2EEvPKT_PKT0_S8_ifPKiSA_SA_iPKfiiiPfSD_PS3_PT2_iSC_SC_
                                        ; -- End function
	.set _Z39paged_attention_ll4mi_QKV_mfma16_kernelI14__hip_bfloat16hLN4vllm18Fp8KVCacheDataTypeE1EhLi16ELi128ELi256ELb0ELi2EEvPKT_PKT0_S8_ifPKiSA_SA_iPKfiiiPfSD_PS3_PT2_iSC_SC_.num_vgpr, max(3, .L__assert_fail.num_vgpr)
	.set _Z39paged_attention_ll4mi_QKV_mfma16_kernelI14__hip_bfloat16hLN4vllm18Fp8KVCacheDataTypeE1EhLi16ELi128ELi256ELb0ELi2EEvPKT_PKT0_S8_ifPKiSA_SA_iPKfiiiPfSD_PS3_PT2_iSC_SC_.num_agpr, max(0, .L__assert_fail.num_agpr)
	.set _Z39paged_attention_ll4mi_QKV_mfma16_kernelI14__hip_bfloat16hLN4vllm18Fp8KVCacheDataTypeE1EhLi16ELi128ELi256ELb0ELi2EEvPKT_PKT0_S8_ifPKiSA_SA_iPKfiiiPfSD_PS3_PT2_iSC_SC_.numbered_sgpr, max(33, .L__assert_fail.numbered_sgpr)
	.set _Z39paged_attention_ll4mi_QKV_mfma16_kernelI14__hip_bfloat16hLN4vllm18Fp8KVCacheDataTypeE1EhLi16ELi128ELi256ELb0ELi2EEvPKT_PKT0_S8_ifPKiSA_SA_iPKfiiiPfSD_PS3_PT2_iSC_SC_.num_named_barrier, max(0, .L__assert_fail.num_named_barrier)
	.set _Z39paged_attention_ll4mi_QKV_mfma16_kernelI14__hip_bfloat16hLN4vllm18Fp8KVCacheDataTypeE1EhLi16ELi128ELi256ELb0ELi2EEvPKT_PKT0_S8_ifPKiSA_SA_iPKfiiiPfSD_PS3_PT2_iSC_SC_.private_seg_size, 0+max(.L__assert_fail.private_seg_size)
	.set _Z39paged_attention_ll4mi_QKV_mfma16_kernelI14__hip_bfloat16hLN4vllm18Fp8KVCacheDataTypeE1EhLi16ELi128ELi256ELb0ELi2EEvPKT_PKT0_S8_ifPKiSA_SA_iPKfiiiPfSD_PS3_PT2_iSC_SC_.uses_vcc, or(1, .L__assert_fail.uses_vcc)
	.set _Z39paged_attention_ll4mi_QKV_mfma16_kernelI14__hip_bfloat16hLN4vllm18Fp8KVCacheDataTypeE1EhLi16ELi128ELi256ELb0ELi2EEvPKT_PKT0_S8_ifPKiSA_SA_iPKfiiiPfSD_PS3_PT2_iSC_SC_.uses_flat_scratch, or(0, .L__assert_fail.uses_flat_scratch)
	.set _Z39paged_attention_ll4mi_QKV_mfma16_kernelI14__hip_bfloat16hLN4vllm18Fp8KVCacheDataTypeE1EhLi16ELi128ELi256ELb0ELi2EEvPKT_PKT0_S8_ifPKiSA_SA_iPKfiiiPfSD_PS3_PT2_iSC_SC_.has_dyn_sized_stack, or(0, .L__assert_fail.has_dyn_sized_stack)
	.set _Z39paged_attention_ll4mi_QKV_mfma16_kernelI14__hip_bfloat16hLN4vllm18Fp8KVCacheDataTypeE1EhLi16ELi128ELi256ELb0ELi2EEvPKT_PKT0_S8_ifPKiSA_SA_iPKfiiiPfSD_PS3_PT2_iSC_SC_.has_recursion, or(0, .L__assert_fail.has_recursion)
	.set _Z39paged_attention_ll4mi_QKV_mfma16_kernelI14__hip_bfloat16hLN4vllm18Fp8KVCacheDataTypeE1EhLi16ELi128ELi256ELb0ELi2EEvPKT_PKT0_S8_ifPKiSA_SA_iPKfiiiPfSD_PS3_PT2_iSC_SC_.has_indirect_call, or(0, .L__assert_fail.has_indirect_call)
	.section	.AMDGPU.csdata,"",@progbits
; Kernel info:
; codeLenInByte = 68
; TotalNumSgprs: 36
; NumVgprs: 51
; ScratchSize: 64
; MemoryBound: 0
; FloatMode: 240
; IeeeMode: 1
; LDSByteSize: 0 bytes/workgroup (compile time only)
; SGPRBlocks: 0
; VGPRBlocks: 3
; NumSGPRsForWavesPerEU: 36
; NumVGPRsForWavesPerEU: 51
; NamedBarCnt: 0
; Occupancy: 16
; WaveLimiterHint : 1
; COMPUTE_PGM_RSRC2:SCRATCH_EN: 1
; COMPUTE_PGM_RSRC2:USER_SGPR: 2
; COMPUTE_PGM_RSRC2:TRAP_HANDLER: 0
; COMPUTE_PGM_RSRC2:TGID_X_EN: 1
; COMPUTE_PGM_RSRC2:TGID_Y_EN: 0
; COMPUTE_PGM_RSRC2:TGID_Z_EN: 0
; COMPUTE_PGM_RSRC2:TIDIG_COMP_CNT: 0
	.section	.text._Z39paged_attention_ll4mi_QKV_mfma16_kernelI14__hip_bfloat16hLN4vllm18Fp8KVCacheDataTypeE1EhLi16ELi128ELi256ELb0ELi3EEvPKT_PKT0_S8_ifPKiSA_SA_iPKfiiiPfSD_PS3_PT2_iSC_SC_,"axG",@progbits,_Z39paged_attention_ll4mi_QKV_mfma16_kernelI14__hip_bfloat16hLN4vllm18Fp8KVCacheDataTypeE1EhLi16ELi128ELi256ELb0ELi3EEvPKT_PKT0_S8_ifPKiSA_SA_iPKfiiiPfSD_PS3_PT2_iSC_SC_,comdat
	.protected	_Z39paged_attention_ll4mi_QKV_mfma16_kernelI14__hip_bfloat16hLN4vllm18Fp8KVCacheDataTypeE1EhLi16ELi128ELi256ELb0ELi3EEvPKT_PKT0_S8_ifPKiSA_SA_iPKfiiiPfSD_PS3_PT2_iSC_SC_ ; -- Begin function _Z39paged_attention_ll4mi_QKV_mfma16_kernelI14__hip_bfloat16hLN4vllm18Fp8KVCacheDataTypeE1EhLi16ELi128ELi256ELb0ELi3EEvPKT_PKT0_S8_ifPKiSA_SA_iPKfiiiPfSD_PS3_PT2_iSC_SC_
	.globl	_Z39paged_attention_ll4mi_QKV_mfma16_kernelI14__hip_bfloat16hLN4vllm18Fp8KVCacheDataTypeE1EhLi16ELi128ELi256ELb0ELi3EEvPKT_PKT0_S8_ifPKiSA_SA_iPKfiiiPfSD_PS3_PT2_iSC_SC_
	.p2align	8
	.type	_Z39paged_attention_ll4mi_QKV_mfma16_kernelI14__hip_bfloat16hLN4vllm18Fp8KVCacheDataTypeE1EhLi16ELi128ELi256ELb0ELi3EEvPKT_PKT0_S8_ifPKiSA_SA_iPKfiiiPfSD_PS3_PT2_iSC_SC_,@function
_Z39paged_attention_ll4mi_QKV_mfma16_kernelI14__hip_bfloat16hLN4vllm18Fp8KVCacheDataTypeE1EhLi16ELi128ELi256ELb0ELi3EEvPKT_PKT0_S8_ifPKiSA_SA_iPKfiiiPfSD_PS3_PT2_iSC_SC_: ; @_Z39paged_attention_ll4mi_QKV_mfma16_kernelI14__hip_bfloat16hLN4vllm18Fp8KVCacheDataTypeE1EhLi16ELi128ELi256ELb0ELi3EEvPKT_PKT0_S8_ifPKiSA_SA_iPKfiiiPfSD_PS3_PT2_iSC_SC_
; %bb.0:
	s_get_pc_i64 s[2:3]
	s_add_nc_u64 s[2:3], s[2:3], __PRETTY_FUNCTION__._Z39paged_attention_ll4mi_QKV_mfma16_kernelI14__hip_bfloat16hLN4vllm18Fp8KVCacheDataTypeE1EhLi16ELi128ELi256ELb0ELi3EEvPKT_PKT0_S8_ifPKiSA_SA_iPKfiiiPfSD_PS3_PT2_iSC_SC_@rel64+4
	s_delay_alu instid0(SALU_CYCLE_1)
	v_dual_mov_b32 v0, 0xbb3 :: v_dual_mov_b32 v1, s2
	v_mov_b32_e32 v2, s3
	s_add_nc_u64 s[8:9], s[0:1], 0x90
	s_get_pc_i64 s[0:1]
	s_add_nc_u64 s[0:1], s[0:1], __assert_fail@rel64+4
	s_mov_b32 s32, 0
	s_swap_pc_i64 s[30:31], s[0:1]
	.section	.rodata,"a",@progbits
	.p2align	6, 0x0
	.amdhsa_kernel _Z39paged_attention_ll4mi_QKV_mfma16_kernelI14__hip_bfloat16hLN4vllm18Fp8KVCacheDataTypeE1EhLi16ELi128ELi256ELb0ELi3EEvPKT_PKT0_S8_ifPKiSA_SA_iPKfiiiPfSD_PS3_PT2_iSC_SC_
		.amdhsa_group_segment_fixed_size 0
		.amdhsa_private_segment_fixed_size 64
		.amdhsa_kernarg_size 400
		.amdhsa_user_sgpr_count 2
		.amdhsa_user_sgpr_dispatch_ptr 0
		.amdhsa_user_sgpr_queue_ptr 0
		.amdhsa_user_sgpr_kernarg_segment_ptr 1
		.amdhsa_user_sgpr_dispatch_id 0
		.amdhsa_user_sgpr_kernarg_preload_length 0
		.amdhsa_user_sgpr_kernarg_preload_offset 0
		.amdhsa_user_sgpr_private_segment_size 0
		.amdhsa_wavefront_size32 1
		.amdhsa_uses_dynamic_stack 0
		.amdhsa_enable_private_segment 1
		.amdhsa_system_sgpr_workgroup_id_x 1
		.amdhsa_system_sgpr_workgroup_id_y 0
		.amdhsa_system_sgpr_workgroup_id_z 0
		.amdhsa_system_sgpr_workgroup_info 0
		.amdhsa_system_vgpr_workitem_id 0
		.amdhsa_next_free_vgpr 51
		.amdhsa_next_free_sgpr 34
		.amdhsa_named_barrier_count 0
		.amdhsa_reserve_vcc 1
		.amdhsa_float_round_mode_32 0
		.amdhsa_float_round_mode_16_64 0
		.amdhsa_float_denorm_mode_32 3
		.amdhsa_float_denorm_mode_16_64 3
		.amdhsa_fp16_overflow 0
		.amdhsa_memory_ordered 1
		.amdhsa_forward_progress 1
		.amdhsa_inst_pref_size 1
		.amdhsa_round_robin_scheduling 0
		.amdhsa_exception_fp_ieee_invalid_op 0
		.amdhsa_exception_fp_denorm_src 0
		.amdhsa_exception_fp_ieee_div_zero 0
		.amdhsa_exception_fp_ieee_overflow 0
		.amdhsa_exception_fp_ieee_underflow 0
		.amdhsa_exception_fp_ieee_inexact 0
		.amdhsa_exception_int_div_zero 0
	.end_amdhsa_kernel
	.section	.text._Z39paged_attention_ll4mi_QKV_mfma16_kernelI14__hip_bfloat16hLN4vllm18Fp8KVCacheDataTypeE1EhLi16ELi128ELi256ELb0ELi3EEvPKT_PKT0_S8_ifPKiSA_SA_iPKfiiiPfSD_PS3_PT2_iSC_SC_,"axG",@progbits,_Z39paged_attention_ll4mi_QKV_mfma16_kernelI14__hip_bfloat16hLN4vllm18Fp8KVCacheDataTypeE1EhLi16ELi128ELi256ELb0ELi3EEvPKT_PKT0_S8_ifPKiSA_SA_iPKfiiiPfSD_PS3_PT2_iSC_SC_,comdat
.Lfunc_end1288:
	.size	_Z39paged_attention_ll4mi_QKV_mfma16_kernelI14__hip_bfloat16hLN4vllm18Fp8KVCacheDataTypeE1EhLi16ELi128ELi256ELb0ELi3EEvPKT_PKT0_S8_ifPKiSA_SA_iPKfiiiPfSD_PS3_PT2_iSC_SC_, .Lfunc_end1288-_Z39paged_attention_ll4mi_QKV_mfma16_kernelI14__hip_bfloat16hLN4vllm18Fp8KVCacheDataTypeE1EhLi16ELi128ELi256ELb0ELi3EEvPKT_PKT0_S8_ifPKiSA_SA_iPKfiiiPfSD_PS3_PT2_iSC_SC_
                                        ; -- End function
	.set _Z39paged_attention_ll4mi_QKV_mfma16_kernelI14__hip_bfloat16hLN4vllm18Fp8KVCacheDataTypeE1EhLi16ELi128ELi256ELb0ELi3EEvPKT_PKT0_S8_ifPKiSA_SA_iPKfiiiPfSD_PS3_PT2_iSC_SC_.num_vgpr, max(3, .L__assert_fail.num_vgpr)
	.set _Z39paged_attention_ll4mi_QKV_mfma16_kernelI14__hip_bfloat16hLN4vllm18Fp8KVCacheDataTypeE1EhLi16ELi128ELi256ELb0ELi3EEvPKT_PKT0_S8_ifPKiSA_SA_iPKfiiiPfSD_PS3_PT2_iSC_SC_.num_agpr, max(0, .L__assert_fail.num_agpr)
	.set _Z39paged_attention_ll4mi_QKV_mfma16_kernelI14__hip_bfloat16hLN4vllm18Fp8KVCacheDataTypeE1EhLi16ELi128ELi256ELb0ELi3EEvPKT_PKT0_S8_ifPKiSA_SA_iPKfiiiPfSD_PS3_PT2_iSC_SC_.numbered_sgpr, max(33, .L__assert_fail.numbered_sgpr)
	.set _Z39paged_attention_ll4mi_QKV_mfma16_kernelI14__hip_bfloat16hLN4vllm18Fp8KVCacheDataTypeE1EhLi16ELi128ELi256ELb0ELi3EEvPKT_PKT0_S8_ifPKiSA_SA_iPKfiiiPfSD_PS3_PT2_iSC_SC_.num_named_barrier, max(0, .L__assert_fail.num_named_barrier)
	.set _Z39paged_attention_ll4mi_QKV_mfma16_kernelI14__hip_bfloat16hLN4vllm18Fp8KVCacheDataTypeE1EhLi16ELi128ELi256ELb0ELi3EEvPKT_PKT0_S8_ifPKiSA_SA_iPKfiiiPfSD_PS3_PT2_iSC_SC_.private_seg_size, 0+max(.L__assert_fail.private_seg_size)
	.set _Z39paged_attention_ll4mi_QKV_mfma16_kernelI14__hip_bfloat16hLN4vllm18Fp8KVCacheDataTypeE1EhLi16ELi128ELi256ELb0ELi3EEvPKT_PKT0_S8_ifPKiSA_SA_iPKfiiiPfSD_PS3_PT2_iSC_SC_.uses_vcc, or(1, .L__assert_fail.uses_vcc)
	.set _Z39paged_attention_ll4mi_QKV_mfma16_kernelI14__hip_bfloat16hLN4vllm18Fp8KVCacheDataTypeE1EhLi16ELi128ELi256ELb0ELi3EEvPKT_PKT0_S8_ifPKiSA_SA_iPKfiiiPfSD_PS3_PT2_iSC_SC_.uses_flat_scratch, or(0, .L__assert_fail.uses_flat_scratch)
	.set _Z39paged_attention_ll4mi_QKV_mfma16_kernelI14__hip_bfloat16hLN4vllm18Fp8KVCacheDataTypeE1EhLi16ELi128ELi256ELb0ELi3EEvPKT_PKT0_S8_ifPKiSA_SA_iPKfiiiPfSD_PS3_PT2_iSC_SC_.has_dyn_sized_stack, or(0, .L__assert_fail.has_dyn_sized_stack)
	.set _Z39paged_attention_ll4mi_QKV_mfma16_kernelI14__hip_bfloat16hLN4vllm18Fp8KVCacheDataTypeE1EhLi16ELi128ELi256ELb0ELi3EEvPKT_PKT0_S8_ifPKiSA_SA_iPKfiiiPfSD_PS3_PT2_iSC_SC_.has_recursion, or(0, .L__assert_fail.has_recursion)
	.set _Z39paged_attention_ll4mi_QKV_mfma16_kernelI14__hip_bfloat16hLN4vllm18Fp8KVCacheDataTypeE1EhLi16ELi128ELi256ELb0ELi3EEvPKT_PKT0_S8_ifPKiSA_SA_iPKfiiiPfSD_PS3_PT2_iSC_SC_.has_indirect_call, or(0, .L__assert_fail.has_indirect_call)
	.section	.AMDGPU.csdata,"",@progbits
; Kernel info:
; codeLenInByte = 68
; TotalNumSgprs: 36
; NumVgprs: 51
; ScratchSize: 64
; MemoryBound: 0
; FloatMode: 240
; IeeeMode: 1
; LDSByteSize: 0 bytes/workgroup (compile time only)
; SGPRBlocks: 0
; VGPRBlocks: 3
; NumSGPRsForWavesPerEU: 36
; NumVGPRsForWavesPerEU: 51
; NamedBarCnt: 0
; Occupancy: 16
; WaveLimiterHint : 1
; COMPUTE_PGM_RSRC2:SCRATCH_EN: 1
; COMPUTE_PGM_RSRC2:USER_SGPR: 2
; COMPUTE_PGM_RSRC2:TRAP_HANDLER: 0
; COMPUTE_PGM_RSRC2:TGID_X_EN: 1
; COMPUTE_PGM_RSRC2:TGID_Y_EN: 0
; COMPUTE_PGM_RSRC2:TGID_Z_EN: 0
; COMPUTE_PGM_RSRC2:TIDIG_COMP_CNT: 0
	.section	.text._Z39paged_attention_ll4mi_QKV_mfma16_kernelI14__hip_bfloat16hLN4vllm18Fp8KVCacheDataTypeE1EhLi16ELi128ELi256ELb0ELi4EEvPKT_PKT0_S8_ifPKiSA_SA_iPKfiiiPfSD_PS3_PT2_iSC_SC_,"axG",@progbits,_Z39paged_attention_ll4mi_QKV_mfma16_kernelI14__hip_bfloat16hLN4vllm18Fp8KVCacheDataTypeE1EhLi16ELi128ELi256ELb0ELi4EEvPKT_PKT0_S8_ifPKiSA_SA_iPKfiiiPfSD_PS3_PT2_iSC_SC_,comdat
	.protected	_Z39paged_attention_ll4mi_QKV_mfma16_kernelI14__hip_bfloat16hLN4vllm18Fp8KVCacheDataTypeE1EhLi16ELi128ELi256ELb0ELi4EEvPKT_PKT0_S8_ifPKiSA_SA_iPKfiiiPfSD_PS3_PT2_iSC_SC_ ; -- Begin function _Z39paged_attention_ll4mi_QKV_mfma16_kernelI14__hip_bfloat16hLN4vllm18Fp8KVCacheDataTypeE1EhLi16ELi128ELi256ELb0ELi4EEvPKT_PKT0_S8_ifPKiSA_SA_iPKfiiiPfSD_PS3_PT2_iSC_SC_
	.globl	_Z39paged_attention_ll4mi_QKV_mfma16_kernelI14__hip_bfloat16hLN4vllm18Fp8KVCacheDataTypeE1EhLi16ELi128ELi256ELb0ELi4EEvPKT_PKT0_S8_ifPKiSA_SA_iPKfiiiPfSD_PS3_PT2_iSC_SC_
	.p2align	8
	.type	_Z39paged_attention_ll4mi_QKV_mfma16_kernelI14__hip_bfloat16hLN4vllm18Fp8KVCacheDataTypeE1EhLi16ELi128ELi256ELb0ELi4EEvPKT_PKT0_S8_ifPKiSA_SA_iPKfiiiPfSD_PS3_PT2_iSC_SC_,@function
_Z39paged_attention_ll4mi_QKV_mfma16_kernelI14__hip_bfloat16hLN4vllm18Fp8KVCacheDataTypeE1EhLi16ELi128ELi256ELb0ELi4EEvPKT_PKT0_S8_ifPKiSA_SA_iPKfiiiPfSD_PS3_PT2_iSC_SC_: ; @_Z39paged_attention_ll4mi_QKV_mfma16_kernelI14__hip_bfloat16hLN4vllm18Fp8KVCacheDataTypeE1EhLi16ELi128ELi256ELb0ELi4EEvPKT_PKT0_S8_ifPKiSA_SA_iPKfiiiPfSD_PS3_PT2_iSC_SC_
; %bb.0:
	s_get_pc_i64 s[2:3]
	s_add_nc_u64 s[2:3], s[2:3], __PRETTY_FUNCTION__._Z39paged_attention_ll4mi_QKV_mfma16_kernelI14__hip_bfloat16hLN4vllm18Fp8KVCacheDataTypeE1EhLi16ELi128ELi256ELb0ELi4EEvPKT_PKT0_S8_ifPKiSA_SA_iPKfiiiPfSD_PS3_PT2_iSC_SC_@rel64+4
	s_delay_alu instid0(SALU_CYCLE_1)
	v_dual_mov_b32 v0, 0xbb3 :: v_dual_mov_b32 v1, s2
	v_mov_b32_e32 v2, s3
	s_add_nc_u64 s[8:9], s[0:1], 0x90
	s_get_pc_i64 s[0:1]
	s_add_nc_u64 s[0:1], s[0:1], __assert_fail@rel64+4
	s_mov_b32 s32, 0
	s_swap_pc_i64 s[30:31], s[0:1]
	.section	.rodata,"a",@progbits
	.p2align	6, 0x0
	.amdhsa_kernel _Z39paged_attention_ll4mi_QKV_mfma16_kernelI14__hip_bfloat16hLN4vllm18Fp8KVCacheDataTypeE1EhLi16ELi128ELi256ELb0ELi4EEvPKT_PKT0_S8_ifPKiSA_SA_iPKfiiiPfSD_PS3_PT2_iSC_SC_
		.amdhsa_group_segment_fixed_size 0
		.amdhsa_private_segment_fixed_size 64
		.amdhsa_kernarg_size 400
		.amdhsa_user_sgpr_count 2
		.amdhsa_user_sgpr_dispatch_ptr 0
		.amdhsa_user_sgpr_queue_ptr 0
		.amdhsa_user_sgpr_kernarg_segment_ptr 1
		.amdhsa_user_sgpr_dispatch_id 0
		.amdhsa_user_sgpr_kernarg_preload_length 0
		.amdhsa_user_sgpr_kernarg_preload_offset 0
		.amdhsa_user_sgpr_private_segment_size 0
		.amdhsa_wavefront_size32 1
		.amdhsa_uses_dynamic_stack 0
		.amdhsa_enable_private_segment 1
		.amdhsa_system_sgpr_workgroup_id_x 1
		.amdhsa_system_sgpr_workgroup_id_y 0
		.amdhsa_system_sgpr_workgroup_id_z 0
		.amdhsa_system_sgpr_workgroup_info 0
		.amdhsa_system_vgpr_workitem_id 0
		.amdhsa_next_free_vgpr 51
		.amdhsa_next_free_sgpr 34
		.amdhsa_named_barrier_count 0
		.amdhsa_reserve_vcc 1
		.amdhsa_float_round_mode_32 0
		.amdhsa_float_round_mode_16_64 0
		.amdhsa_float_denorm_mode_32 3
		.amdhsa_float_denorm_mode_16_64 3
		.amdhsa_fp16_overflow 0
		.amdhsa_memory_ordered 1
		.amdhsa_forward_progress 1
		.amdhsa_inst_pref_size 1
		.amdhsa_round_robin_scheduling 0
		.amdhsa_exception_fp_ieee_invalid_op 0
		.amdhsa_exception_fp_denorm_src 0
		.amdhsa_exception_fp_ieee_div_zero 0
		.amdhsa_exception_fp_ieee_overflow 0
		.amdhsa_exception_fp_ieee_underflow 0
		.amdhsa_exception_fp_ieee_inexact 0
		.amdhsa_exception_int_div_zero 0
	.end_amdhsa_kernel
	.section	.text._Z39paged_attention_ll4mi_QKV_mfma16_kernelI14__hip_bfloat16hLN4vllm18Fp8KVCacheDataTypeE1EhLi16ELi128ELi256ELb0ELi4EEvPKT_PKT0_S8_ifPKiSA_SA_iPKfiiiPfSD_PS3_PT2_iSC_SC_,"axG",@progbits,_Z39paged_attention_ll4mi_QKV_mfma16_kernelI14__hip_bfloat16hLN4vllm18Fp8KVCacheDataTypeE1EhLi16ELi128ELi256ELb0ELi4EEvPKT_PKT0_S8_ifPKiSA_SA_iPKfiiiPfSD_PS3_PT2_iSC_SC_,comdat
.Lfunc_end1289:
	.size	_Z39paged_attention_ll4mi_QKV_mfma16_kernelI14__hip_bfloat16hLN4vllm18Fp8KVCacheDataTypeE1EhLi16ELi128ELi256ELb0ELi4EEvPKT_PKT0_S8_ifPKiSA_SA_iPKfiiiPfSD_PS3_PT2_iSC_SC_, .Lfunc_end1289-_Z39paged_attention_ll4mi_QKV_mfma16_kernelI14__hip_bfloat16hLN4vllm18Fp8KVCacheDataTypeE1EhLi16ELi128ELi256ELb0ELi4EEvPKT_PKT0_S8_ifPKiSA_SA_iPKfiiiPfSD_PS3_PT2_iSC_SC_
                                        ; -- End function
	.set _Z39paged_attention_ll4mi_QKV_mfma16_kernelI14__hip_bfloat16hLN4vllm18Fp8KVCacheDataTypeE1EhLi16ELi128ELi256ELb0ELi4EEvPKT_PKT0_S8_ifPKiSA_SA_iPKfiiiPfSD_PS3_PT2_iSC_SC_.num_vgpr, max(3, .L__assert_fail.num_vgpr)
	.set _Z39paged_attention_ll4mi_QKV_mfma16_kernelI14__hip_bfloat16hLN4vllm18Fp8KVCacheDataTypeE1EhLi16ELi128ELi256ELb0ELi4EEvPKT_PKT0_S8_ifPKiSA_SA_iPKfiiiPfSD_PS3_PT2_iSC_SC_.num_agpr, max(0, .L__assert_fail.num_agpr)
	.set _Z39paged_attention_ll4mi_QKV_mfma16_kernelI14__hip_bfloat16hLN4vllm18Fp8KVCacheDataTypeE1EhLi16ELi128ELi256ELb0ELi4EEvPKT_PKT0_S8_ifPKiSA_SA_iPKfiiiPfSD_PS3_PT2_iSC_SC_.numbered_sgpr, max(33, .L__assert_fail.numbered_sgpr)
	.set _Z39paged_attention_ll4mi_QKV_mfma16_kernelI14__hip_bfloat16hLN4vllm18Fp8KVCacheDataTypeE1EhLi16ELi128ELi256ELb0ELi4EEvPKT_PKT0_S8_ifPKiSA_SA_iPKfiiiPfSD_PS3_PT2_iSC_SC_.num_named_barrier, max(0, .L__assert_fail.num_named_barrier)
	.set _Z39paged_attention_ll4mi_QKV_mfma16_kernelI14__hip_bfloat16hLN4vllm18Fp8KVCacheDataTypeE1EhLi16ELi128ELi256ELb0ELi4EEvPKT_PKT0_S8_ifPKiSA_SA_iPKfiiiPfSD_PS3_PT2_iSC_SC_.private_seg_size, 0+max(.L__assert_fail.private_seg_size)
	.set _Z39paged_attention_ll4mi_QKV_mfma16_kernelI14__hip_bfloat16hLN4vllm18Fp8KVCacheDataTypeE1EhLi16ELi128ELi256ELb0ELi4EEvPKT_PKT0_S8_ifPKiSA_SA_iPKfiiiPfSD_PS3_PT2_iSC_SC_.uses_vcc, or(1, .L__assert_fail.uses_vcc)
	.set _Z39paged_attention_ll4mi_QKV_mfma16_kernelI14__hip_bfloat16hLN4vllm18Fp8KVCacheDataTypeE1EhLi16ELi128ELi256ELb0ELi4EEvPKT_PKT0_S8_ifPKiSA_SA_iPKfiiiPfSD_PS3_PT2_iSC_SC_.uses_flat_scratch, or(0, .L__assert_fail.uses_flat_scratch)
	.set _Z39paged_attention_ll4mi_QKV_mfma16_kernelI14__hip_bfloat16hLN4vllm18Fp8KVCacheDataTypeE1EhLi16ELi128ELi256ELb0ELi4EEvPKT_PKT0_S8_ifPKiSA_SA_iPKfiiiPfSD_PS3_PT2_iSC_SC_.has_dyn_sized_stack, or(0, .L__assert_fail.has_dyn_sized_stack)
	.set _Z39paged_attention_ll4mi_QKV_mfma16_kernelI14__hip_bfloat16hLN4vllm18Fp8KVCacheDataTypeE1EhLi16ELi128ELi256ELb0ELi4EEvPKT_PKT0_S8_ifPKiSA_SA_iPKfiiiPfSD_PS3_PT2_iSC_SC_.has_recursion, or(0, .L__assert_fail.has_recursion)
	.set _Z39paged_attention_ll4mi_QKV_mfma16_kernelI14__hip_bfloat16hLN4vllm18Fp8KVCacheDataTypeE1EhLi16ELi128ELi256ELb0ELi4EEvPKT_PKT0_S8_ifPKiSA_SA_iPKfiiiPfSD_PS3_PT2_iSC_SC_.has_indirect_call, or(0, .L__assert_fail.has_indirect_call)
	.section	.AMDGPU.csdata,"",@progbits
; Kernel info:
; codeLenInByte = 68
; TotalNumSgprs: 36
; NumVgprs: 51
; ScratchSize: 64
; MemoryBound: 0
; FloatMode: 240
; IeeeMode: 1
; LDSByteSize: 0 bytes/workgroup (compile time only)
; SGPRBlocks: 0
; VGPRBlocks: 3
; NumSGPRsForWavesPerEU: 36
; NumVGPRsForWavesPerEU: 51
; NamedBarCnt: 0
; Occupancy: 16
; WaveLimiterHint : 1
; COMPUTE_PGM_RSRC2:SCRATCH_EN: 1
; COMPUTE_PGM_RSRC2:USER_SGPR: 2
; COMPUTE_PGM_RSRC2:TRAP_HANDLER: 0
; COMPUTE_PGM_RSRC2:TGID_X_EN: 1
; COMPUTE_PGM_RSRC2:TGID_Y_EN: 0
; COMPUTE_PGM_RSRC2:TGID_Z_EN: 0
; COMPUTE_PGM_RSRC2:TIDIG_COMP_CNT: 0
	.section	.text._Z38paged_attention_ll4mi_QKV_mfma4_kernelI14__hip_bfloat16hLN4vllm18Fp8KVCacheDataTypeE1ES0_Li16ELi128ELi256ELb1ELi1EEvPKT_PKT0_S8_ifPKiSA_SA_iPKfiiiPfSD_PS3_PT2_iSC_SC_,"axG",@progbits,_Z38paged_attention_ll4mi_QKV_mfma4_kernelI14__hip_bfloat16hLN4vllm18Fp8KVCacheDataTypeE1ES0_Li16ELi128ELi256ELb1ELi1EEvPKT_PKT0_S8_ifPKiSA_SA_iPKfiiiPfSD_PS3_PT2_iSC_SC_,comdat
	.protected	_Z38paged_attention_ll4mi_QKV_mfma4_kernelI14__hip_bfloat16hLN4vllm18Fp8KVCacheDataTypeE1ES0_Li16ELi128ELi256ELb1ELi1EEvPKT_PKT0_S8_ifPKiSA_SA_iPKfiiiPfSD_PS3_PT2_iSC_SC_ ; -- Begin function _Z38paged_attention_ll4mi_QKV_mfma4_kernelI14__hip_bfloat16hLN4vllm18Fp8KVCacheDataTypeE1ES0_Li16ELi128ELi256ELb1ELi1EEvPKT_PKT0_S8_ifPKiSA_SA_iPKfiiiPfSD_PS3_PT2_iSC_SC_
	.globl	_Z38paged_attention_ll4mi_QKV_mfma4_kernelI14__hip_bfloat16hLN4vllm18Fp8KVCacheDataTypeE1ES0_Li16ELi128ELi256ELb1ELi1EEvPKT_PKT0_S8_ifPKiSA_SA_iPKfiiiPfSD_PS3_PT2_iSC_SC_
	.p2align	8
	.type	_Z38paged_attention_ll4mi_QKV_mfma4_kernelI14__hip_bfloat16hLN4vllm18Fp8KVCacheDataTypeE1ES0_Li16ELi128ELi256ELb1ELi1EEvPKT_PKT0_S8_ifPKiSA_SA_iPKfiiiPfSD_PS3_PT2_iSC_SC_,@function
_Z38paged_attention_ll4mi_QKV_mfma4_kernelI14__hip_bfloat16hLN4vllm18Fp8KVCacheDataTypeE1ES0_Li16ELi128ELi256ELb1ELi1EEvPKT_PKT0_S8_ifPKiSA_SA_iPKfiiiPfSD_PS3_PT2_iSC_SC_: ; @_Z38paged_attention_ll4mi_QKV_mfma4_kernelI14__hip_bfloat16hLN4vllm18Fp8KVCacheDataTypeE1ES0_Li16ELi128ELi256ELb1ELi1EEvPKT_PKT0_S8_ifPKiSA_SA_iPKfiiiPfSD_PS3_PT2_iSC_SC_
; %bb.0:
	s_get_pc_i64 s[2:3]
	s_add_nc_u64 s[2:3], s[2:3], __PRETTY_FUNCTION__._Z38paged_attention_ll4mi_QKV_mfma4_kernelI14__hip_bfloat16hLN4vllm18Fp8KVCacheDataTypeE1ES0_Li16ELi128ELi256ELb1ELi1EEvPKT_PKT0_S8_ifPKiSA_SA_iPKfiiiPfSD_PS3_PT2_iSC_SC_@rel64+4
	s_delay_alu instid0(SALU_CYCLE_1)
	v_dual_mov_b32 v0, 0xbce :: v_dual_mov_b32 v1, s2
	v_mov_b32_e32 v2, s3
	s_add_nc_u64 s[8:9], s[0:1], 0x90
	s_get_pc_i64 s[0:1]
	s_add_nc_u64 s[0:1], s[0:1], __assert_fail@rel64+4
	s_mov_b32 s32, 0
	s_swap_pc_i64 s[30:31], s[0:1]
	.section	.rodata,"a",@progbits
	.p2align	6, 0x0
	.amdhsa_kernel _Z38paged_attention_ll4mi_QKV_mfma4_kernelI14__hip_bfloat16hLN4vllm18Fp8KVCacheDataTypeE1ES0_Li16ELi128ELi256ELb1ELi1EEvPKT_PKT0_S8_ifPKiSA_SA_iPKfiiiPfSD_PS3_PT2_iSC_SC_
		.amdhsa_group_segment_fixed_size 0
		.amdhsa_private_segment_fixed_size 64
		.amdhsa_kernarg_size 400
		.amdhsa_user_sgpr_count 2
		.amdhsa_user_sgpr_dispatch_ptr 0
		.amdhsa_user_sgpr_queue_ptr 0
		.amdhsa_user_sgpr_kernarg_segment_ptr 1
		.amdhsa_user_sgpr_dispatch_id 0
		.amdhsa_user_sgpr_kernarg_preload_length 0
		.amdhsa_user_sgpr_kernarg_preload_offset 0
		.amdhsa_user_sgpr_private_segment_size 0
		.amdhsa_wavefront_size32 1
		.amdhsa_uses_dynamic_stack 0
		.amdhsa_enable_private_segment 1
		.amdhsa_system_sgpr_workgroup_id_x 1
		.amdhsa_system_sgpr_workgroup_id_y 0
		.amdhsa_system_sgpr_workgroup_id_z 0
		.amdhsa_system_sgpr_workgroup_info 0
		.amdhsa_system_vgpr_workitem_id 0
		.amdhsa_next_free_vgpr 51
		.amdhsa_next_free_sgpr 34
		.amdhsa_named_barrier_count 0
		.amdhsa_reserve_vcc 1
		.amdhsa_float_round_mode_32 0
		.amdhsa_float_round_mode_16_64 0
		.amdhsa_float_denorm_mode_32 3
		.amdhsa_float_denorm_mode_16_64 3
		.amdhsa_fp16_overflow 0
		.amdhsa_memory_ordered 1
		.amdhsa_forward_progress 1
		.amdhsa_inst_pref_size 1
		.amdhsa_round_robin_scheduling 0
		.amdhsa_exception_fp_ieee_invalid_op 0
		.amdhsa_exception_fp_denorm_src 0
		.amdhsa_exception_fp_ieee_div_zero 0
		.amdhsa_exception_fp_ieee_overflow 0
		.amdhsa_exception_fp_ieee_underflow 0
		.amdhsa_exception_fp_ieee_inexact 0
		.amdhsa_exception_int_div_zero 0
	.end_amdhsa_kernel
	.section	.text._Z38paged_attention_ll4mi_QKV_mfma4_kernelI14__hip_bfloat16hLN4vllm18Fp8KVCacheDataTypeE1ES0_Li16ELi128ELi256ELb1ELi1EEvPKT_PKT0_S8_ifPKiSA_SA_iPKfiiiPfSD_PS3_PT2_iSC_SC_,"axG",@progbits,_Z38paged_attention_ll4mi_QKV_mfma4_kernelI14__hip_bfloat16hLN4vllm18Fp8KVCacheDataTypeE1ES0_Li16ELi128ELi256ELb1ELi1EEvPKT_PKT0_S8_ifPKiSA_SA_iPKfiiiPfSD_PS3_PT2_iSC_SC_,comdat
.Lfunc_end1290:
	.size	_Z38paged_attention_ll4mi_QKV_mfma4_kernelI14__hip_bfloat16hLN4vllm18Fp8KVCacheDataTypeE1ES0_Li16ELi128ELi256ELb1ELi1EEvPKT_PKT0_S8_ifPKiSA_SA_iPKfiiiPfSD_PS3_PT2_iSC_SC_, .Lfunc_end1290-_Z38paged_attention_ll4mi_QKV_mfma4_kernelI14__hip_bfloat16hLN4vllm18Fp8KVCacheDataTypeE1ES0_Li16ELi128ELi256ELb1ELi1EEvPKT_PKT0_S8_ifPKiSA_SA_iPKfiiiPfSD_PS3_PT2_iSC_SC_
                                        ; -- End function
	.set _Z38paged_attention_ll4mi_QKV_mfma4_kernelI14__hip_bfloat16hLN4vllm18Fp8KVCacheDataTypeE1ES0_Li16ELi128ELi256ELb1ELi1EEvPKT_PKT0_S8_ifPKiSA_SA_iPKfiiiPfSD_PS3_PT2_iSC_SC_.num_vgpr, max(3, .L__assert_fail.num_vgpr)
	.set _Z38paged_attention_ll4mi_QKV_mfma4_kernelI14__hip_bfloat16hLN4vllm18Fp8KVCacheDataTypeE1ES0_Li16ELi128ELi256ELb1ELi1EEvPKT_PKT0_S8_ifPKiSA_SA_iPKfiiiPfSD_PS3_PT2_iSC_SC_.num_agpr, max(0, .L__assert_fail.num_agpr)
	.set _Z38paged_attention_ll4mi_QKV_mfma4_kernelI14__hip_bfloat16hLN4vllm18Fp8KVCacheDataTypeE1ES0_Li16ELi128ELi256ELb1ELi1EEvPKT_PKT0_S8_ifPKiSA_SA_iPKfiiiPfSD_PS3_PT2_iSC_SC_.numbered_sgpr, max(33, .L__assert_fail.numbered_sgpr)
	.set _Z38paged_attention_ll4mi_QKV_mfma4_kernelI14__hip_bfloat16hLN4vllm18Fp8KVCacheDataTypeE1ES0_Li16ELi128ELi256ELb1ELi1EEvPKT_PKT0_S8_ifPKiSA_SA_iPKfiiiPfSD_PS3_PT2_iSC_SC_.num_named_barrier, max(0, .L__assert_fail.num_named_barrier)
	.set _Z38paged_attention_ll4mi_QKV_mfma4_kernelI14__hip_bfloat16hLN4vllm18Fp8KVCacheDataTypeE1ES0_Li16ELi128ELi256ELb1ELi1EEvPKT_PKT0_S8_ifPKiSA_SA_iPKfiiiPfSD_PS3_PT2_iSC_SC_.private_seg_size, 0+max(.L__assert_fail.private_seg_size)
	.set _Z38paged_attention_ll4mi_QKV_mfma4_kernelI14__hip_bfloat16hLN4vllm18Fp8KVCacheDataTypeE1ES0_Li16ELi128ELi256ELb1ELi1EEvPKT_PKT0_S8_ifPKiSA_SA_iPKfiiiPfSD_PS3_PT2_iSC_SC_.uses_vcc, or(1, .L__assert_fail.uses_vcc)
	.set _Z38paged_attention_ll4mi_QKV_mfma4_kernelI14__hip_bfloat16hLN4vllm18Fp8KVCacheDataTypeE1ES0_Li16ELi128ELi256ELb1ELi1EEvPKT_PKT0_S8_ifPKiSA_SA_iPKfiiiPfSD_PS3_PT2_iSC_SC_.uses_flat_scratch, or(0, .L__assert_fail.uses_flat_scratch)
	.set _Z38paged_attention_ll4mi_QKV_mfma4_kernelI14__hip_bfloat16hLN4vllm18Fp8KVCacheDataTypeE1ES0_Li16ELi128ELi256ELb1ELi1EEvPKT_PKT0_S8_ifPKiSA_SA_iPKfiiiPfSD_PS3_PT2_iSC_SC_.has_dyn_sized_stack, or(0, .L__assert_fail.has_dyn_sized_stack)
	.set _Z38paged_attention_ll4mi_QKV_mfma4_kernelI14__hip_bfloat16hLN4vllm18Fp8KVCacheDataTypeE1ES0_Li16ELi128ELi256ELb1ELi1EEvPKT_PKT0_S8_ifPKiSA_SA_iPKfiiiPfSD_PS3_PT2_iSC_SC_.has_recursion, or(0, .L__assert_fail.has_recursion)
	.set _Z38paged_attention_ll4mi_QKV_mfma4_kernelI14__hip_bfloat16hLN4vllm18Fp8KVCacheDataTypeE1ES0_Li16ELi128ELi256ELb1ELi1EEvPKT_PKT0_S8_ifPKiSA_SA_iPKfiiiPfSD_PS3_PT2_iSC_SC_.has_indirect_call, or(0, .L__assert_fail.has_indirect_call)
	.section	.AMDGPU.csdata,"",@progbits
; Kernel info:
; codeLenInByte = 68
; TotalNumSgprs: 36
; NumVgprs: 51
; ScratchSize: 64
; MemoryBound: 0
; FloatMode: 240
; IeeeMode: 1
; LDSByteSize: 0 bytes/workgroup (compile time only)
; SGPRBlocks: 0
; VGPRBlocks: 3
; NumSGPRsForWavesPerEU: 36
; NumVGPRsForWavesPerEU: 51
; NamedBarCnt: 0
; Occupancy: 16
; WaveLimiterHint : 1
; COMPUTE_PGM_RSRC2:SCRATCH_EN: 1
; COMPUTE_PGM_RSRC2:USER_SGPR: 2
; COMPUTE_PGM_RSRC2:TRAP_HANDLER: 0
; COMPUTE_PGM_RSRC2:TGID_X_EN: 1
; COMPUTE_PGM_RSRC2:TGID_Y_EN: 0
; COMPUTE_PGM_RSRC2:TGID_Z_EN: 0
; COMPUTE_PGM_RSRC2:TIDIG_COMP_CNT: 0
	.section	.text._Z38paged_attention_ll4mi_QKV_mfma4_kernelI14__hip_bfloat16hLN4vllm18Fp8KVCacheDataTypeE1ES0_Li16ELi128ELi256ELb1ELi2EEvPKT_PKT0_S8_ifPKiSA_SA_iPKfiiiPfSD_PS3_PT2_iSC_SC_,"axG",@progbits,_Z38paged_attention_ll4mi_QKV_mfma4_kernelI14__hip_bfloat16hLN4vllm18Fp8KVCacheDataTypeE1ES0_Li16ELi128ELi256ELb1ELi2EEvPKT_PKT0_S8_ifPKiSA_SA_iPKfiiiPfSD_PS3_PT2_iSC_SC_,comdat
	.protected	_Z38paged_attention_ll4mi_QKV_mfma4_kernelI14__hip_bfloat16hLN4vllm18Fp8KVCacheDataTypeE1ES0_Li16ELi128ELi256ELb1ELi2EEvPKT_PKT0_S8_ifPKiSA_SA_iPKfiiiPfSD_PS3_PT2_iSC_SC_ ; -- Begin function _Z38paged_attention_ll4mi_QKV_mfma4_kernelI14__hip_bfloat16hLN4vllm18Fp8KVCacheDataTypeE1ES0_Li16ELi128ELi256ELb1ELi2EEvPKT_PKT0_S8_ifPKiSA_SA_iPKfiiiPfSD_PS3_PT2_iSC_SC_
	.globl	_Z38paged_attention_ll4mi_QKV_mfma4_kernelI14__hip_bfloat16hLN4vllm18Fp8KVCacheDataTypeE1ES0_Li16ELi128ELi256ELb1ELi2EEvPKT_PKT0_S8_ifPKiSA_SA_iPKfiiiPfSD_PS3_PT2_iSC_SC_
	.p2align	8
	.type	_Z38paged_attention_ll4mi_QKV_mfma4_kernelI14__hip_bfloat16hLN4vllm18Fp8KVCacheDataTypeE1ES0_Li16ELi128ELi256ELb1ELi2EEvPKT_PKT0_S8_ifPKiSA_SA_iPKfiiiPfSD_PS3_PT2_iSC_SC_,@function
_Z38paged_attention_ll4mi_QKV_mfma4_kernelI14__hip_bfloat16hLN4vllm18Fp8KVCacheDataTypeE1ES0_Li16ELi128ELi256ELb1ELi2EEvPKT_PKT0_S8_ifPKiSA_SA_iPKfiiiPfSD_PS3_PT2_iSC_SC_: ; @_Z38paged_attention_ll4mi_QKV_mfma4_kernelI14__hip_bfloat16hLN4vllm18Fp8KVCacheDataTypeE1ES0_Li16ELi128ELi256ELb1ELi2EEvPKT_PKT0_S8_ifPKiSA_SA_iPKfiiiPfSD_PS3_PT2_iSC_SC_
; %bb.0:
	s_get_pc_i64 s[2:3]
	s_add_nc_u64 s[2:3], s[2:3], __PRETTY_FUNCTION__._Z38paged_attention_ll4mi_QKV_mfma4_kernelI14__hip_bfloat16hLN4vllm18Fp8KVCacheDataTypeE1ES0_Li16ELi128ELi256ELb1ELi2EEvPKT_PKT0_S8_ifPKiSA_SA_iPKfiiiPfSD_PS3_PT2_iSC_SC_@rel64+4
	s_delay_alu instid0(SALU_CYCLE_1)
	v_dual_mov_b32 v0, 0xbce :: v_dual_mov_b32 v1, s2
	v_mov_b32_e32 v2, s3
	s_add_nc_u64 s[8:9], s[0:1], 0x90
	s_get_pc_i64 s[0:1]
	s_add_nc_u64 s[0:1], s[0:1], __assert_fail@rel64+4
	s_mov_b32 s32, 0
	s_swap_pc_i64 s[30:31], s[0:1]
	.section	.rodata,"a",@progbits
	.p2align	6, 0x0
	.amdhsa_kernel _Z38paged_attention_ll4mi_QKV_mfma4_kernelI14__hip_bfloat16hLN4vllm18Fp8KVCacheDataTypeE1ES0_Li16ELi128ELi256ELb1ELi2EEvPKT_PKT0_S8_ifPKiSA_SA_iPKfiiiPfSD_PS3_PT2_iSC_SC_
		.amdhsa_group_segment_fixed_size 0
		.amdhsa_private_segment_fixed_size 64
		.amdhsa_kernarg_size 400
		.amdhsa_user_sgpr_count 2
		.amdhsa_user_sgpr_dispatch_ptr 0
		.amdhsa_user_sgpr_queue_ptr 0
		.amdhsa_user_sgpr_kernarg_segment_ptr 1
		.amdhsa_user_sgpr_dispatch_id 0
		.amdhsa_user_sgpr_kernarg_preload_length 0
		.amdhsa_user_sgpr_kernarg_preload_offset 0
		.amdhsa_user_sgpr_private_segment_size 0
		.amdhsa_wavefront_size32 1
		.amdhsa_uses_dynamic_stack 0
		.amdhsa_enable_private_segment 1
		.amdhsa_system_sgpr_workgroup_id_x 1
		.amdhsa_system_sgpr_workgroup_id_y 0
		.amdhsa_system_sgpr_workgroup_id_z 0
		.amdhsa_system_sgpr_workgroup_info 0
		.amdhsa_system_vgpr_workitem_id 0
		.amdhsa_next_free_vgpr 51
		.amdhsa_next_free_sgpr 34
		.amdhsa_named_barrier_count 0
		.amdhsa_reserve_vcc 1
		.amdhsa_float_round_mode_32 0
		.amdhsa_float_round_mode_16_64 0
		.amdhsa_float_denorm_mode_32 3
		.amdhsa_float_denorm_mode_16_64 3
		.amdhsa_fp16_overflow 0
		.amdhsa_memory_ordered 1
		.amdhsa_forward_progress 1
		.amdhsa_inst_pref_size 1
		.amdhsa_round_robin_scheduling 0
		.amdhsa_exception_fp_ieee_invalid_op 0
		.amdhsa_exception_fp_denorm_src 0
		.amdhsa_exception_fp_ieee_div_zero 0
		.amdhsa_exception_fp_ieee_overflow 0
		.amdhsa_exception_fp_ieee_underflow 0
		.amdhsa_exception_fp_ieee_inexact 0
		.amdhsa_exception_int_div_zero 0
	.end_amdhsa_kernel
	.section	.text._Z38paged_attention_ll4mi_QKV_mfma4_kernelI14__hip_bfloat16hLN4vllm18Fp8KVCacheDataTypeE1ES0_Li16ELi128ELi256ELb1ELi2EEvPKT_PKT0_S8_ifPKiSA_SA_iPKfiiiPfSD_PS3_PT2_iSC_SC_,"axG",@progbits,_Z38paged_attention_ll4mi_QKV_mfma4_kernelI14__hip_bfloat16hLN4vllm18Fp8KVCacheDataTypeE1ES0_Li16ELi128ELi256ELb1ELi2EEvPKT_PKT0_S8_ifPKiSA_SA_iPKfiiiPfSD_PS3_PT2_iSC_SC_,comdat
.Lfunc_end1291:
	.size	_Z38paged_attention_ll4mi_QKV_mfma4_kernelI14__hip_bfloat16hLN4vllm18Fp8KVCacheDataTypeE1ES0_Li16ELi128ELi256ELb1ELi2EEvPKT_PKT0_S8_ifPKiSA_SA_iPKfiiiPfSD_PS3_PT2_iSC_SC_, .Lfunc_end1291-_Z38paged_attention_ll4mi_QKV_mfma4_kernelI14__hip_bfloat16hLN4vllm18Fp8KVCacheDataTypeE1ES0_Li16ELi128ELi256ELb1ELi2EEvPKT_PKT0_S8_ifPKiSA_SA_iPKfiiiPfSD_PS3_PT2_iSC_SC_
                                        ; -- End function
	.set _Z38paged_attention_ll4mi_QKV_mfma4_kernelI14__hip_bfloat16hLN4vllm18Fp8KVCacheDataTypeE1ES0_Li16ELi128ELi256ELb1ELi2EEvPKT_PKT0_S8_ifPKiSA_SA_iPKfiiiPfSD_PS3_PT2_iSC_SC_.num_vgpr, max(3, .L__assert_fail.num_vgpr)
	.set _Z38paged_attention_ll4mi_QKV_mfma4_kernelI14__hip_bfloat16hLN4vllm18Fp8KVCacheDataTypeE1ES0_Li16ELi128ELi256ELb1ELi2EEvPKT_PKT0_S8_ifPKiSA_SA_iPKfiiiPfSD_PS3_PT2_iSC_SC_.num_agpr, max(0, .L__assert_fail.num_agpr)
	.set _Z38paged_attention_ll4mi_QKV_mfma4_kernelI14__hip_bfloat16hLN4vllm18Fp8KVCacheDataTypeE1ES0_Li16ELi128ELi256ELb1ELi2EEvPKT_PKT0_S8_ifPKiSA_SA_iPKfiiiPfSD_PS3_PT2_iSC_SC_.numbered_sgpr, max(33, .L__assert_fail.numbered_sgpr)
	.set _Z38paged_attention_ll4mi_QKV_mfma4_kernelI14__hip_bfloat16hLN4vllm18Fp8KVCacheDataTypeE1ES0_Li16ELi128ELi256ELb1ELi2EEvPKT_PKT0_S8_ifPKiSA_SA_iPKfiiiPfSD_PS3_PT2_iSC_SC_.num_named_barrier, max(0, .L__assert_fail.num_named_barrier)
	.set _Z38paged_attention_ll4mi_QKV_mfma4_kernelI14__hip_bfloat16hLN4vllm18Fp8KVCacheDataTypeE1ES0_Li16ELi128ELi256ELb1ELi2EEvPKT_PKT0_S8_ifPKiSA_SA_iPKfiiiPfSD_PS3_PT2_iSC_SC_.private_seg_size, 0+max(.L__assert_fail.private_seg_size)
	.set _Z38paged_attention_ll4mi_QKV_mfma4_kernelI14__hip_bfloat16hLN4vllm18Fp8KVCacheDataTypeE1ES0_Li16ELi128ELi256ELb1ELi2EEvPKT_PKT0_S8_ifPKiSA_SA_iPKfiiiPfSD_PS3_PT2_iSC_SC_.uses_vcc, or(1, .L__assert_fail.uses_vcc)
	.set _Z38paged_attention_ll4mi_QKV_mfma4_kernelI14__hip_bfloat16hLN4vllm18Fp8KVCacheDataTypeE1ES0_Li16ELi128ELi256ELb1ELi2EEvPKT_PKT0_S8_ifPKiSA_SA_iPKfiiiPfSD_PS3_PT2_iSC_SC_.uses_flat_scratch, or(0, .L__assert_fail.uses_flat_scratch)
	.set _Z38paged_attention_ll4mi_QKV_mfma4_kernelI14__hip_bfloat16hLN4vllm18Fp8KVCacheDataTypeE1ES0_Li16ELi128ELi256ELb1ELi2EEvPKT_PKT0_S8_ifPKiSA_SA_iPKfiiiPfSD_PS3_PT2_iSC_SC_.has_dyn_sized_stack, or(0, .L__assert_fail.has_dyn_sized_stack)
	.set _Z38paged_attention_ll4mi_QKV_mfma4_kernelI14__hip_bfloat16hLN4vllm18Fp8KVCacheDataTypeE1ES0_Li16ELi128ELi256ELb1ELi2EEvPKT_PKT0_S8_ifPKiSA_SA_iPKfiiiPfSD_PS3_PT2_iSC_SC_.has_recursion, or(0, .L__assert_fail.has_recursion)
	.set _Z38paged_attention_ll4mi_QKV_mfma4_kernelI14__hip_bfloat16hLN4vllm18Fp8KVCacheDataTypeE1ES0_Li16ELi128ELi256ELb1ELi2EEvPKT_PKT0_S8_ifPKiSA_SA_iPKfiiiPfSD_PS3_PT2_iSC_SC_.has_indirect_call, or(0, .L__assert_fail.has_indirect_call)
	.section	.AMDGPU.csdata,"",@progbits
; Kernel info:
; codeLenInByte = 68
; TotalNumSgprs: 36
; NumVgprs: 51
; ScratchSize: 64
; MemoryBound: 0
; FloatMode: 240
; IeeeMode: 1
; LDSByteSize: 0 bytes/workgroup (compile time only)
; SGPRBlocks: 0
; VGPRBlocks: 3
; NumSGPRsForWavesPerEU: 36
; NumVGPRsForWavesPerEU: 51
; NamedBarCnt: 0
; Occupancy: 16
; WaveLimiterHint : 1
; COMPUTE_PGM_RSRC2:SCRATCH_EN: 1
; COMPUTE_PGM_RSRC2:USER_SGPR: 2
; COMPUTE_PGM_RSRC2:TRAP_HANDLER: 0
; COMPUTE_PGM_RSRC2:TGID_X_EN: 1
; COMPUTE_PGM_RSRC2:TGID_Y_EN: 0
; COMPUTE_PGM_RSRC2:TGID_Z_EN: 0
; COMPUTE_PGM_RSRC2:TIDIG_COMP_CNT: 0
	.section	.text._Z38paged_attention_ll4mi_QKV_mfma4_kernelI14__hip_bfloat16hLN4vllm18Fp8KVCacheDataTypeE1ES0_Li16ELi128ELi256ELb1ELi3EEvPKT_PKT0_S8_ifPKiSA_SA_iPKfiiiPfSD_PS3_PT2_iSC_SC_,"axG",@progbits,_Z38paged_attention_ll4mi_QKV_mfma4_kernelI14__hip_bfloat16hLN4vllm18Fp8KVCacheDataTypeE1ES0_Li16ELi128ELi256ELb1ELi3EEvPKT_PKT0_S8_ifPKiSA_SA_iPKfiiiPfSD_PS3_PT2_iSC_SC_,comdat
	.protected	_Z38paged_attention_ll4mi_QKV_mfma4_kernelI14__hip_bfloat16hLN4vllm18Fp8KVCacheDataTypeE1ES0_Li16ELi128ELi256ELb1ELi3EEvPKT_PKT0_S8_ifPKiSA_SA_iPKfiiiPfSD_PS3_PT2_iSC_SC_ ; -- Begin function _Z38paged_attention_ll4mi_QKV_mfma4_kernelI14__hip_bfloat16hLN4vllm18Fp8KVCacheDataTypeE1ES0_Li16ELi128ELi256ELb1ELi3EEvPKT_PKT0_S8_ifPKiSA_SA_iPKfiiiPfSD_PS3_PT2_iSC_SC_
	.globl	_Z38paged_attention_ll4mi_QKV_mfma4_kernelI14__hip_bfloat16hLN4vllm18Fp8KVCacheDataTypeE1ES0_Li16ELi128ELi256ELb1ELi3EEvPKT_PKT0_S8_ifPKiSA_SA_iPKfiiiPfSD_PS3_PT2_iSC_SC_
	.p2align	8
	.type	_Z38paged_attention_ll4mi_QKV_mfma4_kernelI14__hip_bfloat16hLN4vllm18Fp8KVCacheDataTypeE1ES0_Li16ELi128ELi256ELb1ELi3EEvPKT_PKT0_S8_ifPKiSA_SA_iPKfiiiPfSD_PS3_PT2_iSC_SC_,@function
_Z38paged_attention_ll4mi_QKV_mfma4_kernelI14__hip_bfloat16hLN4vllm18Fp8KVCacheDataTypeE1ES0_Li16ELi128ELi256ELb1ELi3EEvPKT_PKT0_S8_ifPKiSA_SA_iPKfiiiPfSD_PS3_PT2_iSC_SC_: ; @_Z38paged_attention_ll4mi_QKV_mfma4_kernelI14__hip_bfloat16hLN4vllm18Fp8KVCacheDataTypeE1ES0_Li16ELi128ELi256ELb1ELi3EEvPKT_PKT0_S8_ifPKiSA_SA_iPKfiiiPfSD_PS3_PT2_iSC_SC_
; %bb.0:
	s_get_pc_i64 s[2:3]
	s_add_nc_u64 s[2:3], s[2:3], __PRETTY_FUNCTION__._Z38paged_attention_ll4mi_QKV_mfma4_kernelI14__hip_bfloat16hLN4vllm18Fp8KVCacheDataTypeE1ES0_Li16ELi128ELi256ELb1ELi3EEvPKT_PKT0_S8_ifPKiSA_SA_iPKfiiiPfSD_PS3_PT2_iSC_SC_@rel64+4
	s_delay_alu instid0(SALU_CYCLE_1)
	v_dual_mov_b32 v0, 0xbce :: v_dual_mov_b32 v1, s2
	v_mov_b32_e32 v2, s3
	s_add_nc_u64 s[8:9], s[0:1], 0x90
	s_get_pc_i64 s[0:1]
	s_add_nc_u64 s[0:1], s[0:1], __assert_fail@rel64+4
	s_mov_b32 s32, 0
	s_swap_pc_i64 s[30:31], s[0:1]
	.section	.rodata,"a",@progbits
	.p2align	6, 0x0
	.amdhsa_kernel _Z38paged_attention_ll4mi_QKV_mfma4_kernelI14__hip_bfloat16hLN4vllm18Fp8KVCacheDataTypeE1ES0_Li16ELi128ELi256ELb1ELi3EEvPKT_PKT0_S8_ifPKiSA_SA_iPKfiiiPfSD_PS3_PT2_iSC_SC_
		.amdhsa_group_segment_fixed_size 0
		.amdhsa_private_segment_fixed_size 64
		.amdhsa_kernarg_size 400
		.amdhsa_user_sgpr_count 2
		.amdhsa_user_sgpr_dispatch_ptr 0
		.amdhsa_user_sgpr_queue_ptr 0
		.amdhsa_user_sgpr_kernarg_segment_ptr 1
		.amdhsa_user_sgpr_dispatch_id 0
		.amdhsa_user_sgpr_kernarg_preload_length 0
		.amdhsa_user_sgpr_kernarg_preload_offset 0
		.amdhsa_user_sgpr_private_segment_size 0
		.amdhsa_wavefront_size32 1
		.amdhsa_uses_dynamic_stack 0
		.amdhsa_enable_private_segment 1
		.amdhsa_system_sgpr_workgroup_id_x 1
		.amdhsa_system_sgpr_workgroup_id_y 0
		.amdhsa_system_sgpr_workgroup_id_z 0
		.amdhsa_system_sgpr_workgroup_info 0
		.amdhsa_system_vgpr_workitem_id 0
		.amdhsa_next_free_vgpr 51
		.amdhsa_next_free_sgpr 34
		.amdhsa_named_barrier_count 0
		.amdhsa_reserve_vcc 1
		.amdhsa_float_round_mode_32 0
		.amdhsa_float_round_mode_16_64 0
		.amdhsa_float_denorm_mode_32 3
		.amdhsa_float_denorm_mode_16_64 3
		.amdhsa_fp16_overflow 0
		.amdhsa_memory_ordered 1
		.amdhsa_forward_progress 1
		.amdhsa_inst_pref_size 1
		.amdhsa_round_robin_scheduling 0
		.amdhsa_exception_fp_ieee_invalid_op 0
		.amdhsa_exception_fp_denorm_src 0
		.amdhsa_exception_fp_ieee_div_zero 0
		.amdhsa_exception_fp_ieee_overflow 0
		.amdhsa_exception_fp_ieee_underflow 0
		.amdhsa_exception_fp_ieee_inexact 0
		.amdhsa_exception_int_div_zero 0
	.end_amdhsa_kernel
	.section	.text._Z38paged_attention_ll4mi_QKV_mfma4_kernelI14__hip_bfloat16hLN4vllm18Fp8KVCacheDataTypeE1ES0_Li16ELi128ELi256ELb1ELi3EEvPKT_PKT0_S8_ifPKiSA_SA_iPKfiiiPfSD_PS3_PT2_iSC_SC_,"axG",@progbits,_Z38paged_attention_ll4mi_QKV_mfma4_kernelI14__hip_bfloat16hLN4vllm18Fp8KVCacheDataTypeE1ES0_Li16ELi128ELi256ELb1ELi3EEvPKT_PKT0_S8_ifPKiSA_SA_iPKfiiiPfSD_PS3_PT2_iSC_SC_,comdat
.Lfunc_end1292:
	.size	_Z38paged_attention_ll4mi_QKV_mfma4_kernelI14__hip_bfloat16hLN4vllm18Fp8KVCacheDataTypeE1ES0_Li16ELi128ELi256ELb1ELi3EEvPKT_PKT0_S8_ifPKiSA_SA_iPKfiiiPfSD_PS3_PT2_iSC_SC_, .Lfunc_end1292-_Z38paged_attention_ll4mi_QKV_mfma4_kernelI14__hip_bfloat16hLN4vllm18Fp8KVCacheDataTypeE1ES0_Li16ELi128ELi256ELb1ELi3EEvPKT_PKT0_S8_ifPKiSA_SA_iPKfiiiPfSD_PS3_PT2_iSC_SC_
                                        ; -- End function
	.set _Z38paged_attention_ll4mi_QKV_mfma4_kernelI14__hip_bfloat16hLN4vllm18Fp8KVCacheDataTypeE1ES0_Li16ELi128ELi256ELb1ELi3EEvPKT_PKT0_S8_ifPKiSA_SA_iPKfiiiPfSD_PS3_PT2_iSC_SC_.num_vgpr, max(3, .L__assert_fail.num_vgpr)
	.set _Z38paged_attention_ll4mi_QKV_mfma4_kernelI14__hip_bfloat16hLN4vllm18Fp8KVCacheDataTypeE1ES0_Li16ELi128ELi256ELb1ELi3EEvPKT_PKT0_S8_ifPKiSA_SA_iPKfiiiPfSD_PS3_PT2_iSC_SC_.num_agpr, max(0, .L__assert_fail.num_agpr)
	.set _Z38paged_attention_ll4mi_QKV_mfma4_kernelI14__hip_bfloat16hLN4vllm18Fp8KVCacheDataTypeE1ES0_Li16ELi128ELi256ELb1ELi3EEvPKT_PKT0_S8_ifPKiSA_SA_iPKfiiiPfSD_PS3_PT2_iSC_SC_.numbered_sgpr, max(33, .L__assert_fail.numbered_sgpr)
	.set _Z38paged_attention_ll4mi_QKV_mfma4_kernelI14__hip_bfloat16hLN4vllm18Fp8KVCacheDataTypeE1ES0_Li16ELi128ELi256ELb1ELi3EEvPKT_PKT0_S8_ifPKiSA_SA_iPKfiiiPfSD_PS3_PT2_iSC_SC_.num_named_barrier, max(0, .L__assert_fail.num_named_barrier)
	.set _Z38paged_attention_ll4mi_QKV_mfma4_kernelI14__hip_bfloat16hLN4vllm18Fp8KVCacheDataTypeE1ES0_Li16ELi128ELi256ELb1ELi3EEvPKT_PKT0_S8_ifPKiSA_SA_iPKfiiiPfSD_PS3_PT2_iSC_SC_.private_seg_size, 0+max(.L__assert_fail.private_seg_size)
	.set _Z38paged_attention_ll4mi_QKV_mfma4_kernelI14__hip_bfloat16hLN4vllm18Fp8KVCacheDataTypeE1ES0_Li16ELi128ELi256ELb1ELi3EEvPKT_PKT0_S8_ifPKiSA_SA_iPKfiiiPfSD_PS3_PT2_iSC_SC_.uses_vcc, or(1, .L__assert_fail.uses_vcc)
	.set _Z38paged_attention_ll4mi_QKV_mfma4_kernelI14__hip_bfloat16hLN4vllm18Fp8KVCacheDataTypeE1ES0_Li16ELi128ELi256ELb1ELi3EEvPKT_PKT0_S8_ifPKiSA_SA_iPKfiiiPfSD_PS3_PT2_iSC_SC_.uses_flat_scratch, or(0, .L__assert_fail.uses_flat_scratch)
	.set _Z38paged_attention_ll4mi_QKV_mfma4_kernelI14__hip_bfloat16hLN4vllm18Fp8KVCacheDataTypeE1ES0_Li16ELi128ELi256ELb1ELi3EEvPKT_PKT0_S8_ifPKiSA_SA_iPKfiiiPfSD_PS3_PT2_iSC_SC_.has_dyn_sized_stack, or(0, .L__assert_fail.has_dyn_sized_stack)
	.set _Z38paged_attention_ll4mi_QKV_mfma4_kernelI14__hip_bfloat16hLN4vllm18Fp8KVCacheDataTypeE1ES0_Li16ELi128ELi256ELb1ELi3EEvPKT_PKT0_S8_ifPKiSA_SA_iPKfiiiPfSD_PS3_PT2_iSC_SC_.has_recursion, or(0, .L__assert_fail.has_recursion)
	.set _Z38paged_attention_ll4mi_QKV_mfma4_kernelI14__hip_bfloat16hLN4vllm18Fp8KVCacheDataTypeE1ES0_Li16ELi128ELi256ELb1ELi3EEvPKT_PKT0_S8_ifPKiSA_SA_iPKfiiiPfSD_PS3_PT2_iSC_SC_.has_indirect_call, or(0, .L__assert_fail.has_indirect_call)
	.section	.AMDGPU.csdata,"",@progbits
; Kernel info:
; codeLenInByte = 68
; TotalNumSgprs: 36
; NumVgprs: 51
; ScratchSize: 64
; MemoryBound: 0
; FloatMode: 240
; IeeeMode: 1
; LDSByteSize: 0 bytes/workgroup (compile time only)
; SGPRBlocks: 0
; VGPRBlocks: 3
; NumSGPRsForWavesPerEU: 36
; NumVGPRsForWavesPerEU: 51
; NamedBarCnt: 0
; Occupancy: 16
; WaveLimiterHint : 1
; COMPUTE_PGM_RSRC2:SCRATCH_EN: 1
; COMPUTE_PGM_RSRC2:USER_SGPR: 2
; COMPUTE_PGM_RSRC2:TRAP_HANDLER: 0
; COMPUTE_PGM_RSRC2:TGID_X_EN: 1
; COMPUTE_PGM_RSRC2:TGID_Y_EN: 0
; COMPUTE_PGM_RSRC2:TGID_Z_EN: 0
; COMPUTE_PGM_RSRC2:TIDIG_COMP_CNT: 0
	.section	.text._Z38paged_attention_ll4mi_QKV_mfma4_kernelI14__hip_bfloat16hLN4vllm18Fp8KVCacheDataTypeE1ES0_Li16ELi128ELi256ELb1ELi4EEvPKT_PKT0_S8_ifPKiSA_SA_iPKfiiiPfSD_PS3_PT2_iSC_SC_,"axG",@progbits,_Z38paged_attention_ll4mi_QKV_mfma4_kernelI14__hip_bfloat16hLN4vllm18Fp8KVCacheDataTypeE1ES0_Li16ELi128ELi256ELb1ELi4EEvPKT_PKT0_S8_ifPKiSA_SA_iPKfiiiPfSD_PS3_PT2_iSC_SC_,comdat
	.protected	_Z38paged_attention_ll4mi_QKV_mfma4_kernelI14__hip_bfloat16hLN4vllm18Fp8KVCacheDataTypeE1ES0_Li16ELi128ELi256ELb1ELi4EEvPKT_PKT0_S8_ifPKiSA_SA_iPKfiiiPfSD_PS3_PT2_iSC_SC_ ; -- Begin function _Z38paged_attention_ll4mi_QKV_mfma4_kernelI14__hip_bfloat16hLN4vllm18Fp8KVCacheDataTypeE1ES0_Li16ELi128ELi256ELb1ELi4EEvPKT_PKT0_S8_ifPKiSA_SA_iPKfiiiPfSD_PS3_PT2_iSC_SC_
	.globl	_Z38paged_attention_ll4mi_QKV_mfma4_kernelI14__hip_bfloat16hLN4vllm18Fp8KVCacheDataTypeE1ES0_Li16ELi128ELi256ELb1ELi4EEvPKT_PKT0_S8_ifPKiSA_SA_iPKfiiiPfSD_PS3_PT2_iSC_SC_
	.p2align	8
	.type	_Z38paged_attention_ll4mi_QKV_mfma4_kernelI14__hip_bfloat16hLN4vllm18Fp8KVCacheDataTypeE1ES0_Li16ELi128ELi256ELb1ELi4EEvPKT_PKT0_S8_ifPKiSA_SA_iPKfiiiPfSD_PS3_PT2_iSC_SC_,@function
_Z38paged_attention_ll4mi_QKV_mfma4_kernelI14__hip_bfloat16hLN4vllm18Fp8KVCacheDataTypeE1ES0_Li16ELi128ELi256ELb1ELi4EEvPKT_PKT0_S8_ifPKiSA_SA_iPKfiiiPfSD_PS3_PT2_iSC_SC_: ; @_Z38paged_attention_ll4mi_QKV_mfma4_kernelI14__hip_bfloat16hLN4vllm18Fp8KVCacheDataTypeE1ES0_Li16ELi128ELi256ELb1ELi4EEvPKT_PKT0_S8_ifPKiSA_SA_iPKfiiiPfSD_PS3_PT2_iSC_SC_
; %bb.0:
	s_get_pc_i64 s[2:3]
	s_add_nc_u64 s[2:3], s[2:3], __PRETTY_FUNCTION__._Z38paged_attention_ll4mi_QKV_mfma4_kernelI14__hip_bfloat16hLN4vllm18Fp8KVCacheDataTypeE1ES0_Li16ELi128ELi256ELb1ELi4EEvPKT_PKT0_S8_ifPKiSA_SA_iPKfiiiPfSD_PS3_PT2_iSC_SC_@rel64+4
	s_delay_alu instid0(SALU_CYCLE_1)
	v_dual_mov_b32 v0, 0xbce :: v_dual_mov_b32 v1, s2
	v_mov_b32_e32 v2, s3
	s_add_nc_u64 s[8:9], s[0:1], 0x90
	s_get_pc_i64 s[0:1]
	s_add_nc_u64 s[0:1], s[0:1], __assert_fail@rel64+4
	s_mov_b32 s32, 0
	s_swap_pc_i64 s[30:31], s[0:1]
	.section	.rodata,"a",@progbits
	.p2align	6, 0x0
	.amdhsa_kernel _Z38paged_attention_ll4mi_QKV_mfma4_kernelI14__hip_bfloat16hLN4vllm18Fp8KVCacheDataTypeE1ES0_Li16ELi128ELi256ELb1ELi4EEvPKT_PKT0_S8_ifPKiSA_SA_iPKfiiiPfSD_PS3_PT2_iSC_SC_
		.amdhsa_group_segment_fixed_size 0
		.amdhsa_private_segment_fixed_size 64
		.amdhsa_kernarg_size 400
		.amdhsa_user_sgpr_count 2
		.amdhsa_user_sgpr_dispatch_ptr 0
		.amdhsa_user_sgpr_queue_ptr 0
		.amdhsa_user_sgpr_kernarg_segment_ptr 1
		.amdhsa_user_sgpr_dispatch_id 0
		.amdhsa_user_sgpr_kernarg_preload_length 0
		.amdhsa_user_sgpr_kernarg_preload_offset 0
		.amdhsa_user_sgpr_private_segment_size 0
		.amdhsa_wavefront_size32 1
		.amdhsa_uses_dynamic_stack 0
		.amdhsa_enable_private_segment 1
		.amdhsa_system_sgpr_workgroup_id_x 1
		.amdhsa_system_sgpr_workgroup_id_y 0
		.amdhsa_system_sgpr_workgroup_id_z 0
		.amdhsa_system_sgpr_workgroup_info 0
		.amdhsa_system_vgpr_workitem_id 0
		.amdhsa_next_free_vgpr 51
		.amdhsa_next_free_sgpr 34
		.amdhsa_named_barrier_count 0
		.amdhsa_reserve_vcc 1
		.amdhsa_float_round_mode_32 0
		.amdhsa_float_round_mode_16_64 0
		.amdhsa_float_denorm_mode_32 3
		.amdhsa_float_denorm_mode_16_64 3
		.amdhsa_fp16_overflow 0
		.amdhsa_memory_ordered 1
		.amdhsa_forward_progress 1
		.amdhsa_inst_pref_size 1
		.amdhsa_round_robin_scheduling 0
		.amdhsa_exception_fp_ieee_invalid_op 0
		.amdhsa_exception_fp_denorm_src 0
		.amdhsa_exception_fp_ieee_div_zero 0
		.amdhsa_exception_fp_ieee_overflow 0
		.amdhsa_exception_fp_ieee_underflow 0
		.amdhsa_exception_fp_ieee_inexact 0
		.amdhsa_exception_int_div_zero 0
	.end_amdhsa_kernel
	.section	.text._Z38paged_attention_ll4mi_QKV_mfma4_kernelI14__hip_bfloat16hLN4vllm18Fp8KVCacheDataTypeE1ES0_Li16ELi128ELi256ELb1ELi4EEvPKT_PKT0_S8_ifPKiSA_SA_iPKfiiiPfSD_PS3_PT2_iSC_SC_,"axG",@progbits,_Z38paged_attention_ll4mi_QKV_mfma4_kernelI14__hip_bfloat16hLN4vllm18Fp8KVCacheDataTypeE1ES0_Li16ELi128ELi256ELb1ELi4EEvPKT_PKT0_S8_ifPKiSA_SA_iPKfiiiPfSD_PS3_PT2_iSC_SC_,comdat
.Lfunc_end1293:
	.size	_Z38paged_attention_ll4mi_QKV_mfma4_kernelI14__hip_bfloat16hLN4vllm18Fp8KVCacheDataTypeE1ES0_Li16ELi128ELi256ELb1ELi4EEvPKT_PKT0_S8_ifPKiSA_SA_iPKfiiiPfSD_PS3_PT2_iSC_SC_, .Lfunc_end1293-_Z38paged_attention_ll4mi_QKV_mfma4_kernelI14__hip_bfloat16hLN4vllm18Fp8KVCacheDataTypeE1ES0_Li16ELi128ELi256ELb1ELi4EEvPKT_PKT0_S8_ifPKiSA_SA_iPKfiiiPfSD_PS3_PT2_iSC_SC_
                                        ; -- End function
	.set _Z38paged_attention_ll4mi_QKV_mfma4_kernelI14__hip_bfloat16hLN4vllm18Fp8KVCacheDataTypeE1ES0_Li16ELi128ELi256ELb1ELi4EEvPKT_PKT0_S8_ifPKiSA_SA_iPKfiiiPfSD_PS3_PT2_iSC_SC_.num_vgpr, max(3, .L__assert_fail.num_vgpr)
	.set _Z38paged_attention_ll4mi_QKV_mfma4_kernelI14__hip_bfloat16hLN4vllm18Fp8KVCacheDataTypeE1ES0_Li16ELi128ELi256ELb1ELi4EEvPKT_PKT0_S8_ifPKiSA_SA_iPKfiiiPfSD_PS3_PT2_iSC_SC_.num_agpr, max(0, .L__assert_fail.num_agpr)
	.set _Z38paged_attention_ll4mi_QKV_mfma4_kernelI14__hip_bfloat16hLN4vllm18Fp8KVCacheDataTypeE1ES0_Li16ELi128ELi256ELb1ELi4EEvPKT_PKT0_S8_ifPKiSA_SA_iPKfiiiPfSD_PS3_PT2_iSC_SC_.numbered_sgpr, max(33, .L__assert_fail.numbered_sgpr)
	.set _Z38paged_attention_ll4mi_QKV_mfma4_kernelI14__hip_bfloat16hLN4vllm18Fp8KVCacheDataTypeE1ES0_Li16ELi128ELi256ELb1ELi4EEvPKT_PKT0_S8_ifPKiSA_SA_iPKfiiiPfSD_PS3_PT2_iSC_SC_.num_named_barrier, max(0, .L__assert_fail.num_named_barrier)
	.set _Z38paged_attention_ll4mi_QKV_mfma4_kernelI14__hip_bfloat16hLN4vllm18Fp8KVCacheDataTypeE1ES0_Li16ELi128ELi256ELb1ELi4EEvPKT_PKT0_S8_ifPKiSA_SA_iPKfiiiPfSD_PS3_PT2_iSC_SC_.private_seg_size, 0+max(.L__assert_fail.private_seg_size)
	.set _Z38paged_attention_ll4mi_QKV_mfma4_kernelI14__hip_bfloat16hLN4vllm18Fp8KVCacheDataTypeE1ES0_Li16ELi128ELi256ELb1ELi4EEvPKT_PKT0_S8_ifPKiSA_SA_iPKfiiiPfSD_PS3_PT2_iSC_SC_.uses_vcc, or(1, .L__assert_fail.uses_vcc)
	.set _Z38paged_attention_ll4mi_QKV_mfma4_kernelI14__hip_bfloat16hLN4vllm18Fp8KVCacheDataTypeE1ES0_Li16ELi128ELi256ELb1ELi4EEvPKT_PKT0_S8_ifPKiSA_SA_iPKfiiiPfSD_PS3_PT2_iSC_SC_.uses_flat_scratch, or(0, .L__assert_fail.uses_flat_scratch)
	.set _Z38paged_attention_ll4mi_QKV_mfma4_kernelI14__hip_bfloat16hLN4vllm18Fp8KVCacheDataTypeE1ES0_Li16ELi128ELi256ELb1ELi4EEvPKT_PKT0_S8_ifPKiSA_SA_iPKfiiiPfSD_PS3_PT2_iSC_SC_.has_dyn_sized_stack, or(0, .L__assert_fail.has_dyn_sized_stack)
	.set _Z38paged_attention_ll4mi_QKV_mfma4_kernelI14__hip_bfloat16hLN4vllm18Fp8KVCacheDataTypeE1ES0_Li16ELi128ELi256ELb1ELi4EEvPKT_PKT0_S8_ifPKiSA_SA_iPKfiiiPfSD_PS3_PT2_iSC_SC_.has_recursion, or(0, .L__assert_fail.has_recursion)
	.set _Z38paged_attention_ll4mi_QKV_mfma4_kernelI14__hip_bfloat16hLN4vllm18Fp8KVCacheDataTypeE1ES0_Li16ELi128ELi256ELb1ELi4EEvPKT_PKT0_S8_ifPKiSA_SA_iPKfiiiPfSD_PS3_PT2_iSC_SC_.has_indirect_call, or(0, .L__assert_fail.has_indirect_call)
	.section	.AMDGPU.csdata,"",@progbits
; Kernel info:
; codeLenInByte = 68
; TotalNumSgprs: 36
; NumVgprs: 51
; ScratchSize: 64
; MemoryBound: 0
; FloatMode: 240
; IeeeMode: 1
; LDSByteSize: 0 bytes/workgroup (compile time only)
; SGPRBlocks: 0
; VGPRBlocks: 3
; NumSGPRsForWavesPerEU: 36
; NumVGPRsForWavesPerEU: 51
; NamedBarCnt: 0
; Occupancy: 16
; WaveLimiterHint : 1
; COMPUTE_PGM_RSRC2:SCRATCH_EN: 1
; COMPUTE_PGM_RSRC2:USER_SGPR: 2
; COMPUTE_PGM_RSRC2:TRAP_HANDLER: 0
; COMPUTE_PGM_RSRC2:TGID_X_EN: 1
; COMPUTE_PGM_RSRC2:TGID_Y_EN: 0
; COMPUTE_PGM_RSRC2:TGID_Z_EN: 0
; COMPUTE_PGM_RSRC2:TIDIG_COMP_CNT: 0
	.section	.text._Z39paged_attention_ll4mi_QKV_mfma16_kernelI14__hip_bfloat16hLN4vllm18Fp8KVCacheDataTypeE1ES0_Li16ELi128ELi256ELb1ELi5EEvPKT_PKT0_S8_ifPKiSA_SA_iPKfiiiPfSD_PS3_PT2_iSC_SC_,"axG",@progbits,_Z39paged_attention_ll4mi_QKV_mfma16_kernelI14__hip_bfloat16hLN4vllm18Fp8KVCacheDataTypeE1ES0_Li16ELi128ELi256ELb1ELi5EEvPKT_PKT0_S8_ifPKiSA_SA_iPKfiiiPfSD_PS3_PT2_iSC_SC_,comdat
	.protected	_Z39paged_attention_ll4mi_QKV_mfma16_kernelI14__hip_bfloat16hLN4vllm18Fp8KVCacheDataTypeE1ES0_Li16ELi128ELi256ELb1ELi5EEvPKT_PKT0_S8_ifPKiSA_SA_iPKfiiiPfSD_PS3_PT2_iSC_SC_ ; -- Begin function _Z39paged_attention_ll4mi_QKV_mfma16_kernelI14__hip_bfloat16hLN4vllm18Fp8KVCacheDataTypeE1ES0_Li16ELi128ELi256ELb1ELi5EEvPKT_PKT0_S8_ifPKiSA_SA_iPKfiiiPfSD_PS3_PT2_iSC_SC_
	.globl	_Z39paged_attention_ll4mi_QKV_mfma16_kernelI14__hip_bfloat16hLN4vllm18Fp8KVCacheDataTypeE1ES0_Li16ELi128ELi256ELb1ELi5EEvPKT_PKT0_S8_ifPKiSA_SA_iPKfiiiPfSD_PS3_PT2_iSC_SC_
	.p2align	8
	.type	_Z39paged_attention_ll4mi_QKV_mfma16_kernelI14__hip_bfloat16hLN4vllm18Fp8KVCacheDataTypeE1ES0_Li16ELi128ELi256ELb1ELi5EEvPKT_PKT0_S8_ifPKiSA_SA_iPKfiiiPfSD_PS3_PT2_iSC_SC_,@function
_Z39paged_attention_ll4mi_QKV_mfma16_kernelI14__hip_bfloat16hLN4vllm18Fp8KVCacheDataTypeE1ES0_Li16ELi128ELi256ELb1ELi5EEvPKT_PKT0_S8_ifPKiSA_SA_iPKfiiiPfSD_PS3_PT2_iSC_SC_: ; @_Z39paged_attention_ll4mi_QKV_mfma16_kernelI14__hip_bfloat16hLN4vllm18Fp8KVCacheDataTypeE1ES0_Li16ELi128ELi256ELb1ELi5EEvPKT_PKT0_S8_ifPKiSA_SA_iPKfiiiPfSD_PS3_PT2_iSC_SC_
; %bb.0:
	s_get_pc_i64 s[2:3]
	s_add_nc_u64 s[2:3], s[2:3], __PRETTY_FUNCTION__._Z39paged_attention_ll4mi_QKV_mfma16_kernelI14__hip_bfloat16hLN4vllm18Fp8KVCacheDataTypeE1ES0_Li16ELi128ELi256ELb1ELi5EEvPKT_PKT0_S8_ifPKiSA_SA_iPKfiiiPfSD_PS3_PT2_iSC_SC_@rel64+4
	s_delay_alu instid0(SALU_CYCLE_1)
	v_dual_mov_b32 v0, 0xbb3 :: v_dual_mov_b32 v1, s2
	v_mov_b32_e32 v2, s3
	s_add_nc_u64 s[8:9], s[0:1], 0x90
	s_get_pc_i64 s[0:1]
	s_add_nc_u64 s[0:1], s[0:1], __assert_fail@rel64+4
	s_mov_b32 s32, 0
	s_swap_pc_i64 s[30:31], s[0:1]
	.section	.rodata,"a",@progbits
	.p2align	6, 0x0
	.amdhsa_kernel _Z39paged_attention_ll4mi_QKV_mfma16_kernelI14__hip_bfloat16hLN4vllm18Fp8KVCacheDataTypeE1ES0_Li16ELi128ELi256ELb1ELi5EEvPKT_PKT0_S8_ifPKiSA_SA_iPKfiiiPfSD_PS3_PT2_iSC_SC_
		.amdhsa_group_segment_fixed_size 0
		.amdhsa_private_segment_fixed_size 64
		.amdhsa_kernarg_size 400
		.amdhsa_user_sgpr_count 2
		.amdhsa_user_sgpr_dispatch_ptr 0
		.amdhsa_user_sgpr_queue_ptr 0
		.amdhsa_user_sgpr_kernarg_segment_ptr 1
		.amdhsa_user_sgpr_dispatch_id 0
		.amdhsa_user_sgpr_kernarg_preload_length 0
		.amdhsa_user_sgpr_kernarg_preload_offset 0
		.amdhsa_user_sgpr_private_segment_size 0
		.amdhsa_wavefront_size32 1
		.amdhsa_uses_dynamic_stack 0
		.amdhsa_enable_private_segment 1
		.amdhsa_system_sgpr_workgroup_id_x 1
		.amdhsa_system_sgpr_workgroup_id_y 0
		.amdhsa_system_sgpr_workgroup_id_z 0
		.amdhsa_system_sgpr_workgroup_info 0
		.amdhsa_system_vgpr_workitem_id 0
		.amdhsa_next_free_vgpr 51
		.amdhsa_next_free_sgpr 34
		.amdhsa_named_barrier_count 0
		.amdhsa_reserve_vcc 1
		.amdhsa_float_round_mode_32 0
		.amdhsa_float_round_mode_16_64 0
		.amdhsa_float_denorm_mode_32 3
		.amdhsa_float_denorm_mode_16_64 3
		.amdhsa_fp16_overflow 0
		.amdhsa_memory_ordered 1
		.amdhsa_forward_progress 1
		.amdhsa_inst_pref_size 1
		.amdhsa_round_robin_scheduling 0
		.amdhsa_exception_fp_ieee_invalid_op 0
		.amdhsa_exception_fp_denorm_src 0
		.amdhsa_exception_fp_ieee_div_zero 0
		.amdhsa_exception_fp_ieee_overflow 0
		.amdhsa_exception_fp_ieee_underflow 0
		.amdhsa_exception_fp_ieee_inexact 0
		.amdhsa_exception_int_div_zero 0
	.end_amdhsa_kernel
	.section	.text._Z39paged_attention_ll4mi_QKV_mfma16_kernelI14__hip_bfloat16hLN4vllm18Fp8KVCacheDataTypeE1ES0_Li16ELi128ELi256ELb1ELi5EEvPKT_PKT0_S8_ifPKiSA_SA_iPKfiiiPfSD_PS3_PT2_iSC_SC_,"axG",@progbits,_Z39paged_attention_ll4mi_QKV_mfma16_kernelI14__hip_bfloat16hLN4vllm18Fp8KVCacheDataTypeE1ES0_Li16ELi128ELi256ELb1ELi5EEvPKT_PKT0_S8_ifPKiSA_SA_iPKfiiiPfSD_PS3_PT2_iSC_SC_,comdat
.Lfunc_end1294:
	.size	_Z39paged_attention_ll4mi_QKV_mfma16_kernelI14__hip_bfloat16hLN4vllm18Fp8KVCacheDataTypeE1ES0_Li16ELi128ELi256ELb1ELi5EEvPKT_PKT0_S8_ifPKiSA_SA_iPKfiiiPfSD_PS3_PT2_iSC_SC_, .Lfunc_end1294-_Z39paged_attention_ll4mi_QKV_mfma16_kernelI14__hip_bfloat16hLN4vllm18Fp8KVCacheDataTypeE1ES0_Li16ELi128ELi256ELb1ELi5EEvPKT_PKT0_S8_ifPKiSA_SA_iPKfiiiPfSD_PS3_PT2_iSC_SC_
                                        ; -- End function
	.set _Z39paged_attention_ll4mi_QKV_mfma16_kernelI14__hip_bfloat16hLN4vllm18Fp8KVCacheDataTypeE1ES0_Li16ELi128ELi256ELb1ELi5EEvPKT_PKT0_S8_ifPKiSA_SA_iPKfiiiPfSD_PS3_PT2_iSC_SC_.num_vgpr, max(3, .L__assert_fail.num_vgpr)
	.set _Z39paged_attention_ll4mi_QKV_mfma16_kernelI14__hip_bfloat16hLN4vllm18Fp8KVCacheDataTypeE1ES0_Li16ELi128ELi256ELb1ELi5EEvPKT_PKT0_S8_ifPKiSA_SA_iPKfiiiPfSD_PS3_PT2_iSC_SC_.num_agpr, max(0, .L__assert_fail.num_agpr)
	.set _Z39paged_attention_ll4mi_QKV_mfma16_kernelI14__hip_bfloat16hLN4vllm18Fp8KVCacheDataTypeE1ES0_Li16ELi128ELi256ELb1ELi5EEvPKT_PKT0_S8_ifPKiSA_SA_iPKfiiiPfSD_PS3_PT2_iSC_SC_.numbered_sgpr, max(33, .L__assert_fail.numbered_sgpr)
	.set _Z39paged_attention_ll4mi_QKV_mfma16_kernelI14__hip_bfloat16hLN4vllm18Fp8KVCacheDataTypeE1ES0_Li16ELi128ELi256ELb1ELi5EEvPKT_PKT0_S8_ifPKiSA_SA_iPKfiiiPfSD_PS3_PT2_iSC_SC_.num_named_barrier, max(0, .L__assert_fail.num_named_barrier)
	.set _Z39paged_attention_ll4mi_QKV_mfma16_kernelI14__hip_bfloat16hLN4vllm18Fp8KVCacheDataTypeE1ES0_Li16ELi128ELi256ELb1ELi5EEvPKT_PKT0_S8_ifPKiSA_SA_iPKfiiiPfSD_PS3_PT2_iSC_SC_.private_seg_size, 0+max(.L__assert_fail.private_seg_size)
	.set _Z39paged_attention_ll4mi_QKV_mfma16_kernelI14__hip_bfloat16hLN4vllm18Fp8KVCacheDataTypeE1ES0_Li16ELi128ELi256ELb1ELi5EEvPKT_PKT0_S8_ifPKiSA_SA_iPKfiiiPfSD_PS3_PT2_iSC_SC_.uses_vcc, or(1, .L__assert_fail.uses_vcc)
	.set _Z39paged_attention_ll4mi_QKV_mfma16_kernelI14__hip_bfloat16hLN4vllm18Fp8KVCacheDataTypeE1ES0_Li16ELi128ELi256ELb1ELi5EEvPKT_PKT0_S8_ifPKiSA_SA_iPKfiiiPfSD_PS3_PT2_iSC_SC_.uses_flat_scratch, or(0, .L__assert_fail.uses_flat_scratch)
	.set _Z39paged_attention_ll4mi_QKV_mfma16_kernelI14__hip_bfloat16hLN4vllm18Fp8KVCacheDataTypeE1ES0_Li16ELi128ELi256ELb1ELi5EEvPKT_PKT0_S8_ifPKiSA_SA_iPKfiiiPfSD_PS3_PT2_iSC_SC_.has_dyn_sized_stack, or(0, .L__assert_fail.has_dyn_sized_stack)
	.set _Z39paged_attention_ll4mi_QKV_mfma16_kernelI14__hip_bfloat16hLN4vllm18Fp8KVCacheDataTypeE1ES0_Li16ELi128ELi256ELb1ELi5EEvPKT_PKT0_S8_ifPKiSA_SA_iPKfiiiPfSD_PS3_PT2_iSC_SC_.has_recursion, or(0, .L__assert_fail.has_recursion)
	.set _Z39paged_attention_ll4mi_QKV_mfma16_kernelI14__hip_bfloat16hLN4vllm18Fp8KVCacheDataTypeE1ES0_Li16ELi128ELi256ELb1ELi5EEvPKT_PKT0_S8_ifPKiSA_SA_iPKfiiiPfSD_PS3_PT2_iSC_SC_.has_indirect_call, or(0, .L__assert_fail.has_indirect_call)
	.section	.AMDGPU.csdata,"",@progbits
; Kernel info:
; codeLenInByte = 68
; TotalNumSgprs: 36
; NumVgprs: 51
; ScratchSize: 64
; MemoryBound: 0
; FloatMode: 240
; IeeeMode: 1
; LDSByteSize: 0 bytes/workgroup (compile time only)
; SGPRBlocks: 0
; VGPRBlocks: 3
; NumSGPRsForWavesPerEU: 36
; NumVGPRsForWavesPerEU: 51
; NamedBarCnt: 0
; Occupancy: 16
; WaveLimiterHint : 1
; COMPUTE_PGM_RSRC2:SCRATCH_EN: 1
; COMPUTE_PGM_RSRC2:USER_SGPR: 2
; COMPUTE_PGM_RSRC2:TRAP_HANDLER: 0
; COMPUTE_PGM_RSRC2:TGID_X_EN: 1
; COMPUTE_PGM_RSRC2:TGID_Y_EN: 0
; COMPUTE_PGM_RSRC2:TGID_Z_EN: 0
; COMPUTE_PGM_RSRC2:TIDIG_COMP_CNT: 0
	.section	.text._Z39paged_attention_ll4mi_QKV_mfma16_kernelI14__hip_bfloat16hLN4vllm18Fp8KVCacheDataTypeE1ES0_Li16ELi128ELi256ELb1ELi6EEvPKT_PKT0_S8_ifPKiSA_SA_iPKfiiiPfSD_PS3_PT2_iSC_SC_,"axG",@progbits,_Z39paged_attention_ll4mi_QKV_mfma16_kernelI14__hip_bfloat16hLN4vllm18Fp8KVCacheDataTypeE1ES0_Li16ELi128ELi256ELb1ELi6EEvPKT_PKT0_S8_ifPKiSA_SA_iPKfiiiPfSD_PS3_PT2_iSC_SC_,comdat
	.protected	_Z39paged_attention_ll4mi_QKV_mfma16_kernelI14__hip_bfloat16hLN4vllm18Fp8KVCacheDataTypeE1ES0_Li16ELi128ELi256ELb1ELi6EEvPKT_PKT0_S8_ifPKiSA_SA_iPKfiiiPfSD_PS3_PT2_iSC_SC_ ; -- Begin function _Z39paged_attention_ll4mi_QKV_mfma16_kernelI14__hip_bfloat16hLN4vllm18Fp8KVCacheDataTypeE1ES0_Li16ELi128ELi256ELb1ELi6EEvPKT_PKT0_S8_ifPKiSA_SA_iPKfiiiPfSD_PS3_PT2_iSC_SC_
	.globl	_Z39paged_attention_ll4mi_QKV_mfma16_kernelI14__hip_bfloat16hLN4vllm18Fp8KVCacheDataTypeE1ES0_Li16ELi128ELi256ELb1ELi6EEvPKT_PKT0_S8_ifPKiSA_SA_iPKfiiiPfSD_PS3_PT2_iSC_SC_
	.p2align	8
	.type	_Z39paged_attention_ll4mi_QKV_mfma16_kernelI14__hip_bfloat16hLN4vllm18Fp8KVCacheDataTypeE1ES0_Li16ELi128ELi256ELb1ELi6EEvPKT_PKT0_S8_ifPKiSA_SA_iPKfiiiPfSD_PS3_PT2_iSC_SC_,@function
_Z39paged_attention_ll4mi_QKV_mfma16_kernelI14__hip_bfloat16hLN4vllm18Fp8KVCacheDataTypeE1ES0_Li16ELi128ELi256ELb1ELi6EEvPKT_PKT0_S8_ifPKiSA_SA_iPKfiiiPfSD_PS3_PT2_iSC_SC_: ; @_Z39paged_attention_ll4mi_QKV_mfma16_kernelI14__hip_bfloat16hLN4vllm18Fp8KVCacheDataTypeE1ES0_Li16ELi128ELi256ELb1ELi6EEvPKT_PKT0_S8_ifPKiSA_SA_iPKfiiiPfSD_PS3_PT2_iSC_SC_
; %bb.0:
	s_get_pc_i64 s[2:3]
	s_add_nc_u64 s[2:3], s[2:3], __PRETTY_FUNCTION__._Z39paged_attention_ll4mi_QKV_mfma16_kernelI14__hip_bfloat16hLN4vllm18Fp8KVCacheDataTypeE1ES0_Li16ELi128ELi256ELb1ELi6EEvPKT_PKT0_S8_ifPKiSA_SA_iPKfiiiPfSD_PS3_PT2_iSC_SC_@rel64+4
	s_delay_alu instid0(SALU_CYCLE_1)
	v_dual_mov_b32 v0, 0xbb3 :: v_dual_mov_b32 v1, s2
	v_mov_b32_e32 v2, s3
	s_add_nc_u64 s[8:9], s[0:1], 0x90
	s_get_pc_i64 s[0:1]
	s_add_nc_u64 s[0:1], s[0:1], __assert_fail@rel64+4
	s_mov_b32 s32, 0
	s_swap_pc_i64 s[30:31], s[0:1]
	.section	.rodata,"a",@progbits
	.p2align	6, 0x0
	.amdhsa_kernel _Z39paged_attention_ll4mi_QKV_mfma16_kernelI14__hip_bfloat16hLN4vllm18Fp8KVCacheDataTypeE1ES0_Li16ELi128ELi256ELb1ELi6EEvPKT_PKT0_S8_ifPKiSA_SA_iPKfiiiPfSD_PS3_PT2_iSC_SC_
		.amdhsa_group_segment_fixed_size 0
		.amdhsa_private_segment_fixed_size 64
		.amdhsa_kernarg_size 400
		.amdhsa_user_sgpr_count 2
		.amdhsa_user_sgpr_dispatch_ptr 0
		.amdhsa_user_sgpr_queue_ptr 0
		.amdhsa_user_sgpr_kernarg_segment_ptr 1
		.amdhsa_user_sgpr_dispatch_id 0
		.amdhsa_user_sgpr_kernarg_preload_length 0
		.amdhsa_user_sgpr_kernarg_preload_offset 0
		.amdhsa_user_sgpr_private_segment_size 0
		.amdhsa_wavefront_size32 1
		.amdhsa_uses_dynamic_stack 0
		.amdhsa_enable_private_segment 1
		.amdhsa_system_sgpr_workgroup_id_x 1
		.amdhsa_system_sgpr_workgroup_id_y 0
		.amdhsa_system_sgpr_workgroup_id_z 0
		.amdhsa_system_sgpr_workgroup_info 0
		.amdhsa_system_vgpr_workitem_id 0
		.amdhsa_next_free_vgpr 51
		.amdhsa_next_free_sgpr 34
		.amdhsa_named_barrier_count 0
		.amdhsa_reserve_vcc 1
		.amdhsa_float_round_mode_32 0
		.amdhsa_float_round_mode_16_64 0
		.amdhsa_float_denorm_mode_32 3
		.amdhsa_float_denorm_mode_16_64 3
		.amdhsa_fp16_overflow 0
		.amdhsa_memory_ordered 1
		.amdhsa_forward_progress 1
		.amdhsa_inst_pref_size 1
		.amdhsa_round_robin_scheduling 0
		.amdhsa_exception_fp_ieee_invalid_op 0
		.amdhsa_exception_fp_denorm_src 0
		.amdhsa_exception_fp_ieee_div_zero 0
		.amdhsa_exception_fp_ieee_overflow 0
		.amdhsa_exception_fp_ieee_underflow 0
		.amdhsa_exception_fp_ieee_inexact 0
		.amdhsa_exception_int_div_zero 0
	.end_amdhsa_kernel
	.section	.text._Z39paged_attention_ll4mi_QKV_mfma16_kernelI14__hip_bfloat16hLN4vllm18Fp8KVCacheDataTypeE1ES0_Li16ELi128ELi256ELb1ELi6EEvPKT_PKT0_S8_ifPKiSA_SA_iPKfiiiPfSD_PS3_PT2_iSC_SC_,"axG",@progbits,_Z39paged_attention_ll4mi_QKV_mfma16_kernelI14__hip_bfloat16hLN4vllm18Fp8KVCacheDataTypeE1ES0_Li16ELi128ELi256ELb1ELi6EEvPKT_PKT0_S8_ifPKiSA_SA_iPKfiiiPfSD_PS3_PT2_iSC_SC_,comdat
.Lfunc_end1295:
	.size	_Z39paged_attention_ll4mi_QKV_mfma16_kernelI14__hip_bfloat16hLN4vllm18Fp8KVCacheDataTypeE1ES0_Li16ELi128ELi256ELb1ELi6EEvPKT_PKT0_S8_ifPKiSA_SA_iPKfiiiPfSD_PS3_PT2_iSC_SC_, .Lfunc_end1295-_Z39paged_attention_ll4mi_QKV_mfma16_kernelI14__hip_bfloat16hLN4vllm18Fp8KVCacheDataTypeE1ES0_Li16ELi128ELi256ELb1ELi6EEvPKT_PKT0_S8_ifPKiSA_SA_iPKfiiiPfSD_PS3_PT2_iSC_SC_
                                        ; -- End function
	.set _Z39paged_attention_ll4mi_QKV_mfma16_kernelI14__hip_bfloat16hLN4vllm18Fp8KVCacheDataTypeE1ES0_Li16ELi128ELi256ELb1ELi6EEvPKT_PKT0_S8_ifPKiSA_SA_iPKfiiiPfSD_PS3_PT2_iSC_SC_.num_vgpr, max(3, .L__assert_fail.num_vgpr)
	.set _Z39paged_attention_ll4mi_QKV_mfma16_kernelI14__hip_bfloat16hLN4vllm18Fp8KVCacheDataTypeE1ES0_Li16ELi128ELi256ELb1ELi6EEvPKT_PKT0_S8_ifPKiSA_SA_iPKfiiiPfSD_PS3_PT2_iSC_SC_.num_agpr, max(0, .L__assert_fail.num_agpr)
	.set _Z39paged_attention_ll4mi_QKV_mfma16_kernelI14__hip_bfloat16hLN4vllm18Fp8KVCacheDataTypeE1ES0_Li16ELi128ELi256ELb1ELi6EEvPKT_PKT0_S8_ifPKiSA_SA_iPKfiiiPfSD_PS3_PT2_iSC_SC_.numbered_sgpr, max(33, .L__assert_fail.numbered_sgpr)
	.set _Z39paged_attention_ll4mi_QKV_mfma16_kernelI14__hip_bfloat16hLN4vllm18Fp8KVCacheDataTypeE1ES0_Li16ELi128ELi256ELb1ELi6EEvPKT_PKT0_S8_ifPKiSA_SA_iPKfiiiPfSD_PS3_PT2_iSC_SC_.num_named_barrier, max(0, .L__assert_fail.num_named_barrier)
	.set _Z39paged_attention_ll4mi_QKV_mfma16_kernelI14__hip_bfloat16hLN4vllm18Fp8KVCacheDataTypeE1ES0_Li16ELi128ELi256ELb1ELi6EEvPKT_PKT0_S8_ifPKiSA_SA_iPKfiiiPfSD_PS3_PT2_iSC_SC_.private_seg_size, 0+max(.L__assert_fail.private_seg_size)
	.set _Z39paged_attention_ll4mi_QKV_mfma16_kernelI14__hip_bfloat16hLN4vllm18Fp8KVCacheDataTypeE1ES0_Li16ELi128ELi256ELb1ELi6EEvPKT_PKT0_S8_ifPKiSA_SA_iPKfiiiPfSD_PS3_PT2_iSC_SC_.uses_vcc, or(1, .L__assert_fail.uses_vcc)
	.set _Z39paged_attention_ll4mi_QKV_mfma16_kernelI14__hip_bfloat16hLN4vllm18Fp8KVCacheDataTypeE1ES0_Li16ELi128ELi256ELb1ELi6EEvPKT_PKT0_S8_ifPKiSA_SA_iPKfiiiPfSD_PS3_PT2_iSC_SC_.uses_flat_scratch, or(0, .L__assert_fail.uses_flat_scratch)
	.set _Z39paged_attention_ll4mi_QKV_mfma16_kernelI14__hip_bfloat16hLN4vllm18Fp8KVCacheDataTypeE1ES0_Li16ELi128ELi256ELb1ELi6EEvPKT_PKT0_S8_ifPKiSA_SA_iPKfiiiPfSD_PS3_PT2_iSC_SC_.has_dyn_sized_stack, or(0, .L__assert_fail.has_dyn_sized_stack)
	.set _Z39paged_attention_ll4mi_QKV_mfma16_kernelI14__hip_bfloat16hLN4vllm18Fp8KVCacheDataTypeE1ES0_Li16ELi128ELi256ELb1ELi6EEvPKT_PKT0_S8_ifPKiSA_SA_iPKfiiiPfSD_PS3_PT2_iSC_SC_.has_recursion, or(0, .L__assert_fail.has_recursion)
	.set _Z39paged_attention_ll4mi_QKV_mfma16_kernelI14__hip_bfloat16hLN4vllm18Fp8KVCacheDataTypeE1ES0_Li16ELi128ELi256ELb1ELi6EEvPKT_PKT0_S8_ifPKiSA_SA_iPKfiiiPfSD_PS3_PT2_iSC_SC_.has_indirect_call, or(0, .L__assert_fail.has_indirect_call)
	.section	.AMDGPU.csdata,"",@progbits
; Kernel info:
; codeLenInByte = 68
; TotalNumSgprs: 36
; NumVgprs: 51
; ScratchSize: 64
; MemoryBound: 0
; FloatMode: 240
; IeeeMode: 1
; LDSByteSize: 0 bytes/workgroup (compile time only)
; SGPRBlocks: 0
; VGPRBlocks: 3
; NumSGPRsForWavesPerEU: 36
; NumVGPRsForWavesPerEU: 51
; NamedBarCnt: 0
; Occupancy: 16
; WaveLimiterHint : 1
; COMPUTE_PGM_RSRC2:SCRATCH_EN: 1
; COMPUTE_PGM_RSRC2:USER_SGPR: 2
; COMPUTE_PGM_RSRC2:TRAP_HANDLER: 0
; COMPUTE_PGM_RSRC2:TGID_X_EN: 1
; COMPUTE_PGM_RSRC2:TGID_Y_EN: 0
; COMPUTE_PGM_RSRC2:TGID_Z_EN: 0
; COMPUTE_PGM_RSRC2:TIDIG_COMP_CNT: 0
	.section	.text._Z39paged_attention_ll4mi_QKV_mfma16_kernelI14__hip_bfloat16hLN4vllm18Fp8KVCacheDataTypeE1ES0_Li16ELi128ELi256ELb1ELi7EEvPKT_PKT0_S8_ifPKiSA_SA_iPKfiiiPfSD_PS3_PT2_iSC_SC_,"axG",@progbits,_Z39paged_attention_ll4mi_QKV_mfma16_kernelI14__hip_bfloat16hLN4vllm18Fp8KVCacheDataTypeE1ES0_Li16ELi128ELi256ELb1ELi7EEvPKT_PKT0_S8_ifPKiSA_SA_iPKfiiiPfSD_PS3_PT2_iSC_SC_,comdat
	.protected	_Z39paged_attention_ll4mi_QKV_mfma16_kernelI14__hip_bfloat16hLN4vllm18Fp8KVCacheDataTypeE1ES0_Li16ELi128ELi256ELb1ELi7EEvPKT_PKT0_S8_ifPKiSA_SA_iPKfiiiPfSD_PS3_PT2_iSC_SC_ ; -- Begin function _Z39paged_attention_ll4mi_QKV_mfma16_kernelI14__hip_bfloat16hLN4vllm18Fp8KVCacheDataTypeE1ES0_Li16ELi128ELi256ELb1ELi7EEvPKT_PKT0_S8_ifPKiSA_SA_iPKfiiiPfSD_PS3_PT2_iSC_SC_
	.globl	_Z39paged_attention_ll4mi_QKV_mfma16_kernelI14__hip_bfloat16hLN4vllm18Fp8KVCacheDataTypeE1ES0_Li16ELi128ELi256ELb1ELi7EEvPKT_PKT0_S8_ifPKiSA_SA_iPKfiiiPfSD_PS3_PT2_iSC_SC_
	.p2align	8
	.type	_Z39paged_attention_ll4mi_QKV_mfma16_kernelI14__hip_bfloat16hLN4vllm18Fp8KVCacheDataTypeE1ES0_Li16ELi128ELi256ELb1ELi7EEvPKT_PKT0_S8_ifPKiSA_SA_iPKfiiiPfSD_PS3_PT2_iSC_SC_,@function
_Z39paged_attention_ll4mi_QKV_mfma16_kernelI14__hip_bfloat16hLN4vllm18Fp8KVCacheDataTypeE1ES0_Li16ELi128ELi256ELb1ELi7EEvPKT_PKT0_S8_ifPKiSA_SA_iPKfiiiPfSD_PS3_PT2_iSC_SC_: ; @_Z39paged_attention_ll4mi_QKV_mfma16_kernelI14__hip_bfloat16hLN4vllm18Fp8KVCacheDataTypeE1ES0_Li16ELi128ELi256ELb1ELi7EEvPKT_PKT0_S8_ifPKiSA_SA_iPKfiiiPfSD_PS3_PT2_iSC_SC_
; %bb.0:
	s_get_pc_i64 s[2:3]
	s_add_nc_u64 s[2:3], s[2:3], __PRETTY_FUNCTION__._Z39paged_attention_ll4mi_QKV_mfma16_kernelI14__hip_bfloat16hLN4vllm18Fp8KVCacheDataTypeE1ES0_Li16ELi128ELi256ELb1ELi7EEvPKT_PKT0_S8_ifPKiSA_SA_iPKfiiiPfSD_PS3_PT2_iSC_SC_@rel64+4
	s_delay_alu instid0(SALU_CYCLE_1)
	v_dual_mov_b32 v0, 0xbb3 :: v_dual_mov_b32 v1, s2
	v_mov_b32_e32 v2, s3
	s_add_nc_u64 s[8:9], s[0:1], 0x90
	s_get_pc_i64 s[0:1]
	s_add_nc_u64 s[0:1], s[0:1], __assert_fail@rel64+4
	s_mov_b32 s32, 0
	s_swap_pc_i64 s[30:31], s[0:1]
	.section	.rodata,"a",@progbits
	.p2align	6, 0x0
	.amdhsa_kernel _Z39paged_attention_ll4mi_QKV_mfma16_kernelI14__hip_bfloat16hLN4vllm18Fp8KVCacheDataTypeE1ES0_Li16ELi128ELi256ELb1ELi7EEvPKT_PKT0_S8_ifPKiSA_SA_iPKfiiiPfSD_PS3_PT2_iSC_SC_
		.amdhsa_group_segment_fixed_size 0
		.amdhsa_private_segment_fixed_size 64
		.amdhsa_kernarg_size 400
		.amdhsa_user_sgpr_count 2
		.amdhsa_user_sgpr_dispatch_ptr 0
		.amdhsa_user_sgpr_queue_ptr 0
		.amdhsa_user_sgpr_kernarg_segment_ptr 1
		.amdhsa_user_sgpr_dispatch_id 0
		.amdhsa_user_sgpr_kernarg_preload_length 0
		.amdhsa_user_sgpr_kernarg_preload_offset 0
		.amdhsa_user_sgpr_private_segment_size 0
		.amdhsa_wavefront_size32 1
		.amdhsa_uses_dynamic_stack 0
		.amdhsa_enable_private_segment 1
		.amdhsa_system_sgpr_workgroup_id_x 1
		.amdhsa_system_sgpr_workgroup_id_y 0
		.amdhsa_system_sgpr_workgroup_id_z 0
		.amdhsa_system_sgpr_workgroup_info 0
		.amdhsa_system_vgpr_workitem_id 0
		.amdhsa_next_free_vgpr 51
		.amdhsa_next_free_sgpr 34
		.amdhsa_named_barrier_count 0
		.amdhsa_reserve_vcc 1
		.amdhsa_float_round_mode_32 0
		.amdhsa_float_round_mode_16_64 0
		.amdhsa_float_denorm_mode_32 3
		.amdhsa_float_denorm_mode_16_64 3
		.amdhsa_fp16_overflow 0
		.amdhsa_memory_ordered 1
		.amdhsa_forward_progress 1
		.amdhsa_inst_pref_size 1
		.amdhsa_round_robin_scheduling 0
		.amdhsa_exception_fp_ieee_invalid_op 0
		.amdhsa_exception_fp_denorm_src 0
		.amdhsa_exception_fp_ieee_div_zero 0
		.amdhsa_exception_fp_ieee_overflow 0
		.amdhsa_exception_fp_ieee_underflow 0
		.amdhsa_exception_fp_ieee_inexact 0
		.amdhsa_exception_int_div_zero 0
	.end_amdhsa_kernel
	.section	.text._Z39paged_attention_ll4mi_QKV_mfma16_kernelI14__hip_bfloat16hLN4vllm18Fp8KVCacheDataTypeE1ES0_Li16ELi128ELi256ELb1ELi7EEvPKT_PKT0_S8_ifPKiSA_SA_iPKfiiiPfSD_PS3_PT2_iSC_SC_,"axG",@progbits,_Z39paged_attention_ll4mi_QKV_mfma16_kernelI14__hip_bfloat16hLN4vllm18Fp8KVCacheDataTypeE1ES0_Li16ELi128ELi256ELb1ELi7EEvPKT_PKT0_S8_ifPKiSA_SA_iPKfiiiPfSD_PS3_PT2_iSC_SC_,comdat
.Lfunc_end1296:
	.size	_Z39paged_attention_ll4mi_QKV_mfma16_kernelI14__hip_bfloat16hLN4vllm18Fp8KVCacheDataTypeE1ES0_Li16ELi128ELi256ELb1ELi7EEvPKT_PKT0_S8_ifPKiSA_SA_iPKfiiiPfSD_PS3_PT2_iSC_SC_, .Lfunc_end1296-_Z39paged_attention_ll4mi_QKV_mfma16_kernelI14__hip_bfloat16hLN4vllm18Fp8KVCacheDataTypeE1ES0_Li16ELi128ELi256ELb1ELi7EEvPKT_PKT0_S8_ifPKiSA_SA_iPKfiiiPfSD_PS3_PT2_iSC_SC_
                                        ; -- End function
	.set _Z39paged_attention_ll4mi_QKV_mfma16_kernelI14__hip_bfloat16hLN4vllm18Fp8KVCacheDataTypeE1ES0_Li16ELi128ELi256ELb1ELi7EEvPKT_PKT0_S8_ifPKiSA_SA_iPKfiiiPfSD_PS3_PT2_iSC_SC_.num_vgpr, max(3, .L__assert_fail.num_vgpr)
	.set _Z39paged_attention_ll4mi_QKV_mfma16_kernelI14__hip_bfloat16hLN4vllm18Fp8KVCacheDataTypeE1ES0_Li16ELi128ELi256ELb1ELi7EEvPKT_PKT0_S8_ifPKiSA_SA_iPKfiiiPfSD_PS3_PT2_iSC_SC_.num_agpr, max(0, .L__assert_fail.num_agpr)
	.set _Z39paged_attention_ll4mi_QKV_mfma16_kernelI14__hip_bfloat16hLN4vllm18Fp8KVCacheDataTypeE1ES0_Li16ELi128ELi256ELb1ELi7EEvPKT_PKT0_S8_ifPKiSA_SA_iPKfiiiPfSD_PS3_PT2_iSC_SC_.numbered_sgpr, max(33, .L__assert_fail.numbered_sgpr)
	.set _Z39paged_attention_ll4mi_QKV_mfma16_kernelI14__hip_bfloat16hLN4vllm18Fp8KVCacheDataTypeE1ES0_Li16ELi128ELi256ELb1ELi7EEvPKT_PKT0_S8_ifPKiSA_SA_iPKfiiiPfSD_PS3_PT2_iSC_SC_.num_named_barrier, max(0, .L__assert_fail.num_named_barrier)
	.set _Z39paged_attention_ll4mi_QKV_mfma16_kernelI14__hip_bfloat16hLN4vllm18Fp8KVCacheDataTypeE1ES0_Li16ELi128ELi256ELb1ELi7EEvPKT_PKT0_S8_ifPKiSA_SA_iPKfiiiPfSD_PS3_PT2_iSC_SC_.private_seg_size, 0+max(.L__assert_fail.private_seg_size)
	.set _Z39paged_attention_ll4mi_QKV_mfma16_kernelI14__hip_bfloat16hLN4vllm18Fp8KVCacheDataTypeE1ES0_Li16ELi128ELi256ELb1ELi7EEvPKT_PKT0_S8_ifPKiSA_SA_iPKfiiiPfSD_PS3_PT2_iSC_SC_.uses_vcc, or(1, .L__assert_fail.uses_vcc)
	.set _Z39paged_attention_ll4mi_QKV_mfma16_kernelI14__hip_bfloat16hLN4vllm18Fp8KVCacheDataTypeE1ES0_Li16ELi128ELi256ELb1ELi7EEvPKT_PKT0_S8_ifPKiSA_SA_iPKfiiiPfSD_PS3_PT2_iSC_SC_.uses_flat_scratch, or(0, .L__assert_fail.uses_flat_scratch)
	.set _Z39paged_attention_ll4mi_QKV_mfma16_kernelI14__hip_bfloat16hLN4vllm18Fp8KVCacheDataTypeE1ES0_Li16ELi128ELi256ELb1ELi7EEvPKT_PKT0_S8_ifPKiSA_SA_iPKfiiiPfSD_PS3_PT2_iSC_SC_.has_dyn_sized_stack, or(0, .L__assert_fail.has_dyn_sized_stack)
	.set _Z39paged_attention_ll4mi_QKV_mfma16_kernelI14__hip_bfloat16hLN4vllm18Fp8KVCacheDataTypeE1ES0_Li16ELi128ELi256ELb1ELi7EEvPKT_PKT0_S8_ifPKiSA_SA_iPKfiiiPfSD_PS3_PT2_iSC_SC_.has_recursion, or(0, .L__assert_fail.has_recursion)
	.set _Z39paged_attention_ll4mi_QKV_mfma16_kernelI14__hip_bfloat16hLN4vllm18Fp8KVCacheDataTypeE1ES0_Li16ELi128ELi256ELb1ELi7EEvPKT_PKT0_S8_ifPKiSA_SA_iPKfiiiPfSD_PS3_PT2_iSC_SC_.has_indirect_call, or(0, .L__assert_fail.has_indirect_call)
	.section	.AMDGPU.csdata,"",@progbits
; Kernel info:
; codeLenInByte = 68
; TotalNumSgprs: 36
; NumVgprs: 51
; ScratchSize: 64
; MemoryBound: 0
; FloatMode: 240
; IeeeMode: 1
; LDSByteSize: 0 bytes/workgroup (compile time only)
; SGPRBlocks: 0
; VGPRBlocks: 3
; NumSGPRsForWavesPerEU: 36
; NumVGPRsForWavesPerEU: 51
; NamedBarCnt: 0
; Occupancy: 16
; WaveLimiterHint : 1
; COMPUTE_PGM_RSRC2:SCRATCH_EN: 1
; COMPUTE_PGM_RSRC2:USER_SGPR: 2
; COMPUTE_PGM_RSRC2:TRAP_HANDLER: 0
; COMPUTE_PGM_RSRC2:TGID_X_EN: 1
; COMPUTE_PGM_RSRC2:TGID_Y_EN: 0
; COMPUTE_PGM_RSRC2:TGID_Z_EN: 0
; COMPUTE_PGM_RSRC2:TIDIG_COMP_CNT: 0
	.section	.text._Z39paged_attention_ll4mi_QKV_mfma16_kernelI14__hip_bfloat16hLN4vllm18Fp8KVCacheDataTypeE1ES0_Li16ELi128ELi256ELb1ELi8EEvPKT_PKT0_S8_ifPKiSA_SA_iPKfiiiPfSD_PS3_PT2_iSC_SC_,"axG",@progbits,_Z39paged_attention_ll4mi_QKV_mfma16_kernelI14__hip_bfloat16hLN4vllm18Fp8KVCacheDataTypeE1ES0_Li16ELi128ELi256ELb1ELi8EEvPKT_PKT0_S8_ifPKiSA_SA_iPKfiiiPfSD_PS3_PT2_iSC_SC_,comdat
	.protected	_Z39paged_attention_ll4mi_QKV_mfma16_kernelI14__hip_bfloat16hLN4vllm18Fp8KVCacheDataTypeE1ES0_Li16ELi128ELi256ELb1ELi8EEvPKT_PKT0_S8_ifPKiSA_SA_iPKfiiiPfSD_PS3_PT2_iSC_SC_ ; -- Begin function _Z39paged_attention_ll4mi_QKV_mfma16_kernelI14__hip_bfloat16hLN4vllm18Fp8KVCacheDataTypeE1ES0_Li16ELi128ELi256ELb1ELi8EEvPKT_PKT0_S8_ifPKiSA_SA_iPKfiiiPfSD_PS3_PT2_iSC_SC_
	.globl	_Z39paged_attention_ll4mi_QKV_mfma16_kernelI14__hip_bfloat16hLN4vllm18Fp8KVCacheDataTypeE1ES0_Li16ELi128ELi256ELb1ELi8EEvPKT_PKT0_S8_ifPKiSA_SA_iPKfiiiPfSD_PS3_PT2_iSC_SC_
	.p2align	8
	.type	_Z39paged_attention_ll4mi_QKV_mfma16_kernelI14__hip_bfloat16hLN4vllm18Fp8KVCacheDataTypeE1ES0_Li16ELi128ELi256ELb1ELi8EEvPKT_PKT0_S8_ifPKiSA_SA_iPKfiiiPfSD_PS3_PT2_iSC_SC_,@function
_Z39paged_attention_ll4mi_QKV_mfma16_kernelI14__hip_bfloat16hLN4vllm18Fp8KVCacheDataTypeE1ES0_Li16ELi128ELi256ELb1ELi8EEvPKT_PKT0_S8_ifPKiSA_SA_iPKfiiiPfSD_PS3_PT2_iSC_SC_: ; @_Z39paged_attention_ll4mi_QKV_mfma16_kernelI14__hip_bfloat16hLN4vllm18Fp8KVCacheDataTypeE1ES0_Li16ELi128ELi256ELb1ELi8EEvPKT_PKT0_S8_ifPKiSA_SA_iPKfiiiPfSD_PS3_PT2_iSC_SC_
; %bb.0:
	s_get_pc_i64 s[2:3]
	s_add_nc_u64 s[2:3], s[2:3], __PRETTY_FUNCTION__._Z39paged_attention_ll4mi_QKV_mfma16_kernelI14__hip_bfloat16hLN4vllm18Fp8KVCacheDataTypeE1ES0_Li16ELi128ELi256ELb1ELi8EEvPKT_PKT0_S8_ifPKiSA_SA_iPKfiiiPfSD_PS3_PT2_iSC_SC_@rel64+4
	s_delay_alu instid0(SALU_CYCLE_1)
	v_dual_mov_b32 v0, 0xbb3 :: v_dual_mov_b32 v1, s2
	v_mov_b32_e32 v2, s3
	s_add_nc_u64 s[8:9], s[0:1], 0x90
	s_get_pc_i64 s[0:1]
	s_add_nc_u64 s[0:1], s[0:1], __assert_fail@rel64+4
	s_mov_b32 s32, 0
	s_swap_pc_i64 s[30:31], s[0:1]
	.section	.rodata,"a",@progbits
	.p2align	6, 0x0
	.amdhsa_kernel _Z39paged_attention_ll4mi_QKV_mfma16_kernelI14__hip_bfloat16hLN4vllm18Fp8KVCacheDataTypeE1ES0_Li16ELi128ELi256ELb1ELi8EEvPKT_PKT0_S8_ifPKiSA_SA_iPKfiiiPfSD_PS3_PT2_iSC_SC_
		.amdhsa_group_segment_fixed_size 0
		.amdhsa_private_segment_fixed_size 64
		.amdhsa_kernarg_size 400
		.amdhsa_user_sgpr_count 2
		.amdhsa_user_sgpr_dispatch_ptr 0
		.amdhsa_user_sgpr_queue_ptr 0
		.amdhsa_user_sgpr_kernarg_segment_ptr 1
		.amdhsa_user_sgpr_dispatch_id 0
		.amdhsa_user_sgpr_kernarg_preload_length 0
		.amdhsa_user_sgpr_kernarg_preload_offset 0
		.amdhsa_user_sgpr_private_segment_size 0
		.amdhsa_wavefront_size32 1
		.amdhsa_uses_dynamic_stack 0
		.amdhsa_enable_private_segment 1
		.amdhsa_system_sgpr_workgroup_id_x 1
		.amdhsa_system_sgpr_workgroup_id_y 0
		.amdhsa_system_sgpr_workgroup_id_z 0
		.amdhsa_system_sgpr_workgroup_info 0
		.amdhsa_system_vgpr_workitem_id 0
		.amdhsa_next_free_vgpr 51
		.amdhsa_next_free_sgpr 34
		.amdhsa_named_barrier_count 0
		.amdhsa_reserve_vcc 1
		.amdhsa_float_round_mode_32 0
		.amdhsa_float_round_mode_16_64 0
		.amdhsa_float_denorm_mode_32 3
		.amdhsa_float_denorm_mode_16_64 3
		.amdhsa_fp16_overflow 0
		.amdhsa_memory_ordered 1
		.amdhsa_forward_progress 1
		.amdhsa_inst_pref_size 1
		.amdhsa_round_robin_scheduling 0
		.amdhsa_exception_fp_ieee_invalid_op 0
		.amdhsa_exception_fp_denorm_src 0
		.amdhsa_exception_fp_ieee_div_zero 0
		.amdhsa_exception_fp_ieee_overflow 0
		.amdhsa_exception_fp_ieee_underflow 0
		.amdhsa_exception_fp_ieee_inexact 0
		.amdhsa_exception_int_div_zero 0
	.end_amdhsa_kernel
	.section	.text._Z39paged_attention_ll4mi_QKV_mfma16_kernelI14__hip_bfloat16hLN4vllm18Fp8KVCacheDataTypeE1ES0_Li16ELi128ELi256ELb1ELi8EEvPKT_PKT0_S8_ifPKiSA_SA_iPKfiiiPfSD_PS3_PT2_iSC_SC_,"axG",@progbits,_Z39paged_attention_ll4mi_QKV_mfma16_kernelI14__hip_bfloat16hLN4vllm18Fp8KVCacheDataTypeE1ES0_Li16ELi128ELi256ELb1ELi8EEvPKT_PKT0_S8_ifPKiSA_SA_iPKfiiiPfSD_PS3_PT2_iSC_SC_,comdat
.Lfunc_end1297:
	.size	_Z39paged_attention_ll4mi_QKV_mfma16_kernelI14__hip_bfloat16hLN4vllm18Fp8KVCacheDataTypeE1ES0_Li16ELi128ELi256ELb1ELi8EEvPKT_PKT0_S8_ifPKiSA_SA_iPKfiiiPfSD_PS3_PT2_iSC_SC_, .Lfunc_end1297-_Z39paged_attention_ll4mi_QKV_mfma16_kernelI14__hip_bfloat16hLN4vllm18Fp8KVCacheDataTypeE1ES0_Li16ELi128ELi256ELb1ELi8EEvPKT_PKT0_S8_ifPKiSA_SA_iPKfiiiPfSD_PS3_PT2_iSC_SC_
                                        ; -- End function
	.set _Z39paged_attention_ll4mi_QKV_mfma16_kernelI14__hip_bfloat16hLN4vllm18Fp8KVCacheDataTypeE1ES0_Li16ELi128ELi256ELb1ELi8EEvPKT_PKT0_S8_ifPKiSA_SA_iPKfiiiPfSD_PS3_PT2_iSC_SC_.num_vgpr, max(3, .L__assert_fail.num_vgpr)
	.set _Z39paged_attention_ll4mi_QKV_mfma16_kernelI14__hip_bfloat16hLN4vllm18Fp8KVCacheDataTypeE1ES0_Li16ELi128ELi256ELb1ELi8EEvPKT_PKT0_S8_ifPKiSA_SA_iPKfiiiPfSD_PS3_PT2_iSC_SC_.num_agpr, max(0, .L__assert_fail.num_agpr)
	.set _Z39paged_attention_ll4mi_QKV_mfma16_kernelI14__hip_bfloat16hLN4vllm18Fp8KVCacheDataTypeE1ES0_Li16ELi128ELi256ELb1ELi8EEvPKT_PKT0_S8_ifPKiSA_SA_iPKfiiiPfSD_PS3_PT2_iSC_SC_.numbered_sgpr, max(33, .L__assert_fail.numbered_sgpr)
	.set _Z39paged_attention_ll4mi_QKV_mfma16_kernelI14__hip_bfloat16hLN4vllm18Fp8KVCacheDataTypeE1ES0_Li16ELi128ELi256ELb1ELi8EEvPKT_PKT0_S8_ifPKiSA_SA_iPKfiiiPfSD_PS3_PT2_iSC_SC_.num_named_barrier, max(0, .L__assert_fail.num_named_barrier)
	.set _Z39paged_attention_ll4mi_QKV_mfma16_kernelI14__hip_bfloat16hLN4vllm18Fp8KVCacheDataTypeE1ES0_Li16ELi128ELi256ELb1ELi8EEvPKT_PKT0_S8_ifPKiSA_SA_iPKfiiiPfSD_PS3_PT2_iSC_SC_.private_seg_size, 0+max(.L__assert_fail.private_seg_size)
	.set _Z39paged_attention_ll4mi_QKV_mfma16_kernelI14__hip_bfloat16hLN4vllm18Fp8KVCacheDataTypeE1ES0_Li16ELi128ELi256ELb1ELi8EEvPKT_PKT0_S8_ifPKiSA_SA_iPKfiiiPfSD_PS3_PT2_iSC_SC_.uses_vcc, or(1, .L__assert_fail.uses_vcc)
	.set _Z39paged_attention_ll4mi_QKV_mfma16_kernelI14__hip_bfloat16hLN4vllm18Fp8KVCacheDataTypeE1ES0_Li16ELi128ELi256ELb1ELi8EEvPKT_PKT0_S8_ifPKiSA_SA_iPKfiiiPfSD_PS3_PT2_iSC_SC_.uses_flat_scratch, or(0, .L__assert_fail.uses_flat_scratch)
	.set _Z39paged_attention_ll4mi_QKV_mfma16_kernelI14__hip_bfloat16hLN4vllm18Fp8KVCacheDataTypeE1ES0_Li16ELi128ELi256ELb1ELi8EEvPKT_PKT0_S8_ifPKiSA_SA_iPKfiiiPfSD_PS3_PT2_iSC_SC_.has_dyn_sized_stack, or(0, .L__assert_fail.has_dyn_sized_stack)
	.set _Z39paged_attention_ll4mi_QKV_mfma16_kernelI14__hip_bfloat16hLN4vllm18Fp8KVCacheDataTypeE1ES0_Li16ELi128ELi256ELb1ELi8EEvPKT_PKT0_S8_ifPKiSA_SA_iPKfiiiPfSD_PS3_PT2_iSC_SC_.has_recursion, or(0, .L__assert_fail.has_recursion)
	.set _Z39paged_attention_ll4mi_QKV_mfma16_kernelI14__hip_bfloat16hLN4vllm18Fp8KVCacheDataTypeE1ES0_Li16ELi128ELi256ELb1ELi8EEvPKT_PKT0_S8_ifPKiSA_SA_iPKfiiiPfSD_PS3_PT2_iSC_SC_.has_indirect_call, or(0, .L__assert_fail.has_indirect_call)
	.section	.AMDGPU.csdata,"",@progbits
; Kernel info:
; codeLenInByte = 68
; TotalNumSgprs: 36
; NumVgprs: 51
; ScratchSize: 64
; MemoryBound: 0
; FloatMode: 240
; IeeeMode: 1
; LDSByteSize: 0 bytes/workgroup (compile time only)
; SGPRBlocks: 0
; VGPRBlocks: 3
; NumSGPRsForWavesPerEU: 36
; NumVGPRsForWavesPerEU: 51
; NamedBarCnt: 0
; Occupancy: 16
; WaveLimiterHint : 1
; COMPUTE_PGM_RSRC2:SCRATCH_EN: 1
; COMPUTE_PGM_RSRC2:USER_SGPR: 2
; COMPUTE_PGM_RSRC2:TRAP_HANDLER: 0
; COMPUTE_PGM_RSRC2:TGID_X_EN: 1
; COMPUTE_PGM_RSRC2:TGID_Y_EN: 0
; COMPUTE_PGM_RSRC2:TGID_Z_EN: 0
; COMPUTE_PGM_RSRC2:TIDIG_COMP_CNT: 0
	.section	.text._Z39paged_attention_ll4mi_QKV_mfma16_kernelI14__hip_bfloat16hLN4vllm18Fp8KVCacheDataTypeE1ES0_Li16ELi128ELi256ELb1ELi9EEvPKT_PKT0_S8_ifPKiSA_SA_iPKfiiiPfSD_PS3_PT2_iSC_SC_,"axG",@progbits,_Z39paged_attention_ll4mi_QKV_mfma16_kernelI14__hip_bfloat16hLN4vllm18Fp8KVCacheDataTypeE1ES0_Li16ELi128ELi256ELb1ELi9EEvPKT_PKT0_S8_ifPKiSA_SA_iPKfiiiPfSD_PS3_PT2_iSC_SC_,comdat
	.protected	_Z39paged_attention_ll4mi_QKV_mfma16_kernelI14__hip_bfloat16hLN4vllm18Fp8KVCacheDataTypeE1ES0_Li16ELi128ELi256ELb1ELi9EEvPKT_PKT0_S8_ifPKiSA_SA_iPKfiiiPfSD_PS3_PT2_iSC_SC_ ; -- Begin function _Z39paged_attention_ll4mi_QKV_mfma16_kernelI14__hip_bfloat16hLN4vllm18Fp8KVCacheDataTypeE1ES0_Li16ELi128ELi256ELb1ELi9EEvPKT_PKT0_S8_ifPKiSA_SA_iPKfiiiPfSD_PS3_PT2_iSC_SC_
	.globl	_Z39paged_attention_ll4mi_QKV_mfma16_kernelI14__hip_bfloat16hLN4vllm18Fp8KVCacheDataTypeE1ES0_Li16ELi128ELi256ELb1ELi9EEvPKT_PKT0_S8_ifPKiSA_SA_iPKfiiiPfSD_PS3_PT2_iSC_SC_
	.p2align	8
	.type	_Z39paged_attention_ll4mi_QKV_mfma16_kernelI14__hip_bfloat16hLN4vllm18Fp8KVCacheDataTypeE1ES0_Li16ELi128ELi256ELb1ELi9EEvPKT_PKT0_S8_ifPKiSA_SA_iPKfiiiPfSD_PS3_PT2_iSC_SC_,@function
_Z39paged_attention_ll4mi_QKV_mfma16_kernelI14__hip_bfloat16hLN4vllm18Fp8KVCacheDataTypeE1ES0_Li16ELi128ELi256ELb1ELi9EEvPKT_PKT0_S8_ifPKiSA_SA_iPKfiiiPfSD_PS3_PT2_iSC_SC_: ; @_Z39paged_attention_ll4mi_QKV_mfma16_kernelI14__hip_bfloat16hLN4vllm18Fp8KVCacheDataTypeE1ES0_Li16ELi128ELi256ELb1ELi9EEvPKT_PKT0_S8_ifPKiSA_SA_iPKfiiiPfSD_PS3_PT2_iSC_SC_
; %bb.0:
	s_get_pc_i64 s[2:3]
	s_add_nc_u64 s[2:3], s[2:3], __PRETTY_FUNCTION__._Z39paged_attention_ll4mi_QKV_mfma16_kernelI14__hip_bfloat16hLN4vllm18Fp8KVCacheDataTypeE1ES0_Li16ELi128ELi256ELb1ELi9EEvPKT_PKT0_S8_ifPKiSA_SA_iPKfiiiPfSD_PS3_PT2_iSC_SC_@rel64+4
	s_delay_alu instid0(SALU_CYCLE_1)
	v_dual_mov_b32 v0, 0xbb3 :: v_dual_mov_b32 v1, s2
	v_mov_b32_e32 v2, s3
	s_add_nc_u64 s[8:9], s[0:1], 0x90
	s_get_pc_i64 s[0:1]
	s_add_nc_u64 s[0:1], s[0:1], __assert_fail@rel64+4
	s_mov_b32 s32, 0
	s_swap_pc_i64 s[30:31], s[0:1]
	.section	.rodata,"a",@progbits
	.p2align	6, 0x0
	.amdhsa_kernel _Z39paged_attention_ll4mi_QKV_mfma16_kernelI14__hip_bfloat16hLN4vllm18Fp8KVCacheDataTypeE1ES0_Li16ELi128ELi256ELb1ELi9EEvPKT_PKT0_S8_ifPKiSA_SA_iPKfiiiPfSD_PS3_PT2_iSC_SC_
		.amdhsa_group_segment_fixed_size 0
		.amdhsa_private_segment_fixed_size 64
		.amdhsa_kernarg_size 400
		.amdhsa_user_sgpr_count 2
		.amdhsa_user_sgpr_dispatch_ptr 0
		.amdhsa_user_sgpr_queue_ptr 0
		.amdhsa_user_sgpr_kernarg_segment_ptr 1
		.amdhsa_user_sgpr_dispatch_id 0
		.amdhsa_user_sgpr_kernarg_preload_length 0
		.amdhsa_user_sgpr_kernarg_preload_offset 0
		.amdhsa_user_sgpr_private_segment_size 0
		.amdhsa_wavefront_size32 1
		.amdhsa_uses_dynamic_stack 0
		.amdhsa_enable_private_segment 1
		.amdhsa_system_sgpr_workgroup_id_x 1
		.amdhsa_system_sgpr_workgroup_id_y 0
		.amdhsa_system_sgpr_workgroup_id_z 0
		.amdhsa_system_sgpr_workgroup_info 0
		.amdhsa_system_vgpr_workitem_id 0
		.amdhsa_next_free_vgpr 51
		.amdhsa_next_free_sgpr 34
		.amdhsa_named_barrier_count 0
		.amdhsa_reserve_vcc 1
		.amdhsa_float_round_mode_32 0
		.amdhsa_float_round_mode_16_64 0
		.amdhsa_float_denorm_mode_32 3
		.amdhsa_float_denorm_mode_16_64 3
		.amdhsa_fp16_overflow 0
		.amdhsa_memory_ordered 1
		.amdhsa_forward_progress 1
		.amdhsa_inst_pref_size 1
		.amdhsa_round_robin_scheduling 0
		.amdhsa_exception_fp_ieee_invalid_op 0
		.amdhsa_exception_fp_denorm_src 0
		.amdhsa_exception_fp_ieee_div_zero 0
		.amdhsa_exception_fp_ieee_overflow 0
		.amdhsa_exception_fp_ieee_underflow 0
		.amdhsa_exception_fp_ieee_inexact 0
		.amdhsa_exception_int_div_zero 0
	.end_amdhsa_kernel
	.section	.text._Z39paged_attention_ll4mi_QKV_mfma16_kernelI14__hip_bfloat16hLN4vllm18Fp8KVCacheDataTypeE1ES0_Li16ELi128ELi256ELb1ELi9EEvPKT_PKT0_S8_ifPKiSA_SA_iPKfiiiPfSD_PS3_PT2_iSC_SC_,"axG",@progbits,_Z39paged_attention_ll4mi_QKV_mfma16_kernelI14__hip_bfloat16hLN4vllm18Fp8KVCacheDataTypeE1ES0_Li16ELi128ELi256ELb1ELi9EEvPKT_PKT0_S8_ifPKiSA_SA_iPKfiiiPfSD_PS3_PT2_iSC_SC_,comdat
.Lfunc_end1298:
	.size	_Z39paged_attention_ll4mi_QKV_mfma16_kernelI14__hip_bfloat16hLN4vllm18Fp8KVCacheDataTypeE1ES0_Li16ELi128ELi256ELb1ELi9EEvPKT_PKT0_S8_ifPKiSA_SA_iPKfiiiPfSD_PS3_PT2_iSC_SC_, .Lfunc_end1298-_Z39paged_attention_ll4mi_QKV_mfma16_kernelI14__hip_bfloat16hLN4vllm18Fp8KVCacheDataTypeE1ES0_Li16ELi128ELi256ELb1ELi9EEvPKT_PKT0_S8_ifPKiSA_SA_iPKfiiiPfSD_PS3_PT2_iSC_SC_
                                        ; -- End function
	.set _Z39paged_attention_ll4mi_QKV_mfma16_kernelI14__hip_bfloat16hLN4vllm18Fp8KVCacheDataTypeE1ES0_Li16ELi128ELi256ELb1ELi9EEvPKT_PKT0_S8_ifPKiSA_SA_iPKfiiiPfSD_PS3_PT2_iSC_SC_.num_vgpr, max(3, .L__assert_fail.num_vgpr)
	.set _Z39paged_attention_ll4mi_QKV_mfma16_kernelI14__hip_bfloat16hLN4vllm18Fp8KVCacheDataTypeE1ES0_Li16ELi128ELi256ELb1ELi9EEvPKT_PKT0_S8_ifPKiSA_SA_iPKfiiiPfSD_PS3_PT2_iSC_SC_.num_agpr, max(0, .L__assert_fail.num_agpr)
	.set _Z39paged_attention_ll4mi_QKV_mfma16_kernelI14__hip_bfloat16hLN4vllm18Fp8KVCacheDataTypeE1ES0_Li16ELi128ELi256ELb1ELi9EEvPKT_PKT0_S8_ifPKiSA_SA_iPKfiiiPfSD_PS3_PT2_iSC_SC_.numbered_sgpr, max(33, .L__assert_fail.numbered_sgpr)
	.set _Z39paged_attention_ll4mi_QKV_mfma16_kernelI14__hip_bfloat16hLN4vllm18Fp8KVCacheDataTypeE1ES0_Li16ELi128ELi256ELb1ELi9EEvPKT_PKT0_S8_ifPKiSA_SA_iPKfiiiPfSD_PS3_PT2_iSC_SC_.num_named_barrier, max(0, .L__assert_fail.num_named_barrier)
	.set _Z39paged_attention_ll4mi_QKV_mfma16_kernelI14__hip_bfloat16hLN4vllm18Fp8KVCacheDataTypeE1ES0_Li16ELi128ELi256ELb1ELi9EEvPKT_PKT0_S8_ifPKiSA_SA_iPKfiiiPfSD_PS3_PT2_iSC_SC_.private_seg_size, 0+max(.L__assert_fail.private_seg_size)
	.set _Z39paged_attention_ll4mi_QKV_mfma16_kernelI14__hip_bfloat16hLN4vllm18Fp8KVCacheDataTypeE1ES0_Li16ELi128ELi256ELb1ELi9EEvPKT_PKT0_S8_ifPKiSA_SA_iPKfiiiPfSD_PS3_PT2_iSC_SC_.uses_vcc, or(1, .L__assert_fail.uses_vcc)
	.set _Z39paged_attention_ll4mi_QKV_mfma16_kernelI14__hip_bfloat16hLN4vllm18Fp8KVCacheDataTypeE1ES0_Li16ELi128ELi256ELb1ELi9EEvPKT_PKT0_S8_ifPKiSA_SA_iPKfiiiPfSD_PS3_PT2_iSC_SC_.uses_flat_scratch, or(0, .L__assert_fail.uses_flat_scratch)
	.set _Z39paged_attention_ll4mi_QKV_mfma16_kernelI14__hip_bfloat16hLN4vllm18Fp8KVCacheDataTypeE1ES0_Li16ELi128ELi256ELb1ELi9EEvPKT_PKT0_S8_ifPKiSA_SA_iPKfiiiPfSD_PS3_PT2_iSC_SC_.has_dyn_sized_stack, or(0, .L__assert_fail.has_dyn_sized_stack)
	.set _Z39paged_attention_ll4mi_QKV_mfma16_kernelI14__hip_bfloat16hLN4vllm18Fp8KVCacheDataTypeE1ES0_Li16ELi128ELi256ELb1ELi9EEvPKT_PKT0_S8_ifPKiSA_SA_iPKfiiiPfSD_PS3_PT2_iSC_SC_.has_recursion, or(0, .L__assert_fail.has_recursion)
	.set _Z39paged_attention_ll4mi_QKV_mfma16_kernelI14__hip_bfloat16hLN4vllm18Fp8KVCacheDataTypeE1ES0_Li16ELi128ELi256ELb1ELi9EEvPKT_PKT0_S8_ifPKiSA_SA_iPKfiiiPfSD_PS3_PT2_iSC_SC_.has_indirect_call, or(0, .L__assert_fail.has_indirect_call)
	.section	.AMDGPU.csdata,"",@progbits
; Kernel info:
; codeLenInByte = 68
; TotalNumSgprs: 36
; NumVgprs: 51
; ScratchSize: 64
; MemoryBound: 0
; FloatMode: 240
; IeeeMode: 1
; LDSByteSize: 0 bytes/workgroup (compile time only)
; SGPRBlocks: 0
; VGPRBlocks: 3
; NumSGPRsForWavesPerEU: 36
; NumVGPRsForWavesPerEU: 51
; NamedBarCnt: 0
; Occupancy: 16
; WaveLimiterHint : 1
; COMPUTE_PGM_RSRC2:SCRATCH_EN: 1
; COMPUTE_PGM_RSRC2:USER_SGPR: 2
; COMPUTE_PGM_RSRC2:TRAP_HANDLER: 0
; COMPUTE_PGM_RSRC2:TGID_X_EN: 1
; COMPUTE_PGM_RSRC2:TGID_Y_EN: 0
; COMPUTE_PGM_RSRC2:TGID_Z_EN: 0
; COMPUTE_PGM_RSRC2:TIDIG_COMP_CNT: 0
	.section	.text._Z39paged_attention_ll4mi_QKV_mfma16_kernelI14__hip_bfloat16hLN4vllm18Fp8KVCacheDataTypeE1ES0_Li16ELi128ELi256ELb1ELi10EEvPKT_PKT0_S8_ifPKiSA_SA_iPKfiiiPfSD_PS3_PT2_iSC_SC_,"axG",@progbits,_Z39paged_attention_ll4mi_QKV_mfma16_kernelI14__hip_bfloat16hLN4vllm18Fp8KVCacheDataTypeE1ES0_Li16ELi128ELi256ELb1ELi10EEvPKT_PKT0_S8_ifPKiSA_SA_iPKfiiiPfSD_PS3_PT2_iSC_SC_,comdat
	.protected	_Z39paged_attention_ll4mi_QKV_mfma16_kernelI14__hip_bfloat16hLN4vllm18Fp8KVCacheDataTypeE1ES0_Li16ELi128ELi256ELb1ELi10EEvPKT_PKT0_S8_ifPKiSA_SA_iPKfiiiPfSD_PS3_PT2_iSC_SC_ ; -- Begin function _Z39paged_attention_ll4mi_QKV_mfma16_kernelI14__hip_bfloat16hLN4vllm18Fp8KVCacheDataTypeE1ES0_Li16ELi128ELi256ELb1ELi10EEvPKT_PKT0_S8_ifPKiSA_SA_iPKfiiiPfSD_PS3_PT2_iSC_SC_
	.globl	_Z39paged_attention_ll4mi_QKV_mfma16_kernelI14__hip_bfloat16hLN4vllm18Fp8KVCacheDataTypeE1ES0_Li16ELi128ELi256ELb1ELi10EEvPKT_PKT0_S8_ifPKiSA_SA_iPKfiiiPfSD_PS3_PT2_iSC_SC_
	.p2align	8
	.type	_Z39paged_attention_ll4mi_QKV_mfma16_kernelI14__hip_bfloat16hLN4vllm18Fp8KVCacheDataTypeE1ES0_Li16ELi128ELi256ELb1ELi10EEvPKT_PKT0_S8_ifPKiSA_SA_iPKfiiiPfSD_PS3_PT2_iSC_SC_,@function
_Z39paged_attention_ll4mi_QKV_mfma16_kernelI14__hip_bfloat16hLN4vllm18Fp8KVCacheDataTypeE1ES0_Li16ELi128ELi256ELb1ELi10EEvPKT_PKT0_S8_ifPKiSA_SA_iPKfiiiPfSD_PS3_PT2_iSC_SC_: ; @_Z39paged_attention_ll4mi_QKV_mfma16_kernelI14__hip_bfloat16hLN4vllm18Fp8KVCacheDataTypeE1ES0_Li16ELi128ELi256ELb1ELi10EEvPKT_PKT0_S8_ifPKiSA_SA_iPKfiiiPfSD_PS3_PT2_iSC_SC_
; %bb.0:
	s_get_pc_i64 s[2:3]
	s_add_nc_u64 s[2:3], s[2:3], __PRETTY_FUNCTION__._Z39paged_attention_ll4mi_QKV_mfma16_kernelI14__hip_bfloat16hLN4vllm18Fp8KVCacheDataTypeE1ES0_Li16ELi128ELi256ELb1ELi10EEvPKT_PKT0_S8_ifPKiSA_SA_iPKfiiiPfSD_PS3_PT2_iSC_SC_@rel64+4
	s_delay_alu instid0(SALU_CYCLE_1)
	v_dual_mov_b32 v0, 0xbb3 :: v_dual_mov_b32 v1, s2
	v_mov_b32_e32 v2, s3
	s_add_nc_u64 s[8:9], s[0:1], 0x90
	s_get_pc_i64 s[0:1]
	s_add_nc_u64 s[0:1], s[0:1], __assert_fail@rel64+4
	s_mov_b32 s32, 0
	s_swap_pc_i64 s[30:31], s[0:1]
	.section	.rodata,"a",@progbits
	.p2align	6, 0x0
	.amdhsa_kernel _Z39paged_attention_ll4mi_QKV_mfma16_kernelI14__hip_bfloat16hLN4vllm18Fp8KVCacheDataTypeE1ES0_Li16ELi128ELi256ELb1ELi10EEvPKT_PKT0_S8_ifPKiSA_SA_iPKfiiiPfSD_PS3_PT2_iSC_SC_
		.amdhsa_group_segment_fixed_size 0
		.amdhsa_private_segment_fixed_size 64
		.amdhsa_kernarg_size 400
		.amdhsa_user_sgpr_count 2
		.amdhsa_user_sgpr_dispatch_ptr 0
		.amdhsa_user_sgpr_queue_ptr 0
		.amdhsa_user_sgpr_kernarg_segment_ptr 1
		.amdhsa_user_sgpr_dispatch_id 0
		.amdhsa_user_sgpr_kernarg_preload_length 0
		.amdhsa_user_sgpr_kernarg_preload_offset 0
		.amdhsa_user_sgpr_private_segment_size 0
		.amdhsa_wavefront_size32 1
		.amdhsa_uses_dynamic_stack 0
		.amdhsa_enable_private_segment 1
		.amdhsa_system_sgpr_workgroup_id_x 1
		.amdhsa_system_sgpr_workgroup_id_y 0
		.amdhsa_system_sgpr_workgroup_id_z 0
		.amdhsa_system_sgpr_workgroup_info 0
		.amdhsa_system_vgpr_workitem_id 0
		.amdhsa_next_free_vgpr 51
		.amdhsa_next_free_sgpr 34
		.amdhsa_named_barrier_count 0
		.amdhsa_reserve_vcc 1
		.amdhsa_float_round_mode_32 0
		.amdhsa_float_round_mode_16_64 0
		.amdhsa_float_denorm_mode_32 3
		.amdhsa_float_denorm_mode_16_64 3
		.amdhsa_fp16_overflow 0
		.amdhsa_memory_ordered 1
		.amdhsa_forward_progress 1
		.amdhsa_inst_pref_size 1
		.amdhsa_round_robin_scheduling 0
		.amdhsa_exception_fp_ieee_invalid_op 0
		.amdhsa_exception_fp_denorm_src 0
		.amdhsa_exception_fp_ieee_div_zero 0
		.amdhsa_exception_fp_ieee_overflow 0
		.amdhsa_exception_fp_ieee_underflow 0
		.amdhsa_exception_fp_ieee_inexact 0
		.amdhsa_exception_int_div_zero 0
	.end_amdhsa_kernel
	.section	.text._Z39paged_attention_ll4mi_QKV_mfma16_kernelI14__hip_bfloat16hLN4vllm18Fp8KVCacheDataTypeE1ES0_Li16ELi128ELi256ELb1ELi10EEvPKT_PKT0_S8_ifPKiSA_SA_iPKfiiiPfSD_PS3_PT2_iSC_SC_,"axG",@progbits,_Z39paged_attention_ll4mi_QKV_mfma16_kernelI14__hip_bfloat16hLN4vllm18Fp8KVCacheDataTypeE1ES0_Li16ELi128ELi256ELb1ELi10EEvPKT_PKT0_S8_ifPKiSA_SA_iPKfiiiPfSD_PS3_PT2_iSC_SC_,comdat
.Lfunc_end1299:
	.size	_Z39paged_attention_ll4mi_QKV_mfma16_kernelI14__hip_bfloat16hLN4vllm18Fp8KVCacheDataTypeE1ES0_Li16ELi128ELi256ELb1ELi10EEvPKT_PKT0_S8_ifPKiSA_SA_iPKfiiiPfSD_PS3_PT2_iSC_SC_, .Lfunc_end1299-_Z39paged_attention_ll4mi_QKV_mfma16_kernelI14__hip_bfloat16hLN4vllm18Fp8KVCacheDataTypeE1ES0_Li16ELi128ELi256ELb1ELi10EEvPKT_PKT0_S8_ifPKiSA_SA_iPKfiiiPfSD_PS3_PT2_iSC_SC_
                                        ; -- End function
	.set _Z39paged_attention_ll4mi_QKV_mfma16_kernelI14__hip_bfloat16hLN4vllm18Fp8KVCacheDataTypeE1ES0_Li16ELi128ELi256ELb1ELi10EEvPKT_PKT0_S8_ifPKiSA_SA_iPKfiiiPfSD_PS3_PT2_iSC_SC_.num_vgpr, max(3, .L__assert_fail.num_vgpr)
	.set _Z39paged_attention_ll4mi_QKV_mfma16_kernelI14__hip_bfloat16hLN4vllm18Fp8KVCacheDataTypeE1ES0_Li16ELi128ELi256ELb1ELi10EEvPKT_PKT0_S8_ifPKiSA_SA_iPKfiiiPfSD_PS3_PT2_iSC_SC_.num_agpr, max(0, .L__assert_fail.num_agpr)
	.set _Z39paged_attention_ll4mi_QKV_mfma16_kernelI14__hip_bfloat16hLN4vllm18Fp8KVCacheDataTypeE1ES0_Li16ELi128ELi256ELb1ELi10EEvPKT_PKT0_S8_ifPKiSA_SA_iPKfiiiPfSD_PS3_PT2_iSC_SC_.numbered_sgpr, max(33, .L__assert_fail.numbered_sgpr)
	.set _Z39paged_attention_ll4mi_QKV_mfma16_kernelI14__hip_bfloat16hLN4vllm18Fp8KVCacheDataTypeE1ES0_Li16ELi128ELi256ELb1ELi10EEvPKT_PKT0_S8_ifPKiSA_SA_iPKfiiiPfSD_PS3_PT2_iSC_SC_.num_named_barrier, max(0, .L__assert_fail.num_named_barrier)
	.set _Z39paged_attention_ll4mi_QKV_mfma16_kernelI14__hip_bfloat16hLN4vllm18Fp8KVCacheDataTypeE1ES0_Li16ELi128ELi256ELb1ELi10EEvPKT_PKT0_S8_ifPKiSA_SA_iPKfiiiPfSD_PS3_PT2_iSC_SC_.private_seg_size, 0+max(.L__assert_fail.private_seg_size)
	.set _Z39paged_attention_ll4mi_QKV_mfma16_kernelI14__hip_bfloat16hLN4vllm18Fp8KVCacheDataTypeE1ES0_Li16ELi128ELi256ELb1ELi10EEvPKT_PKT0_S8_ifPKiSA_SA_iPKfiiiPfSD_PS3_PT2_iSC_SC_.uses_vcc, or(1, .L__assert_fail.uses_vcc)
	.set _Z39paged_attention_ll4mi_QKV_mfma16_kernelI14__hip_bfloat16hLN4vllm18Fp8KVCacheDataTypeE1ES0_Li16ELi128ELi256ELb1ELi10EEvPKT_PKT0_S8_ifPKiSA_SA_iPKfiiiPfSD_PS3_PT2_iSC_SC_.uses_flat_scratch, or(0, .L__assert_fail.uses_flat_scratch)
	.set _Z39paged_attention_ll4mi_QKV_mfma16_kernelI14__hip_bfloat16hLN4vllm18Fp8KVCacheDataTypeE1ES0_Li16ELi128ELi256ELb1ELi10EEvPKT_PKT0_S8_ifPKiSA_SA_iPKfiiiPfSD_PS3_PT2_iSC_SC_.has_dyn_sized_stack, or(0, .L__assert_fail.has_dyn_sized_stack)
	.set _Z39paged_attention_ll4mi_QKV_mfma16_kernelI14__hip_bfloat16hLN4vllm18Fp8KVCacheDataTypeE1ES0_Li16ELi128ELi256ELb1ELi10EEvPKT_PKT0_S8_ifPKiSA_SA_iPKfiiiPfSD_PS3_PT2_iSC_SC_.has_recursion, or(0, .L__assert_fail.has_recursion)
	.set _Z39paged_attention_ll4mi_QKV_mfma16_kernelI14__hip_bfloat16hLN4vllm18Fp8KVCacheDataTypeE1ES0_Li16ELi128ELi256ELb1ELi10EEvPKT_PKT0_S8_ifPKiSA_SA_iPKfiiiPfSD_PS3_PT2_iSC_SC_.has_indirect_call, or(0, .L__assert_fail.has_indirect_call)
	.section	.AMDGPU.csdata,"",@progbits
; Kernel info:
; codeLenInByte = 68
; TotalNumSgprs: 36
; NumVgprs: 51
; ScratchSize: 64
; MemoryBound: 0
; FloatMode: 240
; IeeeMode: 1
; LDSByteSize: 0 bytes/workgroup (compile time only)
; SGPRBlocks: 0
; VGPRBlocks: 3
; NumSGPRsForWavesPerEU: 36
; NumVGPRsForWavesPerEU: 51
; NamedBarCnt: 0
; Occupancy: 16
; WaveLimiterHint : 1
; COMPUTE_PGM_RSRC2:SCRATCH_EN: 1
; COMPUTE_PGM_RSRC2:USER_SGPR: 2
; COMPUTE_PGM_RSRC2:TRAP_HANDLER: 0
; COMPUTE_PGM_RSRC2:TGID_X_EN: 1
; COMPUTE_PGM_RSRC2:TGID_Y_EN: 0
; COMPUTE_PGM_RSRC2:TGID_Z_EN: 0
; COMPUTE_PGM_RSRC2:TIDIG_COMP_CNT: 0
	.section	.text._Z39paged_attention_ll4mi_QKV_mfma16_kernelI14__hip_bfloat16hLN4vllm18Fp8KVCacheDataTypeE1ES0_Li16ELi128ELi256ELb1ELi11EEvPKT_PKT0_S8_ifPKiSA_SA_iPKfiiiPfSD_PS3_PT2_iSC_SC_,"axG",@progbits,_Z39paged_attention_ll4mi_QKV_mfma16_kernelI14__hip_bfloat16hLN4vllm18Fp8KVCacheDataTypeE1ES0_Li16ELi128ELi256ELb1ELi11EEvPKT_PKT0_S8_ifPKiSA_SA_iPKfiiiPfSD_PS3_PT2_iSC_SC_,comdat
	.protected	_Z39paged_attention_ll4mi_QKV_mfma16_kernelI14__hip_bfloat16hLN4vllm18Fp8KVCacheDataTypeE1ES0_Li16ELi128ELi256ELb1ELi11EEvPKT_PKT0_S8_ifPKiSA_SA_iPKfiiiPfSD_PS3_PT2_iSC_SC_ ; -- Begin function _Z39paged_attention_ll4mi_QKV_mfma16_kernelI14__hip_bfloat16hLN4vllm18Fp8KVCacheDataTypeE1ES0_Li16ELi128ELi256ELb1ELi11EEvPKT_PKT0_S8_ifPKiSA_SA_iPKfiiiPfSD_PS3_PT2_iSC_SC_
	.globl	_Z39paged_attention_ll4mi_QKV_mfma16_kernelI14__hip_bfloat16hLN4vllm18Fp8KVCacheDataTypeE1ES0_Li16ELi128ELi256ELb1ELi11EEvPKT_PKT0_S8_ifPKiSA_SA_iPKfiiiPfSD_PS3_PT2_iSC_SC_
	.p2align	8
	.type	_Z39paged_attention_ll4mi_QKV_mfma16_kernelI14__hip_bfloat16hLN4vllm18Fp8KVCacheDataTypeE1ES0_Li16ELi128ELi256ELb1ELi11EEvPKT_PKT0_S8_ifPKiSA_SA_iPKfiiiPfSD_PS3_PT2_iSC_SC_,@function
_Z39paged_attention_ll4mi_QKV_mfma16_kernelI14__hip_bfloat16hLN4vllm18Fp8KVCacheDataTypeE1ES0_Li16ELi128ELi256ELb1ELi11EEvPKT_PKT0_S8_ifPKiSA_SA_iPKfiiiPfSD_PS3_PT2_iSC_SC_: ; @_Z39paged_attention_ll4mi_QKV_mfma16_kernelI14__hip_bfloat16hLN4vllm18Fp8KVCacheDataTypeE1ES0_Li16ELi128ELi256ELb1ELi11EEvPKT_PKT0_S8_ifPKiSA_SA_iPKfiiiPfSD_PS3_PT2_iSC_SC_
; %bb.0:
	s_get_pc_i64 s[2:3]
	s_add_nc_u64 s[2:3], s[2:3], __PRETTY_FUNCTION__._Z39paged_attention_ll4mi_QKV_mfma16_kernelI14__hip_bfloat16hLN4vllm18Fp8KVCacheDataTypeE1ES0_Li16ELi128ELi256ELb1ELi11EEvPKT_PKT0_S8_ifPKiSA_SA_iPKfiiiPfSD_PS3_PT2_iSC_SC_@rel64+4
	s_delay_alu instid0(SALU_CYCLE_1)
	v_dual_mov_b32 v0, 0xbb3 :: v_dual_mov_b32 v1, s2
	v_mov_b32_e32 v2, s3
	s_add_nc_u64 s[8:9], s[0:1], 0x90
	s_get_pc_i64 s[0:1]
	s_add_nc_u64 s[0:1], s[0:1], __assert_fail@rel64+4
	s_mov_b32 s32, 0
	s_swap_pc_i64 s[30:31], s[0:1]
	.section	.rodata,"a",@progbits
	.p2align	6, 0x0
	.amdhsa_kernel _Z39paged_attention_ll4mi_QKV_mfma16_kernelI14__hip_bfloat16hLN4vllm18Fp8KVCacheDataTypeE1ES0_Li16ELi128ELi256ELb1ELi11EEvPKT_PKT0_S8_ifPKiSA_SA_iPKfiiiPfSD_PS3_PT2_iSC_SC_
		.amdhsa_group_segment_fixed_size 0
		.amdhsa_private_segment_fixed_size 64
		.amdhsa_kernarg_size 400
		.amdhsa_user_sgpr_count 2
		.amdhsa_user_sgpr_dispatch_ptr 0
		.amdhsa_user_sgpr_queue_ptr 0
		.amdhsa_user_sgpr_kernarg_segment_ptr 1
		.amdhsa_user_sgpr_dispatch_id 0
		.amdhsa_user_sgpr_kernarg_preload_length 0
		.amdhsa_user_sgpr_kernarg_preload_offset 0
		.amdhsa_user_sgpr_private_segment_size 0
		.amdhsa_wavefront_size32 1
		.amdhsa_uses_dynamic_stack 0
		.amdhsa_enable_private_segment 1
		.amdhsa_system_sgpr_workgroup_id_x 1
		.amdhsa_system_sgpr_workgroup_id_y 0
		.amdhsa_system_sgpr_workgroup_id_z 0
		.amdhsa_system_sgpr_workgroup_info 0
		.amdhsa_system_vgpr_workitem_id 0
		.amdhsa_next_free_vgpr 51
		.amdhsa_next_free_sgpr 34
		.amdhsa_named_barrier_count 0
		.amdhsa_reserve_vcc 1
		.amdhsa_float_round_mode_32 0
		.amdhsa_float_round_mode_16_64 0
		.amdhsa_float_denorm_mode_32 3
		.amdhsa_float_denorm_mode_16_64 3
		.amdhsa_fp16_overflow 0
		.amdhsa_memory_ordered 1
		.amdhsa_forward_progress 1
		.amdhsa_inst_pref_size 1
		.amdhsa_round_robin_scheduling 0
		.amdhsa_exception_fp_ieee_invalid_op 0
		.amdhsa_exception_fp_denorm_src 0
		.amdhsa_exception_fp_ieee_div_zero 0
		.amdhsa_exception_fp_ieee_overflow 0
		.amdhsa_exception_fp_ieee_underflow 0
		.amdhsa_exception_fp_ieee_inexact 0
		.amdhsa_exception_int_div_zero 0
	.end_amdhsa_kernel
	.section	.text._Z39paged_attention_ll4mi_QKV_mfma16_kernelI14__hip_bfloat16hLN4vllm18Fp8KVCacheDataTypeE1ES0_Li16ELi128ELi256ELb1ELi11EEvPKT_PKT0_S8_ifPKiSA_SA_iPKfiiiPfSD_PS3_PT2_iSC_SC_,"axG",@progbits,_Z39paged_attention_ll4mi_QKV_mfma16_kernelI14__hip_bfloat16hLN4vllm18Fp8KVCacheDataTypeE1ES0_Li16ELi128ELi256ELb1ELi11EEvPKT_PKT0_S8_ifPKiSA_SA_iPKfiiiPfSD_PS3_PT2_iSC_SC_,comdat
.Lfunc_end1300:
	.size	_Z39paged_attention_ll4mi_QKV_mfma16_kernelI14__hip_bfloat16hLN4vllm18Fp8KVCacheDataTypeE1ES0_Li16ELi128ELi256ELb1ELi11EEvPKT_PKT0_S8_ifPKiSA_SA_iPKfiiiPfSD_PS3_PT2_iSC_SC_, .Lfunc_end1300-_Z39paged_attention_ll4mi_QKV_mfma16_kernelI14__hip_bfloat16hLN4vllm18Fp8KVCacheDataTypeE1ES0_Li16ELi128ELi256ELb1ELi11EEvPKT_PKT0_S8_ifPKiSA_SA_iPKfiiiPfSD_PS3_PT2_iSC_SC_
                                        ; -- End function
	.set _Z39paged_attention_ll4mi_QKV_mfma16_kernelI14__hip_bfloat16hLN4vllm18Fp8KVCacheDataTypeE1ES0_Li16ELi128ELi256ELb1ELi11EEvPKT_PKT0_S8_ifPKiSA_SA_iPKfiiiPfSD_PS3_PT2_iSC_SC_.num_vgpr, max(3, .L__assert_fail.num_vgpr)
	.set _Z39paged_attention_ll4mi_QKV_mfma16_kernelI14__hip_bfloat16hLN4vllm18Fp8KVCacheDataTypeE1ES0_Li16ELi128ELi256ELb1ELi11EEvPKT_PKT0_S8_ifPKiSA_SA_iPKfiiiPfSD_PS3_PT2_iSC_SC_.num_agpr, max(0, .L__assert_fail.num_agpr)
	.set _Z39paged_attention_ll4mi_QKV_mfma16_kernelI14__hip_bfloat16hLN4vllm18Fp8KVCacheDataTypeE1ES0_Li16ELi128ELi256ELb1ELi11EEvPKT_PKT0_S8_ifPKiSA_SA_iPKfiiiPfSD_PS3_PT2_iSC_SC_.numbered_sgpr, max(33, .L__assert_fail.numbered_sgpr)
	.set _Z39paged_attention_ll4mi_QKV_mfma16_kernelI14__hip_bfloat16hLN4vllm18Fp8KVCacheDataTypeE1ES0_Li16ELi128ELi256ELb1ELi11EEvPKT_PKT0_S8_ifPKiSA_SA_iPKfiiiPfSD_PS3_PT2_iSC_SC_.num_named_barrier, max(0, .L__assert_fail.num_named_barrier)
	.set _Z39paged_attention_ll4mi_QKV_mfma16_kernelI14__hip_bfloat16hLN4vllm18Fp8KVCacheDataTypeE1ES0_Li16ELi128ELi256ELb1ELi11EEvPKT_PKT0_S8_ifPKiSA_SA_iPKfiiiPfSD_PS3_PT2_iSC_SC_.private_seg_size, 0+max(.L__assert_fail.private_seg_size)
	.set _Z39paged_attention_ll4mi_QKV_mfma16_kernelI14__hip_bfloat16hLN4vllm18Fp8KVCacheDataTypeE1ES0_Li16ELi128ELi256ELb1ELi11EEvPKT_PKT0_S8_ifPKiSA_SA_iPKfiiiPfSD_PS3_PT2_iSC_SC_.uses_vcc, or(1, .L__assert_fail.uses_vcc)
	.set _Z39paged_attention_ll4mi_QKV_mfma16_kernelI14__hip_bfloat16hLN4vllm18Fp8KVCacheDataTypeE1ES0_Li16ELi128ELi256ELb1ELi11EEvPKT_PKT0_S8_ifPKiSA_SA_iPKfiiiPfSD_PS3_PT2_iSC_SC_.uses_flat_scratch, or(0, .L__assert_fail.uses_flat_scratch)
	.set _Z39paged_attention_ll4mi_QKV_mfma16_kernelI14__hip_bfloat16hLN4vllm18Fp8KVCacheDataTypeE1ES0_Li16ELi128ELi256ELb1ELi11EEvPKT_PKT0_S8_ifPKiSA_SA_iPKfiiiPfSD_PS3_PT2_iSC_SC_.has_dyn_sized_stack, or(0, .L__assert_fail.has_dyn_sized_stack)
	.set _Z39paged_attention_ll4mi_QKV_mfma16_kernelI14__hip_bfloat16hLN4vllm18Fp8KVCacheDataTypeE1ES0_Li16ELi128ELi256ELb1ELi11EEvPKT_PKT0_S8_ifPKiSA_SA_iPKfiiiPfSD_PS3_PT2_iSC_SC_.has_recursion, or(0, .L__assert_fail.has_recursion)
	.set _Z39paged_attention_ll4mi_QKV_mfma16_kernelI14__hip_bfloat16hLN4vllm18Fp8KVCacheDataTypeE1ES0_Li16ELi128ELi256ELb1ELi11EEvPKT_PKT0_S8_ifPKiSA_SA_iPKfiiiPfSD_PS3_PT2_iSC_SC_.has_indirect_call, or(0, .L__assert_fail.has_indirect_call)
	.section	.AMDGPU.csdata,"",@progbits
; Kernel info:
; codeLenInByte = 68
; TotalNumSgprs: 36
; NumVgprs: 51
; ScratchSize: 64
; MemoryBound: 0
; FloatMode: 240
; IeeeMode: 1
; LDSByteSize: 0 bytes/workgroup (compile time only)
; SGPRBlocks: 0
; VGPRBlocks: 3
; NumSGPRsForWavesPerEU: 36
; NumVGPRsForWavesPerEU: 51
; NamedBarCnt: 0
; Occupancy: 16
; WaveLimiterHint : 1
; COMPUTE_PGM_RSRC2:SCRATCH_EN: 1
; COMPUTE_PGM_RSRC2:USER_SGPR: 2
; COMPUTE_PGM_RSRC2:TRAP_HANDLER: 0
; COMPUTE_PGM_RSRC2:TGID_X_EN: 1
; COMPUTE_PGM_RSRC2:TGID_Y_EN: 0
; COMPUTE_PGM_RSRC2:TGID_Z_EN: 0
; COMPUTE_PGM_RSRC2:TIDIG_COMP_CNT: 0
	.section	.text._Z39paged_attention_ll4mi_QKV_mfma16_kernelI14__hip_bfloat16hLN4vllm18Fp8KVCacheDataTypeE1ES0_Li16ELi128ELi256ELb1ELi12EEvPKT_PKT0_S8_ifPKiSA_SA_iPKfiiiPfSD_PS3_PT2_iSC_SC_,"axG",@progbits,_Z39paged_attention_ll4mi_QKV_mfma16_kernelI14__hip_bfloat16hLN4vllm18Fp8KVCacheDataTypeE1ES0_Li16ELi128ELi256ELb1ELi12EEvPKT_PKT0_S8_ifPKiSA_SA_iPKfiiiPfSD_PS3_PT2_iSC_SC_,comdat
	.protected	_Z39paged_attention_ll4mi_QKV_mfma16_kernelI14__hip_bfloat16hLN4vllm18Fp8KVCacheDataTypeE1ES0_Li16ELi128ELi256ELb1ELi12EEvPKT_PKT0_S8_ifPKiSA_SA_iPKfiiiPfSD_PS3_PT2_iSC_SC_ ; -- Begin function _Z39paged_attention_ll4mi_QKV_mfma16_kernelI14__hip_bfloat16hLN4vllm18Fp8KVCacheDataTypeE1ES0_Li16ELi128ELi256ELb1ELi12EEvPKT_PKT0_S8_ifPKiSA_SA_iPKfiiiPfSD_PS3_PT2_iSC_SC_
	.globl	_Z39paged_attention_ll4mi_QKV_mfma16_kernelI14__hip_bfloat16hLN4vllm18Fp8KVCacheDataTypeE1ES0_Li16ELi128ELi256ELb1ELi12EEvPKT_PKT0_S8_ifPKiSA_SA_iPKfiiiPfSD_PS3_PT2_iSC_SC_
	.p2align	8
	.type	_Z39paged_attention_ll4mi_QKV_mfma16_kernelI14__hip_bfloat16hLN4vllm18Fp8KVCacheDataTypeE1ES0_Li16ELi128ELi256ELb1ELi12EEvPKT_PKT0_S8_ifPKiSA_SA_iPKfiiiPfSD_PS3_PT2_iSC_SC_,@function
_Z39paged_attention_ll4mi_QKV_mfma16_kernelI14__hip_bfloat16hLN4vllm18Fp8KVCacheDataTypeE1ES0_Li16ELi128ELi256ELb1ELi12EEvPKT_PKT0_S8_ifPKiSA_SA_iPKfiiiPfSD_PS3_PT2_iSC_SC_: ; @_Z39paged_attention_ll4mi_QKV_mfma16_kernelI14__hip_bfloat16hLN4vllm18Fp8KVCacheDataTypeE1ES0_Li16ELi128ELi256ELb1ELi12EEvPKT_PKT0_S8_ifPKiSA_SA_iPKfiiiPfSD_PS3_PT2_iSC_SC_
; %bb.0:
	s_get_pc_i64 s[2:3]
	s_add_nc_u64 s[2:3], s[2:3], __PRETTY_FUNCTION__._Z39paged_attention_ll4mi_QKV_mfma16_kernelI14__hip_bfloat16hLN4vllm18Fp8KVCacheDataTypeE1ES0_Li16ELi128ELi256ELb1ELi12EEvPKT_PKT0_S8_ifPKiSA_SA_iPKfiiiPfSD_PS3_PT2_iSC_SC_@rel64+4
	s_delay_alu instid0(SALU_CYCLE_1)
	v_dual_mov_b32 v0, 0xbb3 :: v_dual_mov_b32 v1, s2
	v_mov_b32_e32 v2, s3
	s_add_nc_u64 s[8:9], s[0:1], 0x90
	s_get_pc_i64 s[0:1]
	s_add_nc_u64 s[0:1], s[0:1], __assert_fail@rel64+4
	s_mov_b32 s32, 0
	s_swap_pc_i64 s[30:31], s[0:1]
	.section	.rodata,"a",@progbits
	.p2align	6, 0x0
	.amdhsa_kernel _Z39paged_attention_ll4mi_QKV_mfma16_kernelI14__hip_bfloat16hLN4vllm18Fp8KVCacheDataTypeE1ES0_Li16ELi128ELi256ELb1ELi12EEvPKT_PKT0_S8_ifPKiSA_SA_iPKfiiiPfSD_PS3_PT2_iSC_SC_
		.amdhsa_group_segment_fixed_size 0
		.amdhsa_private_segment_fixed_size 64
		.amdhsa_kernarg_size 400
		.amdhsa_user_sgpr_count 2
		.amdhsa_user_sgpr_dispatch_ptr 0
		.amdhsa_user_sgpr_queue_ptr 0
		.amdhsa_user_sgpr_kernarg_segment_ptr 1
		.amdhsa_user_sgpr_dispatch_id 0
		.amdhsa_user_sgpr_kernarg_preload_length 0
		.amdhsa_user_sgpr_kernarg_preload_offset 0
		.amdhsa_user_sgpr_private_segment_size 0
		.amdhsa_wavefront_size32 1
		.amdhsa_uses_dynamic_stack 0
		.amdhsa_enable_private_segment 1
		.amdhsa_system_sgpr_workgroup_id_x 1
		.amdhsa_system_sgpr_workgroup_id_y 0
		.amdhsa_system_sgpr_workgroup_id_z 0
		.amdhsa_system_sgpr_workgroup_info 0
		.amdhsa_system_vgpr_workitem_id 0
		.amdhsa_next_free_vgpr 51
		.amdhsa_next_free_sgpr 34
		.amdhsa_named_barrier_count 0
		.amdhsa_reserve_vcc 1
		.amdhsa_float_round_mode_32 0
		.amdhsa_float_round_mode_16_64 0
		.amdhsa_float_denorm_mode_32 3
		.amdhsa_float_denorm_mode_16_64 3
		.amdhsa_fp16_overflow 0
		.amdhsa_memory_ordered 1
		.amdhsa_forward_progress 1
		.amdhsa_inst_pref_size 1
		.amdhsa_round_robin_scheduling 0
		.amdhsa_exception_fp_ieee_invalid_op 0
		.amdhsa_exception_fp_denorm_src 0
		.amdhsa_exception_fp_ieee_div_zero 0
		.amdhsa_exception_fp_ieee_overflow 0
		.amdhsa_exception_fp_ieee_underflow 0
		.amdhsa_exception_fp_ieee_inexact 0
		.amdhsa_exception_int_div_zero 0
	.end_amdhsa_kernel
	.section	.text._Z39paged_attention_ll4mi_QKV_mfma16_kernelI14__hip_bfloat16hLN4vllm18Fp8KVCacheDataTypeE1ES0_Li16ELi128ELi256ELb1ELi12EEvPKT_PKT0_S8_ifPKiSA_SA_iPKfiiiPfSD_PS3_PT2_iSC_SC_,"axG",@progbits,_Z39paged_attention_ll4mi_QKV_mfma16_kernelI14__hip_bfloat16hLN4vllm18Fp8KVCacheDataTypeE1ES0_Li16ELi128ELi256ELb1ELi12EEvPKT_PKT0_S8_ifPKiSA_SA_iPKfiiiPfSD_PS3_PT2_iSC_SC_,comdat
.Lfunc_end1301:
	.size	_Z39paged_attention_ll4mi_QKV_mfma16_kernelI14__hip_bfloat16hLN4vllm18Fp8KVCacheDataTypeE1ES0_Li16ELi128ELi256ELb1ELi12EEvPKT_PKT0_S8_ifPKiSA_SA_iPKfiiiPfSD_PS3_PT2_iSC_SC_, .Lfunc_end1301-_Z39paged_attention_ll4mi_QKV_mfma16_kernelI14__hip_bfloat16hLN4vllm18Fp8KVCacheDataTypeE1ES0_Li16ELi128ELi256ELb1ELi12EEvPKT_PKT0_S8_ifPKiSA_SA_iPKfiiiPfSD_PS3_PT2_iSC_SC_
                                        ; -- End function
	.set _Z39paged_attention_ll4mi_QKV_mfma16_kernelI14__hip_bfloat16hLN4vllm18Fp8KVCacheDataTypeE1ES0_Li16ELi128ELi256ELb1ELi12EEvPKT_PKT0_S8_ifPKiSA_SA_iPKfiiiPfSD_PS3_PT2_iSC_SC_.num_vgpr, max(3, .L__assert_fail.num_vgpr)
	.set _Z39paged_attention_ll4mi_QKV_mfma16_kernelI14__hip_bfloat16hLN4vllm18Fp8KVCacheDataTypeE1ES0_Li16ELi128ELi256ELb1ELi12EEvPKT_PKT0_S8_ifPKiSA_SA_iPKfiiiPfSD_PS3_PT2_iSC_SC_.num_agpr, max(0, .L__assert_fail.num_agpr)
	.set _Z39paged_attention_ll4mi_QKV_mfma16_kernelI14__hip_bfloat16hLN4vllm18Fp8KVCacheDataTypeE1ES0_Li16ELi128ELi256ELb1ELi12EEvPKT_PKT0_S8_ifPKiSA_SA_iPKfiiiPfSD_PS3_PT2_iSC_SC_.numbered_sgpr, max(33, .L__assert_fail.numbered_sgpr)
	.set _Z39paged_attention_ll4mi_QKV_mfma16_kernelI14__hip_bfloat16hLN4vllm18Fp8KVCacheDataTypeE1ES0_Li16ELi128ELi256ELb1ELi12EEvPKT_PKT0_S8_ifPKiSA_SA_iPKfiiiPfSD_PS3_PT2_iSC_SC_.num_named_barrier, max(0, .L__assert_fail.num_named_barrier)
	.set _Z39paged_attention_ll4mi_QKV_mfma16_kernelI14__hip_bfloat16hLN4vllm18Fp8KVCacheDataTypeE1ES0_Li16ELi128ELi256ELb1ELi12EEvPKT_PKT0_S8_ifPKiSA_SA_iPKfiiiPfSD_PS3_PT2_iSC_SC_.private_seg_size, 0+max(.L__assert_fail.private_seg_size)
	.set _Z39paged_attention_ll4mi_QKV_mfma16_kernelI14__hip_bfloat16hLN4vllm18Fp8KVCacheDataTypeE1ES0_Li16ELi128ELi256ELb1ELi12EEvPKT_PKT0_S8_ifPKiSA_SA_iPKfiiiPfSD_PS3_PT2_iSC_SC_.uses_vcc, or(1, .L__assert_fail.uses_vcc)
	.set _Z39paged_attention_ll4mi_QKV_mfma16_kernelI14__hip_bfloat16hLN4vllm18Fp8KVCacheDataTypeE1ES0_Li16ELi128ELi256ELb1ELi12EEvPKT_PKT0_S8_ifPKiSA_SA_iPKfiiiPfSD_PS3_PT2_iSC_SC_.uses_flat_scratch, or(0, .L__assert_fail.uses_flat_scratch)
	.set _Z39paged_attention_ll4mi_QKV_mfma16_kernelI14__hip_bfloat16hLN4vllm18Fp8KVCacheDataTypeE1ES0_Li16ELi128ELi256ELb1ELi12EEvPKT_PKT0_S8_ifPKiSA_SA_iPKfiiiPfSD_PS3_PT2_iSC_SC_.has_dyn_sized_stack, or(0, .L__assert_fail.has_dyn_sized_stack)
	.set _Z39paged_attention_ll4mi_QKV_mfma16_kernelI14__hip_bfloat16hLN4vllm18Fp8KVCacheDataTypeE1ES0_Li16ELi128ELi256ELb1ELi12EEvPKT_PKT0_S8_ifPKiSA_SA_iPKfiiiPfSD_PS3_PT2_iSC_SC_.has_recursion, or(0, .L__assert_fail.has_recursion)
	.set _Z39paged_attention_ll4mi_QKV_mfma16_kernelI14__hip_bfloat16hLN4vllm18Fp8KVCacheDataTypeE1ES0_Li16ELi128ELi256ELb1ELi12EEvPKT_PKT0_S8_ifPKiSA_SA_iPKfiiiPfSD_PS3_PT2_iSC_SC_.has_indirect_call, or(0, .L__assert_fail.has_indirect_call)
	.section	.AMDGPU.csdata,"",@progbits
; Kernel info:
; codeLenInByte = 68
; TotalNumSgprs: 36
; NumVgprs: 51
; ScratchSize: 64
; MemoryBound: 0
; FloatMode: 240
; IeeeMode: 1
; LDSByteSize: 0 bytes/workgroup (compile time only)
; SGPRBlocks: 0
; VGPRBlocks: 3
; NumSGPRsForWavesPerEU: 36
; NumVGPRsForWavesPerEU: 51
; NamedBarCnt: 0
; Occupancy: 16
; WaveLimiterHint : 1
; COMPUTE_PGM_RSRC2:SCRATCH_EN: 1
; COMPUTE_PGM_RSRC2:USER_SGPR: 2
; COMPUTE_PGM_RSRC2:TRAP_HANDLER: 0
; COMPUTE_PGM_RSRC2:TGID_X_EN: 1
; COMPUTE_PGM_RSRC2:TGID_Y_EN: 0
; COMPUTE_PGM_RSRC2:TGID_Z_EN: 0
; COMPUTE_PGM_RSRC2:TIDIG_COMP_CNT: 0
	.section	.text._Z39paged_attention_ll4mi_QKV_mfma16_kernelI14__hip_bfloat16hLN4vllm18Fp8KVCacheDataTypeE1ES0_Li16ELi128ELi256ELb1ELi13EEvPKT_PKT0_S8_ifPKiSA_SA_iPKfiiiPfSD_PS3_PT2_iSC_SC_,"axG",@progbits,_Z39paged_attention_ll4mi_QKV_mfma16_kernelI14__hip_bfloat16hLN4vllm18Fp8KVCacheDataTypeE1ES0_Li16ELi128ELi256ELb1ELi13EEvPKT_PKT0_S8_ifPKiSA_SA_iPKfiiiPfSD_PS3_PT2_iSC_SC_,comdat
	.protected	_Z39paged_attention_ll4mi_QKV_mfma16_kernelI14__hip_bfloat16hLN4vllm18Fp8KVCacheDataTypeE1ES0_Li16ELi128ELi256ELb1ELi13EEvPKT_PKT0_S8_ifPKiSA_SA_iPKfiiiPfSD_PS3_PT2_iSC_SC_ ; -- Begin function _Z39paged_attention_ll4mi_QKV_mfma16_kernelI14__hip_bfloat16hLN4vllm18Fp8KVCacheDataTypeE1ES0_Li16ELi128ELi256ELb1ELi13EEvPKT_PKT0_S8_ifPKiSA_SA_iPKfiiiPfSD_PS3_PT2_iSC_SC_
	.globl	_Z39paged_attention_ll4mi_QKV_mfma16_kernelI14__hip_bfloat16hLN4vllm18Fp8KVCacheDataTypeE1ES0_Li16ELi128ELi256ELb1ELi13EEvPKT_PKT0_S8_ifPKiSA_SA_iPKfiiiPfSD_PS3_PT2_iSC_SC_
	.p2align	8
	.type	_Z39paged_attention_ll4mi_QKV_mfma16_kernelI14__hip_bfloat16hLN4vllm18Fp8KVCacheDataTypeE1ES0_Li16ELi128ELi256ELb1ELi13EEvPKT_PKT0_S8_ifPKiSA_SA_iPKfiiiPfSD_PS3_PT2_iSC_SC_,@function
_Z39paged_attention_ll4mi_QKV_mfma16_kernelI14__hip_bfloat16hLN4vllm18Fp8KVCacheDataTypeE1ES0_Li16ELi128ELi256ELb1ELi13EEvPKT_PKT0_S8_ifPKiSA_SA_iPKfiiiPfSD_PS3_PT2_iSC_SC_: ; @_Z39paged_attention_ll4mi_QKV_mfma16_kernelI14__hip_bfloat16hLN4vllm18Fp8KVCacheDataTypeE1ES0_Li16ELi128ELi256ELb1ELi13EEvPKT_PKT0_S8_ifPKiSA_SA_iPKfiiiPfSD_PS3_PT2_iSC_SC_
; %bb.0:
	s_get_pc_i64 s[2:3]
	s_add_nc_u64 s[2:3], s[2:3], __PRETTY_FUNCTION__._Z39paged_attention_ll4mi_QKV_mfma16_kernelI14__hip_bfloat16hLN4vllm18Fp8KVCacheDataTypeE1ES0_Li16ELi128ELi256ELb1ELi13EEvPKT_PKT0_S8_ifPKiSA_SA_iPKfiiiPfSD_PS3_PT2_iSC_SC_@rel64+4
	s_delay_alu instid0(SALU_CYCLE_1)
	v_dual_mov_b32 v0, 0xbb3 :: v_dual_mov_b32 v1, s2
	v_mov_b32_e32 v2, s3
	s_add_nc_u64 s[8:9], s[0:1], 0x90
	s_get_pc_i64 s[0:1]
	s_add_nc_u64 s[0:1], s[0:1], __assert_fail@rel64+4
	s_mov_b32 s32, 0
	s_swap_pc_i64 s[30:31], s[0:1]
	.section	.rodata,"a",@progbits
	.p2align	6, 0x0
	.amdhsa_kernel _Z39paged_attention_ll4mi_QKV_mfma16_kernelI14__hip_bfloat16hLN4vllm18Fp8KVCacheDataTypeE1ES0_Li16ELi128ELi256ELb1ELi13EEvPKT_PKT0_S8_ifPKiSA_SA_iPKfiiiPfSD_PS3_PT2_iSC_SC_
		.amdhsa_group_segment_fixed_size 0
		.amdhsa_private_segment_fixed_size 64
		.amdhsa_kernarg_size 400
		.amdhsa_user_sgpr_count 2
		.amdhsa_user_sgpr_dispatch_ptr 0
		.amdhsa_user_sgpr_queue_ptr 0
		.amdhsa_user_sgpr_kernarg_segment_ptr 1
		.amdhsa_user_sgpr_dispatch_id 0
		.amdhsa_user_sgpr_kernarg_preload_length 0
		.amdhsa_user_sgpr_kernarg_preload_offset 0
		.amdhsa_user_sgpr_private_segment_size 0
		.amdhsa_wavefront_size32 1
		.amdhsa_uses_dynamic_stack 0
		.amdhsa_enable_private_segment 1
		.amdhsa_system_sgpr_workgroup_id_x 1
		.amdhsa_system_sgpr_workgroup_id_y 0
		.amdhsa_system_sgpr_workgroup_id_z 0
		.amdhsa_system_sgpr_workgroup_info 0
		.amdhsa_system_vgpr_workitem_id 0
		.amdhsa_next_free_vgpr 51
		.amdhsa_next_free_sgpr 34
		.amdhsa_named_barrier_count 0
		.amdhsa_reserve_vcc 1
		.amdhsa_float_round_mode_32 0
		.amdhsa_float_round_mode_16_64 0
		.amdhsa_float_denorm_mode_32 3
		.amdhsa_float_denorm_mode_16_64 3
		.amdhsa_fp16_overflow 0
		.amdhsa_memory_ordered 1
		.amdhsa_forward_progress 1
		.amdhsa_inst_pref_size 1
		.amdhsa_round_robin_scheduling 0
		.amdhsa_exception_fp_ieee_invalid_op 0
		.amdhsa_exception_fp_denorm_src 0
		.amdhsa_exception_fp_ieee_div_zero 0
		.amdhsa_exception_fp_ieee_overflow 0
		.amdhsa_exception_fp_ieee_underflow 0
		.amdhsa_exception_fp_ieee_inexact 0
		.amdhsa_exception_int_div_zero 0
	.end_amdhsa_kernel
	.section	.text._Z39paged_attention_ll4mi_QKV_mfma16_kernelI14__hip_bfloat16hLN4vllm18Fp8KVCacheDataTypeE1ES0_Li16ELi128ELi256ELb1ELi13EEvPKT_PKT0_S8_ifPKiSA_SA_iPKfiiiPfSD_PS3_PT2_iSC_SC_,"axG",@progbits,_Z39paged_attention_ll4mi_QKV_mfma16_kernelI14__hip_bfloat16hLN4vllm18Fp8KVCacheDataTypeE1ES0_Li16ELi128ELi256ELb1ELi13EEvPKT_PKT0_S8_ifPKiSA_SA_iPKfiiiPfSD_PS3_PT2_iSC_SC_,comdat
.Lfunc_end1302:
	.size	_Z39paged_attention_ll4mi_QKV_mfma16_kernelI14__hip_bfloat16hLN4vllm18Fp8KVCacheDataTypeE1ES0_Li16ELi128ELi256ELb1ELi13EEvPKT_PKT0_S8_ifPKiSA_SA_iPKfiiiPfSD_PS3_PT2_iSC_SC_, .Lfunc_end1302-_Z39paged_attention_ll4mi_QKV_mfma16_kernelI14__hip_bfloat16hLN4vllm18Fp8KVCacheDataTypeE1ES0_Li16ELi128ELi256ELb1ELi13EEvPKT_PKT0_S8_ifPKiSA_SA_iPKfiiiPfSD_PS3_PT2_iSC_SC_
                                        ; -- End function
	.set _Z39paged_attention_ll4mi_QKV_mfma16_kernelI14__hip_bfloat16hLN4vllm18Fp8KVCacheDataTypeE1ES0_Li16ELi128ELi256ELb1ELi13EEvPKT_PKT0_S8_ifPKiSA_SA_iPKfiiiPfSD_PS3_PT2_iSC_SC_.num_vgpr, max(3, .L__assert_fail.num_vgpr)
	.set _Z39paged_attention_ll4mi_QKV_mfma16_kernelI14__hip_bfloat16hLN4vllm18Fp8KVCacheDataTypeE1ES0_Li16ELi128ELi256ELb1ELi13EEvPKT_PKT0_S8_ifPKiSA_SA_iPKfiiiPfSD_PS3_PT2_iSC_SC_.num_agpr, max(0, .L__assert_fail.num_agpr)
	.set _Z39paged_attention_ll4mi_QKV_mfma16_kernelI14__hip_bfloat16hLN4vllm18Fp8KVCacheDataTypeE1ES0_Li16ELi128ELi256ELb1ELi13EEvPKT_PKT0_S8_ifPKiSA_SA_iPKfiiiPfSD_PS3_PT2_iSC_SC_.numbered_sgpr, max(33, .L__assert_fail.numbered_sgpr)
	.set _Z39paged_attention_ll4mi_QKV_mfma16_kernelI14__hip_bfloat16hLN4vllm18Fp8KVCacheDataTypeE1ES0_Li16ELi128ELi256ELb1ELi13EEvPKT_PKT0_S8_ifPKiSA_SA_iPKfiiiPfSD_PS3_PT2_iSC_SC_.num_named_barrier, max(0, .L__assert_fail.num_named_barrier)
	.set _Z39paged_attention_ll4mi_QKV_mfma16_kernelI14__hip_bfloat16hLN4vllm18Fp8KVCacheDataTypeE1ES0_Li16ELi128ELi256ELb1ELi13EEvPKT_PKT0_S8_ifPKiSA_SA_iPKfiiiPfSD_PS3_PT2_iSC_SC_.private_seg_size, 0+max(.L__assert_fail.private_seg_size)
	.set _Z39paged_attention_ll4mi_QKV_mfma16_kernelI14__hip_bfloat16hLN4vllm18Fp8KVCacheDataTypeE1ES0_Li16ELi128ELi256ELb1ELi13EEvPKT_PKT0_S8_ifPKiSA_SA_iPKfiiiPfSD_PS3_PT2_iSC_SC_.uses_vcc, or(1, .L__assert_fail.uses_vcc)
	.set _Z39paged_attention_ll4mi_QKV_mfma16_kernelI14__hip_bfloat16hLN4vllm18Fp8KVCacheDataTypeE1ES0_Li16ELi128ELi256ELb1ELi13EEvPKT_PKT0_S8_ifPKiSA_SA_iPKfiiiPfSD_PS3_PT2_iSC_SC_.uses_flat_scratch, or(0, .L__assert_fail.uses_flat_scratch)
	.set _Z39paged_attention_ll4mi_QKV_mfma16_kernelI14__hip_bfloat16hLN4vllm18Fp8KVCacheDataTypeE1ES0_Li16ELi128ELi256ELb1ELi13EEvPKT_PKT0_S8_ifPKiSA_SA_iPKfiiiPfSD_PS3_PT2_iSC_SC_.has_dyn_sized_stack, or(0, .L__assert_fail.has_dyn_sized_stack)
	.set _Z39paged_attention_ll4mi_QKV_mfma16_kernelI14__hip_bfloat16hLN4vllm18Fp8KVCacheDataTypeE1ES0_Li16ELi128ELi256ELb1ELi13EEvPKT_PKT0_S8_ifPKiSA_SA_iPKfiiiPfSD_PS3_PT2_iSC_SC_.has_recursion, or(0, .L__assert_fail.has_recursion)
	.set _Z39paged_attention_ll4mi_QKV_mfma16_kernelI14__hip_bfloat16hLN4vllm18Fp8KVCacheDataTypeE1ES0_Li16ELi128ELi256ELb1ELi13EEvPKT_PKT0_S8_ifPKiSA_SA_iPKfiiiPfSD_PS3_PT2_iSC_SC_.has_indirect_call, or(0, .L__assert_fail.has_indirect_call)
	.section	.AMDGPU.csdata,"",@progbits
; Kernel info:
; codeLenInByte = 68
; TotalNumSgprs: 36
; NumVgprs: 51
; ScratchSize: 64
; MemoryBound: 0
; FloatMode: 240
; IeeeMode: 1
; LDSByteSize: 0 bytes/workgroup (compile time only)
; SGPRBlocks: 0
; VGPRBlocks: 3
; NumSGPRsForWavesPerEU: 36
; NumVGPRsForWavesPerEU: 51
; NamedBarCnt: 0
; Occupancy: 16
; WaveLimiterHint : 1
; COMPUTE_PGM_RSRC2:SCRATCH_EN: 1
; COMPUTE_PGM_RSRC2:USER_SGPR: 2
; COMPUTE_PGM_RSRC2:TRAP_HANDLER: 0
; COMPUTE_PGM_RSRC2:TGID_X_EN: 1
; COMPUTE_PGM_RSRC2:TGID_Y_EN: 0
; COMPUTE_PGM_RSRC2:TGID_Z_EN: 0
; COMPUTE_PGM_RSRC2:TIDIG_COMP_CNT: 0
	.section	.text._Z39paged_attention_ll4mi_QKV_mfma16_kernelI14__hip_bfloat16hLN4vllm18Fp8KVCacheDataTypeE1ES0_Li16ELi128ELi256ELb1ELi14EEvPKT_PKT0_S8_ifPKiSA_SA_iPKfiiiPfSD_PS3_PT2_iSC_SC_,"axG",@progbits,_Z39paged_attention_ll4mi_QKV_mfma16_kernelI14__hip_bfloat16hLN4vllm18Fp8KVCacheDataTypeE1ES0_Li16ELi128ELi256ELb1ELi14EEvPKT_PKT0_S8_ifPKiSA_SA_iPKfiiiPfSD_PS3_PT2_iSC_SC_,comdat
	.protected	_Z39paged_attention_ll4mi_QKV_mfma16_kernelI14__hip_bfloat16hLN4vllm18Fp8KVCacheDataTypeE1ES0_Li16ELi128ELi256ELb1ELi14EEvPKT_PKT0_S8_ifPKiSA_SA_iPKfiiiPfSD_PS3_PT2_iSC_SC_ ; -- Begin function _Z39paged_attention_ll4mi_QKV_mfma16_kernelI14__hip_bfloat16hLN4vllm18Fp8KVCacheDataTypeE1ES0_Li16ELi128ELi256ELb1ELi14EEvPKT_PKT0_S8_ifPKiSA_SA_iPKfiiiPfSD_PS3_PT2_iSC_SC_
	.globl	_Z39paged_attention_ll4mi_QKV_mfma16_kernelI14__hip_bfloat16hLN4vllm18Fp8KVCacheDataTypeE1ES0_Li16ELi128ELi256ELb1ELi14EEvPKT_PKT0_S8_ifPKiSA_SA_iPKfiiiPfSD_PS3_PT2_iSC_SC_
	.p2align	8
	.type	_Z39paged_attention_ll4mi_QKV_mfma16_kernelI14__hip_bfloat16hLN4vllm18Fp8KVCacheDataTypeE1ES0_Li16ELi128ELi256ELb1ELi14EEvPKT_PKT0_S8_ifPKiSA_SA_iPKfiiiPfSD_PS3_PT2_iSC_SC_,@function
_Z39paged_attention_ll4mi_QKV_mfma16_kernelI14__hip_bfloat16hLN4vllm18Fp8KVCacheDataTypeE1ES0_Li16ELi128ELi256ELb1ELi14EEvPKT_PKT0_S8_ifPKiSA_SA_iPKfiiiPfSD_PS3_PT2_iSC_SC_: ; @_Z39paged_attention_ll4mi_QKV_mfma16_kernelI14__hip_bfloat16hLN4vllm18Fp8KVCacheDataTypeE1ES0_Li16ELi128ELi256ELb1ELi14EEvPKT_PKT0_S8_ifPKiSA_SA_iPKfiiiPfSD_PS3_PT2_iSC_SC_
; %bb.0:
	s_get_pc_i64 s[2:3]
	s_add_nc_u64 s[2:3], s[2:3], __PRETTY_FUNCTION__._Z39paged_attention_ll4mi_QKV_mfma16_kernelI14__hip_bfloat16hLN4vllm18Fp8KVCacheDataTypeE1ES0_Li16ELi128ELi256ELb1ELi14EEvPKT_PKT0_S8_ifPKiSA_SA_iPKfiiiPfSD_PS3_PT2_iSC_SC_@rel64+4
	s_delay_alu instid0(SALU_CYCLE_1)
	v_dual_mov_b32 v0, 0xbb3 :: v_dual_mov_b32 v1, s2
	v_mov_b32_e32 v2, s3
	s_add_nc_u64 s[8:9], s[0:1], 0x90
	s_get_pc_i64 s[0:1]
	s_add_nc_u64 s[0:1], s[0:1], __assert_fail@rel64+4
	s_mov_b32 s32, 0
	s_swap_pc_i64 s[30:31], s[0:1]
	.section	.rodata,"a",@progbits
	.p2align	6, 0x0
	.amdhsa_kernel _Z39paged_attention_ll4mi_QKV_mfma16_kernelI14__hip_bfloat16hLN4vllm18Fp8KVCacheDataTypeE1ES0_Li16ELi128ELi256ELb1ELi14EEvPKT_PKT0_S8_ifPKiSA_SA_iPKfiiiPfSD_PS3_PT2_iSC_SC_
		.amdhsa_group_segment_fixed_size 0
		.amdhsa_private_segment_fixed_size 64
		.amdhsa_kernarg_size 400
		.amdhsa_user_sgpr_count 2
		.amdhsa_user_sgpr_dispatch_ptr 0
		.amdhsa_user_sgpr_queue_ptr 0
		.amdhsa_user_sgpr_kernarg_segment_ptr 1
		.amdhsa_user_sgpr_dispatch_id 0
		.amdhsa_user_sgpr_kernarg_preload_length 0
		.amdhsa_user_sgpr_kernarg_preload_offset 0
		.amdhsa_user_sgpr_private_segment_size 0
		.amdhsa_wavefront_size32 1
		.amdhsa_uses_dynamic_stack 0
		.amdhsa_enable_private_segment 1
		.amdhsa_system_sgpr_workgroup_id_x 1
		.amdhsa_system_sgpr_workgroup_id_y 0
		.amdhsa_system_sgpr_workgroup_id_z 0
		.amdhsa_system_sgpr_workgroup_info 0
		.amdhsa_system_vgpr_workitem_id 0
		.amdhsa_next_free_vgpr 51
		.amdhsa_next_free_sgpr 34
		.amdhsa_named_barrier_count 0
		.amdhsa_reserve_vcc 1
		.amdhsa_float_round_mode_32 0
		.amdhsa_float_round_mode_16_64 0
		.amdhsa_float_denorm_mode_32 3
		.amdhsa_float_denorm_mode_16_64 3
		.amdhsa_fp16_overflow 0
		.amdhsa_memory_ordered 1
		.amdhsa_forward_progress 1
		.amdhsa_inst_pref_size 1
		.amdhsa_round_robin_scheduling 0
		.amdhsa_exception_fp_ieee_invalid_op 0
		.amdhsa_exception_fp_denorm_src 0
		.amdhsa_exception_fp_ieee_div_zero 0
		.amdhsa_exception_fp_ieee_overflow 0
		.amdhsa_exception_fp_ieee_underflow 0
		.amdhsa_exception_fp_ieee_inexact 0
		.amdhsa_exception_int_div_zero 0
	.end_amdhsa_kernel
	.section	.text._Z39paged_attention_ll4mi_QKV_mfma16_kernelI14__hip_bfloat16hLN4vllm18Fp8KVCacheDataTypeE1ES0_Li16ELi128ELi256ELb1ELi14EEvPKT_PKT0_S8_ifPKiSA_SA_iPKfiiiPfSD_PS3_PT2_iSC_SC_,"axG",@progbits,_Z39paged_attention_ll4mi_QKV_mfma16_kernelI14__hip_bfloat16hLN4vllm18Fp8KVCacheDataTypeE1ES0_Li16ELi128ELi256ELb1ELi14EEvPKT_PKT0_S8_ifPKiSA_SA_iPKfiiiPfSD_PS3_PT2_iSC_SC_,comdat
.Lfunc_end1303:
	.size	_Z39paged_attention_ll4mi_QKV_mfma16_kernelI14__hip_bfloat16hLN4vllm18Fp8KVCacheDataTypeE1ES0_Li16ELi128ELi256ELb1ELi14EEvPKT_PKT0_S8_ifPKiSA_SA_iPKfiiiPfSD_PS3_PT2_iSC_SC_, .Lfunc_end1303-_Z39paged_attention_ll4mi_QKV_mfma16_kernelI14__hip_bfloat16hLN4vllm18Fp8KVCacheDataTypeE1ES0_Li16ELi128ELi256ELb1ELi14EEvPKT_PKT0_S8_ifPKiSA_SA_iPKfiiiPfSD_PS3_PT2_iSC_SC_
                                        ; -- End function
	.set _Z39paged_attention_ll4mi_QKV_mfma16_kernelI14__hip_bfloat16hLN4vllm18Fp8KVCacheDataTypeE1ES0_Li16ELi128ELi256ELb1ELi14EEvPKT_PKT0_S8_ifPKiSA_SA_iPKfiiiPfSD_PS3_PT2_iSC_SC_.num_vgpr, max(3, .L__assert_fail.num_vgpr)
	.set _Z39paged_attention_ll4mi_QKV_mfma16_kernelI14__hip_bfloat16hLN4vllm18Fp8KVCacheDataTypeE1ES0_Li16ELi128ELi256ELb1ELi14EEvPKT_PKT0_S8_ifPKiSA_SA_iPKfiiiPfSD_PS3_PT2_iSC_SC_.num_agpr, max(0, .L__assert_fail.num_agpr)
	.set _Z39paged_attention_ll4mi_QKV_mfma16_kernelI14__hip_bfloat16hLN4vllm18Fp8KVCacheDataTypeE1ES0_Li16ELi128ELi256ELb1ELi14EEvPKT_PKT0_S8_ifPKiSA_SA_iPKfiiiPfSD_PS3_PT2_iSC_SC_.numbered_sgpr, max(33, .L__assert_fail.numbered_sgpr)
	.set _Z39paged_attention_ll4mi_QKV_mfma16_kernelI14__hip_bfloat16hLN4vllm18Fp8KVCacheDataTypeE1ES0_Li16ELi128ELi256ELb1ELi14EEvPKT_PKT0_S8_ifPKiSA_SA_iPKfiiiPfSD_PS3_PT2_iSC_SC_.num_named_barrier, max(0, .L__assert_fail.num_named_barrier)
	.set _Z39paged_attention_ll4mi_QKV_mfma16_kernelI14__hip_bfloat16hLN4vllm18Fp8KVCacheDataTypeE1ES0_Li16ELi128ELi256ELb1ELi14EEvPKT_PKT0_S8_ifPKiSA_SA_iPKfiiiPfSD_PS3_PT2_iSC_SC_.private_seg_size, 0+max(.L__assert_fail.private_seg_size)
	.set _Z39paged_attention_ll4mi_QKV_mfma16_kernelI14__hip_bfloat16hLN4vllm18Fp8KVCacheDataTypeE1ES0_Li16ELi128ELi256ELb1ELi14EEvPKT_PKT0_S8_ifPKiSA_SA_iPKfiiiPfSD_PS3_PT2_iSC_SC_.uses_vcc, or(1, .L__assert_fail.uses_vcc)
	.set _Z39paged_attention_ll4mi_QKV_mfma16_kernelI14__hip_bfloat16hLN4vllm18Fp8KVCacheDataTypeE1ES0_Li16ELi128ELi256ELb1ELi14EEvPKT_PKT0_S8_ifPKiSA_SA_iPKfiiiPfSD_PS3_PT2_iSC_SC_.uses_flat_scratch, or(0, .L__assert_fail.uses_flat_scratch)
	.set _Z39paged_attention_ll4mi_QKV_mfma16_kernelI14__hip_bfloat16hLN4vllm18Fp8KVCacheDataTypeE1ES0_Li16ELi128ELi256ELb1ELi14EEvPKT_PKT0_S8_ifPKiSA_SA_iPKfiiiPfSD_PS3_PT2_iSC_SC_.has_dyn_sized_stack, or(0, .L__assert_fail.has_dyn_sized_stack)
	.set _Z39paged_attention_ll4mi_QKV_mfma16_kernelI14__hip_bfloat16hLN4vllm18Fp8KVCacheDataTypeE1ES0_Li16ELi128ELi256ELb1ELi14EEvPKT_PKT0_S8_ifPKiSA_SA_iPKfiiiPfSD_PS3_PT2_iSC_SC_.has_recursion, or(0, .L__assert_fail.has_recursion)
	.set _Z39paged_attention_ll4mi_QKV_mfma16_kernelI14__hip_bfloat16hLN4vllm18Fp8KVCacheDataTypeE1ES0_Li16ELi128ELi256ELb1ELi14EEvPKT_PKT0_S8_ifPKiSA_SA_iPKfiiiPfSD_PS3_PT2_iSC_SC_.has_indirect_call, or(0, .L__assert_fail.has_indirect_call)
	.section	.AMDGPU.csdata,"",@progbits
; Kernel info:
; codeLenInByte = 68
; TotalNumSgprs: 36
; NumVgprs: 51
; ScratchSize: 64
; MemoryBound: 0
; FloatMode: 240
; IeeeMode: 1
; LDSByteSize: 0 bytes/workgroup (compile time only)
; SGPRBlocks: 0
; VGPRBlocks: 3
; NumSGPRsForWavesPerEU: 36
; NumVGPRsForWavesPerEU: 51
; NamedBarCnt: 0
; Occupancy: 16
; WaveLimiterHint : 1
; COMPUTE_PGM_RSRC2:SCRATCH_EN: 1
; COMPUTE_PGM_RSRC2:USER_SGPR: 2
; COMPUTE_PGM_RSRC2:TRAP_HANDLER: 0
; COMPUTE_PGM_RSRC2:TGID_X_EN: 1
; COMPUTE_PGM_RSRC2:TGID_Y_EN: 0
; COMPUTE_PGM_RSRC2:TGID_Z_EN: 0
; COMPUTE_PGM_RSRC2:TIDIG_COMP_CNT: 0
	.section	.text._Z39paged_attention_ll4mi_QKV_mfma16_kernelI14__hip_bfloat16hLN4vllm18Fp8KVCacheDataTypeE1ES0_Li16ELi128ELi256ELb1ELi15EEvPKT_PKT0_S8_ifPKiSA_SA_iPKfiiiPfSD_PS3_PT2_iSC_SC_,"axG",@progbits,_Z39paged_attention_ll4mi_QKV_mfma16_kernelI14__hip_bfloat16hLN4vllm18Fp8KVCacheDataTypeE1ES0_Li16ELi128ELi256ELb1ELi15EEvPKT_PKT0_S8_ifPKiSA_SA_iPKfiiiPfSD_PS3_PT2_iSC_SC_,comdat
	.protected	_Z39paged_attention_ll4mi_QKV_mfma16_kernelI14__hip_bfloat16hLN4vllm18Fp8KVCacheDataTypeE1ES0_Li16ELi128ELi256ELb1ELi15EEvPKT_PKT0_S8_ifPKiSA_SA_iPKfiiiPfSD_PS3_PT2_iSC_SC_ ; -- Begin function _Z39paged_attention_ll4mi_QKV_mfma16_kernelI14__hip_bfloat16hLN4vllm18Fp8KVCacheDataTypeE1ES0_Li16ELi128ELi256ELb1ELi15EEvPKT_PKT0_S8_ifPKiSA_SA_iPKfiiiPfSD_PS3_PT2_iSC_SC_
	.globl	_Z39paged_attention_ll4mi_QKV_mfma16_kernelI14__hip_bfloat16hLN4vllm18Fp8KVCacheDataTypeE1ES0_Li16ELi128ELi256ELb1ELi15EEvPKT_PKT0_S8_ifPKiSA_SA_iPKfiiiPfSD_PS3_PT2_iSC_SC_
	.p2align	8
	.type	_Z39paged_attention_ll4mi_QKV_mfma16_kernelI14__hip_bfloat16hLN4vllm18Fp8KVCacheDataTypeE1ES0_Li16ELi128ELi256ELb1ELi15EEvPKT_PKT0_S8_ifPKiSA_SA_iPKfiiiPfSD_PS3_PT2_iSC_SC_,@function
_Z39paged_attention_ll4mi_QKV_mfma16_kernelI14__hip_bfloat16hLN4vllm18Fp8KVCacheDataTypeE1ES0_Li16ELi128ELi256ELb1ELi15EEvPKT_PKT0_S8_ifPKiSA_SA_iPKfiiiPfSD_PS3_PT2_iSC_SC_: ; @_Z39paged_attention_ll4mi_QKV_mfma16_kernelI14__hip_bfloat16hLN4vllm18Fp8KVCacheDataTypeE1ES0_Li16ELi128ELi256ELb1ELi15EEvPKT_PKT0_S8_ifPKiSA_SA_iPKfiiiPfSD_PS3_PT2_iSC_SC_
; %bb.0:
	s_get_pc_i64 s[2:3]
	s_add_nc_u64 s[2:3], s[2:3], __PRETTY_FUNCTION__._Z39paged_attention_ll4mi_QKV_mfma16_kernelI14__hip_bfloat16hLN4vllm18Fp8KVCacheDataTypeE1ES0_Li16ELi128ELi256ELb1ELi15EEvPKT_PKT0_S8_ifPKiSA_SA_iPKfiiiPfSD_PS3_PT2_iSC_SC_@rel64+4
	s_delay_alu instid0(SALU_CYCLE_1)
	v_dual_mov_b32 v0, 0xbb3 :: v_dual_mov_b32 v1, s2
	v_mov_b32_e32 v2, s3
	s_add_nc_u64 s[8:9], s[0:1], 0x90
	s_get_pc_i64 s[0:1]
	s_add_nc_u64 s[0:1], s[0:1], __assert_fail@rel64+4
	s_mov_b32 s32, 0
	s_swap_pc_i64 s[30:31], s[0:1]
	.section	.rodata,"a",@progbits
	.p2align	6, 0x0
	.amdhsa_kernel _Z39paged_attention_ll4mi_QKV_mfma16_kernelI14__hip_bfloat16hLN4vllm18Fp8KVCacheDataTypeE1ES0_Li16ELi128ELi256ELb1ELi15EEvPKT_PKT0_S8_ifPKiSA_SA_iPKfiiiPfSD_PS3_PT2_iSC_SC_
		.amdhsa_group_segment_fixed_size 0
		.amdhsa_private_segment_fixed_size 64
		.amdhsa_kernarg_size 400
		.amdhsa_user_sgpr_count 2
		.amdhsa_user_sgpr_dispatch_ptr 0
		.amdhsa_user_sgpr_queue_ptr 0
		.amdhsa_user_sgpr_kernarg_segment_ptr 1
		.amdhsa_user_sgpr_dispatch_id 0
		.amdhsa_user_sgpr_kernarg_preload_length 0
		.amdhsa_user_sgpr_kernarg_preload_offset 0
		.amdhsa_user_sgpr_private_segment_size 0
		.amdhsa_wavefront_size32 1
		.amdhsa_uses_dynamic_stack 0
		.amdhsa_enable_private_segment 1
		.amdhsa_system_sgpr_workgroup_id_x 1
		.amdhsa_system_sgpr_workgroup_id_y 0
		.amdhsa_system_sgpr_workgroup_id_z 0
		.amdhsa_system_sgpr_workgroup_info 0
		.amdhsa_system_vgpr_workitem_id 0
		.amdhsa_next_free_vgpr 51
		.amdhsa_next_free_sgpr 34
		.amdhsa_named_barrier_count 0
		.amdhsa_reserve_vcc 1
		.amdhsa_float_round_mode_32 0
		.amdhsa_float_round_mode_16_64 0
		.amdhsa_float_denorm_mode_32 3
		.amdhsa_float_denorm_mode_16_64 3
		.amdhsa_fp16_overflow 0
		.amdhsa_memory_ordered 1
		.amdhsa_forward_progress 1
		.amdhsa_inst_pref_size 1
		.amdhsa_round_robin_scheduling 0
		.amdhsa_exception_fp_ieee_invalid_op 0
		.amdhsa_exception_fp_denorm_src 0
		.amdhsa_exception_fp_ieee_div_zero 0
		.amdhsa_exception_fp_ieee_overflow 0
		.amdhsa_exception_fp_ieee_underflow 0
		.amdhsa_exception_fp_ieee_inexact 0
		.amdhsa_exception_int_div_zero 0
	.end_amdhsa_kernel
	.section	.text._Z39paged_attention_ll4mi_QKV_mfma16_kernelI14__hip_bfloat16hLN4vllm18Fp8KVCacheDataTypeE1ES0_Li16ELi128ELi256ELb1ELi15EEvPKT_PKT0_S8_ifPKiSA_SA_iPKfiiiPfSD_PS3_PT2_iSC_SC_,"axG",@progbits,_Z39paged_attention_ll4mi_QKV_mfma16_kernelI14__hip_bfloat16hLN4vllm18Fp8KVCacheDataTypeE1ES0_Li16ELi128ELi256ELb1ELi15EEvPKT_PKT0_S8_ifPKiSA_SA_iPKfiiiPfSD_PS3_PT2_iSC_SC_,comdat
.Lfunc_end1304:
	.size	_Z39paged_attention_ll4mi_QKV_mfma16_kernelI14__hip_bfloat16hLN4vllm18Fp8KVCacheDataTypeE1ES0_Li16ELi128ELi256ELb1ELi15EEvPKT_PKT0_S8_ifPKiSA_SA_iPKfiiiPfSD_PS3_PT2_iSC_SC_, .Lfunc_end1304-_Z39paged_attention_ll4mi_QKV_mfma16_kernelI14__hip_bfloat16hLN4vllm18Fp8KVCacheDataTypeE1ES0_Li16ELi128ELi256ELb1ELi15EEvPKT_PKT0_S8_ifPKiSA_SA_iPKfiiiPfSD_PS3_PT2_iSC_SC_
                                        ; -- End function
	.set _Z39paged_attention_ll4mi_QKV_mfma16_kernelI14__hip_bfloat16hLN4vllm18Fp8KVCacheDataTypeE1ES0_Li16ELi128ELi256ELb1ELi15EEvPKT_PKT0_S8_ifPKiSA_SA_iPKfiiiPfSD_PS3_PT2_iSC_SC_.num_vgpr, max(3, .L__assert_fail.num_vgpr)
	.set _Z39paged_attention_ll4mi_QKV_mfma16_kernelI14__hip_bfloat16hLN4vllm18Fp8KVCacheDataTypeE1ES0_Li16ELi128ELi256ELb1ELi15EEvPKT_PKT0_S8_ifPKiSA_SA_iPKfiiiPfSD_PS3_PT2_iSC_SC_.num_agpr, max(0, .L__assert_fail.num_agpr)
	.set _Z39paged_attention_ll4mi_QKV_mfma16_kernelI14__hip_bfloat16hLN4vllm18Fp8KVCacheDataTypeE1ES0_Li16ELi128ELi256ELb1ELi15EEvPKT_PKT0_S8_ifPKiSA_SA_iPKfiiiPfSD_PS3_PT2_iSC_SC_.numbered_sgpr, max(33, .L__assert_fail.numbered_sgpr)
	.set _Z39paged_attention_ll4mi_QKV_mfma16_kernelI14__hip_bfloat16hLN4vllm18Fp8KVCacheDataTypeE1ES0_Li16ELi128ELi256ELb1ELi15EEvPKT_PKT0_S8_ifPKiSA_SA_iPKfiiiPfSD_PS3_PT2_iSC_SC_.num_named_barrier, max(0, .L__assert_fail.num_named_barrier)
	.set _Z39paged_attention_ll4mi_QKV_mfma16_kernelI14__hip_bfloat16hLN4vllm18Fp8KVCacheDataTypeE1ES0_Li16ELi128ELi256ELb1ELi15EEvPKT_PKT0_S8_ifPKiSA_SA_iPKfiiiPfSD_PS3_PT2_iSC_SC_.private_seg_size, 0+max(.L__assert_fail.private_seg_size)
	.set _Z39paged_attention_ll4mi_QKV_mfma16_kernelI14__hip_bfloat16hLN4vllm18Fp8KVCacheDataTypeE1ES0_Li16ELi128ELi256ELb1ELi15EEvPKT_PKT0_S8_ifPKiSA_SA_iPKfiiiPfSD_PS3_PT2_iSC_SC_.uses_vcc, or(1, .L__assert_fail.uses_vcc)
	.set _Z39paged_attention_ll4mi_QKV_mfma16_kernelI14__hip_bfloat16hLN4vllm18Fp8KVCacheDataTypeE1ES0_Li16ELi128ELi256ELb1ELi15EEvPKT_PKT0_S8_ifPKiSA_SA_iPKfiiiPfSD_PS3_PT2_iSC_SC_.uses_flat_scratch, or(0, .L__assert_fail.uses_flat_scratch)
	.set _Z39paged_attention_ll4mi_QKV_mfma16_kernelI14__hip_bfloat16hLN4vllm18Fp8KVCacheDataTypeE1ES0_Li16ELi128ELi256ELb1ELi15EEvPKT_PKT0_S8_ifPKiSA_SA_iPKfiiiPfSD_PS3_PT2_iSC_SC_.has_dyn_sized_stack, or(0, .L__assert_fail.has_dyn_sized_stack)
	.set _Z39paged_attention_ll4mi_QKV_mfma16_kernelI14__hip_bfloat16hLN4vllm18Fp8KVCacheDataTypeE1ES0_Li16ELi128ELi256ELb1ELi15EEvPKT_PKT0_S8_ifPKiSA_SA_iPKfiiiPfSD_PS3_PT2_iSC_SC_.has_recursion, or(0, .L__assert_fail.has_recursion)
	.set _Z39paged_attention_ll4mi_QKV_mfma16_kernelI14__hip_bfloat16hLN4vllm18Fp8KVCacheDataTypeE1ES0_Li16ELi128ELi256ELb1ELi15EEvPKT_PKT0_S8_ifPKiSA_SA_iPKfiiiPfSD_PS3_PT2_iSC_SC_.has_indirect_call, or(0, .L__assert_fail.has_indirect_call)
	.section	.AMDGPU.csdata,"",@progbits
; Kernel info:
; codeLenInByte = 68
; TotalNumSgprs: 36
; NumVgprs: 51
; ScratchSize: 64
; MemoryBound: 0
; FloatMode: 240
; IeeeMode: 1
; LDSByteSize: 0 bytes/workgroup (compile time only)
; SGPRBlocks: 0
; VGPRBlocks: 3
; NumSGPRsForWavesPerEU: 36
; NumVGPRsForWavesPerEU: 51
; NamedBarCnt: 0
; Occupancy: 16
; WaveLimiterHint : 1
; COMPUTE_PGM_RSRC2:SCRATCH_EN: 1
; COMPUTE_PGM_RSRC2:USER_SGPR: 2
; COMPUTE_PGM_RSRC2:TRAP_HANDLER: 0
; COMPUTE_PGM_RSRC2:TGID_X_EN: 1
; COMPUTE_PGM_RSRC2:TGID_Y_EN: 0
; COMPUTE_PGM_RSRC2:TGID_Z_EN: 0
; COMPUTE_PGM_RSRC2:TIDIG_COMP_CNT: 0
	.section	.text._Z39paged_attention_ll4mi_QKV_mfma16_kernelI14__hip_bfloat16hLN4vllm18Fp8KVCacheDataTypeE1ES0_Li16ELi128ELi256ELb1ELi16EEvPKT_PKT0_S8_ifPKiSA_SA_iPKfiiiPfSD_PS3_PT2_iSC_SC_,"axG",@progbits,_Z39paged_attention_ll4mi_QKV_mfma16_kernelI14__hip_bfloat16hLN4vllm18Fp8KVCacheDataTypeE1ES0_Li16ELi128ELi256ELb1ELi16EEvPKT_PKT0_S8_ifPKiSA_SA_iPKfiiiPfSD_PS3_PT2_iSC_SC_,comdat
	.protected	_Z39paged_attention_ll4mi_QKV_mfma16_kernelI14__hip_bfloat16hLN4vllm18Fp8KVCacheDataTypeE1ES0_Li16ELi128ELi256ELb1ELi16EEvPKT_PKT0_S8_ifPKiSA_SA_iPKfiiiPfSD_PS3_PT2_iSC_SC_ ; -- Begin function _Z39paged_attention_ll4mi_QKV_mfma16_kernelI14__hip_bfloat16hLN4vllm18Fp8KVCacheDataTypeE1ES0_Li16ELi128ELi256ELb1ELi16EEvPKT_PKT0_S8_ifPKiSA_SA_iPKfiiiPfSD_PS3_PT2_iSC_SC_
	.globl	_Z39paged_attention_ll4mi_QKV_mfma16_kernelI14__hip_bfloat16hLN4vllm18Fp8KVCacheDataTypeE1ES0_Li16ELi128ELi256ELb1ELi16EEvPKT_PKT0_S8_ifPKiSA_SA_iPKfiiiPfSD_PS3_PT2_iSC_SC_
	.p2align	8
	.type	_Z39paged_attention_ll4mi_QKV_mfma16_kernelI14__hip_bfloat16hLN4vllm18Fp8KVCacheDataTypeE1ES0_Li16ELi128ELi256ELb1ELi16EEvPKT_PKT0_S8_ifPKiSA_SA_iPKfiiiPfSD_PS3_PT2_iSC_SC_,@function
_Z39paged_attention_ll4mi_QKV_mfma16_kernelI14__hip_bfloat16hLN4vllm18Fp8KVCacheDataTypeE1ES0_Li16ELi128ELi256ELb1ELi16EEvPKT_PKT0_S8_ifPKiSA_SA_iPKfiiiPfSD_PS3_PT2_iSC_SC_: ; @_Z39paged_attention_ll4mi_QKV_mfma16_kernelI14__hip_bfloat16hLN4vllm18Fp8KVCacheDataTypeE1ES0_Li16ELi128ELi256ELb1ELi16EEvPKT_PKT0_S8_ifPKiSA_SA_iPKfiiiPfSD_PS3_PT2_iSC_SC_
; %bb.0:
	s_get_pc_i64 s[2:3]
	s_add_nc_u64 s[2:3], s[2:3], __PRETTY_FUNCTION__._Z39paged_attention_ll4mi_QKV_mfma16_kernelI14__hip_bfloat16hLN4vllm18Fp8KVCacheDataTypeE1ES0_Li16ELi128ELi256ELb1ELi16EEvPKT_PKT0_S8_ifPKiSA_SA_iPKfiiiPfSD_PS3_PT2_iSC_SC_@rel64+4
	s_delay_alu instid0(SALU_CYCLE_1)
	v_dual_mov_b32 v0, 0xbb3 :: v_dual_mov_b32 v1, s2
	v_mov_b32_e32 v2, s3
	s_add_nc_u64 s[8:9], s[0:1], 0x90
	s_get_pc_i64 s[0:1]
	s_add_nc_u64 s[0:1], s[0:1], __assert_fail@rel64+4
	s_mov_b32 s32, 0
	s_swap_pc_i64 s[30:31], s[0:1]
	.section	.rodata,"a",@progbits
	.p2align	6, 0x0
	.amdhsa_kernel _Z39paged_attention_ll4mi_QKV_mfma16_kernelI14__hip_bfloat16hLN4vllm18Fp8KVCacheDataTypeE1ES0_Li16ELi128ELi256ELb1ELi16EEvPKT_PKT0_S8_ifPKiSA_SA_iPKfiiiPfSD_PS3_PT2_iSC_SC_
		.amdhsa_group_segment_fixed_size 0
		.amdhsa_private_segment_fixed_size 64
		.amdhsa_kernarg_size 400
		.amdhsa_user_sgpr_count 2
		.amdhsa_user_sgpr_dispatch_ptr 0
		.amdhsa_user_sgpr_queue_ptr 0
		.amdhsa_user_sgpr_kernarg_segment_ptr 1
		.amdhsa_user_sgpr_dispatch_id 0
		.amdhsa_user_sgpr_kernarg_preload_length 0
		.amdhsa_user_sgpr_kernarg_preload_offset 0
		.amdhsa_user_sgpr_private_segment_size 0
		.amdhsa_wavefront_size32 1
		.amdhsa_uses_dynamic_stack 0
		.amdhsa_enable_private_segment 1
		.amdhsa_system_sgpr_workgroup_id_x 1
		.amdhsa_system_sgpr_workgroup_id_y 0
		.amdhsa_system_sgpr_workgroup_id_z 0
		.amdhsa_system_sgpr_workgroup_info 0
		.amdhsa_system_vgpr_workitem_id 0
		.amdhsa_next_free_vgpr 51
		.amdhsa_next_free_sgpr 34
		.amdhsa_named_barrier_count 0
		.amdhsa_reserve_vcc 1
		.amdhsa_float_round_mode_32 0
		.amdhsa_float_round_mode_16_64 0
		.amdhsa_float_denorm_mode_32 3
		.amdhsa_float_denorm_mode_16_64 3
		.amdhsa_fp16_overflow 0
		.amdhsa_memory_ordered 1
		.amdhsa_forward_progress 1
		.amdhsa_inst_pref_size 1
		.amdhsa_round_robin_scheduling 0
		.amdhsa_exception_fp_ieee_invalid_op 0
		.amdhsa_exception_fp_denorm_src 0
		.amdhsa_exception_fp_ieee_div_zero 0
		.amdhsa_exception_fp_ieee_overflow 0
		.amdhsa_exception_fp_ieee_underflow 0
		.amdhsa_exception_fp_ieee_inexact 0
		.amdhsa_exception_int_div_zero 0
	.end_amdhsa_kernel
	.section	.text._Z39paged_attention_ll4mi_QKV_mfma16_kernelI14__hip_bfloat16hLN4vllm18Fp8KVCacheDataTypeE1ES0_Li16ELi128ELi256ELb1ELi16EEvPKT_PKT0_S8_ifPKiSA_SA_iPKfiiiPfSD_PS3_PT2_iSC_SC_,"axG",@progbits,_Z39paged_attention_ll4mi_QKV_mfma16_kernelI14__hip_bfloat16hLN4vllm18Fp8KVCacheDataTypeE1ES0_Li16ELi128ELi256ELb1ELi16EEvPKT_PKT0_S8_ifPKiSA_SA_iPKfiiiPfSD_PS3_PT2_iSC_SC_,comdat
.Lfunc_end1305:
	.size	_Z39paged_attention_ll4mi_QKV_mfma16_kernelI14__hip_bfloat16hLN4vllm18Fp8KVCacheDataTypeE1ES0_Li16ELi128ELi256ELb1ELi16EEvPKT_PKT0_S8_ifPKiSA_SA_iPKfiiiPfSD_PS3_PT2_iSC_SC_, .Lfunc_end1305-_Z39paged_attention_ll4mi_QKV_mfma16_kernelI14__hip_bfloat16hLN4vllm18Fp8KVCacheDataTypeE1ES0_Li16ELi128ELi256ELb1ELi16EEvPKT_PKT0_S8_ifPKiSA_SA_iPKfiiiPfSD_PS3_PT2_iSC_SC_
                                        ; -- End function
	.set _Z39paged_attention_ll4mi_QKV_mfma16_kernelI14__hip_bfloat16hLN4vllm18Fp8KVCacheDataTypeE1ES0_Li16ELi128ELi256ELb1ELi16EEvPKT_PKT0_S8_ifPKiSA_SA_iPKfiiiPfSD_PS3_PT2_iSC_SC_.num_vgpr, max(3, .L__assert_fail.num_vgpr)
	.set _Z39paged_attention_ll4mi_QKV_mfma16_kernelI14__hip_bfloat16hLN4vllm18Fp8KVCacheDataTypeE1ES0_Li16ELi128ELi256ELb1ELi16EEvPKT_PKT0_S8_ifPKiSA_SA_iPKfiiiPfSD_PS3_PT2_iSC_SC_.num_agpr, max(0, .L__assert_fail.num_agpr)
	.set _Z39paged_attention_ll4mi_QKV_mfma16_kernelI14__hip_bfloat16hLN4vllm18Fp8KVCacheDataTypeE1ES0_Li16ELi128ELi256ELb1ELi16EEvPKT_PKT0_S8_ifPKiSA_SA_iPKfiiiPfSD_PS3_PT2_iSC_SC_.numbered_sgpr, max(33, .L__assert_fail.numbered_sgpr)
	.set _Z39paged_attention_ll4mi_QKV_mfma16_kernelI14__hip_bfloat16hLN4vllm18Fp8KVCacheDataTypeE1ES0_Li16ELi128ELi256ELb1ELi16EEvPKT_PKT0_S8_ifPKiSA_SA_iPKfiiiPfSD_PS3_PT2_iSC_SC_.num_named_barrier, max(0, .L__assert_fail.num_named_barrier)
	.set _Z39paged_attention_ll4mi_QKV_mfma16_kernelI14__hip_bfloat16hLN4vllm18Fp8KVCacheDataTypeE1ES0_Li16ELi128ELi256ELb1ELi16EEvPKT_PKT0_S8_ifPKiSA_SA_iPKfiiiPfSD_PS3_PT2_iSC_SC_.private_seg_size, 0+max(.L__assert_fail.private_seg_size)
	.set _Z39paged_attention_ll4mi_QKV_mfma16_kernelI14__hip_bfloat16hLN4vllm18Fp8KVCacheDataTypeE1ES0_Li16ELi128ELi256ELb1ELi16EEvPKT_PKT0_S8_ifPKiSA_SA_iPKfiiiPfSD_PS3_PT2_iSC_SC_.uses_vcc, or(1, .L__assert_fail.uses_vcc)
	.set _Z39paged_attention_ll4mi_QKV_mfma16_kernelI14__hip_bfloat16hLN4vllm18Fp8KVCacheDataTypeE1ES0_Li16ELi128ELi256ELb1ELi16EEvPKT_PKT0_S8_ifPKiSA_SA_iPKfiiiPfSD_PS3_PT2_iSC_SC_.uses_flat_scratch, or(0, .L__assert_fail.uses_flat_scratch)
	.set _Z39paged_attention_ll4mi_QKV_mfma16_kernelI14__hip_bfloat16hLN4vllm18Fp8KVCacheDataTypeE1ES0_Li16ELi128ELi256ELb1ELi16EEvPKT_PKT0_S8_ifPKiSA_SA_iPKfiiiPfSD_PS3_PT2_iSC_SC_.has_dyn_sized_stack, or(0, .L__assert_fail.has_dyn_sized_stack)
	.set _Z39paged_attention_ll4mi_QKV_mfma16_kernelI14__hip_bfloat16hLN4vllm18Fp8KVCacheDataTypeE1ES0_Li16ELi128ELi256ELb1ELi16EEvPKT_PKT0_S8_ifPKiSA_SA_iPKfiiiPfSD_PS3_PT2_iSC_SC_.has_recursion, or(0, .L__assert_fail.has_recursion)
	.set _Z39paged_attention_ll4mi_QKV_mfma16_kernelI14__hip_bfloat16hLN4vllm18Fp8KVCacheDataTypeE1ES0_Li16ELi128ELi256ELb1ELi16EEvPKT_PKT0_S8_ifPKiSA_SA_iPKfiiiPfSD_PS3_PT2_iSC_SC_.has_indirect_call, or(0, .L__assert_fail.has_indirect_call)
	.section	.AMDGPU.csdata,"",@progbits
; Kernel info:
; codeLenInByte = 68
; TotalNumSgprs: 36
; NumVgprs: 51
; ScratchSize: 64
; MemoryBound: 0
; FloatMode: 240
; IeeeMode: 1
; LDSByteSize: 0 bytes/workgroup (compile time only)
; SGPRBlocks: 0
; VGPRBlocks: 3
; NumSGPRsForWavesPerEU: 36
; NumVGPRsForWavesPerEU: 51
; NamedBarCnt: 0
; Occupancy: 16
; WaveLimiterHint : 1
; COMPUTE_PGM_RSRC2:SCRATCH_EN: 1
; COMPUTE_PGM_RSRC2:USER_SGPR: 2
; COMPUTE_PGM_RSRC2:TRAP_HANDLER: 0
; COMPUTE_PGM_RSRC2:TGID_X_EN: 1
; COMPUTE_PGM_RSRC2:TGID_Y_EN: 0
; COMPUTE_PGM_RSRC2:TGID_Z_EN: 0
; COMPUTE_PGM_RSRC2:TIDIG_COMP_CNT: 0
	.section	.text._Z39paged_attention_ll4mi_QKV_mfma16_kernelI14__hip_bfloat16hLN4vllm18Fp8KVCacheDataTypeE1ES0_Li16ELi128ELi256ELb1ELi1EEvPKT_PKT0_S8_ifPKiSA_SA_iPKfiiiPfSD_PS3_PT2_iSC_SC_,"axG",@progbits,_Z39paged_attention_ll4mi_QKV_mfma16_kernelI14__hip_bfloat16hLN4vllm18Fp8KVCacheDataTypeE1ES0_Li16ELi128ELi256ELb1ELi1EEvPKT_PKT0_S8_ifPKiSA_SA_iPKfiiiPfSD_PS3_PT2_iSC_SC_,comdat
	.protected	_Z39paged_attention_ll4mi_QKV_mfma16_kernelI14__hip_bfloat16hLN4vllm18Fp8KVCacheDataTypeE1ES0_Li16ELi128ELi256ELb1ELi1EEvPKT_PKT0_S8_ifPKiSA_SA_iPKfiiiPfSD_PS3_PT2_iSC_SC_ ; -- Begin function _Z39paged_attention_ll4mi_QKV_mfma16_kernelI14__hip_bfloat16hLN4vllm18Fp8KVCacheDataTypeE1ES0_Li16ELi128ELi256ELb1ELi1EEvPKT_PKT0_S8_ifPKiSA_SA_iPKfiiiPfSD_PS3_PT2_iSC_SC_
	.globl	_Z39paged_attention_ll4mi_QKV_mfma16_kernelI14__hip_bfloat16hLN4vllm18Fp8KVCacheDataTypeE1ES0_Li16ELi128ELi256ELb1ELi1EEvPKT_PKT0_S8_ifPKiSA_SA_iPKfiiiPfSD_PS3_PT2_iSC_SC_
	.p2align	8
	.type	_Z39paged_attention_ll4mi_QKV_mfma16_kernelI14__hip_bfloat16hLN4vllm18Fp8KVCacheDataTypeE1ES0_Li16ELi128ELi256ELb1ELi1EEvPKT_PKT0_S8_ifPKiSA_SA_iPKfiiiPfSD_PS3_PT2_iSC_SC_,@function
_Z39paged_attention_ll4mi_QKV_mfma16_kernelI14__hip_bfloat16hLN4vllm18Fp8KVCacheDataTypeE1ES0_Li16ELi128ELi256ELb1ELi1EEvPKT_PKT0_S8_ifPKiSA_SA_iPKfiiiPfSD_PS3_PT2_iSC_SC_: ; @_Z39paged_attention_ll4mi_QKV_mfma16_kernelI14__hip_bfloat16hLN4vllm18Fp8KVCacheDataTypeE1ES0_Li16ELi128ELi256ELb1ELi1EEvPKT_PKT0_S8_ifPKiSA_SA_iPKfiiiPfSD_PS3_PT2_iSC_SC_
; %bb.0:
	s_get_pc_i64 s[2:3]
	s_add_nc_u64 s[2:3], s[2:3], __PRETTY_FUNCTION__._Z39paged_attention_ll4mi_QKV_mfma16_kernelI14__hip_bfloat16hLN4vllm18Fp8KVCacheDataTypeE1ES0_Li16ELi128ELi256ELb1ELi1EEvPKT_PKT0_S8_ifPKiSA_SA_iPKfiiiPfSD_PS3_PT2_iSC_SC_@rel64+4
	s_delay_alu instid0(SALU_CYCLE_1)
	v_dual_mov_b32 v0, 0xbb3 :: v_dual_mov_b32 v1, s2
	v_mov_b32_e32 v2, s3
	s_add_nc_u64 s[8:9], s[0:1], 0x90
	s_get_pc_i64 s[0:1]
	s_add_nc_u64 s[0:1], s[0:1], __assert_fail@rel64+4
	s_mov_b32 s32, 0
	s_swap_pc_i64 s[30:31], s[0:1]
	.section	.rodata,"a",@progbits
	.p2align	6, 0x0
	.amdhsa_kernel _Z39paged_attention_ll4mi_QKV_mfma16_kernelI14__hip_bfloat16hLN4vllm18Fp8KVCacheDataTypeE1ES0_Li16ELi128ELi256ELb1ELi1EEvPKT_PKT0_S8_ifPKiSA_SA_iPKfiiiPfSD_PS3_PT2_iSC_SC_
		.amdhsa_group_segment_fixed_size 0
		.amdhsa_private_segment_fixed_size 64
		.amdhsa_kernarg_size 400
		.amdhsa_user_sgpr_count 2
		.amdhsa_user_sgpr_dispatch_ptr 0
		.amdhsa_user_sgpr_queue_ptr 0
		.amdhsa_user_sgpr_kernarg_segment_ptr 1
		.amdhsa_user_sgpr_dispatch_id 0
		.amdhsa_user_sgpr_kernarg_preload_length 0
		.amdhsa_user_sgpr_kernarg_preload_offset 0
		.amdhsa_user_sgpr_private_segment_size 0
		.amdhsa_wavefront_size32 1
		.amdhsa_uses_dynamic_stack 0
		.amdhsa_enable_private_segment 1
		.amdhsa_system_sgpr_workgroup_id_x 1
		.amdhsa_system_sgpr_workgroup_id_y 0
		.amdhsa_system_sgpr_workgroup_id_z 0
		.amdhsa_system_sgpr_workgroup_info 0
		.amdhsa_system_vgpr_workitem_id 0
		.amdhsa_next_free_vgpr 51
		.amdhsa_next_free_sgpr 34
		.amdhsa_named_barrier_count 0
		.amdhsa_reserve_vcc 1
		.amdhsa_float_round_mode_32 0
		.amdhsa_float_round_mode_16_64 0
		.amdhsa_float_denorm_mode_32 3
		.amdhsa_float_denorm_mode_16_64 3
		.amdhsa_fp16_overflow 0
		.amdhsa_memory_ordered 1
		.amdhsa_forward_progress 1
		.amdhsa_inst_pref_size 1
		.amdhsa_round_robin_scheduling 0
		.amdhsa_exception_fp_ieee_invalid_op 0
		.amdhsa_exception_fp_denorm_src 0
		.amdhsa_exception_fp_ieee_div_zero 0
		.amdhsa_exception_fp_ieee_overflow 0
		.amdhsa_exception_fp_ieee_underflow 0
		.amdhsa_exception_fp_ieee_inexact 0
		.amdhsa_exception_int_div_zero 0
	.end_amdhsa_kernel
	.section	.text._Z39paged_attention_ll4mi_QKV_mfma16_kernelI14__hip_bfloat16hLN4vllm18Fp8KVCacheDataTypeE1ES0_Li16ELi128ELi256ELb1ELi1EEvPKT_PKT0_S8_ifPKiSA_SA_iPKfiiiPfSD_PS3_PT2_iSC_SC_,"axG",@progbits,_Z39paged_attention_ll4mi_QKV_mfma16_kernelI14__hip_bfloat16hLN4vllm18Fp8KVCacheDataTypeE1ES0_Li16ELi128ELi256ELb1ELi1EEvPKT_PKT0_S8_ifPKiSA_SA_iPKfiiiPfSD_PS3_PT2_iSC_SC_,comdat
.Lfunc_end1306:
	.size	_Z39paged_attention_ll4mi_QKV_mfma16_kernelI14__hip_bfloat16hLN4vllm18Fp8KVCacheDataTypeE1ES0_Li16ELi128ELi256ELb1ELi1EEvPKT_PKT0_S8_ifPKiSA_SA_iPKfiiiPfSD_PS3_PT2_iSC_SC_, .Lfunc_end1306-_Z39paged_attention_ll4mi_QKV_mfma16_kernelI14__hip_bfloat16hLN4vllm18Fp8KVCacheDataTypeE1ES0_Li16ELi128ELi256ELb1ELi1EEvPKT_PKT0_S8_ifPKiSA_SA_iPKfiiiPfSD_PS3_PT2_iSC_SC_
                                        ; -- End function
	.set _Z39paged_attention_ll4mi_QKV_mfma16_kernelI14__hip_bfloat16hLN4vllm18Fp8KVCacheDataTypeE1ES0_Li16ELi128ELi256ELb1ELi1EEvPKT_PKT0_S8_ifPKiSA_SA_iPKfiiiPfSD_PS3_PT2_iSC_SC_.num_vgpr, max(3, .L__assert_fail.num_vgpr)
	.set _Z39paged_attention_ll4mi_QKV_mfma16_kernelI14__hip_bfloat16hLN4vllm18Fp8KVCacheDataTypeE1ES0_Li16ELi128ELi256ELb1ELi1EEvPKT_PKT0_S8_ifPKiSA_SA_iPKfiiiPfSD_PS3_PT2_iSC_SC_.num_agpr, max(0, .L__assert_fail.num_agpr)
	.set _Z39paged_attention_ll4mi_QKV_mfma16_kernelI14__hip_bfloat16hLN4vllm18Fp8KVCacheDataTypeE1ES0_Li16ELi128ELi256ELb1ELi1EEvPKT_PKT0_S8_ifPKiSA_SA_iPKfiiiPfSD_PS3_PT2_iSC_SC_.numbered_sgpr, max(33, .L__assert_fail.numbered_sgpr)
	.set _Z39paged_attention_ll4mi_QKV_mfma16_kernelI14__hip_bfloat16hLN4vllm18Fp8KVCacheDataTypeE1ES0_Li16ELi128ELi256ELb1ELi1EEvPKT_PKT0_S8_ifPKiSA_SA_iPKfiiiPfSD_PS3_PT2_iSC_SC_.num_named_barrier, max(0, .L__assert_fail.num_named_barrier)
	.set _Z39paged_attention_ll4mi_QKV_mfma16_kernelI14__hip_bfloat16hLN4vllm18Fp8KVCacheDataTypeE1ES0_Li16ELi128ELi256ELb1ELi1EEvPKT_PKT0_S8_ifPKiSA_SA_iPKfiiiPfSD_PS3_PT2_iSC_SC_.private_seg_size, 0+max(.L__assert_fail.private_seg_size)
	.set _Z39paged_attention_ll4mi_QKV_mfma16_kernelI14__hip_bfloat16hLN4vllm18Fp8KVCacheDataTypeE1ES0_Li16ELi128ELi256ELb1ELi1EEvPKT_PKT0_S8_ifPKiSA_SA_iPKfiiiPfSD_PS3_PT2_iSC_SC_.uses_vcc, or(1, .L__assert_fail.uses_vcc)
	.set _Z39paged_attention_ll4mi_QKV_mfma16_kernelI14__hip_bfloat16hLN4vllm18Fp8KVCacheDataTypeE1ES0_Li16ELi128ELi256ELb1ELi1EEvPKT_PKT0_S8_ifPKiSA_SA_iPKfiiiPfSD_PS3_PT2_iSC_SC_.uses_flat_scratch, or(0, .L__assert_fail.uses_flat_scratch)
	.set _Z39paged_attention_ll4mi_QKV_mfma16_kernelI14__hip_bfloat16hLN4vllm18Fp8KVCacheDataTypeE1ES0_Li16ELi128ELi256ELb1ELi1EEvPKT_PKT0_S8_ifPKiSA_SA_iPKfiiiPfSD_PS3_PT2_iSC_SC_.has_dyn_sized_stack, or(0, .L__assert_fail.has_dyn_sized_stack)
	.set _Z39paged_attention_ll4mi_QKV_mfma16_kernelI14__hip_bfloat16hLN4vllm18Fp8KVCacheDataTypeE1ES0_Li16ELi128ELi256ELb1ELi1EEvPKT_PKT0_S8_ifPKiSA_SA_iPKfiiiPfSD_PS3_PT2_iSC_SC_.has_recursion, or(0, .L__assert_fail.has_recursion)
	.set _Z39paged_attention_ll4mi_QKV_mfma16_kernelI14__hip_bfloat16hLN4vllm18Fp8KVCacheDataTypeE1ES0_Li16ELi128ELi256ELb1ELi1EEvPKT_PKT0_S8_ifPKiSA_SA_iPKfiiiPfSD_PS3_PT2_iSC_SC_.has_indirect_call, or(0, .L__assert_fail.has_indirect_call)
	.section	.AMDGPU.csdata,"",@progbits
; Kernel info:
; codeLenInByte = 68
; TotalNumSgprs: 36
; NumVgprs: 51
; ScratchSize: 64
; MemoryBound: 0
; FloatMode: 240
; IeeeMode: 1
; LDSByteSize: 0 bytes/workgroup (compile time only)
; SGPRBlocks: 0
; VGPRBlocks: 3
; NumSGPRsForWavesPerEU: 36
; NumVGPRsForWavesPerEU: 51
; NamedBarCnt: 0
; Occupancy: 16
; WaveLimiterHint : 1
; COMPUTE_PGM_RSRC2:SCRATCH_EN: 1
; COMPUTE_PGM_RSRC2:USER_SGPR: 2
; COMPUTE_PGM_RSRC2:TRAP_HANDLER: 0
; COMPUTE_PGM_RSRC2:TGID_X_EN: 1
; COMPUTE_PGM_RSRC2:TGID_Y_EN: 0
; COMPUTE_PGM_RSRC2:TGID_Z_EN: 0
; COMPUTE_PGM_RSRC2:TIDIG_COMP_CNT: 0
	.section	.text._Z39paged_attention_ll4mi_QKV_mfma16_kernelI14__hip_bfloat16hLN4vllm18Fp8KVCacheDataTypeE1ES0_Li16ELi128ELi256ELb1ELi2EEvPKT_PKT0_S8_ifPKiSA_SA_iPKfiiiPfSD_PS3_PT2_iSC_SC_,"axG",@progbits,_Z39paged_attention_ll4mi_QKV_mfma16_kernelI14__hip_bfloat16hLN4vllm18Fp8KVCacheDataTypeE1ES0_Li16ELi128ELi256ELb1ELi2EEvPKT_PKT0_S8_ifPKiSA_SA_iPKfiiiPfSD_PS3_PT2_iSC_SC_,comdat
	.protected	_Z39paged_attention_ll4mi_QKV_mfma16_kernelI14__hip_bfloat16hLN4vllm18Fp8KVCacheDataTypeE1ES0_Li16ELi128ELi256ELb1ELi2EEvPKT_PKT0_S8_ifPKiSA_SA_iPKfiiiPfSD_PS3_PT2_iSC_SC_ ; -- Begin function _Z39paged_attention_ll4mi_QKV_mfma16_kernelI14__hip_bfloat16hLN4vllm18Fp8KVCacheDataTypeE1ES0_Li16ELi128ELi256ELb1ELi2EEvPKT_PKT0_S8_ifPKiSA_SA_iPKfiiiPfSD_PS3_PT2_iSC_SC_
	.globl	_Z39paged_attention_ll4mi_QKV_mfma16_kernelI14__hip_bfloat16hLN4vllm18Fp8KVCacheDataTypeE1ES0_Li16ELi128ELi256ELb1ELi2EEvPKT_PKT0_S8_ifPKiSA_SA_iPKfiiiPfSD_PS3_PT2_iSC_SC_
	.p2align	8
	.type	_Z39paged_attention_ll4mi_QKV_mfma16_kernelI14__hip_bfloat16hLN4vllm18Fp8KVCacheDataTypeE1ES0_Li16ELi128ELi256ELb1ELi2EEvPKT_PKT0_S8_ifPKiSA_SA_iPKfiiiPfSD_PS3_PT2_iSC_SC_,@function
_Z39paged_attention_ll4mi_QKV_mfma16_kernelI14__hip_bfloat16hLN4vllm18Fp8KVCacheDataTypeE1ES0_Li16ELi128ELi256ELb1ELi2EEvPKT_PKT0_S8_ifPKiSA_SA_iPKfiiiPfSD_PS3_PT2_iSC_SC_: ; @_Z39paged_attention_ll4mi_QKV_mfma16_kernelI14__hip_bfloat16hLN4vllm18Fp8KVCacheDataTypeE1ES0_Li16ELi128ELi256ELb1ELi2EEvPKT_PKT0_S8_ifPKiSA_SA_iPKfiiiPfSD_PS3_PT2_iSC_SC_
; %bb.0:
	s_get_pc_i64 s[2:3]
	s_add_nc_u64 s[2:3], s[2:3], __PRETTY_FUNCTION__._Z39paged_attention_ll4mi_QKV_mfma16_kernelI14__hip_bfloat16hLN4vllm18Fp8KVCacheDataTypeE1ES0_Li16ELi128ELi256ELb1ELi2EEvPKT_PKT0_S8_ifPKiSA_SA_iPKfiiiPfSD_PS3_PT2_iSC_SC_@rel64+4
	s_delay_alu instid0(SALU_CYCLE_1)
	v_dual_mov_b32 v0, 0xbb3 :: v_dual_mov_b32 v1, s2
	v_mov_b32_e32 v2, s3
	s_add_nc_u64 s[8:9], s[0:1], 0x90
	s_get_pc_i64 s[0:1]
	s_add_nc_u64 s[0:1], s[0:1], __assert_fail@rel64+4
	s_mov_b32 s32, 0
	s_swap_pc_i64 s[30:31], s[0:1]
	.section	.rodata,"a",@progbits
	.p2align	6, 0x0
	.amdhsa_kernel _Z39paged_attention_ll4mi_QKV_mfma16_kernelI14__hip_bfloat16hLN4vllm18Fp8KVCacheDataTypeE1ES0_Li16ELi128ELi256ELb1ELi2EEvPKT_PKT0_S8_ifPKiSA_SA_iPKfiiiPfSD_PS3_PT2_iSC_SC_
		.amdhsa_group_segment_fixed_size 0
		.amdhsa_private_segment_fixed_size 64
		.amdhsa_kernarg_size 400
		.amdhsa_user_sgpr_count 2
		.amdhsa_user_sgpr_dispatch_ptr 0
		.amdhsa_user_sgpr_queue_ptr 0
		.amdhsa_user_sgpr_kernarg_segment_ptr 1
		.amdhsa_user_sgpr_dispatch_id 0
		.amdhsa_user_sgpr_kernarg_preload_length 0
		.amdhsa_user_sgpr_kernarg_preload_offset 0
		.amdhsa_user_sgpr_private_segment_size 0
		.amdhsa_wavefront_size32 1
		.amdhsa_uses_dynamic_stack 0
		.amdhsa_enable_private_segment 1
		.amdhsa_system_sgpr_workgroup_id_x 1
		.amdhsa_system_sgpr_workgroup_id_y 0
		.amdhsa_system_sgpr_workgroup_id_z 0
		.amdhsa_system_sgpr_workgroup_info 0
		.amdhsa_system_vgpr_workitem_id 0
		.amdhsa_next_free_vgpr 51
		.amdhsa_next_free_sgpr 34
		.amdhsa_named_barrier_count 0
		.amdhsa_reserve_vcc 1
		.amdhsa_float_round_mode_32 0
		.amdhsa_float_round_mode_16_64 0
		.amdhsa_float_denorm_mode_32 3
		.amdhsa_float_denorm_mode_16_64 3
		.amdhsa_fp16_overflow 0
		.amdhsa_memory_ordered 1
		.amdhsa_forward_progress 1
		.amdhsa_inst_pref_size 1
		.amdhsa_round_robin_scheduling 0
		.amdhsa_exception_fp_ieee_invalid_op 0
		.amdhsa_exception_fp_denorm_src 0
		.amdhsa_exception_fp_ieee_div_zero 0
		.amdhsa_exception_fp_ieee_overflow 0
		.amdhsa_exception_fp_ieee_underflow 0
		.amdhsa_exception_fp_ieee_inexact 0
		.amdhsa_exception_int_div_zero 0
	.end_amdhsa_kernel
	.section	.text._Z39paged_attention_ll4mi_QKV_mfma16_kernelI14__hip_bfloat16hLN4vllm18Fp8KVCacheDataTypeE1ES0_Li16ELi128ELi256ELb1ELi2EEvPKT_PKT0_S8_ifPKiSA_SA_iPKfiiiPfSD_PS3_PT2_iSC_SC_,"axG",@progbits,_Z39paged_attention_ll4mi_QKV_mfma16_kernelI14__hip_bfloat16hLN4vllm18Fp8KVCacheDataTypeE1ES0_Li16ELi128ELi256ELb1ELi2EEvPKT_PKT0_S8_ifPKiSA_SA_iPKfiiiPfSD_PS3_PT2_iSC_SC_,comdat
.Lfunc_end1307:
	.size	_Z39paged_attention_ll4mi_QKV_mfma16_kernelI14__hip_bfloat16hLN4vllm18Fp8KVCacheDataTypeE1ES0_Li16ELi128ELi256ELb1ELi2EEvPKT_PKT0_S8_ifPKiSA_SA_iPKfiiiPfSD_PS3_PT2_iSC_SC_, .Lfunc_end1307-_Z39paged_attention_ll4mi_QKV_mfma16_kernelI14__hip_bfloat16hLN4vllm18Fp8KVCacheDataTypeE1ES0_Li16ELi128ELi256ELb1ELi2EEvPKT_PKT0_S8_ifPKiSA_SA_iPKfiiiPfSD_PS3_PT2_iSC_SC_
                                        ; -- End function
	.set _Z39paged_attention_ll4mi_QKV_mfma16_kernelI14__hip_bfloat16hLN4vllm18Fp8KVCacheDataTypeE1ES0_Li16ELi128ELi256ELb1ELi2EEvPKT_PKT0_S8_ifPKiSA_SA_iPKfiiiPfSD_PS3_PT2_iSC_SC_.num_vgpr, max(3, .L__assert_fail.num_vgpr)
	.set _Z39paged_attention_ll4mi_QKV_mfma16_kernelI14__hip_bfloat16hLN4vllm18Fp8KVCacheDataTypeE1ES0_Li16ELi128ELi256ELb1ELi2EEvPKT_PKT0_S8_ifPKiSA_SA_iPKfiiiPfSD_PS3_PT2_iSC_SC_.num_agpr, max(0, .L__assert_fail.num_agpr)
	.set _Z39paged_attention_ll4mi_QKV_mfma16_kernelI14__hip_bfloat16hLN4vllm18Fp8KVCacheDataTypeE1ES0_Li16ELi128ELi256ELb1ELi2EEvPKT_PKT0_S8_ifPKiSA_SA_iPKfiiiPfSD_PS3_PT2_iSC_SC_.numbered_sgpr, max(33, .L__assert_fail.numbered_sgpr)
	.set _Z39paged_attention_ll4mi_QKV_mfma16_kernelI14__hip_bfloat16hLN4vllm18Fp8KVCacheDataTypeE1ES0_Li16ELi128ELi256ELb1ELi2EEvPKT_PKT0_S8_ifPKiSA_SA_iPKfiiiPfSD_PS3_PT2_iSC_SC_.num_named_barrier, max(0, .L__assert_fail.num_named_barrier)
	.set _Z39paged_attention_ll4mi_QKV_mfma16_kernelI14__hip_bfloat16hLN4vllm18Fp8KVCacheDataTypeE1ES0_Li16ELi128ELi256ELb1ELi2EEvPKT_PKT0_S8_ifPKiSA_SA_iPKfiiiPfSD_PS3_PT2_iSC_SC_.private_seg_size, 0+max(.L__assert_fail.private_seg_size)
	.set _Z39paged_attention_ll4mi_QKV_mfma16_kernelI14__hip_bfloat16hLN4vllm18Fp8KVCacheDataTypeE1ES0_Li16ELi128ELi256ELb1ELi2EEvPKT_PKT0_S8_ifPKiSA_SA_iPKfiiiPfSD_PS3_PT2_iSC_SC_.uses_vcc, or(1, .L__assert_fail.uses_vcc)
	.set _Z39paged_attention_ll4mi_QKV_mfma16_kernelI14__hip_bfloat16hLN4vllm18Fp8KVCacheDataTypeE1ES0_Li16ELi128ELi256ELb1ELi2EEvPKT_PKT0_S8_ifPKiSA_SA_iPKfiiiPfSD_PS3_PT2_iSC_SC_.uses_flat_scratch, or(0, .L__assert_fail.uses_flat_scratch)
	.set _Z39paged_attention_ll4mi_QKV_mfma16_kernelI14__hip_bfloat16hLN4vllm18Fp8KVCacheDataTypeE1ES0_Li16ELi128ELi256ELb1ELi2EEvPKT_PKT0_S8_ifPKiSA_SA_iPKfiiiPfSD_PS3_PT2_iSC_SC_.has_dyn_sized_stack, or(0, .L__assert_fail.has_dyn_sized_stack)
	.set _Z39paged_attention_ll4mi_QKV_mfma16_kernelI14__hip_bfloat16hLN4vllm18Fp8KVCacheDataTypeE1ES0_Li16ELi128ELi256ELb1ELi2EEvPKT_PKT0_S8_ifPKiSA_SA_iPKfiiiPfSD_PS3_PT2_iSC_SC_.has_recursion, or(0, .L__assert_fail.has_recursion)
	.set _Z39paged_attention_ll4mi_QKV_mfma16_kernelI14__hip_bfloat16hLN4vllm18Fp8KVCacheDataTypeE1ES0_Li16ELi128ELi256ELb1ELi2EEvPKT_PKT0_S8_ifPKiSA_SA_iPKfiiiPfSD_PS3_PT2_iSC_SC_.has_indirect_call, or(0, .L__assert_fail.has_indirect_call)
	.section	.AMDGPU.csdata,"",@progbits
; Kernel info:
; codeLenInByte = 68
; TotalNumSgprs: 36
; NumVgprs: 51
; ScratchSize: 64
; MemoryBound: 0
; FloatMode: 240
; IeeeMode: 1
; LDSByteSize: 0 bytes/workgroup (compile time only)
; SGPRBlocks: 0
; VGPRBlocks: 3
; NumSGPRsForWavesPerEU: 36
; NumVGPRsForWavesPerEU: 51
; NamedBarCnt: 0
; Occupancy: 16
; WaveLimiterHint : 1
; COMPUTE_PGM_RSRC2:SCRATCH_EN: 1
; COMPUTE_PGM_RSRC2:USER_SGPR: 2
; COMPUTE_PGM_RSRC2:TRAP_HANDLER: 0
; COMPUTE_PGM_RSRC2:TGID_X_EN: 1
; COMPUTE_PGM_RSRC2:TGID_Y_EN: 0
; COMPUTE_PGM_RSRC2:TGID_Z_EN: 0
; COMPUTE_PGM_RSRC2:TIDIG_COMP_CNT: 0
	.section	.text._Z39paged_attention_ll4mi_QKV_mfma16_kernelI14__hip_bfloat16hLN4vllm18Fp8KVCacheDataTypeE1ES0_Li16ELi128ELi256ELb1ELi3EEvPKT_PKT0_S8_ifPKiSA_SA_iPKfiiiPfSD_PS3_PT2_iSC_SC_,"axG",@progbits,_Z39paged_attention_ll4mi_QKV_mfma16_kernelI14__hip_bfloat16hLN4vllm18Fp8KVCacheDataTypeE1ES0_Li16ELi128ELi256ELb1ELi3EEvPKT_PKT0_S8_ifPKiSA_SA_iPKfiiiPfSD_PS3_PT2_iSC_SC_,comdat
	.protected	_Z39paged_attention_ll4mi_QKV_mfma16_kernelI14__hip_bfloat16hLN4vllm18Fp8KVCacheDataTypeE1ES0_Li16ELi128ELi256ELb1ELi3EEvPKT_PKT0_S8_ifPKiSA_SA_iPKfiiiPfSD_PS3_PT2_iSC_SC_ ; -- Begin function _Z39paged_attention_ll4mi_QKV_mfma16_kernelI14__hip_bfloat16hLN4vllm18Fp8KVCacheDataTypeE1ES0_Li16ELi128ELi256ELb1ELi3EEvPKT_PKT0_S8_ifPKiSA_SA_iPKfiiiPfSD_PS3_PT2_iSC_SC_
	.globl	_Z39paged_attention_ll4mi_QKV_mfma16_kernelI14__hip_bfloat16hLN4vllm18Fp8KVCacheDataTypeE1ES0_Li16ELi128ELi256ELb1ELi3EEvPKT_PKT0_S8_ifPKiSA_SA_iPKfiiiPfSD_PS3_PT2_iSC_SC_
	.p2align	8
	.type	_Z39paged_attention_ll4mi_QKV_mfma16_kernelI14__hip_bfloat16hLN4vllm18Fp8KVCacheDataTypeE1ES0_Li16ELi128ELi256ELb1ELi3EEvPKT_PKT0_S8_ifPKiSA_SA_iPKfiiiPfSD_PS3_PT2_iSC_SC_,@function
_Z39paged_attention_ll4mi_QKV_mfma16_kernelI14__hip_bfloat16hLN4vllm18Fp8KVCacheDataTypeE1ES0_Li16ELi128ELi256ELb1ELi3EEvPKT_PKT0_S8_ifPKiSA_SA_iPKfiiiPfSD_PS3_PT2_iSC_SC_: ; @_Z39paged_attention_ll4mi_QKV_mfma16_kernelI14__hip_bfloat16hLN4vllm18Fp8KVCacheDataTypeE1ES0_Li16ELi128ELi256ELb1ELi3EEvPKT_PKT0_S8_ifPKiSA_SA_iPKfiiiPfSD_PS3_PT2_iSC_SC_
; %bb.0:
	s_get_pc_i64 s[2:3]
	s_add_nc_u64 s[2:3], s[2:3], __PRETTY_FUNCTION__._Z39paged_attention_ll4mi_QKV_mfma16_kernelI14__hip_bfloat16hLN4vllm18Fp8KVCacheDataTypeE1ES0_Li16ELi128ELi256ELb1ELi3EEvPKT_PKT0_S8_ifPKiSA_SA_iPKfiiiPfSD_PS3_PT2_iSC_SC_@rel64+4
	s_delay_alu instid0(SALU_CYCLE_1)
	v_dual_mov_b32 v0, 0xbb3 :: v_dual_mov_b32 v1, s2
	v_mov_b32_e32 v2, s3
	s_add_nc_u64 s[8:9], s[0:1], 0x90
	s_get_pc_i64 s[0:1]
	s_add_nc_u64 s[0:1], s[0:1], __assert_fail@rel64+4
	s_mov_b32 s32, 0
	s_swap_pc_i64 s[30:31], s[0:1]
	.section	.rodata,"a",@progbits
	.p2align	6, 0x0
	.amdhsa_kernel _Z39paged_attention_ll4mi_QKV_mfma16_kernelI14__hip_bfloat16hLN4vllm18Fp8KVCacheDataTypeE1ES0_Li16ELi128ELi256ELb1ELi3EEvPKT_PKT0_S8_ifPKiSA_SA_iPKfiiiPfSD_PS3_PT2_iSC_SC_
		.amdhsa_group_segment_fixed_size 0
		.amdhsa_private_segment_fixed_size 64
		.amdhsa_kernarg_size 400
		.amdhsa_user_sgpr_count 2
		.amdhsa_user_sgpr_dispatch_ptr 0
		.amdhsa_user_sgpr_queue_ptr 0
		.amdhsa_user_sgpr_kernarg_segment_ptr 1
		.amdhsa_user_sgpr_dispatch_id 0
		.amdhsa_user_sgpr_kernarg_preload_length 0
		.amdhsa_user_sgpr_kernarg_preload_offset 0
		.amdhsa_user_sgpr_private_segment_size 0
		.amdhsa_wavefront_size32 1
		.amdhsa_uses_dynamic_stack 0
		.amdhsa_enable_private_segment 1
		.amdhsa_system_sgpr_workgroup_id_x 1
		.amdhsa_system_sgpr_workgroup_id_y 0
		.amdhsa_system_sgpr_workgroup_id_z 0
		.amdhsa_system_sgpr_workgroup_info 0
		.amdhsa_system_vgpr_workitem_id 0
		.amdhsa_next_free_vgpr 51
		.amdhsa_next_free_sgpr 34
		.amdhsa_named_barrier_count 0
		.amdhsa_reserve_vcc 1
		.amdhsa_float_round_mode_32 0
		.amdhsa_float_round_mode_16_64 0
		.amdhsa_float_denorm_mode_32 3
		.amdhsa_float_denorm_mode_16_64 3
		.amdhsa_fp16_overflow 0
		.amdhsa_memory_ordered 1
		.amdhsa_forward_progress 1
		.amdhsa_inst_pref_size 1
		.amdhsa_round_robin_scheduling 0
		.amdhsa_exception_fp_ieee_invalid_op 0
		.amdhsa_exception_fp_denorm_src 0
		.amdhsa_exception_fp_ieee_div_zero 0
		.amdhsa_exception_fp_ieee_overflow 0
		.amdhsa_exception_fp_ieee_underflow 0
		.amdhsa_exception_fp_ieee_inexact 0
		.amdhsa_exception_int_div_zero 0
	.end_amdhsa_kernel
	.section	.text._Z39paged_attention_ll4mi_QKV_mfma16_kernelI14__hip_bfloat16hLN4vllm18Fp8KVCacheDataTypeE1ES0_Li16ELi128ELi256ELb1ELi3EEvPKT_PKT0_S8_ifPKiSA_SA_iPKfiiiPfSD_PS3_PT2_iSC_SC_,"axG",@progbits,_Z39paged_attention_ll4mi_QKV_mfma16_kernelI14__hip_bfloat16hLN4vllm18Fp8KVCacheDataTypeE1ES0_Li16ELi128ELi256ELb1ELi3EEvPKT_PKT0_S8_ifPKiSA_SA_iPKfiiiPfSD_PS3_PT2_iSC_SC_,comdat
.Lfunc_end1308:
	.size	_Z39paged_attention_ll4mi_QKV_mfma16_kernelI14__hip_bfloat16hLN4vllm18Fp8KVCacheDataTypeE1ES0_Li16ELi128ELi256ELb1ELi3EEvPKT_PKT0_S8_ifPKiSA_SA_iPKfiiiPfSD_PS3_PT2_iSC_SC_, .Lfunc_end1308-_Z39paged_attention_ll4mi_QKV_mfma16_kernelI14__hip_bfloat16hLN4vllm18Fp8KVCacheDataTypeE1ES0_Li16ELi128ELi256ELb1ELi3EEvPKT_PKT0_S8_ifPKiSA_SA_iPKfiiiPfSD_PS3_PT2_iSC_SC_
                                        ; -- End function
	.set _Z39paged_attention_ll4mi_QKV_mfma16_kernelI14__hip_bfloat16hLN4vllm18Fp8KVCacheDataTypeE1ES0_Li16ELi128ELi256ELb1ELi3EEvPKT_PKT0_S8_ifPKiSA_SA_iPKfiiiPfSD_PS3_PT2_iSC_SC_.num_vgpr, max(3, .L__assert_fail.num_vgpr)
	.set _Z39paged_attention_ll4mi_QKV_mfma16_kernelI14__hip_bfloat16hLN4vllm18Fp8KVCacheDataTypeE1ES0_Li16ELi128ELi256ELb1ELi3EEvPKT_PKT0_S8_ifPKiSA_SA_iPKfiiiPfSD_PS3_PT2_iSC_SC_.num_agpr, max(0, .L__assert_fail.num_agpr)
	.set _Z39paged_attention_ll4mi_QKV_mfma16_kernelI14__hip_bfloat16hLN4vllm18Fp8KVCacheDataTypeE1ES0_Li16ELi128ELi256ELb1ELi3EEvPKT_PKT0_S8_ifPKiSA_SA_iPKfiiiPfSD_PS3_PT2_iSC_SC_.numbered_sgpr, max(33, .L__assert_fail.numbered_sgpr)
	.set _Z39paged_attention_ll4mi_QKV_mfma16_kernelI14__hip_bfloat16hLN4vllm18Fp8KVCacheDataTypeE1ES0_Li16ELi128ELi256ELb1ELi3EEvPKT_PKT0_S8_ifPKiSA_SA_iPKfiiiPfSD_PS3_PT2_iSC_SC_.num_named_barrier, max(0, .L__assert_fail.num_named_barrier)
	.set _Z39paged_attention_ll4mi_QKV_mfma16_kernelI14__hip_bfloat16hLN4vllm18Fp8KVCacheDataTypeE1ES0_Li16ELi128ELi256ELb1ELi3EEvPKT_PKT0_S8_ifPKiSA_SA_iPKfiiiPfSD_PS3_PT2_iSC_SC_.private_seg_size, 0+max(.L__assert_fail.private_seg_size)
	.set _Z39paged_attention_ll4mi_QKV_mfma16_kernelI14__hip_bfloat16hLN4vllm18Fp8KVCacheDataTypeE1ES0_Li16ELi128ELi256ELb1ELi3EEvPKT_PKT0_S8_ifPKiSA_SA_iPKfiiiPfSD_PS3_PT2_iSC_SC_.uses_vcc, or(1, .L__assert_fail.uses_vcc)
	.set _Z39paged_attention_ll4mi_QKV_mfma16_kernelI14__hip_bfloat16hLN4vllm18Fp8KVCacheDataTypeE1ES0_Li16ELi128ELi256ELb1ELi3EEvPKT_PKT0_S8_ifPKiSA_SA_iPKfiiiPfSD_PS3_PT2_iSC_SC_.uses_flat_scratch, or(0, .L__assert_fail.uses_flat_scratch)
	.set _Z39paged_attention_ll4mi_QKV_mfma16_kernelI14__hip_bfloat16hLN4vllm18Fp8KVCacheDataTypeE1ES0_Li16ELi128ELi256ELb1ELi3EEvPKT_PKT0_S8_ifPKiSA_SA_iPKfiiiPfSD_PS3_PT2_iSC_SC_.has_dyn_sized_stack, or(0, .L__assert_fail.has_dyn_sized_stack)
	.set _Z39paged_attention_ll4mi_QKV_mfma16_kernelI14__hip_bfloat16hLN4vllm18Fp8KVCacheDataTypeE1ES0_Li16ELi128ELi256ELb1ELi3EEvPKT_PKT0_S8_ifPKiSA_SA_iPKfiiiPfSD_PS3_PT2_iSC_SC_.has_recursion, or(0, .L__assert_fail.has_recursion)
	.set _Z39paged_attention_ll4mi_QKV_mfma16_kernelI14__hip_bfloat16hLN4vllm18Fp8KVCacheDataTypeE1ES0_Li16ELi128ELi256ELb1ELi3EEvPKT_PKT0_S8_ifPKiSA_SA_iPKfiiiPfSD_PS3_PT2_iSC_SC_.has_indirect_call, or(0, .L__assert_fail.has_indirect_call)
	.section	.AMDGPU.csdata,"",@progbits
; Kernel info:
; codeLenInByte = 68
; TotalNumSgprs: 36
; NumVgprs: 51
; ScratchSize: 64
; MemoryBound: 0
; FloatMode: 240
; IeeeMode: 1
; LDSByteSize: 0 bytes/workgroup (compile time only)
; SGPRBlocks: 0
; VGPRBlocks: 3
; NumSGPRsForWavesPerEU: 36
; NumVGPRsForWavesPerEU: 51
; NamedBarCnt: 0
; Occupancy: 16
; WaveLimiterHint : 1
; COMPUTE_PGM_RSRC2:SCRATCH_EN: 1
; COMPUTE_PGM_RSRC2:USER_SGPR: 2
; COMPUTE_PGM_RSRC2:TRAP_HANDLER: 0
; COMPUTE_PGM_RSRC2:TGID_X_EN: 1
; COMPUTE_PGM_RSRC2:TGID_Y_EN: 0
; COMPUTE_PGM_RSRC2:TGID_Z_EN: 0
; COMPUTE_PGM_RSRC2:TIDIG_COMP_CNT: 0
	.section	.text._Z39paged_attention_ll4mi_QKV_mfma16_kernelI14__hip_bfloat16hLN4vllm18Fp8KVCacheDataTypeE1ES0_Li16ELi128ELi256ELb1ELi4EEvPKT_PKT0_S8_ifPKiSA_SA_iPKfiiiPfSD_PS3_PT2_iSC_SC_,"axG",@progbits,_Z39paged_attention_ll4mi_QKV_mfma16_kernelI14__hip_bfloat16hLN4vllm18Fp8KVCacheDataTypeE1ES0_Li16ELi128ELi256ELb1ELi4EEvPKT_PKT0_S8_ifPKiSA_SA_iPKfiiiPfSD_PS3_PT2_iSC_SC_,comdat
	.protected	_Z39paged_attention_ll4mi_QKV_mfma16_kernelI14__hip_bfloat16hLN4vllm18Fp8KVCacheDataTypeE1ES0_Li16ELi128ELi256ELb1ELi4EEvPKT_PKT0_S8_ifPKiSA_SA_iPKfiiiPfSD_PS3_PT2_iSC_SC_ ; -- Begin function _Z39paged_attention_ll4mi_QKV_mfma16_kernelI14__hip_bfloat16hLN4vllm18Fp8KVCacheDataTypeE1ES0_Li16ELi128ELi256ELb1ELi4EEvPKT_PKT0_S8_ifPKiSA_SA_iPKfiiiPfSD_PS3_PT2_iSC_SC_
	.globl	_Z39paged_attention_ll4mi_QKV_mfma16_kernelI14__hip_bfloat16hLN4vllm18Fp8KVCacheDataTypeE1ES0_Li16ELi128ELi256ELb1ELi4EEvPKT_PKT0_S8_ifPKiSA_SA_iPKfiiiPfSD_PS3_PT2_iSC_SC_
	.p2align	8
	.type	_Z39paged_attention_ll4mi_QKV_mfma16_kernelI14__hip_bfloat16hLN4vllm18Fp8KVCacheDataTypeE1ES0_Li16ELi128ELi256ELb1ELi4EEvPKT_PKT0_S8_ifPKiSA_SA_iPKfiiiPfSD_PS3_PT2_iSC_SC_,@function
_Z39paged_attention_ll4mi_QKV_mfma16_kernelI14__hip_bfloat16hLN4vllm18Fp8KVCacheDataTypeE1ES0_Li16ELi128ELi256ELb1ELi4EEvPKT_PKT0_S8_ifPKiSA_SA_iPKfiiiPfSD_PS3_PT2_iSC_SC_: ; @_Z39paged_attention_ll4mi_QKV_mfma16_kernelI14__hip_bfloat16hLN4vllm18Fp8KVCacheDataTypeE1ES0_Li16ELi128ELi256ELb1ELi4EEvPKT_PKT0_S8_ifPKiSA_SA_iPKfiiiPfSD_PS3_PT2_iSC_SC_
; %bb.0:
	s_get_pc_i64 s[2:3]
	s_add_nc_u64 s[2:3], s[2:3], __PRETTY_FUNCTION__._Z39paged_attention_ll4mi_QKV_mfma16_kernelI14__hip_bfloat16hLN4vllm18Fp8KVCacheDataTypeE1ES0_Li16ELi128ELi256ELb1ELi4EEvPKT_PKT0_S8_ifPKiSA_SA_iPKfiiiPfSD_PS3_PT2_iSC_SC_@rel64+4
	s_delay_alu instid0(SALU_CYCLE_1)
	v_dual_mov_b32 v0, 0xbb3 :: v_dual_mov_b32 v1, s2
	v_mov_b32_e32 v2, s3
	s_add_nc_u64 s[8:9], s[0:1], 0x90
	s_get_pc_i64 s[0:1]
	s_add_nc_u64 s[0:1], s[0:1], __assert_fail@rel64+4
	s_mov_b32 s32, 0
	s_swap_pc_i64 s[30:31], s[0:1]
	.section	.rodata,"a",@progbits
	.p2align	6, 0x0
	.amdhsa_kernel _Z39paged_attention_ll4mi_QKV_mfma16_kernelI14__hip_bfloat16hLN4vllm18Fp8KVCacheDataTypeE1ES0_Li16ELi128ELi256ELb1ELi4EEvPKT_PKT0_S8_ifPKiSA_SA_iPKfiiiPfSD_PS3_PT2_iSC_SC_
		.amdhsa_group_segment_fixed_size 0
		.amdhsa_private_segment_fixed_size 64
		.amdhsa_kernarg_size 400
		.amdhsa_user_sgpr_count 2
		.amdhsa_user_sgpr_dispatch_ptr 0
		.amdhsa_user_sgpr_queue_ptr 0
		.amdhsa_user_sgpr_kernarg_segment_ptr 1
		.amdhsa_user_sgpr_dispatch_id 0
		.amdhsa_user_sgpr_kernarg_preload_length 0
		.amdhsa_user_sgpr_kernarg_preload_offset 0
		.amdhsa_user_sgpr_private_segment_size 0
		.amdhsa_wavefront_size32 1
		.amdhsa_uses_dynamic_stack 0
		.amdhsa_enable_private_segment 1
		.amdhsa_system_sgpr_workgroup_id_x 1
		.amdhsa_system_sgpr_workgroup_id_y 0
		.amdhsa_system_sgpr_workgroup_id_z 0
		.amdhsa_system_sgpr_workgroup_info 0
		.amdhsa_system_vgpr_workitem_id 0
		.amdhsa_next_free_vgpr 51
		.amdhsa_next_free_sgpr 34
		.amdhsa_named_barrier_count 0
		.amdhsa_reserve_vcc 1
		.amdhsa_float_round_mode_32 0
		.amdhsa_float_round_mode_16_64 0
		.amdhsa_float_denorm_mode_32 3
		.amdhsa_float_denorm_mode_16_64 3
		.amdhsa_fp16_overflow 0
		.amdhsa_memory_ordered 1
		.amdhsa_forward_progress 1
		.amdhsa_inst_pref_size 1
		.amdhsa_round_robin_scheduling 0
		.amdhsa_exception_fp_ieee_invalid_op 0
		.amdhsa_exception_fp_denorm_src 0
		.amdhsa_exception_fp_ieee_div_zero 0
		.amdhsa_exception_fp_ieee_overflow 0
		.amdhsa_exception_fp_ieee_underflow 0
		.amdhsa_exception_fp_ieee_inexact 0
		.amdhsa_exception_int_div_zero 0
	.end_amdhsa_kernel
	.section	.text._Z39paged_attention_ll4mi_QKV_mfma16_kernelI14__hip_bfloat16hLN4vllm18Fp8KVCacheDataTypeE1ES0_Li16ELi128ELi256ELb1ELi4EEvPKT_PKT0_S8_ifPKiSA_SA_iPKfiiiPfSD_PS3_PT2_iSC_SC_,"axG",@progbits,_Z39paged_attention_ll4mi_QKV_mfma16_kernelI14__hip_bfloat16hLN4vllm18Fp8KVCacheDataTypeE1ES0_Li16ELi128ELi256ELb1ELi4EEvPKT_PKT0_S8_ifPKiSA_SA_iPKfiiiPfSD_PS3_PT2_iSC_SC_,comdat
.Lfunc_end1309:
	.size	_Z39paged_attention_ll4mi_QKV_mfma16_kernelI14__hip_bfloat16hLN4vllm18Fp8KVCacheDataTypeE1ES0_Li16ELi128ELi256ELb1ELi4EEvPKT_PKT0_S8_ifPKiSA_SA_iPKfiiiPfSD_PS3_PT2_iSC_SC_, .Lfunc_end1309-_Z39paged_attention_ll4mi_QKV_mfma16_kernelI14__hip_bfloat16hLN4vllm18Fp8KVCacheDataTypeE1ES0_Li16ELi128ELi256ELb1ELi4EEvPKT_PKT0_S8_ifPKiSA_SA_iPKfiiiPfSD_PS3_PT2_iSC_SC_
                                        ; -- End function
	.set _Z39paged_attention_ll4mi_QKV_mfma16_kernelI14__hip_bfloat16hLN4vllm18Fp8KVCacheDataTypeE1ES0_Li16ELi128ELi256ELb1ELi4EEvPKT_PKT0_S8_ifPKiSA_SA_iPKfiiiPfSD_PS3_PT2_iSC_SC_.num_vgpr, max(3, .L__assert_fail.num_vgpr)
	.set _Z39paged_attention_ll4mi_QKV_mfma16_kernelI14__hip_bfloat16hLN4vllm18Fp8KVCacheDataTypeE1ES0_Li16ELi128ELi256ELb1ELi4EEvPKT_PKT0_S8_ifPKiSA_SA_iPKfiiiPfSD_PS3_PT2_iSC_SC_.num_agpr, max(0, .L__assert_fail.num_agpr)
	.set _Z39paged_attention_ll4mi_QKV_mfma16_kernelI14__hip_bfloat16hLN4vllm18Fp8KVCacheDataTypeE1ES0_Li16ELi128ELi256ELb1ELi4EEvPKT_PKT0_S8_ifPKiSA_SA_iPKfiiiPfSD_PS3_PT2_iSC_SC_.numbered_sgpr, max(33, .L__assert_fail.numbered_sgpr)
	.set _Z39paged_attention_ll4mi_QKV_mfma16_kernelI14__hip_bfloat16hLN4vllm18Fp8KVCacheDataTypeE1ES0_Li16ELi128ELi256ELb1ELi4EEvPKT_PKT0_S8_ifPKiSA_SA_iPKfiiiPfSD_PS3_PT2_iSC_SC_.num_named_barrier, max(0, .L__assert_fail.num_named_barrier)
	.set _Z39paged_attention_ll4mi_QKV_mfma16_kernelI14__hip_bfloat16hLN4vllm18Fp8KVCacheDataTypeE1ES0_Li16ELi128ELi256ELb1ELi4EEvPKT_PKT0_S8_ifPKiSA_SA_iPKfiiiPfSD_PS3_PT2_iSC_SC_.private_seg_size, 0+max(.L__assert_fail.private_seg_size)
	.set _Z39paged_attention_ll4mi_QKV_mfma16_kernelI14__hip_bfloat16hLN4vllm18Fp8KVCacheDataTypeE1ES0_Li16ELi128ELi256ELb1ELi4EEvPKT_PKT0_S8_ifPKiSA_SA_iPKfiiiPfSD_PS3_PT2_iSC_SC_.uses_vcc, or(1, .L__assert_fail.uses_vcc)
	.set _Z39paged_attention_ll4mi_QKV_mfma16_kernelI14__hip_bfloat16hLN4vllm18Fp8KVCacheDataTypeE1ES0_Li16ELi128ELi256ELb1ELi4EEvPKT_PKT0_S8_ifPKiSA_SA_iPKfiiiPfSD_PS3_PT2_iSC_SC_.uses_flat_scratch, or(0, .L__assert_fail.uses_flat_scratch)
	.set _Z39paged_attention_ll4mi_QKV_mfma16_kernelI14__hip_bfloat16hLN4vllm18Fp8KVCacheDataTypeE1ES0_Li16ELi128ELi256ELb1ELi4EEvPKT_PKT0_S8_ifPKiSA_SA_iPKfiiiPfSD_PS3_PT2_iSC_SC_.has_dyn_sized_stack, or(0, .L__assert_fail.has_dyn_sized_stack)
	.set _Z39paged_attention_ll4mi_QKV_mfma16_kernelI14__hip_bfloat16hLN4vllm18Fp8KVCacheDataTypeE1ES0_Li16ELi128ELi256ELb1ELi4EEvPKT_PKT0_S8_ifPKiSA_SA_iPKfiiiPfSD_PS3_PT2_iSC_SC_.has_recursion, or(0, .L__assert_fail.has_recursion)
	.set _Z39paged_attention_ll4mi_QKV_mfma16_kernelI14__hip_bfloat16hLN4vllm18Fp8KVCacheDataTypeE1ES0_Li16ELi128ELi256ELb1ELi4EEvPKT_PKT0_S8_ifPKiSA_SA_iPKfiiiPfSD_PS3_PT2_iSC_SC_.has_indirect_call, or(0, .L__assert_fail.has_indirect_call)
	.section	.AMDGPU.csdata,"",@progbits
; Kernel info:
; codeLenInByte = 68
; TotalNumSgprs: 36
; NumVgprs: 51
; ScratchSize: 64
; MemoryBound: 0
; FloatMode: 240
; IeeeMode: 1
; LDSByteSize: 0 bytes/workgroup (compile time only)
; SGPRBlocks: 0
; VGPRBlocks: 3
; NumSGPRsForWavesPerEU: 36
; NumVGPRsForWavesPerEU: 51
; NamedBarCnt: 0
; Occupancy: 16
; WaveLimiterHint : 1
; COMPUTE_PGM_RSRC2:SCRATCH_EN: 1
; COMPUTE_PGM_RSRC2:USER_SGPR: 2
; COMPUTE_PGM_RSRC2:TRAP_HANDLER: 0
; COMPUTE_PGM_RSRC2:TGID_X_EN: 1
; COMPUTE_PGM_RSRC2:TGID_Y_EN: 0
; COMPUTE_PGM_RSRC2:TGID_Z_EN: 0
; COMPUTE_PGM_RSRC2:TIDIG_COMP_CNT: 0
	.section	.text._Z38paged_attention_ll4mi_QKV_mfma4_kernelI14__hip_bfloat16hLN4vllm18Fp8KVCacheDataTypeE1ES0_Li16ELi128ELi256ELb0ELi1EEvPKT_PKT0_S8_ifPKiSA_SA_iPKfiiiPfSD_PS3_PT2_iSC_SC_,"axG",@progbits,_Z38paged_attention_ll4mi_QKV_mfma4_kernelI14__hip_bfloat16hLN4vllm18Fp8KVCacheDataTypeE1ES0_Li16ELi128ELi256ELb0ELi1EEvPKT_PKT0_S8_ifPKiSA_SA_iPKfiiiPfSD_PS3_PT2_iSC_SC_,comdat
	.protected	_Z38paged_attention_ll4mi_QKV_mfma4_kernelI14__hip_bfloat16hLN4vllm18Fp8KVCacheDataTypeE1ES0_Li16ELi128ELi256ELb0ELi1EEvPKT_PKT0_S8_ifPKiSA_SA_iPKfiiiPfSD_PS3_PT2_iSC_SC_ ; -- Begin function _Z38paged_attention_ll4mi_QKV_mfma4_kernelI14__hip_bfloat16hLN4vllm18Fp8KVCacheDataTypeE1ES0_Li16ELi128ELi256ELb0ELi1EEvPKT_PKT0_S8_ifPKiSA_SA_iPKfiiiPfSD_PS3_PT2_iSC_SC_
	.globl	_Z38paged_attention_ll4mi_QKV_mfma4_kernelI14__hip_bfloat16hLN4vllm18Fp8KVCacheDataTypeE1ES0_Li16ELi128ELi256ELb0ELi1EEvPKT_PKT0_S8_ifPKiSA_SA_iPKfiiiPfSD_PS3_PT2_iSC_SC_
	.p2align	8
	.type	_Z38paged_attention_ll4mi_QKV_mfma4_kernelI14__hip_bfloat16hLN4vllm18Fp8KVCacheDataTypeE1ES0_Li16ELi128ELi256ELb0ELi1EEvPKT_PKT0_S8_ifPKiSA_SA_iPKfiiiPfSD_PS3_PT2_iSC_SC_,@function
_Z38paged_attention_ll4mi_QKV_mfma4_kernelI14__hip_bfloat16hLN4vllm18Fp8KVCacheDataTypeE1ES0_Li16ELi128ELi256ELb0ELi1EEvPKT_PKT0_S8_ifPKiSA_SA_iPKfiiiPfSD_PS3_PT2_iSC_SC_: ; @_Z38paged_attention_ll4mi_QKV_mfma4_kernelI14__hip_bfloat16hLN4vllm18Fp8KVCacheDataTypeE1ES0_Li16ELi128ELi256ELb0ELi1EEvPKT_PKT0_S8_ifPKiSA_SA_iPKfiiiPfSD_PS3_PT2_iSC_SC_
; %bb.0:
	s_get_pc_i64 s[2:3]
	s_add_nc_u64 s[2:3], s[2:3], __PRETTY_FUNCTION__._Z38paged_attention_ll4mi_QKV_mfma4_kernelI14__hip_bfloat16hLN4vllm18Fp8KVCacheDataTypeE1ES0_Li16ELi128ELi256ELb0ELi1EEvPKT_PKT0_S8_ifPKiSA_SA_iPKfiiiPfSD_PS3_PT2_iSC_SC_@rel64+4
	s_delay_alu instid0(SALU_CYCLE_1)
	v_dual_mov_b32 v0, 0xbce :: v_dual_mov_b32 v1, s2
	v_mov_b32_e32 v2, s3
	s_add_nc_u64 s[8:9], s[0:1], 0x90
	s_get_pc_i64 s[0:1]
	s_add_nc_u64 s[0:1], s[0:1], __assert_fail@rel64+4
	s_mov_b32 s32, 0
	s_swap_pc_i64 s[30:31], s[0:1]
	.section	.rodata,"a",@progbits
	.p2align	6, 0x0
	.amdhsa_kernel _Z38paged_attention_ll4mi_QKV_mfma4_kernelI14__hip_bfloat16hLN4vllm18Fp8KVCacheDataTypeE1ES0_Li16ELi128ELi256ELb0ELi1EEvPKT_PKT0_S8_ifPKiSA_SA_iPKfiiiPfSD_PS3_PT2_iSC_SC_
		.amdhsa_group_segment_fixed_size 0
		.amdhsa_private_segment_fixed_size 64
		.amdhsa_kernarg_size 400
		.amdhsa_user_sgpr_count 2
		.amdhsa_user_sgpr_dispatch_ptr 0
		.amdhsa_user_sgpr_queue_ptr 0
		.amdhsa_user_sgpr_kernarg_segment_ptr 1
		.amdhsa_user_sgpr_dispatch_id 0
		.amdhsa_user_sgpr_kernarg_preload_length 0
		.amdhsa_user_sgpr_kernarg_preload_offset 0
		.amdhsa_user_sgpr_private_segment_size 0
		.amdhsa_wavefront_size32 1
		.amdhsa_uses_dynamic_stack 0
		.amdhsa_enable_private_segment 1
		.amdhsa_system_sgpr_workgroup_id_x 1
		.amdhsa_system_sgpr_workgroup_id_y 0
		.amdhsa_system_sgpr_workgroup_id_z 0
		.amdhsa_system_sgpr_workgroup_info 0
		.amdhsa_system_vgpr_workitem_id 0
		.amdhsa_next_free_vgpr 51
		.amdhsa_next_free_sgpr 34
		.amdhsa_named_barrier_count 0
		.amdhsa_reserve_vcc 1
		.amdhsa_float_round_mode_32 0
		.amdhsa_float_round_mode_16_64 0
		.amdhsa_float_denorm_mode_32 3
		.amdhsa_float_denorm_mode_16_64 3
		.amdhsa_fp16_overflow 0
		.amdhsa_memory_ordered 1
		.amdhsa_forward_progress 1
		.amdhsa_inst_pref_size 1
		.amdhsa_round_robin_scheduling 0
		.amdhsa_exception_fp_ieee_invalid_op 0
		.amdhsa_exception_fp_denorm_src 0
		.amdhsa_exception_fp_ieee_div_zero 0
		.amdhsa_exception_fp_ieee_overflow 0
		.amdhsa_exception_fp_ieee_underflow 0
		.amdhsa_exception_fp_ieee_inexact 0
		.amdhsa_exception_int_div_zero 0
	.end_amdhsa_kernel
	.section	.text._Z38paged_attention_ll4mi_QKV_mfma4_kernelI14__hip_bfloat16hLN4vllm18Fp8KVCacheDataTypeE1ES0_Li16ELi128ELi256ELb0ELi1EEvPKT_PKT0_S8_ifPKiSA_SA_iPKfiiiPfSD_PS3_PT2_iSC_SC_,"axG",@progbits,_Z38paged_attention_ll4mi_QKV_mfma4_kernelI14__hip_bfloat16hLN4vllm18Fp8KVCacheDataTypeE1ES0_Li16ELi128ELi256ELb0ELi1EEvPKT_PKT0_S8_ifPKiSA_SA_iPKfiiiPfSD_PS3_PT2_iSC_SC_,comdat
.Lfunc_end1310:
	.size	_Z38paged_attention_ll4mi_QKV_mfma4_kernelI14__hip_bfloat16hLN4vllm18Fp8KVCacheDataTypeE1ES0_Li16ELi128ELi256ELb0ELi1EEvPKT_PKT0_S8_ifPKiSA_SA_iPKfiiiPfSD_PS3_PT2_iSC_SC_, .Lfunc_end1310-_Z38paged_attention_ll4mi_QKV_mfma4_kernelI14__hip_bfloat16hLN4vllm18Fp8KVCacheDataTypeE1ES0_Li16ELi128ELi256ELb0ELi1EEvPKT_PKT0_S8_ifPKiSA_SA_iPKfiiiPfSD_PS3_PT2_iSC_SC_
                                        ; -- End function
	.set _Z38paged_attention_ll4mi_QKV_mfma4_kernelI14__hip_bfloat16hLN4vllm18Fp8KVCacheDataTypeE1ES0_Li16ELi128ELi256ELb0ELi1EEvPKT_PKT0_S8_ifPKiSA_SA_iPKfiiiPfSD_PS3_PT2_iSC_SC_.num_vgpr, max(3, .L__assert_fail.num_vgpr)
	.set _Z38paged_attention_ll4mi_QKV_mfma4_kernelI14__hip_bfloat16hLN4vllm18Fp8KVCacheDataTypeE1ES0_Li16ELi128ELi256ELb0ELi1EEvPKT_PKT0_S8_ifPKiSA_SA_iPKfiiiPfSD_PS3_PT2_iSC_SC_.num_agpr, max(0, .L__assert_fail.num_agpr)
	.set _Z38paged_attention_ll4mi_QKV_mfma4_kernelI14__hip_bfloat16hLN4vllm18Fp8KVCacheDataTypeE1ES0_Li16ELi128ELi256ELb0ELi1EEvPKT_PKT0_S8_ifPKiSA_SA_iPKfiiiPfSD_PS3_PT2_iSC_SC_.numbered_sgpr, max(33, .L__assert_fail.numbered_sgpr)
	.set _Z38paged_attention_ll4mi_QKV_mfma4_kernelI14__hip_bfloat16hLN4vllm18Fp8KVCacheDataTypeE1ES0_Li16ELi128ELi256ELb0ELi1EEvPKT_PKT0_S8_ifPKiSA_SA_iPKfiiiPfSD_PS3_PT2_iSC_SC_.num_named_barrier, max(0, .L__assert_fail.num_named_barrier)
	.set _Z38paged_attention_ll4mi_QKV_mfma4_kernelI14__hip_bfloat16hLN4vllm18Fp8KVCacheDataTypeE1ES0_Li16ELi128ELi256ELb0ELi1EEvPKT_PKT0_S8_ifPKiSA_SA_iPKfiiiPfSD_PS3_PT2_iSC_SC_.private_seg_size, 0+max(.L__assert_fail.private_seg_size)
	.set _Z38paged_attention_ll4mi_QKV_mfma4_kernelI14__hip_bfloat16hLN4vllm18Fp8KVCacheDataTypeE1ES0_Li16ELi128ELi256ELb0ELi1EEvPKT_PKT0_S8_ifPKiSA_SA_iPKfiiiPfSD_PS3_PT2_iSC_SC_.uses_vcc, or(1, .L__assert_fail.uses_vcc)
	.set _Z38paged_attention_ll4mi_QKV_mfma4_kernelI14__hip_bfloat16hLN4vllm18Fp8KVCacheDataTypeE1ES0_Li16ELi128ELi256ELb0ELi1EEvPKT_PKT0_S8_ifPKiSA_SA_iPKfiiiPfSD_PS3_PT2_iSC_SC_.uses_flat_scratch, or(0, .L__assert_fail.uses_flat_scratch)
	.set _Z38paged_attention_ll4mi_QKV_mfma4_kernelI14__hip_bfloat16hLN4vllm18Fp8KVCacheDataTypeE1ES0_Li16ELi128ELi256ELb0ELi1EEvPKT_PKT0_S8_ifPKiSA_SA_iPKfiiiPfSD_PS3_PT2_iSC_SC_.has_dyn_sized_stack, or(0, .L__assert_fail.has_dyn_sized_stack)
	.set _Z38paged_attention_ll4mi_QKV_mfma4_kernelI14__hip_bfloat16hLN4vllm18Fp8KVCacheDataTypeE1ES0_Li16ELi128ELi256ELb0ELi1EEvPKT_PKT0_S8_ifPKiSA_SA_iPKfiiiPfSD_PS3_PT2_iSC_SC_.has_recursion, or(0, .L__assert_fail.has_recursion)
	.set _Z38paged_attention_ll4mi_QKV_mfma4_kernelI14__hip_bfloat16hLN4vllm18Fp8KVCacheDataTypeE1ES0_Li16ELi128ELi256ELb0ELi1EEvPKT_PKT0_S8_ifPKiSA_SA_iPKfiiiPfSD_PS3_PT2_iSC_SC_.has_indirect_call, or(0, .L__assert_fail.has_indirect_call)
	.section	.AMDGPU.csdata,"",@progbits
; Kernel info:
; codeLenInByte = 68
; TotalNumSgprs: 36
; NumVgprs: 51
; ScratchSize: 64
; MemoryBound: 0
; FloatMode: 240
; IeeeMode: 1
; LDSByteSize: 0 bytes/workgroup (compile time only)
; SGPRBlocks: 0
; VGPRBlocks: 3
; NumSGPRsForWavesPerEU: 36
; NumVGPRsForWavesPerEU: 51
; NamedBarCnt: 0
; Occupancy: 16
; WaveLimiterHint : 1
; COMPUTE_PGM_RSRC2:SCRATCH_EN: 1
; COMPUTE_PGM_RSRC2:USER_SGPR: 2
; COMPUTE_PGM_RSRC2:TRAP_HANDLER: 0
; COMPUTE_PGM_RSRC2:TGID_X_EN: 1
; COMPUTE_PGM_RSRC2:TGID_Y_EN: 0
; COMPUTE_PGM_RSRC2:TGID_Z_EN: 0
; COMPUTE_PGM_RSRC2:TIDIG_COMP_CNT: 0
	.section	.text._Z38paged_attention_ll4mi_QKV_mfma4_kernelI14__hip_bfloat16hLN4vllm18Fp8KVCacheDataTypeE1ES0_Li16ELi128ELi256ELb0ELi2EEvPKT_PKT0_S8_ifPKiSA_SA_iPKfiiiPfSD_PS3_PT2_iSC_SC_,"axG",@progbits,_Z38paged_attention_ll4mi_QKV_mfma4_kernelI14__hip_bfloat16hLN4vllm18Fp8KVCacheDataTypeE1ES0_Li16ELi128ELi256ELb0ELi2EEvPKT_PKT0_S8_ifPKiSA_SA_iPKfiiiPfSD_PS3_PT2_iSC_SC_,comdat
	.protected	_Z38paged_attention_ll4mi_QKV_mfma4_kernelI14__hip_bfloat16hLN4vllm18Fp8KVCacheDataTypeE1ES0_Li16ELi128ELi256ELb0ELi2EEvPKT_PKT0_S8_ifPKiSA_SA_iPKfiiiPfSD_PS3_PT2_iSC_SC_ ; -- Begin function _Z38paged_attention_ll4mi_QKV_mfma4_kernelI14__hip_bfloat16hLN4vllm18Fp8KVCacheDataTypeE1ES0_Li16ELi128ELi256ELb0ELi2EEvPKT_PKT0_S8_ifPKiSA_SA_iPKfiiiPfSD_PS3_PT2_iSC_SC_
	.globl	_Z38paged_attention_ll4mi_QKV_mfma4_kernelI14__hip_bfloat16hLN4vllm18Fp8KVCacheDataTypeE1ES0_Li16ELi128ELi256ELb0ELi2EEvPKT_PKT0_S8_ifPKiSA_SA_iPKfiiiPfSD_PS3_PT2_iSC_SC_
	.p2align	8
	.type	_Z38paged_attention_ll4mi_QKV_mfma4_kernelI14__hip_bfloat16hLN4vllm18Fp8KVCacheDataTypeE1ES0_Li16ELi128ELi256ELb0ELi2EEvPKT_PKT0_S8_ifPKiSA_SA_iPKfiiiPfSD_PS3_PT2_iSC_SC_,@function
_Z38paged_attention_ll4mi_QKV_mfma4_kernelI14__hip_bfloat16hLN4vllm18Fp8KVCacheDataTypeE1ES0_Li16ELi128ELi256ELb0ELi2EEvPKT_PKT0_S8_ifPKiSA_SA_iPKfiiiPfSD_PS3_PT2_iSC_SC_: ; @_Z38paged_attention_ll4mi_QKV_mfma4_kernelI14__hip_bfloat16hLN4vllm18Fp8KVCacheDataTypeE1ES0_Li16ELi128ELi256ELb0ELi2EEvPKT_PKT0_S8_ifPKiSA_SA_iPKfiiiPfSD_PS3_PT2_iSC_SC_
; %bb.0:
	s_get_pc_i64 s[2:3]
	s_add_nc_u64 s[2:3], s[2:3], __PRETTY_FUNCTION__._Z38paged_attention_ll4mi_QKV_mfma4_kernelI14__hip_bfloat16hLN4vllm18Fp8KVCacheDataTypeE1ES0_Li16ELi128ELi256ELb0ELi2EEvPKT_PKT0_S8_ifPKiSA_SA_iPKfiiiPfSD_PS3_PT2_iSC_SC_@rel64+4
	s_delay_alu instid0(SALU_CYCLE_1)
	v_dual_mov_b32 v0, 0xbce :: v_dual_mov_b32 v1, s2
	v_mov_b32_e32 v2, s3
	s_add_nc_u64 s[8:9], s[0:1], 0x90
	s_get_pc_i64 s[0:1]
	s_add_nc_u64 s[0:1], s[0:1], __assert_fail@rel64+4
	s_mov_b32 s32, 0
	s_swap_pc_i64 s[30:31], s[0:1]
	.section	.rodata,"a",@progbits
	.p2align	6, 0x0
	.amdhsa_kernel _Z38paged_attention_ll4mi_QKV_mfma4_kernelI14__hip_bfloat16hLN4vllm18Fp8KVCacheDataTypeE1ES0_Li16ELi128ELi256ELb0ELi2EEvPKT_PKT0_S8_ifPKiSA_SA_iPKfiiiPfSD_PS3_PT2_iSC_SC_
		.amdhsa_group_segment_fixed_size 0
		.amdhsa_private_segment_fixed_size 64
		.amdhsa_kernarg_size 400
		.amdhsa_user_sgpr_count 2
		.amdhsa_user_sgpr_dispatch_ptr 0
		.amdhsa_user_sgpr_queue_ptr 0
		.amdhsa_user_sgpr_kernarg_segment_ptr 1
		.amdhsa_user_sgpr_dispatch_id 0
		.amdhsa_user_sgpr_kernarg_preload_length 0
		.amdhsa_user_sgpr_kernarg_preload_offset 0
		.amdhsa_user_sgpr_private_segment_size 0
		.amdhsa_wavefront_size32 1
		.amdhsa_uses_dynamic_stack 0
		.amdhsa_enable_private_segment 1
		.amdhsa_system_sgpr_workgroup_id_x 1
		.amdhsa_system_sgpr_workgroup_id_y 0
		.amdhsa_system_sgpr_workgroup_id_z 0
		.amdhsa_system_sgpr_workgroup_info 0
		.amdhsa_system_vgpr_workitem_id 0
		.amdhsa_next_free_vgpr 51
		.amdhsa_next_free_sgpr 34
		.amdhsa_named_barrier_count 0
		.amdhsa_reserve_vcc 1
		.amdhsa_float_round_mode_32 0
		.amdhsa_float_round_mode_16_64 0
		.amdhsa_float_denorm_mode_32 3
		.amdhsa_float_denorm_mode_16_64 3
		.amdhsa_fp16_overflow 0
		.amdhsa_memory_ordered 1
		.amdhsa_forward_progress 1
		.amdhsa_inst_pref_size 1
		.amdhsa_round_robin_scheduling 0
		.amdhsa_exception_fp_ieee_invalid_op 0
		.amdhsa_exception_fp_denorm_src 0
		.amdhsa_exception_fp_ieee_div_zero 0
		.amdhsa_exception_fp_ieee_overflow 0
		.amdhsa_exception_fp_ieee_underflow 0
		.amdhsa_exception_fp_ieee_inexact 0
		.amdhsa_exception_int_div_zero 0
	.end_amdhsa_kernel
	.section	.text._Z38paged_attention_ll4mi_QKV_mfma4_kernelI14__hip_bfloat16hLN4vllm18Fp8KVCacheDataTypeE1ES0_Li16ELi128ELi256ELb0ELi2EEvPKT_PKT0_S8_ifPKiSA_SA_iPKfiiiPfSD_PS3_PT2_iSC_SC_,"axG",@progbits,_Z38paged_attention_ll4mi_QKV_mfma4_kernelI14__hip_bfloat16hLN4vllm18Fp8KVCacheDataTypeE1ES0_Li16ELi128ELi256ELb0ELi2EEvPKT_PKT0_S8_ifPKiSA_SA_iPKfiiiPfSD_PS3_PT2_iSC_SC_,comdat
.Lfunc_end1311:
	.size	_Z38paged_attention_ll4mi_QKV_mfma4_kernelI14__hip_bfloat16hLN4vllm18Fp8KVCacheDataTypeE1ES0_Li16ELi128ELi256ELb0ELi2EEvPKT_PKT0_S8_ifPKiSA_SA_iPKfiiiPfSD_PS3_PT2_iSC_SC_, .Lfunc_end1311-_Z38paged_attention_ll4mi_QKV_mfma4_kernelI14__hip_bfloat16hLN4vllm18Fp8KVCacheDataTypeE1ES0_Li16ELi128ELi256ELb0ELi2EEvPKT_PKT0_S8_ifPKiSA_SA_iPKfiiiPfSD_PS3_PT2_iSC_SC_
                                        ; -- End function
	.set _Z38paged_attention_ll4mi_QKV_mfma4_kernelI14__hip_bfloat16hLN4vllm18Fp8KVCacheDataTypeE1ES0_Li16ELi128ELi256ELb0ELi2EEvPKT_PKT0_S8_ifPKiSA_SA_iPKfiiiPfSD_PS3_PT2_iSC_SC_.num_vgpr, max(3, .L__assert_fail.num_vgpr)
	.set _Z38paged_attention_ll4mi_QKV_mfma4_kernelI14__hip_bfloat16hLN4vllm18Fp8KVCacheDataTypeE1ES0_Li16ELi128ELi256ELb0ELi2EEvPKT_PKT0_S8_ifPKiSA_SA_iPKfiiiPfSD_PS3_PT2_iSC_SC_.num_agpr, max(0, .L__assert_fail.num_agpr)
	.set _Z38paged_attention_ll4mi_QKV_mfma4_kernelI14__hip_bfloat16hLN4vllm18Fp8KVCacheDataTypeE1ES0_Li16ELi128ELi256ELb0ELi2EEvPKT_PKT0_S8_ifPKiSA_SA_iPKfiiiPfSD_PS3_PT2_iSC_SC_.numbered_sgpr, max(33, .L__assert_fail.numbered_sgpr)
	.set _Z38paged_attention_ll4mi_QKV_mfma4_kernelI14__hip_bfloat16hLN4vllm18Fp8KVCacheDataTypeE1ES0_Li16ELi128ELi256ELb0ELi2EEvPKT_PKT0_S8_ifPKiSA_SA_iPKfiiiPfSD_PS3_PT2_iSC_SC_.num_named_barrier, max(0, .L__assert_fail.num_named_barrier)
	.set _Z38paged_attention_ll4mi_QKV_mfma4_kernelI14__hip_bfloat16hLN4vllm18Fp8KVCacheDataTypeE1ES0_Li16ELi128ELi256ELb0ELi2EEvPKT_PKT0_S8_ifPKiSA_SA_iPKfiiiPfSD_PS3_PT2_iSC_SC_.private_seg_size, 0+max(.L__assert_fail.private_seg_size)
	.set _Z38paged_attention_ll4mi_QKV_mfma4_kernelI14__hip_bfloat16hLN4vllm18Fp8KVCacheDataTypeE1ES0_Li16ELi128ELi256ELb0ELi2EEvPKT_PKT0_S8_ifPKiSA_SA_iPKfiiiPfSD_PS3_PT2_iSC_SC_.uses_vcc, or(1, .L__assert_fail.uses_vcc)
	.set _Z38paged_attention_ll4mi_QKV_mfma4_kernelI14__hip_bfloat16hLN4vllm18Fp8KVCacheDataTypeE1ES0_Li16ELi128ELi256ELb0ELi2EEvPKT_PKT0_S8_ifPKiSA_SA_iPKfiiiPfSD_PS3_PT2_iSC_SC_.uses_flat_scratch, or(0, .L__assert_fail.uses_flat_scratch)
	.set _Z38paged_attention_ll4mi_QKV_mfma4_kernelI14__hip_bfloat16hLN4vllm18Fp8KVCacheDataTypeE1ES0_Li16ELi128ELi256ELb0ELi2EEvPKT_PKT0_S8_ifPKiSA_SA_iPKfiiiPfSD_PS3_PT2_iSC_SC_.has_dyn_sized_stack, or(0, .L__assert_fail.has_dyn_sized_stack)
	.set _Z38paged_attention_ll4mi_QKV_mfma4_kernelI14__hip_bfloat16hLN4vllm18Fp8KVCacheDataTypeE1ES0_Li16ELi128ELi256ELb0ELi2EEvPKT_PKT0_S8_ifPKiSA_SA_iPKfiiiPfSD_PS3_PT2_iSC_SC_.has_recursion, or(0, .L__assert_fail.has_recursion)
	.set _Z38paged_attention_ll4mi_QKV_mfma4_kernelI14__hip_bfloat16hLN4vllm18Fp8KVCacheDataTypeE1ES0_Li16ELi128ELi256ELb0ELi2EEvPKT_PKT0_S8_ifPKiSA_SA_iPKfiiiPfSD_PS3_PT2_iSC_SC_.has_indirect_call, or(0, .L__assert_fail.has_indirect_call)
	.section	.AMDGPU.csdata,"",@progbits
; Kernel info:
; codeLenInByte = 68
; TotalNumSgprs: 36
; NumVgprs: 51
; ScratchSize: 64
; MemoryBound: 0
; FloatMode: 240
; IeeeMode: 1
; LDSByteSize: 0 bytes/workgroup (compile time only)
; SGPRBlocks: 0
; VGPRBlocks: 3
; NumSGPRsForWavesPerEU: 36
; NumVGPRsForWavesPerEU: 51
; NamedBarCnt: 0
; Occupancy: 16
; WaveLimiterHint : 1
; COMPUTE_PGM_RSRC2:SCRATCH_EN: 1
; COMPUTE_PGM_RSRC2:USER_SGPR: 2
; COMPUTE_PGM_RSRC2:TRAP_HANDLER: 0
; COMPUTE_PGM_RSRC2:TGID_X_EN: 1
; COMPUTE_PGM_RSRC2:TGID_Y_EN: 0
; COMPUTE_PGM_RSRC2:TGID_Z_EN: 0
; COMPUTE_PGM_RSRC2:TIDIG_COMP_CNT: 0
	.section	.text._Z38paged_attention_ll4mi_QKV_mfma4_kernelI14__hip_bfloat16hLN4vllm18Fp8KVCacheDataTypeE1ES0_Li16ELi128ELi256ELb0ELi3EEvPKT_PKT0_S8_ifPKiSA_SA_iPKfiiiPfSD_PS3_PT2_iSC_SC_,"axG",@progbits,_Z38paged_attention_ll4mi_QKV_mfma4_kernelI14__hip_bfloat16hLN4vllm18Fp8KVCacheDataTypeE1ES0_Li16ELi128ELi256ELb0ELi3EEvPKT_PKT0_S8_ifPKiSA_SA_iPKfiiiPfSD_PS3_PT2_iSC_SC_,comdat
	.protected	_Z38paged_attention_ll4mi_QKV_mfma4_kernelI14__hip_bfloat16hLN4vllm18Fp8KVCacheDataTypeE1ES0_Li16ELi128ELi256ELb0ELi3EEvPKT_PKT0_S8_ifPKiSA_SA_iPKfiiiPfSD_PS3_PT2_iSC_SC_ ; -- Begin function _Z38paged_attention_ll4mi_QKV_mfma4_kernelI14__hip_bfloat16hLN4vllm18Fp8KVCacheDataTypeE1ES0_Li16ELi128ELi256ELb0ELi3EEvPKT_PKT0_S8_ifPKiSA_SA_iPKfiiiPfSD_PS3_PT2_iSC_SC_
	.globl	_Z38paged_attention_ll4mi_QKV_mfma4_kernelI14__hip_bfloat16hLN4vllm18Fp8KVCacheDataTypeE1ES0_Li16ELi128ELi256ELb0ELi3EEvPKT_PKT0_S8_ifPKiSA_SA_iPKfiiiPfSD_PS3_PT2_iSC_SC_
	.p2align	8
	.type	_Z38paged_attention_ll4mi_QKV_mfma4_kernelI14__hip_bfloat16hLN4vllm18Fp8KVCacheDataTypeE1ES0_Li16ELi128ELi256ELb0ELi3EEvPKT_PKT0_S8_ifPKiSA_SA_iPKfiiiPfSD_PS3_PT2_iSC_SC_,@function
_Z38paged_attention_ll4mi_QKV_mfma4_kernelI14__hip_bfloat16hLN4vllm18Fp8KVCacheDataTypeE1ES0_Li16ELi128ELi256ELb0ELi3EEvPKT_PKT0_S8_ifPKiSA_SA_iPKfiiiPfSD_PS3_PT2_iSC_SC_: ; @_Z38paged_attention_ll4mi_QKV_mfma4_kernelI14__hip_bfloat16hLN4vllm18Fp8KVCacheDataTypeE1ES0_Li16ELi128ELi256ELb0ELi3EEvPKT_PKT0_S8_ifPKiSA_SA_iPKfiiiPfSD_PS3_PT2_iSC_SC_
; %bb.0:
	s_get_pc_i64 s[2:3]
	s_add_nc_u64 s[2:3], s[2:3], __PRETTY_FUNCTION__._Z38paged_attention_ll4mi_QKV_mfma4_kernelI14__hip_bfloat16hLN4vllm18Fp8KVCacheDataTypeE1ES0_Li16ELi128ELi256ELb0ELi3EEvPKT_PKT0_S8_ifPKiSA_SA_iPKfiiiPfSD_PS3_PT2_iSC_SC_@rel64+4
	s_delay_alu instid0(SALU_CYCLE_1)
	v_dual_mov_b32 v0, 0xbce :: v_dual_mov_b32 v1, s2
	v_mov_b32_e32 v2, s3
	s_add_nc_u64 s[8:9], s[0:1], 0x90
	s_get_pc_i64 s[0:1]
	s_add_nc_u64 s[0:1], s[0:1], __assert_fail@rel64+4
	s_mov_b32 s32, 0
	s_swap_pc_i64 s[30:31], s[0:1]
	.section	.rodata,"a",@progbits
	.p2align	6, 0x0
	.amdhsa_kernel _Z38paged_attention_ll4mi_QKV_mfma4_kernelI14__hip_bfloat16hLN4vllm18Fp8KVCacheDataTypeE1ES0_Li16ELi128ELi256ELb0ELi3EEvPKT_PKT0_S8_ifPKiSA_SA_iPKfiiiPfSD_PS3_PT2_iSC_SC_
		.amdhsa_group_segment_fixed_size 0
		.amdhsa_private_segment_fixed_size 64
		.amdhsa_kernarg_size 400
		.amdhsa_user_sgpr_count 2
		.amdhsa_user_sgpr_dispatch_ptr 0
		.amdhsa_user_sgpr_queue_ptr 0
		.amdhsa_user_sgpr_kernarg_segment_ptr 1
		.amdhsa_user_sgpr_dispatch_id 0
		.amdhsa_user_sgpr_kernarg_preload_length 0
		.amdhsa_user_sgpr_kernarg_preload_offset 0
		.amdhsa_user_sgpr_private_segment_size 0
		.amdhsa_wavefront_size32 1
		.amdhsa_uses_dynamic_stack 0
		.amdhsa_enable_private_segment 1
		.amdhsa_system_sgpr_workgroup_id_x 1
		.amdhsa_system_sgpr_workgroup_id_y 0
		.amdhsa_system_sgpr_workgroup_id_z 0
		.amdhsa_system_sgpr_workgroup_info 0
		.amdhsa_system_vgpr_workitem_id 0
		.amdhsa_next_free_vgpr 51
		.amdhsa_next_free_sgpr 34
		.amdhsa_named_barrier_count 0
		.amdhsa_reserve_vcc 1
		.amdhsa_float_round_mode_32 0
		.amdhsa_float_round_mode_16_64 0
		.amdhsa_float_denorm_mode_32 3
		.amdhsa_float_denorm_mode_16_64 3
		.amdhsa_fp16_overflow 0
		.amdhsa_memory_ordered 1
		.amdhsa_forward_progress 1
		.amdhsa_inst_pref_size 1
		.amdhsa_round_robin_scheduling 0
		.amdhsa_exception_fp_ieee_invalid_op 0
		.amdhsa_exception_fp_denorm_src 0
		.amdhsa_exception_fp_ieee_div_zero 0
		.amdhsa_exception_fp_ieee_overflow 0
		.amdhsa_exception_fp_ieee_underflow 0
		.amdhsa_exception_fp_ieee_inexact 0
		.amdhsa_exception_int_div_zero 0
	.end_amdhsa_kernel
	.section	.text._Z38paged_attention_ll4mi_QKV_mfma4_kernelI14__hip_bfloat16hLN4vllm18Fp8KVCacheDataTypeE1ES0_Li16ELi128ELi256ELb0ELi3EEvPKT_PKT0_S8_ifPKiSA_SA_iPKfiiiPfSD_PS3_PT2_iSC_SC_,"axG",@progbits,_Z38paged_attention_ll4mi_QKV_mfma4_kernelI14__hip_bfloat16hLN4vllm18Fp8KVCacheDataTypeE1ES0_Li16ELi128ELi256ELb0ELi3EEvPKT_PKT0_S8_ifPKiSA_SA_iPKfiiiPfSD_PS3_PT2_iSC_SC_,comdat
.Lfunc_end1312:
	.size	_Z38paged_attention_ll4mi_QKV_mfma4_kernelI14__hip_bfloat16hLN4vllm18Fp8KVCacheDataTypeE1ES0_Li16ELi128ELi256ELb0ELi3EEvPKT_PKT0_S8_ifPKiSA_SA_iPKfiiiPfSD_PS3_PT2_iSC_SC_, .Lfunc_end1312-_Z38paged_attention_ll4mi_QKV_mfma4_kernelI14__hip_bfloat16hLN4vllm18Fp8KVCacheDataTypeE1ES0_Li16ELi128ELi256ELb0ELi3EEvPKT_PKT0_S8_ifPKiSA_SA_iPKfiiiPfSD_PS3_PT2_iSC_SC_
                                        ; -- End function
	.set _Z38paged_attention_ll4mi_QKV_mfma4_kernelI14__hip_bfloat16hLN4vllm18Fp8KVCacheDataTypeE1ES0_Li16ELi128ELi256ELb0ELi3EEvPKT_PKT0_S8_ifPKiSA_SA_iPKfiiiPfSD_PS3_PT2_iSC_SC_.num_vgpr, max(3, .L__assert_fail.num_vgpr)
	.set _Z38paged_attention_ll4mi_QKV_mfma4_kernelI14__hip_bfloat16hLN4vllm18Fp8KVCacheDataTypeE1ES0_Li16ELi128ELi256ELb0ELi3EEvPKT_PKT0_S8_ifPKiSA_SA_iPKfiiiPfSD_PS3_PT2_iSC_SC_.num_agpr, max(0, .L__assert_fail.num_agpr)
	.set _Z38paged_attention_ll4mi_QKV_mfma4_kernelI14__hip_bfloat16hLN4vllm18Fp8KVCacheDataTypeE1ES0_Li16ELi128ELi256ELb0ELi3EEvPKT_PKT0_S8_ifPKiSA_SA_iPKfiiiPfSD_PS3_PT2_iSC_SC_.numbered_sgpr, max(33, .L__assert_fail.numbered_sgpr)
	.set _Z38paged_attention_ll4mi_QKV_mfma4_kernelI14__hip_bfloat16hLN4vllm18Fp8KVCacheDataTypeE1ES0_Li16ELi128ELi256ELb0ELi3EEvPKT_PKT0_S8_ifPKiSA_SA_iPKfiiiPfSD_PS3_PT2_iSC_SC_.num_named_barrier, max(0, .L__assert_fail.num_named_barrier)
	.set _Z38paged_attention_ll4mi_QKV_mfma4_kernelI14__hip_bfloat16hLN4vllm18Fp8KVCacheDataTypeE1ES0_Li16ELi128ELi256ELb0ELi3EEvPKT_PKT0_S8_ifPKiSA_SA_iPKfiiiPfSD_PS3_PT2_iSC_SC_.private_seg_size, 0+max(.L__assert_fail.private_seg_size)
	.set _Z38paged_attention_ll4mi_QKV_mfma4_kernelI14__hip_bfloat16hLN4vllm18Fp8KVCacheDataTypeE1ES0_Li16ELi128ELi256ELb0ELi3EEvPKT_PKT0_S8_ifPKiSA_SA_iPKfiiiPfSD_PS3_PT2_iSC_SC_.uses_vcc, or(1, .L__assert_fail.uses_vcc)
	.set _Z38paged_attention_ll4mi_QKV_mfma4_kernelI14__hip_bfloat16hLN4vllm18Fp8KVCacheDataTypeE1ES0_Li16ELi128ELi256ELb0ELi3EEvPKT_PKT0_S8_ifPKiSA_SA_iPKfiiiPfSD_PS3_PT2_iSC_SC_.uses_flat_scratch, or(0, .L__assert_fail.uses_flat_scratch)
	.set _Z38paged_attention_ll4mi_QKV_mfma4_kernelI14__hip_bfloat16hLN4vllm18Fp8KVCacheDataTypeE1ES0_Li16ELi128ELi256ELb0ELi3EEvPKT_PKT0_S8_ifPKiSA_SA_iPKfiiiPfSD_PS3_PT2_iSC_SC_.has_dyn_sized_stack, or(0, .L__assert_fail.has_dyn_sized_stack)
	.set _Z38paged_attention_ll4mi_QKV_mfma4_kernelI14__hip_bfloat16hLN4vllm18Fp8KVCacheDataTypeE1ES0_Li16ELi128ELi256ELb0ELi3EEvPKT_PKT0_S8_ifPKiSA_SA_iPKfiiiPfSD_PS3_PT2_iSC_SC_.has_recursion, or(0, .L__assert_fail.has_recursion)
	.set _Z38paged_attention_ll4mi_QKV_mfma4_kernelI14__hip_bfloat16hLN4vllm18Fp8KVCacheDataTypeE1ES0_Li16ELi128ELi256ELb0ELi3EEvPKT_PKT0_S8_ifPKiSA_SA_iPKfiiiPfSD_PS3_PT2_iSC_SC_.has_indirect_call, or(0, .L__assert_fail.has_indirect_call)
	.section	.AMDGPU.csdata,"",@progbits
; Kernel info:
; codeLenInByte = 68
; TotalNumSgprs: 36
; NumVgprs: 51
; ScratchSize: 64
; MemoryBound: 0
; FloatMode: 240
; IeeeMode: 1
; LDSByteSize: 0 bytes/workgroup (compile time only)
; SGPRBlocks: 0
; VGPRBlocks: 3
; NumSGPRsForWavesPerEU: 36
; NumVGPRsForWavesPerEU: 51
; NamedBarCnt: 0
; Occupancy: 16
; WaveLimiterHint : 1
; COMPUTE_PGM_RSRC2:SCRATCH_EN: 1
; COMPUTE_PGM_RSRC2:USER_SGPR: 2
; COMPUTE_PGM_RSRC2:TRAP_HANDLER: 0
; COMPUTE_PGM_RSRC2:TGID_X_EN: 1
; COMPUTE_PGM_RSRC2:TGID_Y_EN: 0
; COMPUTE_PGM_RSRC2:TGID_Z_EN: 0
; COMPUTE_PGM_RSRC2:TIDIG_COMP_CNT: 0
	.section	.text._Z38paged_attention_ll4mi_QKV_mfma4_kernelI14__hip_bfloat16hLN4vllm18Fp8KVCacheDataTypeE1ES0_Li16ELi128ELi256ELb0ELi4EEvPKT_PKT0_S8_ifPKiSA_SA_iPKfiiiPfSD_PS3_PT2_iSC_SC_,"axG",@progbits,_Z38paged_attention_ll4mi_QKV_mfma4_kernelI14__hip_bfloat16hLN4vllm18Fp8KVCacheDataTypeE1ES0_Li16ELi128ELi256ELb0ELi4EEvPKT_PKT0_S8_ifPKiSA_SA_iPKfiiiPfSD_PS3_PT2_iSC_SC_,comdat
	.protected	_Z38paged_attention_ll4mi_QKV_mfma4_kernelI14__hip_bfloat16hLN4vllm18Fp8KVCacheDataTypeE1ES0_Li16ELi128ELi256ELb0ELi4EEvPKT_PKT0_S8_ifPKiSA_SA_iPKfiiiPfSD_PS3_PT2_iSC_SC_ ; -- Begin function _Z38paged_attention_ll4mi_QKV_mfma4_kernelI14__hip_bfloat16hLN4vllm18Fp8KVCacheDataTypeE1ES0_Li16ELi128ELi256ELb0ELi4EEvPKT_PKT0_S8_ifPKiSA_SA_iPKfiiiPfSD_PS3_PT2_iSC_SC_
	.globl	_Z38paged_attention_ll4mi_QKV_mfma4_kernelI14__hip_bfloat16hLN4vllm18Fp8KVCacheDataTypeE1ES0_Li16ELi128ELi256ELb0ELi4EEvPKT_PKT0_S8_ifPKiSA_SA_iPKfiiiPfSD_PS3_PT2_iSC_SC_
	.p2align	8
	.type	_Z38paged_attention_ll4mi_QKV_mfma4_kernelI14__hip_bfloat16hLN4vllm18Fp8KVCacheDataTypeE1ES0_Li16ELi128ELi256ELb0ELi4EEvPKT_PKT0_S8_ifPKiSA_SA_iPKfiiiPfSD_PS3_PT2_iSC_SC_,@function
_Z38paged_attention_ll4mi_QKV_mfma4_kernelI14__hip_bfloat16hLN4vllm18Fp8KVCacheDataTypeE1ES0_Li16ELi128ELi256ELb0ELi4EEvPKT_PKT0_S8_ifPKiSA_SA_iPKfiiiPfSD_PS3_PT2_iSC_SC_: ; @_Z38paged_attention_ll4mi_QKV_mfma4_kernelI14__hip_bfloat16hLN4vllm18Fp8KVCacheDataTypeE1ES0_Li16ELi128ELi256ELb0ELi4EEvPKT_PKT0_S8_ifPKiSA_SA_iPKfiiiPfSD_PS3_PT2_iSC_SC_
; %bb.0:
	s_get_pc_i64 s[2:3]
	s_add_nc_u64 s[2:3], s[2:3], __PRETTY_FUNCTION__._Z38paged_attention_ll4mi_QKV_mfma4_kernelI14__hip_bfloat16hLN4vllm18Fp8KVCacheDataTypeE1ES0_Li16ELi128ELi256ELb0ELi4EEvPKT_PKT0_S8_ifPKiSA_SA_iPKfiiiPfSD_PS3_PT2_iSC_SC_@rel64+4
	s_delay_alu instid0(SALU_CYCLE_1)
	v_dual_mov_b32 v0, 0xbce :: v_dual_mov_b32 v1, s2
	v_mov_b32_e32 v2, s3
	s_add_nc_u64 s[8:9], s[0:1], 0x90
	s_get_pc_i64 s[0:1]
	s_add_nc_u64 s[0:1], s[0:1], __assert_fail@rel64+4
	s_mov_b32 s32, 0
	s_swap_pc_i64 s[30:31], s[0:1]
	.section	.rodata,"a",@progbits
	.p2align	6, 0x0
	.amdhsa_kernel _Z38paged_attention_ll4mi_QKV_mfma4_kernelI14__hip_bfloat16hLN4vllm18Fp8KVCacheDataTypeE1ES0_Li16ELi128ELi256ELb0ELi4EEvPKT_PKT0_S8_ifPKiSA_SA_iPKfiiiPfSD_PS3_PT2_iSC_SC_
		.amdhsa_group_segment_fixed_size 0
		.amdhsa_private_segment_fixed_size 64
		.amdhsa_kernarg_size 400
		.amdhsa_user_sgpr_count 2
		.amdhsa_user_sgpr_dispatch_ptr 0
		.amdhsa_user_sgpr_queue_ptr 0
		.amdhsa_user_sgpr_kernarg_segment_ptr 1
		.amdhsa_user_sgpr_dispatch_id 0
		.amdhsa_user_sgpr_kernarg_preload_length 0
		.amdhsa_user_sgpr_kernarg_preload_offset 0
		.amdhsa_user_sgpr_private_segment_size 0
		.amdhsa_wavefront_size32 1
		.amdhsa_uses_dynamic_stack 0
		.amdhsa_enable_private_segment 1
		.amdhsa_system_sgpr_workgroup_id_x 1
		.amdhsa_system_sgpr_workgroup_id_y 0
		.amdhsa_system_sgpr_workgroup_id_z 0
		.amdhsa_system_sgpr_workgroup_info 0
		.amdhsa_system_vgpr_workitem_id 0
		.amdhsa_next_free_vgpr 51
		.amdhsa_next_free_sgpr 34
		.amdhsa_named_barrier_count 0
		.amdhsa_reserve_vcc 1
		.amdhsa_float_round_mode_32 0
		.amdhsa_float_round_mode_16_64 0
		.amdhsa_float_denorm_mode_32 3
		.amdhsa_float_denorm_mode_16_64 3
		.amdhsa_fp16_overflow 0
		.amdhsa_memory_ordered 1
		.amdhsa_forward_progress 1
		.amdhsa_inst_pref_size 1
		.amdhsa_round_robin_scheduling 0
		.amdhsa_exception_fp_ieee_invalid_op 0
		.amdhsa_exception_fp_denorm_src 0
		.amdhsa_exception_fp_ieee_div_zero 0
		.amdhsa_exception_fp_ieee_overflow 0
		.amdhsa_exception_fp_ieee_underflow 0
		.amdhsa_exception_fp_ieee_inexact 0
		.amdhsa_exception_int_div_zero 0
	.end_amdhsa_kernel
	.section	.text._Z38paged_attention_ll4mi_QKV_mfma4_kernelI14__hip_bfloat16hLN4vllm18Fp8KVCacheDataTypeE1ES0_Li16ELi128ELi256ELb0ELi4EEvPKT_PKT0_S8_ifPKiSA_SA_iPKfiiiPfSD_PS3_PT2_iSC_SC_,"axG",@progbits,_Z38paged_attention_ll4mi_QKV_mfma4_kernelI14__hip_bfloat16hLN4vllm18Fp8KVCacheDataTypeE1ES0_Li16ELi128ELi256ELb0ELi4EEvPKT_PKT0_S8_ifPKiSA_SA_iPKfiiiPfSD_PS3_PT2_iSC_SC_,comdat
.Lfunc_end1313:
	.size	_Z38paged_attention_ll4mi_QKV_mfma4_kernelI14__hip_bfloat16hLN4vllm18Fp8KVCacheDataTypeE1ES0_Li16ELi128ELi256ELb0ELi4EEvPKT_PKT0_S8_ifPKiSA_SA_iPKfiiiPfSD_PS3_PT2_iSC_SC_, .Lfunc_end1313-_Z38paged_attention_ll4mi_QKV_mfma4_kernelI14__hip_bfloat16hLN4vllm18Fp8KVCacheDataTypeE1ES0_Li16ELi128ELi256ELb0ELi4EEvPKT_PKT0_S8_ifPKiSA_SA_iPKfiiiPfSD_PS3_PT2_iSC_SC_
                                        ; -- End function
	.set _Z38paged_attention_ll4mi_QKV_mfma4_kernelI14__hip_bfloat16hLN4vllm18Fp8KVCacheDataTypeE1ES0_Li16ELi128ELi256ELb0ELi4EEvPKT_PKT0_S8_ifPKiSA_SA_iPKfiiiPfSD_PS3_PT2_iSC_SC_.num_vgpr, max(3, .L__assert_fail.num_vgpr)
	.set _Z38paged_attention_ll4mi_QKV_mfma4_kernelI14__hip_bfloat16hLN4vllm18Fp8KVCacheDataTypeE1ES0_Li16ELi128ELi256ELb0ELi4EEvPKT_PKT0_S8_ifPKiSA_SA_iPKfiiiPfSD_PS3_PT2_iSC_SC_.num_agpr, max(0, .L__assert_fail.num_agpr)
	.set _Z38paged_attention_ll4mi_QKV_mfma4_kernelI14__hip_bfloat16hLN4vllm18Fp8KVCacheDataTypeE1ES0_Li16ELi128ELi256ELb0ELi4EEvPKT_PKT0_S8_ifPKiSA_SA_iPKfiiiPfSD_PS3_PT2_iSC_SC_.numbered_sgpr, max(33, .L__assert_fail.numbered_sgpr)
	.set _Z38paged_attention_ll4mi_QKV_mfma4_kernelI14__hip_bfloat16hLN4vllm18Fp8KVCacheDataTypeE1ES0_Li16ELi128ELi256ELb0ELi4EEvPKT_PKT0_S8_ifPKiSA_SA_iPKfiiiPfSD_PS3_PT2_iSC_SC_.num_named_barrier, max(0, .L__assert_fail.num_named_barrier)
	.set _Z38paged_attention_ll4mi_QKV_mfma4_kernelI14__hip_bfloat16hLN4vllm18Fp8KVCacheDataTypeE1ES0_Li16ELi128ELi256ELb0ELi4EEvPKT_PKT0_S8_ifPKiSA_SA_iPKfiiiPfSD_PS3_PT2_iSC_SC_.private_seg_size, 0+max(.L__assert_fail.private_seg_size)
	.set _Z38paged_attention_ll4mi_QKV_mfma4_kernelI14__hip_bfloat16hLN4vllm18Fp8KVCacheDataTypeE1ES0_Li16ELi128ELi256ELb0ELi4EEvPKT_PKT0_S8_ifPKiSA_SA_iPKfiiiPfSD_PS3_PT2_iSC_SC_.uses_vcc, or(1, .L__assert_fail.uses_vcc)
	.set _Z38paged_attention_ll4mi_QKV_mfma4_kernelI14__hip_bfloat16hLN4vllm18Fp8KVCacheDataTypeE1ES0_Li16ELi128ELi256ELb0ELi4EEvPKT_PKT0_S8_ifPKiSA_SA_iPKfiiiPfSD_PS3_PT2_iSC_SC_.uses_flat_scratch, or(0, .L__assert_fail.uses_flat_scratch)
	.set _Z38paged_attention_ll4mi_QKV_mfma4_kernelI14__hip_bfloat16hLN4vllm18Fp8KVCacheDataTypeE1ES0_Li16ELi128ELi256ELb0ELi4EEvPKT_PKT0_S8_ifPKiSA_SA_iPKfiiiPfSD_PS3_PT2_iSC_SC_.has_dyn_sized_stack, or(0, .L__assert_fail.has_dyn_sized_stack)
	.set _Z38paged_attention_ll4mi_QKV_mfma4_kernelI14__hip_bfloat16hLN4vllm18Fp8KVCacheDataTypeE1ES0_Li16ELi128ELi256ELb0ELi4EEvPKT_PKT0_S8_ifPKiSA_SA_iPKfiiiPfSD_PS3_PT2_iSC_SC_.has_recursion, or(0, .L__assert_fail.has_recursion)
	.set _Z38paged_attention_ll4mi_QKV_mfma4_kernelI14__hip_bfloat16hLN4vllm18Fp8KVCacheDataTypeE1ES0_Li16ELi128ELi256ELb0ELi4EEvPKT_PKT0_S8_ifPKiSA_SA_iPKfiiiPfSD_PS3_PT2_iSC_SC_.has_indirect_call, or(0, .L__assert_fail.has_indirect_call)
	.section	.AMDGPU.csdata,"",@progbits
; Kernel info:
; codeLenInByte = 68
; TotalNumSgprs: 36
; NumVgprs: 51
; ScratchSize: 64
; MemoryBound: 0
; FloatMode: 240
; IeeeMode: 1
; LDSByteSize: 0 bytes/workgroup (compile time only)
; SGPRBlocks: 0
; VGPRBlocks: 3
; NumSGPRsForWavesPerEU: 36
; NumVGPRsForWavesPerEU: 51
; NamedBarCnt: 0
; Occupancy: 16
; WaveLimiterHint : 1
; COMPUTE_PGM_RSRC2:SCRATCH_EN: 1
; COMPUTE_PGM_RSRC2:USER_SGPR: 2
; COMPUTE_PGM_RSRC2:TRAP_HANDLER: 0
; COMPUTE_PGM_RSRC2:TGID_X_EN: 1
; COMPUTE_PGM_RSRC2:TGID_Y_EN: 0
; COMPUTE_PGM_RSRC2:TGID_Z_EN: 0
; COMPUTE_PGM_RSRC2:TIDIG_COMP_CNT: 0
	.section	.text._Z39paged_attention_ll4mi_QKV_mfma16_kernelI14__hip_bfloat16hLN4vllm18Fp8KVCacheDataTypeE1ES0_Li16ELi128ELi256ELb0ELi5EEvPKT_PKT0_S8_ifPKiSA_SA_iPKfiiiPfSD_PS3_PT2_iSC_SC_,"axG",@progbits,_Z39paged_attention_ll4mi_QKV_mfma16_kernelI14__hip_bfloat16hLN4vllm18Fp8KVCacheDataTypeE1ES0_Li16ELi128ELi256ELb0ELi5EEvPKT_PKT0_S8_ifPKiSA_SA_iPKfiiiPfSD_PS3_PT2_iSC_SC_,comdat
	.protected	_Z39paged_attention_ll4mi_QKV_mfma16_kernelI14__hip_bfloat16hLN4vllm18Fp8KVCacheDataTypeE1ES0_Li16ELi128ELi256ELb0ELi5EEvPKT_PKT0_S8_ifPKiSA_SA_iPKfiiiPfSD_PS3_PT2_iSC_SC_ ; -- Begin function _Z39paged_attention_ll4mi_QKV_mfma16_kernelI14__hip_bfloat16hLN4vllm18Fp8KVCacheDataTypeE1ES0_Li16ELi128ELi256ELb0ELi5EEvPKT_PKT0_S8_ifPKiSA_SA_iPKfiiiPfSD_PS3_PT2_iSC_SC_
	.globl	_Z39paged_attention_ll4mi_QKV_mfma16_kernelI14__hip_bfloat16hLN4vllm18Fp8KVCacheDataTypeE1ES0_Li16ELi128ELi256ELb0ELi5EEvPKT_PKT0_S8_ifPKiSA_SA_iPKfiiiPfSD_PS3_PT2_iSC_SC_
	.p2align	8
	.type	_Z39paged_attention_ll4mi_QKV_mfma16_kernelI14__hip_bfloat16hLN4vllm18Fp8KVCacheDataTypeE1ES0_Li16ELi128ELi256ELb0ELi5EEvPKT_PKT0_S8_ifPKiSA_SA_iPKfiiiPfSD_PS3_PT2_iSC_SC_,@function
_Z39paged_attention_ll4mi_QKV_mfma16_kernelI14__hip_bfloat16hLN4vllm18Fp8KVCacheDataTypeE1ES0_Li16ELi128ELi256ELb0ELi5EEvPKT_PKT0_S8_ifPKiSA_SA_iPKfiiiPfSD_PS3_PT2_iSC_SC_: ; @_Z39paged_attention_ll4mi_QKV_mfma16_kernelI14__hip_bfloat16hLN4vllm18Fp8KVCacheDataTypeE1ES0_Li16ELi128ELi256ELb0ELi5EEvPKT_PKT0_S8_ifPKiSA_SA_iPKfiiiPfSD_PS3_PT2_iSC_SC_
; %bb.0:
	s_get_pc_i64 s[2:3]
	s_add_nc_u64 s[2:3], s[2:3], __PRETTY_FUNCTION__._Z39paged_attention_ll4mi_QKV_mfma16_kernelI14__hip_bfloat16hLN4vllm18Fp8KVCacheDataTypeE1ES0_Li16ELi128ELi256ELb0ELi5EEvPKT_PKT0_S8_ifPKiSA_SA_iPKfiiiPfSD_PS3_PT2_iSC_SC_@rel64+4
	s_delay_alu instid0(SALU_CYCLE_1)
	v_dual_mov_b32 v0, 0xbb3 :: v_dual_mov_b32 v1, s2
	v_mov_b32_e32 v2, s3
	s_add_nc_u64 s[8:9], s[0:1], 0x90
	s_get_pc_i64 s[0:1]
	s_add_nc_u64 s[0:1], s[0:1], __assert_fail@rel64+4
	s_mov_b32 s32, 0
	s_swap_pc_i64 s[30:31], s[0:1]
	.section	.rodata,"a",@progbits
	.p2align	6, 0x0
	.amdhsa_kernel _Z39paged_attention_ll4mi_QKV_mfma16_kernelI14__hip_bfloat16hLN4vllm18Fp8KVCacheDataTypeE1ES0_Li16ELi128ELi256ELb0ELi5EEvPKT_PKT0_S8_ifPKiSA_SA_iPKfiiiPfSD_PS3_PT2_iSC_SC_
		.amdhsa_group_segment_fixed_size 0
		.amdhsa_private_segment_fixed_size 64
		.amdhsa_kernarg_size 400
		.amdhsa_user_sgpr_count 2
		.amdhsa_user_sgpr_dispatch_ptr 0
		.amdhsa_user_sgpr_queue_ptr 0
		.amdhsa_user_sgpr_kernarg_segment_ptr 1
		.amdhsa_user_sgpr_dispatch_id 0
		.amdhsa_user_sgpr_kernarg_preload_length 0
		.amdhsa_user_sgpr_kernarg_preload_offset 0
		.amdhsa_user_sgpr_private_segment_size 0
		.amdhsa_wavefront_size32 1
		.amdhsa_uses_dynamic_stack 0
		.amdhsa_enable_private_segment 1
		.amdhsa_system_sgpr_workgroup_id_x 1
		.amdhsa_system_sgpr_workgroup_id_y 0
		.amdhsa_system_sgpr_workgroup_id_z 0
		.amdhsa_system_sgpr_workgroup_info 0
		.amdhsa_system_vgpr_workitem_id 0
		.amdhsa_next_free_vgpr 51
		.amdhsa_next_free_sgpr 34
		.amdhsa_named_barrier_count 0
		.amdhsa_reserve_vcc 1
		.amdhsa_float_round_mode_32 0
		.amdhsa_float_round_mode_16_64 0
		.amdhsa_float_denorm_mode_32 3
		.amdhsa_float_denorm_mode_16_64 3
		.amdhsa_fp16_overflow 0
		.amdhsa_memory_ordered 1
		.amdhsa_forward_progress 1
		.amdhsa_inst_pref_size 1
		.amdhsa_round_robin_scheduling 0
		.amdhsa_exception_fp_ieee_invalid_op 0
		.amdhsa_exception_fp_denorm_src 0
		.amdhsa_exception_fp_ieee_div_zero 0
		.amdhsa_exception_fp_ieee_overflow 0
		.amdhsa_exception_fp_ieee_underflow 0
		.amdhsa_exception_fp_ieee_inexact 0
		.amdhsa_exception_int_div_zero 0
	.end_amdhsa_kernel
	.section	.text._Z39paged_attention_ll4mi_QKV_mfma16_kernelI14__hip_bfloat16hLN4vllm18Fp8KVCacheDataTypeE1ES0_Li16ELi128ELi256ELb0ELi5EEvPKT_PKT0_S8_ifPKiSA_SA_iPKfiiiPfSD_PS3_PT2_iSC_SC_,"axG",@progbits,_Z39paged_attention_ll4mi_QKV_mfma16_kernelI14__hip_bfloat16hLN4vllm18Fp8KVCacheDataTypeE1ES0_Li16ELi128ELi256ELb0ELi5EEvPKT_PKT0_S8_ifPKiSA_SA_iPKfiiiPfSD_PS3_PT2_iSC_SC_,comdat
.Lfunc_end1314:
	.size	_Z39paged_attention_ll4mi_QKV_mfma16_kernelI14__hip_bfloat16hLN4vllm18Fp8KVCacheDataTypeE1ES0_Li16ELi128ELi256ELb0ELi5EEvPKT_PKT0_S8_ifPKiSA_SA_iPKfiiiPfSD_PS3_PT2_iSC_SC_, .Lfunc_end1314-_Z39paged_attention_ll4mi_QKV_mfma16_kernelI14__hip_bfloat16hLN4vllm18Fp8KVCacheDataTypeE1ES0_Li16ELi128ELi256ELb0ELi5EEvPKT_PKT0_S8_ifPKiSA_SA_iPKfiiiPfSD_PS3_PT2_iSC_SC_
                                        ; -- End function
	.set _Z39paged_attention_ll4mi_QKV_mfma16_kernelI14__hip_bfloat16hLN4vllm18Fp8KVCacheDataTypeE1ES0_Li16ELi128ELi256ELb0ELi5EEvPKT_PKT0_S8_ifPKiSA_SA_iPKfiiiPfSD_PS3_PT2_iSC_SC_.num_vgpr, max(3, .L__assert_fail.num_vgpr)
	.set _Z39paged_attention_ll4mi_QKV_mfma16_kernelI14__hip_bfloat16hLN4vllm18Fp8KVCacheDataTypeE1ES0_Li16ELi128ELi256ELb0ELi5EEvPKT_PKT0_S8_ifPKiSA_SA_iPKfiiiPfSD_PS3_PT2_iSC_SC_.num_agpr, max(0, .L__assert_fail.num_agpr)
	.set _Z39paged_attention_ll4mi_QKV_mfma16_kernelI14__hip_bfloat16hLN4vllm18Fp8KVCacheDataTypeE1ES0_Li16ELi128ELi256ELb0ELi5EEvPKT_PKT0_S8_ifPKiSA_SA_iPKfiiiPfSD_PS3_PT2_iSC_SC_.numbered_sgpr, max(33, .L__assert_fail.numbered_sgpr)
	.set _Z39paged_attention_ll4mi_QKV_mfma16_kernelI14__hip_bfloat16hLN4vllm18Fp8KVCacheDataTypeE1ES0_Li16ELi128ELi256ELb0ELi5EEvPKT_PKT0_S8_ifPKiSA_SA_iPKfiiiPfSD_PS3_PT2_iSC_SC_.num_named_barrier, max(0, .L__assert_fail.num_named_barrier)
	.set _Z39paged_attention_ll4mi_QKV_mfma16_kernelI14__hip_bfloat16hLN4vllm18Fp8KVCacheDataTypeE1ES0_Li16ELi128ELi256ELb0ELi5EEvPKT_PKT0_S8_ifPKiSA_SA_iPKfiiiPfSD_PS3_PT2_iSC_SC_.private_seg_size, 0+max(.L__assert_fail.private_seg_size)
	.set _Z39paged_attention_ll4mi_QKV_mfma16_kernelI14__hip_bfloat16hLN4vllm18Fp8KVCacheDataTypeE1ES0_Li16ELi128ELi256ELb0ELi5EEvPKT_PKT0_S8_ifPKiSA_SA_iPKfiiiPfSD_PS3_PT2_iSC_SC_.uses_vcc, or(1, .L__assert_fail.uses_vcc)
	.set _Z39paged_attention_ll4mi_QKV_mfma16_kernelI14__hip_bfloat16hLN4vllm18Fp8KVCacheDataTypeE1ES0_Li16ELi128ELi256ELb0ELi5EEvPKT_PKT0_S8_ifPKiSA_SA_iPKfiiiPfSD_PS3_PT2_iSC_SC_.uses_flat_scratch, or(0, .L__assert_fail.uses_flat_scratch)
	.set _Z39paged_attention_ll4mi_QKV_mfma16_kernelI14__hip_bfloat16hLN4vllm18Fp8KVCacheDataTypeE1ES0_Li16ELi128ELi256ELb0ELi5EEvPKT_PKT0_S8_ifPKiSA_SA_iPKfiiiPfSD_PS3_PT2_iSC_SC_.has_dyn_sized_stack, or(0, .L__assert_fail.has_dyn_sized_stack)
	.set _Z39paged_attention_ll4mi_QKV_mfma16_kernelI14__hip_bfloat16hLN4vllm18Fp8KVCacheDataTypeE1ES0_Li16ELi128ELi256ELb0ELi5EEvPKT_PKT0_S8_ifPKiSA_SA_iPKfiiiPfSD_PS3_PT2_iSC_SC_.has_recursion, or(0, .L__assert_fail.has_recursion)
	.set _Z39paged_attention_ll4mi_QKV_mfma16_kernelI14__hip_bfloat16hLN4vllm18Fp8KVCacheDataTypeE1ES0_Li16ELi128ELi256ELb0ELi5EEvPKT_PKT0_S8_ifPKiSA_SA_iPKfiiiPfSD_PS3_PT2_iSC_SC_.has_indirect_call, or(0, .L__assert_fail.has_indirect_call)
	.section	.AMDGPU.csdata,"",@progbits
; Kernel info:
; codeLenInByte = 68
; TotalNumSgprs: 36
; NumVgprs: 51
; ScratchSize: 64
; MemoryBound: 0
; FloatMode: 240
; IeeeMode: 1
; LDSByteSize: 0 bytes/workgroup (compile time only)
; SGPRBlocks: 0
; VGPRBlocks: 3
; NumSGPRsForWavesPerEU: 36
; NumVGPRsForWavesPerEU: 51
; NamedBarCnt: 0
; Occupancy: 16
; WaveLimiterHint : 1
; COMPUTE_PGM_RSRC2:SCRATCH_EN: 1
; COMPUTE_PGM_RSRC2:USER_SGPR: 2
; COMPUTE_PGM_RSRC2:TRAP_HANDLER: 0
; COMPUTE_PGM_RSRC2:TGID_X_EN: 1
; COMPUTE_PGM_RSRC2:TGID_Y_EN: 0
; COMPUTE_PGM_RSRC2:TGID_Z_EN: 0
; COMPUTE_PGM_RSRC2:TIDIG_COMP_CNT: 0
	.section	.text._Z39paged_attention_ll4mi_QKV_mfma16_kernelI14__hip_bfloat16hLN4vllm18Fp8KVCacheDataTypeE1ES0_Li16ELi128ELi256ELb0ELi6EEvPKT_PKT0_S8_ifPKiSA_SA_iPKfiiiPfSD_PS3_PT2_iSC_SC_,"axG",@progbits,_Z39paged_attention_ll4mi_QKV_mfma16_kernelI14__hip_bfloat16hLN4vllm18Fp8KVCacheDataTypeE1ES0_Li16ELi128ELi256ELb0ELi6EEvPKT_PKT0_S8_ifPKiSA_SA_iPKfiiiPfSD_PS3_PT2_iSC_SC_,comdat
	.protected	_Z39paged_attention_ll4mi_QKV_mfma16_kernelI14__hip_bfloat16hLN4vllm18Fp8KVCacheDataTypeE1ES0_Li16ELi128ELi256ELb0ELi6EEvPKT_PKT0_S8_ifPKiSA_SA_iPKfiiiPfSD_PS3_PT2_iSC_SC_ ; -- Begin function _Z39paged_attention_ll4mi_QKV_mfma16_kernelI14__hip_bfloat16hLN4vllm18Fp8KVCacheDataTypeE1ES0_Li16ELi128ELi256ELb0ELi6EEvPKT_PKT0_S8_ifPKiSA_SA_iPKfiiiPfSD_PS3_PT2_iSC_SC_
	.globl	_Z39paged_attention_ll4mi_QKV_mfma16_kernelI14__hip_bfloat16hLN4vllm18Fp8KVCacheDataTypeE1ES0_Li16ELi128ELi256ELb0ELi6EEvPKT_PKT0_S8_ifPKiSA_SA_iPKfiiiPfSD_PS3_PT2_iSC_SC_
	.p2align	8
	.type	_Z39paged_attention_ll4mi_QKV_mfma16_kernelI14__hip_bfloat16hLN4vllm18Fp8KVCacheDataTypeE1ES0_Li16ELi128ELi256ELb0ELi6EEvPKT_PKT0_S8_ifPKiSA_SA_iPKfiiiPfSD_PS3_PT2_iSC_SC_,@function
_Z39paged_attention_ll4mi_QKV_mfma16_kernelI14__hip_bfloat16hLN4vllm18Fp8KVCacheDataTypeE1ES0_Li16ELi128ELi256ELb0ELi6EEvPKT_PKT0_S8_ifPKiSA_SA_iPKfiiiPfSD_PS3_PT2_iSC_SC_: ; @_Z39paged_attention_ll4mi_QKV_mfma16_kernelI14__hip_bfloat16hLN4vllm18Fp8KVCacheDataTypeE1ES0_Li16ELi128ELi256ELb0ELi6EEvPKT_PKT0_S8_ifPKiSA_SA_iPKfiiiPfSD_PS3_PT2_iSC_SC_
; %bb.0:
	s_get_pc_i64 s[2:3]
	s_add_nc_u64 s[2:3], s[2:3], __PRETTY_FUNCTION__._Z39paged_attention_ll4mi_QKV_mfma16_kernelI14__hip_bfloat16hLN4vllm18Fp8KVCacheDataTypeE1ES0_Li16ELi128ELi256ELb0ELi6EEvPKT_PKT0_S8_ifPKiSA_SA_iPKfiiiPfSD_PS3_PT2_iSC_SC_@rel64+4
	s_delay_alu instid0(SALU_CYCLE_1)
	v_dual_mov_b32 v0, 0xbb3 :: v_dual_mov_b32 v1, s2
	v_mov_b32_e32 v2, s3
	s_add_nc_u64 s[8:9], s[0:1], 0x90
	s_get_pc_i64 s[0:1]
	s_add_nc_u64 s[0:1], s[0:1], __assert_fail@rel64+4
	s_mov_b32 s32, 0
	s_swap_pc_i64 s[30:31], s[0:1]
	.section	.rodata,"a",@progbits
	.p2align	6, 0x0
	.amdhsa_kernel _Z39paged_attention_ll4mi_QKV_mfma16_kernelI14__hip_bfloat16hLN4vllm18Fp8KVCacheDataTypeE1ES0_Li16ELi128ELi256ELb0ELi6EEvPKT_PKT0_S8_ifPKiSA_SA_iPKfiiiPfSD_PS3_PT2_iSC_SC_
		.amdhsa_group_segment_fixed_size 0
		.amdhsa_private_segment_fixed_size 64
		.amdhsa_kernarg_size 400
		.amdhsa_user_sgpr_count 2
		.amdhsa_user_sgpr_dispatch_ptr 0
		.amdhsa_user_sgpr_queue_ptr 0
		.amdhsa_user_sgpr_kernarg_segment_ptr 1
		.amdhsa_user_sgpr_dispatch_id 0
		.amdhsa_user_sgpr_kernarg_preload_length 0
		.amdhsa_user_sgpr_kernarg_preload_offset 0
		.amdhsa_user_sgpr_private_segment_size 0
		.amdhsa_wavefront_size32 1
		.amdhsa_uses_dynamic_stack 0
		.amdhsa_enable_private_segment 1
		.amdhsa_system_sgpr_workgroup_id_x 1
		.amdhsa_system_sgpr_workgroup_id_y 0
		.amdhsa_system_sgpr_workgroup_id_z 0
		.amdhsa_system_sgpr_workgroup_info 0
		.amdhsa_system_vgpr_workitem_id 0
		.amdhsa_next_free_vgpr 51
		.amdhsa_next_free_sgpr 34
		.amdhsa_named_barrier_count 0
		.amdhsa_reserve_vcc 1
		.amdhsa_float_round_mode_32 0
		.amdhsa_float_round_mode_16_64 0
		.amdhsa_float_denorm_mode_32 3
		.amdhsa_float_denorm_mode_16_64 3
		.amdhsa_fp16_overflow 0
		.amdhsa_memory_ordered 1
		.amdhsa_forward_progress 1
		.amdhsa_inst_pref_size 1
		.amdhsa_round_robin_scheduling 0
		.amdhsa_exception_fp_ieee_invalid_op 0
		.amdhsa_exception_fp_denorm_src 0
		.amdhsa_exception_fp_ieee_div_zero 0
		.amdhsa_exception_fp_ieee_overflow 0
		.amdhsa_exception_fp_ieee_underflow 0
		.amdhsa_exception_fp_ieee_inexact 0
		.amdhsa_exception_int_div_zero 0
	.end_amdhsa_kernel
	.section	.text._Z39paged_attention_ll4mi_QKV_mfma16_kernelI14__hip_bfloat16hLN4vllm18Fp8KVCacheDataTypeE1ES0_Li16ELi128ELi256ELb0ELi6EEvPKT_PKT0_S8_ifPKiSA_SA_iPKfiiiPfSD_PS3_PT2_iSC_SC_,"axG",@progbits,_Z39paged_attention_ll4mi_QKV_mfma16_kernelI14__hip_bfloat16hLN4vllm18Fp8KVCacheDataTypeE1ES0_Li16ELi128ELi256ELb0ELi6EEvPKT_PKT0_S8_ifPKiSA_SA_iPKfiiiPfSD_PS3_PT2_iSC_SC_,comdat
.Lfunc_end1315:
	.size	_Z39paged_attention_ll4mi_QKV_mfma16_kernelI14__hip_bfloat16hLN4vllm18Fp8KVCacheDataTypeE1ES0_Li16ELi128ELi256ELb0ELi6EEvPKT_PKT0_S8_ifPKiSA_SA_iPKfiiiPfSD_PS3_PT2_iSC_SC_, .Lfunc_end1315-_Z39paged_attention_ll4mi_QKV_mfma16_kernelI14__hip_bfloat16hLN4vllm18Fp8KVCacheDataTypeE1ES0_Li16ELi128ELi256ELb0ELi6EEvPKT_PKT0_S8_ifPKiSA_SA_iPKfiiiPfSD_PS3_PT2_iSC_SC_
                                        ; -- End function
	.set _Z39paged_attention_ll4mi_QKV_mfma16_kernelI14__hip_bfloat16hLN4vllm18Fp8KVCacheDataTypeE1ES0_Li16ELi128ELi256ELb0ELi6EEvPKT_PKT0_S8_ifPKiSA_SA_iPKfiiiPfSD_PS3_PT2_iSC_SC_.num_vgpr, max(3, .L__assert_fail.num_vgpr)
	.set _Z39paged_attention_ll4mi_QKV_mfma16_kernelI14__hip_bfloat16hLN4vllm18Fp8KVCacheDataTypeE1ES0_Li16ELi128ELi256ELb0ELi6EEvPKT_PKT0_S8_ifPKiSA_SA_iPKfiiiPfSD_PS3_PT2_iSC_SC_.num_agpr, max(0, .L__assert_fail.num_agpr)
	.set _Z39paged_attention_ll4mi_QKV_mfma16_kernelI14__hip_bfloat16hLN4vllm18Fp8KVCacheDataTypeE1ES0_Li16ELi128ELi256ELb0ELi6EEvPKT_PKT0_S8_ifPKiSA_SA_iPKfiiiPfSD_PS3_PT2_iSC_SC_.numbered_sgpr, max(33, .L__assert_fail.numbered_sgpr)
	.set _Z39paged_attention_ll4mi_QKV_mfma16_kernelI14__hip_bfloat16hLN4vllm18Fp8KVCacheDataTypeE1ES0_Li16ELi128ELi256ELb0ELi6EEvPKT_PKT0_S8_ifPKiSA_SA_iPKfiiiPfSD_PS3_PT2_iSC_SC_.num_named_barrier, max(0, .L__assert_fail.num_named_barrier)
	.set _Z39paged_attention_ll4mi_QKV_mfma16_kernelI14__hip_bfloat16hLN4vllm18Fp8KVCacheDataTypeE1ES0_Li16ELi128ELi256ELb0ELi6EEvPKT_PKT0_S8_ifPKiSA_SA_iPKfiiiPfSD_PS3_PT2_iSC_SC_.private_seg_size, 0+max(.L__assert_fail.private_seg_size)
	.set _Z39paged_attention_ll4mi_QKV_mfma16_kernelI14__hip_bfloat16hLN4vllm18Fp8KVCacheDataTypeE1ES0_Li16ELi128ELi256ELb0ELi6EEvPKT_PKT0_S8_ifPKiSA_SA_iPKfiiiPfSD_PS3_PT2_iSC_SC_.uses_vcc, or(1, .L__assert_fail.uses_vcc)
	.set _Z39paged_attention_ll4mi_QKV_mfma16_kernelI14__hip_bfloat16hLN4vllm18Fp8KVCacheDataTypeE1ES0_Li16ELi128ELi256ELb0ELi6EEvPKT_PKT0_S8_ifPKiSA_SA_iPKfiiiPfSD_PS3_PT2_iSC_SC_.uses_flat_scratch, or(0, .L__assert_fail.uses_flat_scratch)
	.set _Z39paged_attention_ll4mi_QKV_mfma16_kernelI14__hip_bfloat16hLN4vllm18Fp8KVCacheDataTypeE1ES0_Li16ELi128ELi256ELb0ELi6EEvPKT_PKT0_S8_ifPKiSA_SA_iPKfiiiPfSD_PS3_PT2_iSC_SC_.has_dyn_sized_stack, or(0, .L__assert_fail.has_dyn_sized_stack)
	.set _Z39paged_attention_ll4mi_QKV_mfma16_kernelI14__hip_bfloat16hLN4vllm18Fp8KVCacheDataTypeE1ES0_Li16ELi128ELi256ELb0ELi6EEvPKT_PKT0_S8_ifPKiSA_SA_iPKfiiiPfSD_PS3_PT2_iSC_SC_.has_recursion, or(0, .L__assert_fail.has_recursion)
	.set _Z39paged_attention_ll4mi_QKV_mfma16_kernelI14__hip_bfloat16hLN4vllm18Fp8KVCacheDataTypeE1ES0_Li16ELi128ELi256ELb0ELi6EEvPKT_PKT0_S8_ifPKiSA_SA_iPKfiiiPfSD_PS3_PT2_iSC_SC_.has_indirect_call, or(0, .L__assert_fail.has_indirect_call)
	.section	.AMDGPU.csdata,"",@progbits
; Kernel info:
; codeLenInByte = 68
; TotalNumSgprs: 36
; NumVgprs: 51
; ScratchSize: 64
; MemoryBound: 0
; FloatMode: 240
; IeeeMode: 1
; LDSByteSize: 0 bytes/workgroup (compile time only)
; SGPRBlocks: 0
; VGPRBlocks: 3
; NumSGPRsForWavesPerEU: 36
; NumVGPRsForWavesPerEU: 51
; NamedBarCnt: 0
; Occupancy: 16
; WaveLimiterHint : 1
; COMPUTE_PGM_RSRC2:SCRATCH_EN: 1
; COMPUTE_PGM_RSRC2:USER_SGPR: 2
; COMPUTE_PGM_RSRC2:TRAP_HANDLER: 0
; COMPUTE_PGM_RSRC2:TGID_X_EN: 1
; COMPUTE_PGM_RSRC2:TGID_Y_EN: 0
; COMPUTE_PGM_RSRC2:TGID_Z_EN: 0
; COMPUTE_PGM_RSRC2:TIDIG_COMP_CNT: 0
	.section	.text._Z39paged_attention_ll4mi_QKV_mfma16_kernelI14__hip_bfloat16hLN4vllm18Fp8KVCacheDataTypeE1ES0_Li16ELi128ELi256ELb0ELi7EEvPKT_PKT0_S8_ifPKiSA_SA_iPKfiiiPfSD_PS3_PT2_iSC_SC_,"axG",@progbits,_Z39paged_attention_ll4mi_QKV_mfma16_kernelI14__hip_bfloat16hLN4vllm18Fp8KVCacheDataTypeE1ES0_Li16ELi128ELi256ELb0ELi7EEvPKT_PKT0_S8_ifPKiSA_SA_iPKfiiiPfSD_PS3_PT2_iSC_SC_,comdat
	.protected	_Z39paged_attention_ll4mi_QKV_mfma16_kernelI14__hip_bfloat16hLN4vllm18Fp8KVCacheDataTypeE1ES0_Li16ELi128ELi256ELb0ELi7EEvPKT_PKT0_S8_ifPKiSA_SA_iPKfiiiPfSD_PS3_PT2_iSC_SC_ ; -- Begin function _Z39paged_attention_ll4mi_QKV_mfma16_kernelI14__hip_bfloat16hLN4vllm18Fp8KVCacheDataTypeE1ES0_Li16ELi128ELi256ELb0ELi7EEvPKT_PKT0_S8_ifPKiSA_SA_iPKfiiiPfSD_PS3_PT2_iSC_SC_
	.globl	_Z39paged_attention_ll4mi_QKV_mfma16_kernelI14__hip_bfloat16hLN4vllm18Fp8KVCacheDataTypeE1ES0_Li16ELi128ELi256ELb0ELi7EEvPKT_PKT0_S8_ifPKiSA_SA_iPKfiiiPfSD_PS3_PT2_iSC_SC_
	.p2align	8
	.type	_Z39paged_attention_ll4mi_QKV_mfma16_kernelI14__hip_bfloat16hLN4vllm18Fp8KVCacheDataTypeE1ES0_Li16ELi128ELi256ELb0ELi7EEvPKT_PKT0_S8_ifPKiSA_SA_iPKfiiiPfSD_PS3_PT2_iSC_SC_,@function
_Z39paged_attention_ll4mi_QKV_mfma16_kernelI14__hip_bfloat16hLN4vllm18Fp8KVCacheDataTypeE1ES0_Li16ELi128ELi256ELb0ELi7EEvPKT_PKT0_S8_ifPKiSA_SA_iPKfiiiPfSD_PS3_PT2_iSC_SC_: ; @_Z39paged_attention_ll4mi_QKV_mfma16_kernelI14__hip_bfloat16hLN4vllm18Fp8KVCacheDataTypeE1ES0_Li16ELi128ELi256ELb0ELi7EEvPKT_PKT0_S8_ifPKiSA_SA_iPKfiiiPfSD_PS3_PT2_iSC_SC_
; %bb.0:
	s_get_pc_i64 s[2:3]
	s_add_nc_u64 s[2:3], s[2:3], __PRETTY_FUNCTION__._Z39paged_attention_ll4mi_QKV_mfma16_kernelI14__hip_bfloat16hLN4vllm18Fp8KVCacheDataTypeE1ES0_Li16ELi128ELi256ELb0ELi7EEvPKT_PKT0_S8_ifPKiSA_SA_iPKfiiiPfSD_PS3_PT2_iSC_SC_@rel64+4
	s_delay_alu instid0(SALU_CYCLE_1)
	v_dual_mov_b32 v0, 0xbb3 :: v_dual_mov_b32 v1, s2
	v_mov_b32_e32 v2, s3
	s_add_nc_u64 s[8:9], s[0:1], 0x90
	s_get_pc_i64 s[0:1]
	s_add_nc_u64 s[0:1], s[0:1], __assert_fail@rel64+4
	s_mov_b32 s32, 0
	s_swap_pc_i64 s[30:31], s[0:1]
	.section	.rodata,"a",@progbits
	.p2align	6, 0x0
	.amdhsa_kernel _Z39paged_attention_ll4mi_QKV_mfma16_kernelI14__hip_bfloat16hLN4vllm18Fp8KVCacheDataTypeE1ES0_Li16ELi128ELi256ELb0ELi7EEvPKT_PKT0_S8_ifPKiSA_SA_iPKfiiiPfSD_PS3_PT2_iSC_SC_
		.amdhsa_group_segment_fixed_size 0
		.amdhsa_private_segment_fixed_size 64
		.amdhsa_kernarg_size 400
		.amdhsa_user_sgpr_count 2
		.amdhsa_user_sgpr_dispatch_ptr 0
		.amdhsa_user_sgpr_queue_ptr 0
		.amdhsa_user_sgpr_kernarg_segment_ptr 1
		.amdhsa_user_sgpr_dispatch_id 0
		.amdhsa_user_sgpr_kernarg_preload_length 0
		.amdhsa_user_sgpr_kernarg_preload_offset 0
		.amdhsa_user_sgpr_private_segment_size 0
		.amdhsa_wavefront_size32 1
		.amdhsa_uses_dynamic_stack 0
		.amdhsa_enable_private_segment 1
		.amdhsa_system_sgpr_workgroup_id_x 1
		.amdhsa_system_sgpr_workgroup_id_y 0
		.amdhsa_system_sgpr_workgroup_id_z 0
		.amdhsa_system_sgpr_workgroup_info 0
		.amdhsa_system_vgpr_workitem_id 0
		.amdhsa_next_free_vgpr 51
		.amdhsa_next_free_sgpr 34
		.amdhsa_named_barrier_count 0
		.amdhsa_reserve_vcc 1
		.amdhsa_float_round_mode_32 0
		.amdhsa_float_round_mode_16_64 0
		.amdhsa_float_denorm_mode_32 3
		.amdhsa_float_denorm_mode_16_64 3
		.amdhsa_fp16_overflow 0
		.amdhsa_memory_ordered 1
		.amdhsa_forward_progress 1
		.amdhsa_inst_pref_size 1
		.amdhsa_round_robin_scheduling 0
		.amdhsa_exception_fp_ieee_invalid_op 0
		.amdhsa_exception_fp_denorm_src 0
		.amdhsa_exception_fp_ieee_div_zero 0
		.amdhsa_exception_fp_ieee_overflow 0
		.amdhsa_exception_fp_ieee_underflow 0
		.amdhsa_exception_fp_ieee_inexact 0
		.amdhsa_exception_int_div_zero 0
	.end_amdhsa_kernel
	.section	.text._Z39paged_attention_ll4mi_QKV_mfma16_kernelI14__hip_bfloat16hLN4vllm18Fp8KVCacheDataTypeE1ES0_Li16ELi128ELi256ELb0ELi7EEvPKT_PKT0_S8_ifPKiSA_SA_iPKfiiiPfSD_PS3_PT2_iSC_SC_,"axG",@progbits,_Z39paged_attention_ll4mi_QKV_mfma16_kernelI14__hip_bfloat16hLN4vllm18Fp8KVCacheDataTypeE1ES0_Li16ELi128ELi256ELb0ELi7EEvPKT_PKT0_S8_ifPKiSA_SA_iPKfiiiPfSD_PS3_PT2_iSC_SC_,comdat
.Lfunc_end1316:
	.size	_Z39paged_attention_ll4mi_QKV_mfma16_kernelI14__hip_bfloat16hLN4vllm18Fp8KVCacheDataTypeE1ES0_Li16ELi128ELi256ELb0ELi7EEvPKT_PKT0_S8_ifPKiSA_SA_iPKfiiiPfSD_PS3_PT2_iSC_SC_, .Lfunc_end1316-_Z39paged_attention_ll4mi_QKV_mfma16_kernelI14__hip_bfloat16hLN4vllm18Fp8KVCacheDataTypeE1ES0_Li16ELi128ELi256ELb0ELi7EEvPKT_PKT0_S8_ifPKiSA_SA_iPKfiiiPfSD_PS3_PT2_iSC_SC_
                                        ; -- End function
	.set _Z39paged_attention_ll4mi_QKV_mfma16_kernelI14__hip_bfloat16hLN4vllm18Fp8KVCacheDataTypeE1ES0_Li16ELi128ELi256ELb0ELi7EEvPKT_PKT0_S8_ifPKiSA_SA_iPKfiiiPfSD_PS3_PT2_iSC_SC_.num_vgpr, max(3, .L__assert_fail.num_vgpr)
	.set _Z39paged_attention_ll4mi_QKV_mfma16_kernelI14__hip_bfloat16hLN4vllm18Fp8KVCacheDataTypeE1ES0_Li16ELi128ELi256ELb0ELi7EEvPKT_PKT0_S8_ifPKiSA_SA_iPKfiiiPfSD_PS3_PT2_iSC_SC_.num_agpr, max(0, .L__assert_fail.num_agpr)
	.set _Z39paged_attention_ll4mi_QKV_mfma16_kernelI14__hip_bfloat16hLN4vllm18Fp8KVCacheDataTypeE1ES0_Li16ELi128ELi256ELb0ELi7EEvPKT_PKT0_S8_ifPKiSA_SA_iPKfiiiPfSD_PS3_PT2_iSC_SC_.numbered_sgpr, max(33, .L__assert_fail.numbered_sgpr)
	.set _Z39paged_attention_ll4mi_QKV_mfma16_kernelI14__hip_bfloat16hLN4vllm18Fp8KVCacheDataTypeE1ES0_Li16ELi128ELi256ELb0ELi7EEvPKT_PKT0_S8_ifPKiSA_SA_iPKfiiiPfSD_PS3_PT2_iSC_SC_.num_named_barrier, max(0, .L__assert_fail.num_named_barrier)
	.set _Z39paged_attention_ll4mi_QKV_mfma16_kernelI14__hip_bfloat16hLN4vllm18Fp8KVCacheDataTypeE1ES0_Li16ELi128ELi256ELb0ELi7EEvPKT_PKT0_S8_ifPKiSA_SA_iPKfiiiPfSD_PS3_PT2_iSC_SC_.private_seg_size, 0+max(.L__assert_fail.private_seg_size)
	.set _Z39paged_attention_ll4mi_QKV_mfma16_kernelI14__hip_bfloat16hLN4vllm18Fp8KVCacheDataTypeE1ES0_Li16ELi128ELi256ELb0ELi7EEvPKT_PKT0_S8_ifPKiSA_SA_iPKfiiiPfSD_PS3_PT2_iSC_SC_.uses_vcc, or(1, .L__assert_fail.uses_vcc)
	.set _Z39paged_attention_ll4mi_QKV_mfma16_kernelI14__hip_bfloat16hLN4vllm18Fp8KVCacheDataTypeE1ES0_Li16ELi128ELi256ELb0ELi7EEvPKT_PKT0_S8_ifPKiSA_SA_iPKfiiiPfSD_PS3_PT2_iSC_SC_.uses_flat_scratch, or(0, .L__assert_fail.uses_flat_scratch)
	.set _Z39paged_attention_ll4mi_QKV_mfma16_kernelI14__hip_bfloat16hLN4vllm18Fp8KVCacheDataTypeE1ES0_Li16ELi128ELi256ELb0ELi7EEvPKT_PKT0_S8_ifPKiSA_SA_iPKfiiiPfSD_PS3_PT2_iSC_SC_.has_dyn_sized_stack, or(0, .L__assert_fail.has_dyn_sized_stack)
	.set _Z39paged_attention_ll4mi_QKV_mfma16_kernelI14__hip_bfloat16hLN4vllm18Fp8KVCacheDataTypeE1ES0_Li16ELi128ELi256ELb0ELi7EEvPKT_PKT0_S8_ifPKiSA_SA_iPKfiiiPfSD_PS3_PT2_iSC_SC_.has_recursion, or(0, .L__assert_fail.has_recursion)
	.set _Z39paged_attention_ll4mi_QKV_mfma16_kernelI14__hip_bfloat16hLN4vllm18Fp8KVCacheDataTypeE1ES0_Li16ELi128ELi256ELb0ELi7EEvPKT_PKT0_S8_ifPKiSA_SA_iPKfiiiPfSD_PS3_PT2_iSC_SC_.has_indirect_call, or(0, .L__assert_fail.has_indirect_call)
	.section	.AMDGPU.csdata,"",@progbits
; Kernel info:
; codeLenInByte = 68
; TotalNumSgprs: 36
; NumVgprs: 51
; ScratchSize: 64
; MemoryBound: 0
; FloatMode: 240
; IeeeMode: 1
; LDSByteSize: 0 bytes/workgroup (compile time only)
; SGPRBlocks: 0
; VGPRBlocks: 3
; NumSGPRsForWavesPerEU: 36
; NumVGPRsForWavesPerEU: 51
; NamedBarCnt: 0
; Occupancy: 16
; WaveLimiterHint : 1
; COMPUTE_PGM_RSRC2:SCRATCH_EN: 1
; COMPUTE_PGM_RSRC2:USER_SGPR: 2
; COMPUTE_PGM_RSRC2:TRAP_HANDLER: 0
; COMPUTE_PGM_RSRC2:TGID_X_EN: 1
; COMPUTE_PGM_RSRC2:TGID_Y_EN: 0
; COMPUTE_PGM_RSRC2:TGID_Z_EN: 0
; COMPUTE_PGM_RSRC2:TIDIG_COMP_CNT: 0
	.section	.text._Z39paged_attention_ll4mi_QKV_mfma16_kernelI14__hip_bfloat16hLN4vllm18Fp8KVCacheDataTypeE1ES0_Li16ELi128ELi256ELb0ELi8EEvPKT_PKT0_S8_ifPKiSA_SA_iPKfiiiPfSD_PS3_PT2_iSC_SC_,"axG",@progbits,_Z39paged_attention_ll4mi_QKV_mfma16_kernelI14__hip_bfloat16hLN4vllm18Fp8KVCacheDataTypeE1ES0_Li16ELi128ELi256ELb0ELi8EEvPKT_PKT0_S8_ifPKiSA_SA_iPKfiiiPfSD_PS3_PT2_iSC_SC_,comdat
	.protected	_Z39paged_attention_ll4mi_QKV_mfma16_kernelI14__hip_bfloat16hLN4vllm18Fp8KVCacheDataTypeE1ES0_Li16ELi128ELi256ELb0ELi8EEvPKT_PKT0_S8_ifPKiSA_SA_iPKfiiiPfSD_PS3_PT2_iSC_SC_ ; -- Begin function _Z39paged_attention_ll4mi_QKV_mfma16_kernelI14__hip_bfloat16hLN4vllm18Fp8KVCacheDataTypeE1ES0_Li16ELi128ELi256ELb0ELi8EEvPKT_PKT0_S8_ifPKiSA_SA_iPKfiiiPfSD_PS3_PT2_iSC_SC_
	.globl	_Z39paged_attention_ll4mi_QKV_mfma16_kernelI14__hip_bfloat16hLN4vllm18Fp8KVCacheDataTypeE1ES0_Li16ELi128ELi256ELb0ELi8EEvPKT_PKT0_S8_ifPKiSA_SA_iPKfiiiPfSD_PS3_PT2_iSC_SC_
	.p2align	8
	.type	_Z39paged_attention_ll4mi_QKV_mfma16_kernelI14__hip_bfloat16hLN4vllm18Fp8KVCacheDataTypeE1ES0_Li16ELi128ELi256ELb0ELi8EEvPKT_PKT0_S8_ifPKiSA_SA_iPKfiiiPfSD_PS3_PT2_iSC_SC_,@function
_Z39paged_attention_ll4mi_QKV_mfma16_kernelI14__hip_bfloat16hLN4vllm18Fp8KVCacheDataTypeE1ES0_Li16ELi128ELi256ELb0ELi8EEvPKT_PKT0_S8_ifPKiSA_SA_iPKfiiiPfSD_PS3_PT2_iSC_SC_: ; @_Z39paged_attention_ll4mi_QKV_mfma16_kernelI14__hip_bfloat16hLN4vllm18Fp8KVCacheDataTypeE1ES0_Li16ELi128ELi256ELb0ELi8EEvPKT_PKT0_S8_ifPKiSA_SA_iPKfiiiPfSD_PS3_PT2_iSC_SC_
; %bb.0:
	s_get_pc_i64 s[2:3]
	s_add_nc_u64 s[2:3], s[2:3], __PRETTY_FUNCTION__._Z39paged_attention_ll4mi_QKV_mfma16_kernelI14__hip_bfloat16hLN4vllm18Fp8KVCacheDataTypeE1ES0_Li16ELi128ELi256ELb0ELi8EEvPKT_PKT0_S8_ifPKiSA_SA_iPKfiiiPfSD_PS3_PT2_iSC_SC_@rel64+4
	s_delay_alu instid0(SALU_CYCLE_1)
	v_dual_mov_b32 v0, 0xbb3 :: v_dual_mov_b32 v1, s2
	v_mov_b32_e32 v2, s3
	s_add_nc_u64 s[8:9], s[0:1], 0x90
	s_get_pc_i64 s[0:1]
	s_add_nc_u64 s[0:1], s[0:1], __assert_fail@rel64+4
	s_mov_b32 s32, 0
	s_swap_pc_i64 s[30:31], s[0:1]
	.section	.rodata,"a",@progbits
	.p2align	6, 0x0
	.amdhsa_kernel _Z39paged_attention_ll4mi_QKV_mfma16_kernelI14__hip_bfloat16hLN4vllm18Fp8KVCacheDataTypeE1ES0_Li16ELi128ELi256ELb0ELi8EEvPKT_PKT0_S8_ifPKiSA_SA_iPKfiiiPfSD_PS3_PT2_iSC_SC_
		.amdhsa_group_segment_fixed_size 0
		.amdhsa_private_segment_fixed_size 64
		.amdhsa_kernarg_size 400
		.amdhsa_user_sgpr_count 2
		.amdhsa_user_sgpr_dispatch_ptr 0
		.amdhsa_user_sgpr_queue_ptr 0
		.amdhsa_user_sgpr_kernarg_segment_ptr 1
		.amdhsa_user_sgpr_dispatch_id 0
		.amdhsa_user_sgpr_kernarg_preload_length 0
		.amdhsa_user_sgpr_kernarg_preload_offset 0
		.amdhsa_user_sgpr_private_segment_size 0
		.amdhsa_wavefront_size32 1
		.amdhsa_uses_dynamic_stack 0
		.amdhsa_enable_private_segment 1
		.amdhsa_system_sgpr_workgroup_id_x 1
		.amdhsa_system_sgpr_workgroup_id_y 0
		.amdhsa_system_sgpr_workgroup_id_z 0
		.amdhsa_system_sgpr_workgroup_info 0
		.amdhsa_system_vgpr_workitem_id 0
		.amdhsa_next_free_vgpr 51
		.amdhsa_next_free_sgpr 34
		.amdhsa_named_barrier_count 0
		.amdhsa_reserve_vcc 1
		.amdhsa_float_round_mode_32 0
		.amdhsa_float_round_mode_16_64 0
		.amdhsa_float_denorm_mode_32 3
		.amdhsa_float_denorm_mode_16_64 3
		.amdhsa_fp16_overflow 0
		.amdhsa_memory_ordered 1
		.amdhsa_forward_progress 1
		.amdhsa_inst_pref_size 1
		.amdhsa_round_robin_scheduling 0
		.amdhsa_exception_fp_ieee_invalid_op 0
		.amdhsa_exception_fp_denorm_src 0
		.amdhsa_exception_fp_ieee_div_zero 0
		.amdhsa_exception_fp_ieee_overflow 0
		.amdhsa_exception_fp_ieee_underflow 0
		.amdhsa_exception_fp_ieee_inexact 0
		.amdhsa_exception_int_div_zero 0
	.end_amdhsa_kernel
	.section	.text._Z39paged_attention_ll4mi_QKV_mfma16_kernelI14__hip_bfloat16hLN4vllm18Fp8KVCacheDataTypeE1ES0_Li16ELi128ELi256ELb0ELi8EEvPKT_PKT0_S8_ifPKiSA_SA_iPKfiiiPfSD_PS3_PT2_iSC_SC_,"axG",@progbits,_Z39paged_attention_ll4mi_QKV_mfma16_kernelI14__hip_bfloat16hLN4vllm18Fp8KVCacheDataTypeE1ES0_Li16ELi128ELi256ELb0ELi8EEvPKT_PKT0_S8_ifPKiSA_SA_iPKfiiiPfSD_PS3_PT2_iSC_SC_,comdat
.Lfunc_end1317:
	.size	_Z39paged_attention_ll4mi_QKV_mfma16_kernelI14__hip_bfloat16hLN4vllm18Fp8KVCacheDataTypeE1ES0_Li16ELi128ELi256ELb0ELi8EEvPKT_PKT0_S8_ifPKiSA_SA_iPKfiiiPfSD_PS3_PT2_iSC_SC_, .Lfunc_end1317-_Z39paged_attention_ll4mi_QKV_mfma16_kernelI14__hip_bfloat16hLN4vllm18Fp8KVCacheDataTypeE1ES0_Li16ELi128ELi256ELb0ELi8EEvPKT_PKT0_S8_ifPKiSA_SA_iPKfiiiPfSD_PS3_PT2_iSC_SC_
                                        ; -- End function
	.set _Z39paged_attention_ll4mi_QKV_mfma16_kernelI14__hip_bfloat16hLN4vllm18Fp8KVCacheDataTypeE1ES0_Li16ELi128ELi256ELb0ELi8EEvPKT_PKT0_S8_ifPKiSA_SA_iPKfiiiPfSD_PS3_PT2_iSC_SC_.num_vgpr, max(3, .L__assert_fail.num_vgpr)
	.set _Z39paged_attention_ll4mi_QKV_mfma16_kernelI14__hip_bfloat16hLN4vllm18Fp8KVCacheDataTypeE1ES0_Li16ELi128ELi256ELb0ELi8EEvPKT_PKT0_S8_ifPKiSA_SA_iPKfiiiPfSD_PS3_PT2_iSC_SC_.num_agpr, max(0, .L__assert_fail.num_agpr)
	.set _Z39paged_attention_ll4mi_QKV_mfma16_kernelI14__hip_bfloat16hLN4vllm18Fp8KVCacheDataTypeE1ES0_Li16ELi128ELi256ELb0ELi8EEvPKT_PKT0_S8_ifPKiSA_SA_iPKfiiiPfSD_PS3_PT2_iSC_SC_.numbered_sgpr, max(33, .L__assert_fail.numbered_sgpr)
	.set _Z39paged_attention_ll4mi_QKV_mfma16_kernelI14__hip_bfloat16hLN4vllm18Fp8KVCacheDataTypeE1ES0_Li16ELi128ELi256ELb0ELi8EEvPKT_PKT0_S8_ifPKiSA_SA_iPKfiiiPfSD_PS3_PT2_iSC_SC_.num_named_barrier, max(0, .L__assert_fail.num_named_barrier)
	.set _Z39paged_attention_ll4mi_QKV_mfma16_kernelI14__hip_bfloat16hLN4vllm18Fp8KVCacheDataTypeE1ES0_Li16ELi128ELi256ELb0ELi8EEvPKT_PKT0_S8_ifPKiSA_SA_iPKfiiiPfSD_PS3_PT2_iSC_SC_.private_seg_size, 0+max(.L__assert_fail.private_seg_size)
	.set _Z39paged_attention_ll4mi_QKV_mfma16_kernelI14__hip_bfloat16hLN4vllm18Fp8KVCacheDataTypeE1ES0_Li16ELi128ELi256ELb0ELi8EEvPKT_PKT0_S8_ifPKiSA_SA_iPKfiiiPfSD_PS3_PT2_iSC_SC_.uses_vcc, or(1, .L__assert_fail.uses_vcc)
	.set _Z39paged_attention_ll4mi_QKV_mfma16_kernelI14__hip_bfloat16hLN4vllm18Fp8KVCacheDataTypeE1ES0_Li16ELi128ELi256ELb0ELi8EEvPKT_PKT0_S8_ifPKiSA_SA_iPKfiiiPfSD_PS3_PT2_iSC_SC_.uses_flat_scratch, or(0, .L__assert_fail.uses_flat_scratch)
	.set _Z39paged_attention_ll4mi_QKV_mfma16_kernelI14__hip_bfloat16hLN4vllm18Fp8KVCacheDataTypeE1ES0_Li16ELi128ELi256ELb0ELi8EEvPKT_PKT0_S8_ifPKiSA_SA_iPKfiiiPfSD_PS3_PT2_iSC_SC_.has_dyn_sized_stack, or(0, .L__assert_fail.has_dyn_sized_stack)
	.set _Z39paged_attention_ll4mi_QKV_mfma16_kernelI14__hip_bfloat16hLN4vllm18Fp8KVCacheDataTypeE1ES0_Li16ELi128ELi256ELb0ELi8EEvPKT_PKT0_S8_ifPKiSA_SA_iPKfiiiPfSD_PS3_PT2_iSC_SC_.has_recursion, or(0, .L__assert_fail.has_recursion)
	.set _Z39paged_attention_ll4mi_QKV_mfma16_kernelI14__hip_bfloat16hLN4vllm18Fp8KVCacheDataTypeE1ES0_Li16ELi128ELi256ELb0ELi8EEvPKT_PKT0_S8_ifPKiSA_SA_iPKfiiiPfSD_PS3_PT2_iSC_SC_.has_indirect_call, or(0, .L__assert_fail.has_indirect_call)
	.section	.AMDGPU.csdata,"",@progbits
; Kernel info:
; codeLenInByte = 68
; TotalNumSgprs: 36
; NumVgprs: 51
; ScratchSize: 64
; MemoryBound: 0
; FloatMode: 240
; IeeeMode: 1
; LDSByteSize: 0 bytes/workgroup (compile time only)
; SGPRBlocks: 0
; VGPRBlocks: 3
; NumSGPRsForWavesPerEU: 36
; NumVGPRsForWavesPerEU: 51
; NamedBarCnt: 0
; Occupancy: 16
; WaveLimiterHint : 1
; COMPUTE_PGM_RSRC2:SCRATCH_EN: 1
; COMPUTE_PGM_RSRC2:USER_SGPR: 2
; COMPUTE_PGM_RSRC2:TRAP_HANDLER: 0
; COMPUTE_PGM_RSRC2:TGID_X_EN: 1
; COMPUTE_PGM_RSRC2:TGID_Y_EN: 0
; COMPUTE_PGM_RSRC2:TGID_Z_EN: 0
; COMPUTE_PGM_RSRC2:TIDIG_COMP_CNT: 0
	.section	.text._Z39paged_attention_ll4mi_QKV_mfma16_kernelI14__hip_bfloat16hLN4vllm18Fp8KVCacheDataTypeE1ES0_Li16ELi128ELi256ELb0ELi9EEvPKT_PKT0_S8_ifPKiSA_SA_iPKfiiiPfSD_PS3_PT2_iSC_SC_,"axG",@progbits,_Z39paged_attention_ll4mi_QKV_mfma16_kernelI14__hip_bfloat16hLN4vllm18Fp8KVCacheDataTypeE1ES0_Li16ELi128ELi256ELb0ELi9EEvPKT_PKT0_S8_ifPKiSA_SA_iPKfiiiPfSD_PS3_PT2_iSC_SC_,comdat
	.protected	_Z39paged_attention_ll4mi_QKV_mfma16_kernelI14__hip_bfloat16hLN4vllm18Fp8KVCacheDataTypeE1ES0_Li16ELi128ELi256ELb0ELi9EEvPKT_PKT0_S8_ifPKiSA_SA_iPKfiiiPfSD_PS3_PT2_iSC_SC_ ; -- Begin function _Z39paged_attention_ll4mi_QKV_mfma16_kernelI14__hip_bfloat16hLN4vllm18Fp8KVCacheDataTypeE1ES0_Li16ELi128ELi256ELb0ELi9EEvPKT_PKT0_S8_ifPKiSA_SA_iPKfiiiPfSD_PS3_PT2_iSC_SC_
	.globl	_Z39paged_attention_ll4mi_QKV_mfma16_kernelI14__hip_bfloat16hLN4vllm18Fp8KVCacheDataTypeE1ES0_Li16ELi128ELi256ELb0ELi9EEvPKT_PKT0_S8_ifPKiSA_SA_iPKfiiiPfSD_PS3_PT2_iSC_SC_
	.p2align	8
	.type	_Z39paged_attention_ll4mi_QKV_mfma16_kernelI14__hip_bfloat16hLN4vllm18Fp8KVCacheDataTypeE1ES0_Li16ELi128ELi256ELb0ELi9EEvPKT_PKT0_S8_ifPKiSA_SA_iPKfiiiPfSD_PS3_PT2_iSC_SC_,@function
_Z39paged_attention_ll4mi_QKV_mfma16_kernelI14__hip_bfloat16hLN4vllm18Fp8KVCacheDataTypeE1ES0_Li16ELi128ELi256ELb0ELi9EEvPKT_PKT0_S8_ifPKiSA_SA_iPKfiiiPfSD_PS3_PT2_iSC_SC_: ; @_Z39paged_attention_ll4mi_QKV_mfma16_kernelI14__hip_bfloat16hLN4vllm18Fp8KVCacheDataTypeE1ES0_Li16ELi128ELi256ELb0ELi9EEvPKT_PKT0_S8_ifPKiSA_SA_iPKfiiiPfSD_PS3_PT2_iSC_SC_
; %bb.0:
	s_get_pc_i64 s[2:3]
	s_add_nc_u64 s[2:3], s[2:3], __PRETTY_FUNCTION__._Z39paged_attention_ll4mi_QKV_mfma16_kernelI14__hip_bfloat16hLN4vllm18Fp8KVCacheDataTypeE1ES0_Li16ELi128ELi256ELb0ELi9EEvPKT_PKT0_S8_ifPKiSA_SA_iPKfiiiPfSD_PS3_PT2_iSC_SC_@rel64+4
	s_delay_alu instid0(SALU_CYCLE_1)
	v_dual_mov_b32 v0, 0xbb3 :: v_dual_mov_b32 v1, s2
	v_mov_b32_e32 v2, s3
	s_add_nc_u64 s[8:9], s[0:1], 0x90
	s_get_pc_i64 s[0:1]
	s_add_nc_u64 s[0:1], s[0:1], __assert_fail@rel64+4
	s_mov_b32 s32, 0
	s_swap_pc_i64 s[30:31], s[0:1]
	.section	.rodata,"a",@progbits
	.p2align	6, 0x0
	.amdhsa_kernel _Z39paged_attention_ll4mi_QKV_mfma16_kernelI14__hip_bfloat16hLN4vllm18Fp8KVCacheDataTypeE1ES0_Li16ELi128ELi256ELb0ELi9EEvPKT_PKT0_S8_ifPKiSA_SA_iPKfiiiPfSD_PS3_PT2_iSC_SC_
		.amdhsa_group_segment_fixed_size 0
		.amdhsa_private_segment_fixed_size 64
		.amdhsa_kernarg_size 400
		.amdhsa_user_sgpr_count 2
		.amdhsa_user_sgpr_dispatch_ptr 0
		.amdhsa_user_sgpr_queue_ptr 0
		.amdhsa_user_sgpr_kernarg_segment_ptr 1
		.amdhsa_user_sgpr_dispatch_id 0
		.amdhsa_user_sgpr_kernarg_preload_length 0
		.amdhsa_user_sgpr_kernarg_preload_offset 0
		.amdhsa_user_sgpr_private_segment_size 0
		.amdhsa_wavefront_size32 1
		.amdhsa_uses_dynamic_stack 0
		.amdhsa_enable_private_segment 1
		.amdhsa_system_sgpr_workgroup_id_x 1
		.amdhsa_system_sgpr_workgroup_id_y 0
		.amdhsa_system_sgpr_workgroup_id_z 0
		.amdhsa_system_sgpr_workgroup_info 0
		.amdhsa_system_vgpr_workitem_id 0
		.amdhsa_next_free_vgpr 51
		.amdhsa_next_free_sgpr 34
		.amdhsa_named_barrier_count 0
		.amdhsa_reserve_vcc 1
		.amdhsa_float_round_mode_32 0
		.amdhsa_float_round_mode_16_64 0
		.amdhsa_float_denorm_mode_32 3
		.amdhsa_float_denorm_mode_16_64 3
		.amdhsa_fp16_overflow 0
		.amdhsa_memory_ordered 1
		.amdhsa_forward_progress 1
		.amdhsa_inst_pref_size 1
		.amdhsa_round_robin_scheduling 0
		.amdhsa_exception_fp_ieee_invalid_op 0
		.amdhsa_exception_fp_denorm_src 0
		.amdhsa_exception_fp_ieee_div_zero 0
		.amdhsa_exception_fp_ieee_overflow 0
		.amdhsa_exception_fp_ieee_underflow 0
		.amdhsa_exception_fp_ieee_inexact 0
		.amdhsa_exception_int_div_zero 0
	.end_amdhsa_kernel
	.section	.text._Z39paged_attention_ll4mi_QKV_mfma16_kernelI14__hip_bfloat16hLN4vllm18Fp8KVCacheDataTypeE1ES0_Li16ELi128ELi256ELb0ELi9EEvPKT_PKT0_S8_ifPKiSA_SA_iPKfiiiPfSD_PS3_PT2_iSC_SC_,"axG",@progbits,_Z39paged_attention_ll4mi_QKV_mfma16_kernelI14__hip_bfloat16hLN4vllm18Fp8KVCacheDataTypeE1ES0_Li16ELi128ELi256ELb0ELi9EEvPKT_PKT0_S8_ifPKiSA_SA_iPKfiiiPfSD_PS3_PT2_iSC_SC_,comdat
.Lfunc_end1318:
	.size	_Z39paged_attention_ll4mi_QKV_mfma16_kernelI14__hip_bfloat16hLN4vllm18Fp8KVCacheDataTypeE1ES0_Li16ELi128ELi256ELb0ELi9EEvPKT_PKT0_S8_ifPKiSA_SA_iPKfiiiPfSD_PS3_PT2_iSC_SC_, .Lfunc_end1318-_Z39paged_attention_ll4mi_QKV_mfma16_kernelI14__hip_bfloat16hLN4vllm18Fp8KVCacheDataTypeE1ES0_Li16ELi128ELi256ELb0ELi9EEvPKT_PKT0_S8_ifPKiSA_SA_iPKfiiiPfSD_PS3_PT2_iSC_SC_
                                        ; -- End function
	.set _Z39paged_attention_ll4mi_QKV_mfma16_kernelI14__hip_bfloat16hLN4vllm18Fp8KVCacheDataTypeE1ES0_Li16ELi128ELi256ELb0ELi9EEvPKT_PKT0_S8_ifPKiSA_SA_iPKfiiiPfSD_PS3_PT2_iSC_SC_.num_vgpr, max(3, .L__assert_fail.num_vgpr)
	.set _Z39paged_attention_ll4mi_QKV_mfma16_kernelI14__hip_bfloat16hLN4vllm18Fp8KVCacheDataTypeE1ES0_Li16ELi128ELi256ELb0ELi9EEvPKT_PKT0_S8_ifPKiSA_SA_iPKfiiiPfSD_PS3_PT2_iSC_SC_.num_agpr, max(0, .L__assert_fail.num_agpr)
	.set _Z39paged_attention_ll4mi_QKV_mfma16_kernelI14__hip_bfloat16hLN4vllm18Fp8KVCacheDataTypeE1ES0_Li16ELi128ELi256ELb0ELi9EEvPKT_PKT0_S8_ifPKiSA_SA_iPKfiiiPfSD_PS3_PT2_iSC_SC_.numbered_sgpr, max(33, .L__assert_fail.numbered_sgpr)
	.set _Z39paged_attention_ll4mi_QKV_mfma16_kernelI14__hip_bfloat16hLN4vllm18Fp8KVCacheDataTypeE1ES0_Li16ELi128ELi256ELb0ELi9EEvPKT_PKT0_S8_ifPKiSA_SA_iPKfiiiPfSD_PS3_PT2_iSC_SC_.num_named_barrier, max(0, .L__assert_fail.num_named_barrier)
	.set _Z39paged_attention_ll4mi_QKV_mfma16_kernelI14__hip_bfloat16hLN4vllm18Fp8KVCacheDataTypeE1ES0_Li16ELi128ELi256ELb0ELi9EEvPKT_PKT0_S8_ifPKiSA_SA_iPKfiiiPfSD_PS3_PT2_iSC_SC_.private_seg_size, 0+max(.L__assert_fail.private_seg_size)
	.set _Z39paged_attention_ll4mi_QKV_mfma16_kernelI14__hip_bfloat16hLN4vllm18Fp8KVCacheDataTypeE1ES0_Li16ELi128ELi256ELb0ELi9EEvPKT_PKT0_S8_ifPKiSA_SA_iPKfiiiPfSD_PS3_PT2_iSC_SC_.uses_vcc, or(1, .L__assert_fail.uses_vcc)
	.set _Z39paged_attention_ll4mi_QKV_mfma16_kernelI14__hip_bfloat16hLN4vllm18Fp8KVCacheDataTypeE1ES0_Li16ELi128ELi256ELb0ELi9EEvPKT_PKT0_S8_ifPKiSA_SA_iPKfiiiPfSD_PS3_PT2_iSC_SC_.uses_flat_scratch, or(0, .L__assert_fail.uses_flat_scratch)
	.set _Z39paged_attention_ll4mi_QKV_mfma16_kernelI14__hip_bfloat16hLN4vllm18Fp8KVCacheDataTypeE1ES0_Li16ELi128ELi256ELb0ELi9EEvPKT_PKT0_S8_ifPKiSA_SA_iPKfiiiPfSD_PS3_PT2_iSC_SC_.has_dyn_sized_stack, or(0, .L__assert_fail.has_dyn_sized_stack)
	.set _Z39paged_attention_ll4mi_QKV_mfma16_kernelI14__hip_bfloat16hLN4vllm18Fp8KVCacheDataTypeE1ES0_Li16ELi128ELi256ELb0ELi9EEvPKT_PKT0_S8_ifPKiSA_SA_iPKfiiiPfSD_PS3_PT2_iSC_SC_.has_recursion, or(0, .L__assert_fail.has_recursion)
	.set _Z39paged_attention_ll4mi_QKV_mfma16_kernelI14__hip_bfloat16hLN4vllm18Fp8KVCacheDataTypeE1ES0_Li16ELi128ELi256ELb0ELi9EEvPKT_PKT0_S8_ifPKiSA_SA_iPKfiiiPfSD_PS3_PT2_iSC_SC_.has_indirect_call, or(0, .L__assert_fail.has_indirect_call)
	.section	.AMDGPU.csdata,"",@progbits
; Kernel info:
; codeLenInByte = 68
; TotalNumSgprs: 36
; NumVgprs: 51
; ScratchSize: 64
; MemoryBound: 0
; FloatMode: 240
; IeeeMode: 1
; LDSByteSize: 0 bytes/workgroup (compile time only)
; SGPRBlocks: 0
; VGPRBlocks: 3
; NumSGPRsForWavesPerEU: 36
; NumVGPRsForWavesPerEU: 51
; NamedBarCnt: 0
; Occupancy: 16
; WaveLimiterHint : 1
; COMPUTE_PGM_RSRC2:SCRATCH_EN: 1
; COMPUTE_PGM_RSRC2:USER_SGPR: 2
; COMPUTE_PGM_RSRC2:TRAP_HANDLER: 0
; COMPUTE_PGM_RSRC2:TGID_X_EN: 1
; COMPUTE_PGM_RSRC2:TGID_Y_EN: 0
; COMPUTE_PGM_RSRC2:TGID_Z_EN: 0
; COMPUTE_PGM_RSRC2:TIDIG_COMP_CNT: 0
	.section	.text._Z39paged_attention_ll4mi_QKV_mfma16_kernelI14__hip_bfloat16hLN4vllm18Fp8KVCacheDataTypeE1ES0_Li16ELi128ELi256ELb0ELi10EEvPKT_PKT0_S8_ifPKiSA_SA_iPKfiiiPfSD_PS3_PT2_iSC_SC_,"axG",@progbits,_Z39paged_attention_ll4mi_QKV_mfma16_kernelI14__hip_bfloat16hLN4vllm18Fp8KVCacheDataTypeE1ES0_Li16ELi128ELi256ELb0ELi10EEvPKT_PKT0_S8_ifPKiSA_SA_iPKfiiiPfSD_PS3_PT2_iSC_SC_,comdat
	.protected	_Z39paged_attention_ll4mi_QKV_mfma16_kernelI14__hip_bfloat16hLN4vllm18Fp8KVCacheDataTypeE1ES0_Li16ELi128ELi256ELb0ELi10EEvPKT_PKT0_S8_ifPKiSA_SA_iPKfiiiPfSD_PS3_PT2_iSC_SC_ ; -- Begin function _Z39paged_attention_ll4mi_QKV_mfma16_kernelI14__hip_bfloat16hLN4vllm18Fp8KVCacheDataTypeE1ES0_Li16ELi128ELi256ELb0ELi10EEvPKT_PKT0_S8_ifPKiSA_SA_iPKfiiiPfSD_PS3_PT2_iSC_SC_
	.globl	_Z39paged_attention_ll4mi_QKV_mfma16_kernelI14__hip_bfloat16hLN4vllm18Fp8KVCacheDataTypeE1ES0_Li16ELi128ELi256ELb0ELi10EEvPKT_PKT0_S8_ifPKiSA_SA_iPKfiiiPfSD_PS3_PT2_iSC_SC_
	.p2align	8
	.type	_Z39paged_attention_ll4mi_QKV_mfma16_kernelI14__hip_bfloat16hLN4vllm18Fp8KVCacheDataTypeE1ES0_Li16ELi128ELi256ELb0ELi10EEvPKT_PKT0_S8_ifPKiSA_SA_iPKfiiiPfSD_PS3_PT2_iSC_SC_,@function
_Z39paged_attention_ll4mi_QKV_mfma16_kernelI14__hip_bfloat16hLN4vllm18Fp8KVCacheDataTypeE1ES0_Li16ELi128ELi256ELb0ELi10EEvPKT_PKT0_S8_ifPKiSA_SA_iPKfiiiPfSD_PS3_PT2_iSC_SC_: ; @_Z39paged_attention_ll4mi_QKV_mfma16_kernelI14__hip_bfloat16hLN4vllm18Fp8KVCacheDataTypeE1ES0_Li16ELi128ELi256ELb0ELi10EEvPKT_PKT0_S8_ifPKiSA_SA_iPKfiiiPfSD_PS3_PT2_iSC_SC_
; %bb.0:
	s_get_pc_i64 s[2:3]
	s_add_nc_u64 s[2:3], s[2:3], __PRETTY_FUNCTION__._Z39paged_attention_ll4mi_QKV_mfma16_kernelI14__hip_bfloat16hLN4vllm18Fp8KVCacheDataTypeE1ES0_Li16ELi128ELi256ELb0ELi10EEvPKT_PKT0_S8_ifPKiSA_SA_iPKfiiiPfSD_PS3_PT2_iSC_SC_@rel64+4
	s_delay_alu instid0(SALU_CYCLE_1)
	v_dual_mov_b32 v0, 0xbb3 :: v_dual_mov_b32 v1, s2
	v_mov_b32_e32 v2, s3
	s_add_nc_u64 s[8:9], s[0:1], 0x90
	s_get_pc_i64 s[0:1]
	s_add_nc_u64 s[0:1], s[0:1], __assert_fail@rel64+4
	s_mov_b32 s32, 0
	s_swap_pc_i64 s[30:31], s[0:1]
	.section	.rodata,"a",@progbits
	.p2align	6, 0x0
	.amdhsa_kernel _Z39paged_attention_ll4mi_QKV_mfma16_kernelI14__hip_bfloat16hLN4vllm18Fp8KVCacheDataTypeE1ES0_Li16ELi128ELi256ELb0ELi10EEvPKT_PKT0_S8_ifPKiSA_SA_iPKfiiiPfSD_PS3_PT2_iSC_SC_
		.amdhsa_group_segment_fixed_size 0
		.amdhsa_private_segment_fixed_size 64
		.amdhsa_kernarg_size 400
		.amdhsa_user_sgpr_count 2
		.amdhsa_user_sgpr_dispatch_ptr 0
		.amdhsa_user_sgpr_queue_ptr 0
		.amdhsa_user_sgpr_kernarg_segment_ptr 1
		.amdhsa_user_sgpr_dispatch_id 0
		.amdhsa_user_sgpr_kernarg_preload_length 0
		.amdhsa_user_sgpr_kernarg_preload_offset 0
		.amdhsa_user_sgpr_private_segment_size 0
		.amdhsa_wavefront_size32 1
		.amdhsa_uses_dynamic_stack 0
		.amdhsa_enable_private_segment 1
		.amdhsa_system_sgpr_workgroup_id_x 1
		.amdhsa_system_sgpr_workgroup_id_y 0
		.amdhsa_system_sgpr_workgroup_id_z 0
		.amdhsa_system_sgpr_workgroup_info 0
		.amdhsa_system_vgpr_workitem_id 0
		.amdhsa_next_free_vgpr 51
		.amdhsa_next_free_sgpr 34
		.amdhsa_named_barrier_count 0
		.amdhsa_reserve_vcc 1
		.amdhsa_float_round_mode_32 0
		.amdhsa_float_round_mode_16_64 0
		.amdhsa_float_denorm_mode_32 3
		.amdhsa_float_denorm_mode_16_64 3
		.amdhsa_fp16_overflow 0
		.amdhsa_memory_ordered 1
		.amdhsa_forward_progress 1
		.amdhsa_inst_pref_size 1
		.amdhsa_round_robin_scheduling 0
		.amdhsa_exception_fp_ieee_invalid_op 0
		.amdhsa_exception_fp_denorm_src 0
		.amdhsa_exception_fp_ieee_div_zero 0
		.amdhsa_exception_fp_ieee_overflow 0
		.amdhsa_exception_fp_ieee_underflow 0
		.amdhsa_exception_fp_ieee_inexact 0
		.amdhsa_exception_int_div_zero 0
	.end_amdhsa_kernel
	.section	.text._Z39paged_attention_ll4mi_QKV_mfma16_kernelI14__hip_bfloat16hLN4vllm18Fp8KVCacheDataTypeE1ES0_Li16ELi128ELi256ELb0ELi10EEvPKT_PKT0_S8_ifPKiSA_SA_iPKfiiiPfSD_PS3_PT2_iSC_SC_,"axG",@progbits,_Z39paged_attention_ll4mi_QKV_mfma16_kernelI14__hip_bfloat16hLN4vllm18Fp8KVCacheDataTypeE1ES0_Li16ELi128ELi256ELb0ELi10EEvPKT_PKT0_S8_ifPKiSA_SA_iPKfiiiPfSD_PS3_PT2_iSC_SC_,comdat
.Lfunc_end1319:
	.size	_Z39paged_attention_ll4mi_QKV_mfma16_kernelI14__hip_bfloat16hLN4vllm18Fp8KVCacheDataTypeE1ES0_Li16ELi128ELi256ELb0ELi10EEvPKT_PKT0_S8_ifPKiSA_SA_iPKfiiiPfSD_PS3_PT2_iSC_SC_, .Lfunc_end1319-_Z39paged_attention_ll4mi_QKV_mfma16_kernelI14__hip_bfloat16hLN4vllm18Fp8KVCacheDataTypeE1ES0_Li16ELi128ELi256ELb0ELi10EEvPKT_PKT0_S8_ifPKiSA_SA_iPKfiiiPfSD_PS3_PT2_iSC_SC_
                                        ; -- End function
	.set _Z39paged_attention_ll4mi_QKV_mfma16_kernelI14__hip_bfloat16hLN4vllm18Fp8KVCacheDataTypeE1ES0_Li16ELi128ELi256ELb0ELi10EEvPKT_PKT0_S8_ifPKiSA_SA_iPKfiiiPfSD_PS3_PT2_iSC_SC_.num_vgpr, max(3, .L__assert_fail.num_vgpr)
	.set _Z39paged_attention_ll4mi_QKV_mfma16_kernelI14__hip_bfloat16hLN4vllm18Fp8KVCacheDataTypeE1ES0_Li16ELi128ELi256ELb0ELi10EEvPKT_PKT0_S8_ifPKiSA_SA_iPKfiiiPfSD_PS3_PT2_iSC_SC_.num_agpr, max(0, .L__assert_fail.num_agpr)
	.set _Z39paged_attention_ll4mi_QKV_mfma16_kernelI14__hip_bfloat16hLN4vllm18Fp8KVCacheDataTypeE1ES0_Li16ELi128ELi256ELb0ELi10EEvPKT_PKT0_S8_ifPKiSA_SA_iPKfiiiPfSD_PS3_PT2_iSC_SC_.numbered_sgpr, max(33, .L__assert_fail.numbered_sgpr)
	.set _Z39paged_attention_ll4mi_QKV_mfma16_kernelI14__hip_bfloat16hLN4vllm18Fp8KVCacheDataTypeE1ES0_Li16ELi128ELi256ELb0ELi10EEvPKT_PKT0_S8_ifPKiSA_SA_iPKfiiiPfSD_PS3_PT2_iSC_SC_.num_named_barrier, max(0, .L__assert_fail.num_named_barrier)
	.set _Z39paged_attention_ll4mi_QKV_mfma16_kernelI14__hip_bfloat16hLN4vllm18Fp8KVCacheDataTypeE1ES0_Li16ELi128ELi256ELb0ELi10EEvPKT_PKT0_S8_ifPKiSA_SA_iPKfiiiPfSD_PS3_PT2_iSC_SC_.private_seg_size, 0+max(.L__assert_fail.private_seg_size)
	.set _Z39paged_attention_ll4mi_QKV_mfma16_kernelI14__hip_bfloat16hLN4vllm18Fp8KVCacheDataTypeE1ES0_Li16ELi128ELi256ELb0ELi10EEvPKT_PKT0_S8_ifPKiSA_SA_iPKfiiiPfSD_PS3_PT2_iSC_SC_.uses_vcc, or(1, .L__assert_fail.uses_vcc)
	.set _Z39paged_attention_ll4mi_QKV_mfma16_kernelI14__hip_bfloat16hLN4vllm18Fp8KVCacheDataTypeE1ES0_Li16ELi128ELi256ELb0ELi10EEvPKT_PKT0_S8_ifPKiSA_SA_iPKfiiiPfSD_PS3_PT2_iSC_SC_.uses_flat_scratch, or(0, .L__assert_fail.uses_flat_scratch)
	.set _Z39paged_attention_ll4mi_QKV_mfma16_kernelI14__hip_bfloat16hLN4vllm18Fp8KVCacheDataTypeE1ES0_Li16ELi128ELi256ELb0ELi10EEvPKT_PKT0_S8_ifPKiSA_SA_iPKfiiiPfSD_PS3_PT2_iSC_SC_.has_dyn_sized_stack, or(0, .L__assert_fail.has_dyn_sized_stack)
	.set _Z39paged_attention_ll4mi_QKV_mfma16_kernelI14__hip_bfloat16hLN4vllm18Fp8KVCacheDataTypeE1ES0_Li16ELi128ELi256ELb0ELi10EEvPKT_PKT0_S8_ifPKiSA_SA_iPKfiiiPfSD_PS3_PT2_iSC_SC_.has_recursion, or(0, .L__assert_fail.has_recursion)
	.set _Z39paged_attention_ll4mi_QKV_mfma16_kernelI14__hip_bfloat16hLN4vllm18Fp8KVCacheDataTypeE1ES0_Li16ELi128ELi256ELb0ELi10EEvPKT_PKT0_S8_ifPKiSA_SA_iPKfiiiPfSD_PS3_PT2_iSC_SC_.has_indirect_call, or(0, .L__assert_fail.has_indirect_call)
	.section	.AMDGPU.csdata,"",@progbits
; Kernel info:
; codeLenInByte = 68
; TotalNumSgprs: 36
; NumVgprs: 51
; ScratchSize: 64
; MemoryBound: 0
; FloatMode: 240
; IeeeMode: 1
; LDSByteSize: 0 bytes/workgroup (compile time only)
; SGPRBlocks: 0
; VGPRBlocks: 3
; NumSGPRsForWavesPerEU: 36
; NumVGPRsForWavesPerEU: 51
; NamedBarCnt: 0
; Occupancy: 16
; WaveLimiterHint : 1
; COMPUTE_PGM_RSRC2:SCRATCH_EN: 1
; COMPUTE_PGM_RSRC2:USER_SGPR: 2
; COMPUTE_PGM_RSRC2:TRAP_HANDLER: 0
; COMPUTE_PGM_RSRC2:TGID_X_EN: 1
; COMPUTE_PGM_RSRC2:TGID_Y_EN: 0
; COMPUTE_PGM_RSRC2:TGID_Z_EN: 0
; COMPUTE_PGM_RSRC2:TIDIG_COMP_CNT: 0
	.section	.text._Z39paged_attention_ll4mi_QKV_mfma16_kernelI14__hip_bfloat16hLN4vllm18Fp8KVCacheDataTypeE1ES0_Li16ELi128ELi256ELb0ELi11EEvPKT_PKT0_S8_ifPKiSA_SA_iPKfiiiPfSD_PS3_PT2_iSC_SC_,"axG",@progbits,_Z39paged_attention_ll4mi_QKV_mfma16_kernelI14__hip_bfloat16hLN4vllm18Fp8KVCacheDataTypeE1ES0_Li16ELi128ELi256ELb0ELi11EEvPKT_PKT0_S8_ifPKiSA_SA_iPKfiiiPfSD_PS3_PT2_iSC_SC_,comdat
	.protected	_Z39paged_attention_ll4mi_QKV_mfma16_kernelI14__hip_bfloat16hLN4vllm18Fp8KVCacheDataTypeE1ES0_Li16ELi128ELi256ELb0ELi11EEvPKT_PKT0_S8_ifPKiSA_SA_iPKfiiiPfSD_PS3_PT2_iSC_SC_ ; -- Begin function _Z39paged_attention_ll4mi_QKV_mfma16_kernelI14__hip_bfloat16hLN4vllm18Fp8KVCacheDataTypeE1ES0_Li16ELi128ELi256ELb0ELi11EEvPKT_PKT0_S8_ifPKiSA_SA_iPKfiiiPfSD_PS3_PT2_iSC_SC_
	.globl	_Z39paged_attention_ll4mi_QKV_mfma16_kernelI14__hip_bfloat16hLN4vllm18Fp8KVCacheDataTypeE1ES0_Li16ELi128ELi256ELb0ELi11EEvPKT_PKT0_S8_ifPKiSA_SA_iPKfiiiPfSD_PS3_PT2_iSC_SC_
	.p2align	8
	.type	_Z39paged_attention_ll4mi_QKV_mfma16_kernelI14__hip_bfloat16hLN4vllm18Fp8KVCacheDataTypeE1ES0_Li16ELi128ELi256ELb0ELi11EEvPKT_PKT0_S8_ifPKiSA_SA_iPKfiiiPfSD_PS3_PT2_iSC_SC_,@function
_Z39paged_attention_ll4mi_QKV_mfma16_kernelI14__hip_bfloat16hLN4vllm18Fp8KVCacheDataTypeE1ES0_Li16ELi128ELi256ELb0ELi11EEvPKT_PKT0_S8_ifPKiSA_SA_iPKfiiiPfSD_PS3_PT2_iSC_SC_: ; @_Z39paged_attention_ll4mi_QKV_mfma16_kernelI14__hip_bfloat16hLN4vllm18Fp8KVCacheDataTypeE1ES0_Li16ELi128ELi256ELb0ELi11EEvPKT_PKT0_S8_ifPKiSA_SA_iPKfiiiPfSD_PS3_PT2_iSC_SC_
; %bb.0:
	s_get_pc_i64 s[2:3]
	s_add_nc_u64 s[2:3], s[2:3], __PRETTY_FUNCTION__._Z39paged_attention_ll4mi_QKV_mfma16_kernelI14__hip_bfloat16hLN4vllm18Fp8KVCacheDataTypeE1ES0_Li16ELi128ELi256ELb0ELi11EEvPKT_PKT0_S8_ifPKiSA_SA_iPKfiiiPfSD_PS3_PT2_iSC_SC_@rel64+4
	s_delay_alu instid0(SALU_CYCLE_1)
	v_dual_mov_b32 v0, 0xbb3 :: v_dual_mov_b32 v1, s2
	v_mov_b32_e32 v2, s3
	s_add_nc_u64 s[8:9], s[0:1], 0x90
	s_get_pc_i64 s[0:1]
	s_add_nc_u64 s[0:1], s[0:1], __assert_fail@rel64+4
	s_mov_b32 s32, 0
	s_swap_pc_i64 s[30:31], s[0:1]
	.section	.rodata,"a",@progbits
	.p2align	6, 0x0
	.amdhsa_kernel _Z39paged_attention_ll4mi_QKV_mfma16_kernelI14__hip_bfloat16hLN4vllm18Fp8KVCacheDataTypeE1ES0_Li16ELi128ELi256ELb0ELi11EEvPKT_PKT0_S8_ifPKiSA_SA_iPKfiiiPfSD_PS3_PT2_iSC_SC_
		.amdhsa_group_segment_fixed_size 0
		.amdhsa_private_segment_fixed_size 64
		.amdhsa_kernarg_size 400
		.amdhsa_user_sgpr_count 2
		.amdhsa_user_sgpr_dispatch_ptr 0
		.amdhsa_user_sgpr_queue_ptr 0
		.amdhsa_user_sgpr_kernarg_segment_ptr 1
		.amdhsa_user_sgpr_dispatch_id 0
		.amdhsa_user_sgpr_kernarg_preload_length 0
		.amdhsa_user_sgpr_kernarg_preload_offset 0
		.amdhsa_user_sgpr_private_segment_size 0
		.amdhsa_wavefront_size32 1
		.amdhsa_uses_dynamic_stack 0
		.amdhsa_enable_private_segment 1
		.amdhsa_system_sgpr_workgroup_id_x 1
		.amdhsa_system_sgpr_workgroup_id_y 0
		.amdhsa_system_sgpr_workgroup_id_z 0
		.amdhsa_system_sgpr_workgroup_info 0
		.amdhsa_system_vgpr_workitem_id 0
		.amdhsa_next_free_vgpr 51
		.amdhsa_next_free_sgpr 34
		.amdhsa_named_barrier_count 0
		.amdhsa_reserve_vcc 1
		.amdhsa_float_round_mode_32 0
		.amdhsa_float_round_mode_16_64 0
		.amdhsa_float_denorm_mode_32 3
		.amdhsa_float_denorm_mode_16_64 3
		.amdhsa_fp16_overflow 0
		.amdhsa_memory_ordered 1
		.amdhsa_forward_progress 1
		.amdhsa_inst_pref_size 1
		.amdhsa_round_robin_scheduling 0
		.amdhsa_exception_fp_ieee_invalid_op 0
		.amdhsa_exception_fp_denorm_src 0
		.amdhsa_exception_fp_ieee_div_zero 0
		.amdhsa_exception_fp_ieee_overflow 0
		.amdhsa_exception_fp_ieee_underflow 0
		.amdhsa_exception_fp_ieee_inexact 0
		.amdhsa_exception_int_div_zero 0
	.end_amdhsa_kernel
	.section	.text._Z39paged_attention_ll4mi_QKV_mfma16_kernelI14__hip_bfloat16hLN4vllm18Fp8KVCacheDataTypeE1ES0_Li16ELi128ELi256ELb0ELi11EEvPKT_PKT0_S8_ifPKiSA_SA_iPKfiiiPfSD_PS3_PT2_iSC_SC_,"axG",@progbits,_Z39paged_attention_ll4mi_QKV_mfma16_kernelI14__hip_bfloat16hLN4vllm18Fp8KVCacheDataTypeE1ES0_Li16ELi128ELi256ELb0ELi11EEvPKT_PKT0_S8_ifPKiSA_SA_iPKfiiiPfSD_PS3_PT2_iSC_SC_,comdat
.Lfunc_end1320:
	.size	_Z39paged_attention_ll4mi_QKV_mfma16_kernelI14__hip_bfloat16hLN4vllm18Fp8KVCacheDataTypeE1ES0_Li16ELi128ELi256ELb0ELi11EEvPKT_PKT0_S8_ifPKiSA_SA_iPKfiiiPfSD_PS3_PT2_iSC_SC_, .Lfunc_end1320-_Z39paged_attention_ll4mi_QKV_mfma16_kernelI14__hip_bfloat16hLN4vllm18Fp8KVCacheDataTypeE1ES0_Li16ELi128ELi256ELb0ELi11EEvPKT_PKT0_S8_ifPKiSA_SA_iPKfiiiPfSD_PS3_PT2_iSC_SC_
                                        ; -- End function
	.set _Z39paged_attention_ll4mi_QKV_mfma16_kernelI14__hip_bfloat16hLN4vllm18Fp8KVCacheDataTypeE1ES0_Li16ELi128ELi256ELb0ELi11EEvPKT_PKT0_S8_ifPKiSA_SA_iPKfiiiPfSD_PS3_PT2_iSC_SC_.num_vgpr, max(3, .L__assert_fail.num_vgpr)
	.set _Z39paged_attention_ll4mi_QKV_mfma16_kernelI14__hip_bfloat16hLN4vllm18Fp8KVCacheDataTypeE1ES0_Li16ELi128ELi256ELb0ELi11EEvPKT_PKT0_S8_ifPKiSA_SA_iPKfiiiPfSD_PS3_PT2_iSC_SC_.num_agpr, max(0, .L__assert_fail.num_agpr)
	.set _Z39paged_attention_ll4mi_QKV_mfma16_kernelI14__hip_bfloat16hLN4vllm18Fp8KVCacheDataTypeE1ES0_Li16ELi128ELi256ELb0ELi11EEvPKT_PKT0_S8_ifPKiSA_SA_iPKfiiiPfSD_PS3_PT2_iSC_SC_.numbered_sgpr, max(33, .L__assert_fail.numbered_sgpr)
	.set _Z39paged_attention_ll4mi_QKV_mfma16_kernelI14__hip_bfloat16hLN4vllm18Fp8KVCacheDataTypeE1ES0_Li16ELi128ELi256ELb0ELi11EEvPKT_PKT0_S8_ifPKiSA_SA_iPKfiiiPfSD_PS3_PT2_iSC_SC_.num_named_barrier, max(0, .L__assert_fail.num_named_barrier)
	.set _Z39paged_attention_ll4mi_QKV_mfma16_kernelI14__hip_bfloat16hLN4vllm18Fp8KVCacheDataTypeE1ES0_Li16ELi128ELi256ELb0ELi11EEvPKT_PKT0_S8_ifPKiSA_SA_iPKfiiiPfSD_PS3_PT2_iSC_SC_.private_seg_size, 0+max(.L__assert_fail.private_seg_size)
	.set _Z39paged_attention_ll4mi_QKV_mfma16_kernelI14__hip_bfloat16hLN4vllm18Fp8KVCacheDataTypeE1ES0_Li16ELi128ELi256ELb0ELi11EEvPKT_PKT0_S8_ifPKiSA_SA_iPKfiiiPfSD_PS3_PT2_iSC_SC_.uses_vcc, or(1, .L__assert_fail.uses_vcc)
	.set _Z39paged_attention_ll4mi_QKV_mfma16_kernelI14__hip_bfloat16hLN4vllm18Fp8KVCacheDataTypeE1ES0_Li16ELi128ELi256ELb0ELi11EEvPKT_PKT0_S8_ifPKiSA_SA_iPKfiiiPfSD_PS3_PT2_iSC_SC_.uses_flat_scratch, or(0, .L__assert_fail.uses_flat_scratch)
	.set _Z39paged_attention_ll4mi_QKV_mfma16_kernelI14__hip_bfloat16hLN4vllm18Fp8KVCacheDataTypeE1ES0_Li16ELi128ELi256ELb0ELi11EEvPKT_PKT0_S8_ifPKiSA_SA_iPKfiiiPfSD_PS3_PT2_iSC_SC_.has_dyn_sized_stack, or(0, .L__assert_fail.has_dyn_sized_stack)
	.set _Z39paged_attention_ll4mi_QKV_mfma16_kernelI14__hip_bfloat16hLN4vllm18Fp8KVCacheDataTypeE1ES0_Li16ELi128ELi256ELb0ELi11EEvPKT_PKT0_S8_ifPKiSA_SA_iPKfiiiPfSD_PS3_PT2_iSC_SC_.has_recursion, or(0, .L__assert_fail.has_recursion)
	.set _Z39paged_attention_ll4mi_QKV_mfma16_kernelI14__hip_bfloat16hLN4vllm18Fp8KVCacheDataTypeE1ES0_Li16ELi128ELi256ELb0ELi11EEvPKT_PKT0_S8_ifPKiSA_SA_iPKfiiiPfSD_PS3_PT2_iSC_SC_.has_indirect_call, or(0, .L__assert_fail.has_indirect_call)
	.section	.AMDGPU.csdata,"",@progbits
; Kernel info:
; codeLenInByte = 68
; TotalNumSgprs: 36
; NumVgprs: 51
; ScratchSize: 64
; MemoryBound: 0
; FloatMode: 240
; IeeeMode: 1
; LDSByteSize: 0 bytes/workgroup (compile time only)
; SGPRBlocks: 0
; VGPRBlocks: 3
; NumSGPRsForWavesPerEU: 36
; NumVGPRsForWavesPerEU: 51
; NamedBarCnt: 0
; Occupancy: 16
; WaveLimiterHint : 1
; COMPUTE_PGM_RSRC2:SCRATCH_EN: 1
; COMPUTE_PGM_RSRC2:USER_SGPR: 2
; COMPUTE_PGM_RSRC2:TRAP_HANDLER: 0
; COMPUTE_PGM_RSRC2:TGID_X_EN: 1
; COMPUTE_PGM_RSRC2:TGID_Y_EN: 0
; COMPUTE_PGM_RSRC2:TGID_Z_EN: 0
; COMPUTE_PGM_RSRC2:TIDIG_COMP_CNT: 0
	.section	.text._Z39paged_attention_ll4mi_QKV_mfma16_kernelI14__hip_bfloat16hLN4vllm18Fp8KVCacheDataTypeE1ES0_Li16ELi128ELi256ELb0ELi12EEvPKT_PKT0_S8_ifPKiSA_SA_iPKfiiiPfSD_PS3_PT2_iSC_SC_,"axG",@progbits,_Z39paged_attention_ll4mi_QKV_mfma16_kernelI14__hip_bfloat16hLN4vllm18Fp8KVCacheDataTypeE1ES0_Li16ELi128ELi256ELb0ELi12EEvPKT_PKT0_S8_ifPKiSA_SA_iPKfiiiPfSD_PS3_PT2_iSC_SC_,comdat
	.protected	_Z39paged_attention_ll4mi_QKV_mfma16_kernelI14__hip_bfloat16hLN4vllm18Fp8KVCacheDataTypeE1ES0_Li16ELi128ELi256ELb0ELi12EEvPKT_PKT0_S8_ifPKiSA_SA_iPKfiiiPfSD_PS3_PT2_iSC_SC_ ; -- Begin function _Z39paged_attention_ll4mi_QKV_mfma16_kernelI14__hip_bfloat16hLN4vllm18Fp8KVCacheDataTypeE1ES0_Li16ELi128ELi256ELb0ELi12EEvPKT_PKT0_S8_ifPKiSA_SA_iPKfiiiPfSD_PS3_PT2_iSC_SC_
	.globl	_Z39paged_attention_ll4mi_QKV_mfma16_kernelI14__hip_bfloat16hLN4vllm18Fp8KVCacheDataTypeE1ES0_Li16ELi128ELi256ELb0ELi12EEvPKT_PKT0_S8_ifPKiSA_SA_iPKfiiiPfSD_PS3_PT2_iSC_SC_
	.p2align	8
	.type	_Z39paged_attention_ll4mi_QKV_mfma16_kernelI14__hip_bfloat16hLN4vllm18Fp8KVCacheDataTypeE1ES0_Li16ELi128ELi256ELb0ELi12EEvPKT_PKT0_S8_ifPKiSA_SA_iPKfiiiPfSD_PS3_PT2_iSC_SC_,@function
_Z39paged_attention_ll4mi_QKV_mfma16_kernelI14__hip_bfloat16hLN4vllm18Fp8KVCacheDataTypeE1ES0_Li16ELi128ELi256ELb0ELi12EEvPKT_PKT0_S8_ifPKiSA_SA_iPKfiiiPfSD_PS3_PT2_iSC_SC_: ; @_Z39paged_attention_ll4mi_QKV_mfma16_kernelI14__hip_bfloat16hLN4vllm18Fp8KVCacheDataTypeE1ES0_Li16ELi128ELi256ELb0ELi12EEvPKT_PKT0_S8_ifPKiSA_SA_iPKfiiiPfSD_PS3_PT2_iSC_SC_
; %bb.0:
	s_get_pc_i64 s[2:3]
	s_add_nc_u64 s[2:3], s[2:3], __PRETTY_FUNCTION__._Z39paged_attention_ll4mi_QKV_mfma16_kernelI14__hip_bfloat16hLN4vllm18Fp8KVCacheDataTypeE1ES0_Li16ELi128ELi256ELb0ELi12EEvPKT_PKT0_S8_ifPKiSA_SA_iPKfiiiPfSD_PS3_PT2_iSC_SC_@rel64+4
	s_delay_alu instid0(SALU_CYCLE_1)
	v_dual_mov_b32 v0, 0xbb3 :: v_dual_mov_b32 v1, s2
	v_mov_b32_e32 v2, s3
	s_add_nc_u64 s[8:9], s[0:1], 0x90
	s_get_pc_i64 s[0:1]
	s_add_nc_u64 s[0:1], s[0:1], __assert_fail@rel64+4
	s_mov_b32 s32, 0
	s_swap_pc_i64 s[30:31], s[0:1]
	.section	.rodata,"a",@progbits
	.p2align	6, 0x0
	.amdhsa_kernel _Z39paged_attention_ll4mi_QKV_mfma16_kernelI14__hip_bfloat16hLN4vllm18Fp8KVCacheDataTypeE1ES0_Li16ELi128ELi256ELb0ELi12EEvPKT_PKT0_S8_ifPKiSA_SA_iPKfiiiPfSD_PS3_PT2_iSC_SC_
		.amdhsa_group_segment_fixed_size 0
		.amdhsa_private_segment_fixed_size 64
		.amdhsa_kernarg_size 400
		.amdhsa_user_sgpr_count 2
		.amdhsa_user_sgpr_dispatch_ptr 0
		.amdhsa_user_sgpr_queue_ptr 0
		.amdhsa_user_sgpr_kernarg_segment_ptr 1
		.amdhsa_user_sgpr_dispatch_id 0
		.amdhsa_user_sgpr_kernarg_preload_length 0
		.amdhsa_user_sgpr_kernarg_preload_offset 0
		.amdhsa_user_sgpr_private_segment_size 0
		.amdhsa_wavefront_size32 1
		.amdhsa_uses_dynamic_stack 0
		.amdhsa_enable_private_segment 1
		.amdhsa_system_sgpr_workgroup_id_x 1
		.amdhsa_system_sgpr_workgroup_id_y 0
		.amdhsa_system_sgpr_workgroup_id_z 0
		.amdhsa_system_sgpr_workgroup_info 0
		.amdhsa_system_vgpr_workitem_id 0
		.amdhsa_next_free_vgpr 51
		.amdhsa_next_free_sgpr 34
		.amdhsa_named_barrier_count 0
		.amdhsa_reserve_vcc 1
		.amdhsa_float_round_mode_32 0
		.amdhsa_float_round_mode_16_64 0
		.amdhsa_float_denorm_mode_32 3
		.amdhsa_float_denorm_mode_16_64 3
		.amdhsa_fp16_overflow 0
		.amdhsa_memory_ordered 1
		.amdhsa_forward_progress 1
		.amdhsa_inst_pref_size 1
		.amdhsa_round_robin_scheduling 0
		.amdhsa_exception_fp_ieee_invalid_op 0
		.amdhsa_exception_fp_denorm_src 0
		.amdhsa_exception_fp_ieee_div_zero 0
		.amdhsa_exception_fp_ieee_overflow 0
		.amdhsa_exception_fp_ieee_underflow 0
		.amdhsa_exception_fp_ieee_inexact 0
		.amdhsa_exception_int_div_zero 0
	.end_amdhsa_kernel
	.section	.text._Z39paged_attention_ll4mi_QKV_mfma16_kernelI14__hip_bfloat16hLN4vllm18Fp8KVCacheDataTypeE1ES0_Li16ELi128ELi256ELb0ELi12EEvPKT_PKT0_S8_ifPKiSA_SA_iPKfiiiPfSD_PS3_PT2_iSC_SC_,"axG",@progbits,_Z39paged_attention_ll4mi_QKV_mfma16_kernelI14__hip_bfloat16hLN4vllm18Fp8KVCacheDataTypeE1ES0_Li16ELi128ELi256ELb0ELi12EEvPKT_PKT0_S8_ifPKiSA_SA_iPKfiiiPfSD_PS3_PT2_iSC_SC_,comdat
.Lfunc_end1321:
	.size	_Z39paged_attention_ll4mi_QKV_mfma16_kernelI14__hip_bfloat16hLN4vllm18Fp8KVCacheDataTypeE1ES0_Li16ELi128ELi256ELb0ELi12EEvPKT_PKT0_S8_ifPKiSA_SA_iPKfiiiPfSD_PS3_PT2_iSC_SC_, .Lfunc_end1321-_Z39paged_attention_ll4mi_QKV_mfma16_kernelI14__hip_bfloat16hLN4vllm18Fp8KVCacheDataTypeE1ES0_Li16ELi128ELi256ELb0ELi12EEvPKT_PKT0_S8_ifPKiSA_SA_iPKfiiiPfSD_PS3_PT2_iSC_SC_
                                        ; -- End function
	.set _Z39paged_attention_ll4mi_QKV_mfma16_kernelI14__hip_bfloat16hLN4vllm18Fp8KVCacheDataTypeE1ES0_Li16ELi128ELi256ELb0ELi12EEvPKT_PKT0_S8_ifPKiSA_SA_iPKfiiiPfSD_PS3_PT2_iSC_SC_.num_vgpr, max(3, .L__assert_fail.num_vgpr)
	.set _Z39paged_attention_ll4mi_QKV_mfma16_kernelI14__hip_bfloat16hLN4vllm18Fp8KVCacheDataTypeE1ES0_Li16ELi128ELi256ELb0ELi12EEvPKT_PKT0_S8_ifPKiSA_SA_iPKfiiiPfSD_PS3_PT2_iSC_SC_.num_agpr, max(0, .L__assert_fail.num_agpr)
	.set _Z39paged_attention_ll4mi_QKV_mfma16_kernelI14__hip_bfloat16hLN4vllm18Fp8KVCacheDataTypeE1ES0_Li16ELi128ELi256ELb0ELi12EEvPKT_PKT0_S8_ifPKiSA_SA_iPKfiiiPfSD_PS3_PT2_iSC_SC_.numbered_sgpr, max(33, .L__assert_fail.numbered_sgpr)
	.set _Z39paged_attention_ll4mi_QKV_mfma16_kernelI14__hip_bfloat16hLN4vllm18Fp8KVCacheDataTypeE1ES0_Li16ELi128ELi256ELb0ELi12EEvPKT_PKT0_S8_ifPKiSA_SA_iPKfiiiPfSD_PS3_PT2_iSC_SC_.num_named_barrier, max(0, .L__assert_fail.num_named_barrier)
	.set _Z39paged_attention_ll4mi_QKV_mfma16_kernelI14__hip_bfloat16hLN4vllm18Fp8KVCacheDataTypeE1ES0_Li16ELi128ELi256ELb0ELi12EEvPKT_PKT0_S8_ifPKiSA_SA_iPKfiiiPfSD_PS3_PT2_iSC_SC_.private_seg_size, 0+max(.L__assert_fail.private_seg_size)
	.set _Z39paged_attention_ll4mi_QKV_mfma16_kernelI14__hip_bfloat16hLN4vllm18Fp8KVCacheDataTypeE1ES0_Li16ELi128ELi256ELb0ELi12EEvPKT_PKT0_S8_ifPKiSA_SA_iPKfiiiPfSD_PS3_PT2_iSC_SC_.uses_vcc, or(1, .L__assert_fail.uses_vcc)
	.set _Z39paged_attention_ll4mi_QKV_mfma16_kernelI14__hip_bfloat16hLN4vllm18Fp8KVCacheDataTypeE1ES0_Li16ELi128ELi256ELb0ELi12EEvPKT_PKT0_S8_ifPKiSA_SA_iPKfiiiPfSD_PS3_PT2_iSC_SC_.uses_flat_scratch, or(0, .L__assert_fail.uses_flat_scratch)
	.set _Z39paged_attention_ll4mi_QKV_mfma16_kernelI14__hip_bfloat16hLN4vllm18Fp8KVCacheDataTypeE1ES0_Li16ELi128ELi256ELb0ELi12EEvPKT_PKT0_S8_ifPKiSA_SA_iPKfiiiPfSD_PS3_PT2_iSC_SC_.has_dyn_sized_stack, or(0, .L__assert_fail.has_dyn_sized_stack)
	.set _Z39paged_attention_ll4mi_QKV_mfma16_kernelI14__hip_bfloat16hLN4vllm18Fp8KVCacheDataTypeE1ES0_Li16ELi128ELi256ELb0ELi12EEvPKT_PKT0_S8_ifPKiSA_SA_iPKfiiiPfSD_PS3_PT2_iSC_SC_.has_recursion, or(0, .L__assert_fail.has_recursion)
	.set _Z39paged_attention_ll4mi_QKV_mfma16_kernelI14__hip_bfloat16hLN4vllm18Fp8KVCacheDataTypeE1ES0_Li16ELi128ELi256ELb0ELi12EEvPKT_PKT0_S8_ifPKiSA_SA_iPKfiiiPfSD_PS3_PT2_iSC_SC_.has_indirect_call, or(0, .L__assert_fail.has_indirect_call)
	.section	.AMDGPU.csdata,"",@progbits
; Kernel info:
; codeLenInByte = 68
; TotalNumSgprs: 36
; NumVgprs: 51
; ScratchSize: 64
; MemoryBound: 0
; FloatMode: 240
; IeeeMode: 1
; LDSByteSize: 0 bytes/workgroup (compile time only)
; SGPRBlocks: 0
; VGPRBlocks: 3
; NumSGPRsForWavesPerEU: 36
; NumVGPRsForWavesPerEU: 51
; NamedBarCnt: 0
; Occupancy: 16
; WaveLimiterHint : 1
; COMPUTE_PGM_RSRC2:SCRATCH_EN: 1
; COMPUTE_PGM_RSRC2:USER_SGPR: 2
; COMPUTE_PGM_RSRC2:TRAP_HANDLER: 0
; COMPUTE_PGM_RSRC2:TGID_X_EN: 1
; COMPUTE_PGM_RSRC2:TGID_Y_EN: 0
; COMPUTE_PGM_RSRC2:TGID_Z_EN: 0
; COMPUTE_PGM_RSRC2:TIDIG_COMP_CNT: 0
	.section	.text._Z39paged_attention_ll4mi_QKV_mfma16_kernelI14__hip_bfloat16hLN4vllm18Fp8KVCacheDataTypeE1ES0_Li16ELi128ELi256ELb0ELi13EEvPKT_PKT0_S8_ifPKiSA_SA_iPKfiiiPfSD_PS3_PT2_iSC_SC_,"axG",@progbits,_Z39paged_attention_ll4mi_QKV_mfma16_kernelI14__hip_bfloat16hLN4vllm18Fp8KVCacheDataTypeE1ES0_Li16ELi128ELi256ELb0ELi13EEvPKT_PKT0_S8_ifPKiSA_SA_iPKfiiiPfSD_PS3_PT2_iSC_SC_,comdat
	.protected	_Z39paged_attention_ll4mi_QKV_mfma16_kernelI14__hip_bfloat16hLN4vllm18Fp8KVCacheDataTypeE1ES0_Li16ELi128ELi256ELb0ELi13EEvPKT_PKT0_S8_ifPKiSA_SA_iPKfiiiPfSD_PS3_PT2_iSC_SC_ ; -- Begin function _Z39paged_attention_ll4mi_QKV_mfma16_kernelI14__hip_bfloat16hLN4vllm18Fp8KVCacheDataTypeE1ES0_Li16ELi128ELi256ELb0ELi13EEvPKT_PKT0_S8_ifPKiSA_SA_iPKfiiiPfSD_PS3_PT2_iSC_SC_
	.globl	_Z39paged_attention_ll4mi_QKV_mfma16_kernelI14__hip_bfloat16hLN4vllm18Fp8KVCacheDataTypeE1ES0_Li16ELi128ELi256ELb0ELi13EEvPKT_PKT0_S8_ifPKiSA_SA_iPKfiiiPfSD_PS3_PT2_iSC_SC_
	.p2align	8
	.type	_Z39paged_attention_ll4mi_QKV_mfma16_kernelI14__hip_bfloat16hLN4vllm18Fp8KVCacheDataTypeE1ES0_Li16ELi128ELi256ELb0ELi13EEvPKT_PKT0_S8_ifPKiSA_SA_iPKfiiiPfSD_PS3_PT2_iSC_SC_,@function
_Z39paged_attention_ll4mi_QKV_mfma16_kernelI14__hip_bfloat16hLN4vllm18Fp8KVCacheDataTypeE1ES0_Li16ELi128ELi256ELb0ELi13EEvPKT_PKT0_S8_ifPKiSA_SA_iPKfiiiPfSD_PS3_PT2_iSC_SC_: ; @_Z39paged_attention_ll4mi_QKV_mfma16_kernelI14__hip_bfloat16hLN4vllm18Fp8KVCacheDataTypeE1ES0_Li16ELi128ELi256ELb0ELi13EEvPKT_PKT0_S8_ifPKiSA_SA_iPKfiiiPfSD_PS3_PT2_iSC_SC_
; %bb.0:
	s_get_pc_i64 s[2:3]
	s_add_nc_u64 s[2:3], s[2:3], __PRETTY_FUNCTION__._Z39paged_attention_ll4mi_QKV_mfma16_kernelI14__hip_bfloat16hLN4vllm18Fp8KVCacheDataTypeE1ES0_Li16ELi128ELi256ELb0ELi13EEvPKT_PKT0_S8_ifPKiSA_SA_iPKfiiiPfSD_PS3_PT2_iSC_SC_@rel64+4
	s_delay_alu instid0(SALU_CYCLE_1)
	v_dual_mov_b32 v0, 0xbb3 :: v_dual_mov_b32 v1, s2
	v_mov_b32_e32 v2, s3
	s_add_nc_u64 s[8:9], s[0:1], 0x90
	s_get_pc_i64 s[0:1]
	s_add_nc_u64 s[0:1], s[0:1], __assert_fail@rel64+4
	s_mov_b32 s32, 0
	s_swap_pc_i64 s[30:31], s[0:1]
	.section	.rodata,"a",@progbits
	.p2align	6, 0x0
	.amdhsa_kernel _Z39paged_attention_ll4mi_QKV_mfma16_kernelI14__hip_bfloat16hLN4vllm18Fp8KVCacheDataTypeE1ES0_Li16ELi128ELi256ELb0ELi13EEvPKT_PKT0_S8_ifPKiSA_SA_iPKfiiiPfSD_PS3_PT2_iSC_SC_
		.amdhsa_group_segment_fixed_size 0
		.amdhsa_private_segment_fixed_size 64
		.amdhsa_kernarg_size 400
		.amdhsa_user_sgpr_count 2
		.amdhsa_user_sgpr_dispatch_ptr 0
		.amdhsa_user_sgpr_queue_ptr 0
		.amdhsa_user_sgpr_kernarg_segment_ptr 1
		.amdhsa_user_sgpr_dispatch_id 0
		.amdhsa_user_sgpr_kernarg_preload_length 0
		.amdhsa_user_sgpr_kernarg_preload_offset 0
		.amdhsa_user_sgpr_private_segment_size 0
		.amdhsa_wavefront_size32 1
		.amdhsa_uses_dynamic_stack 0
		.amdhsa_enable_private_segment 1
		.amdhsa_system_sgpr_workgroup_id_x 1
		.amdhsa_system_sgpr_workgroup_id_y 0
		.amdhsa_system_sgpr_workgroup_id_z 0
		.amdhsa_system_sgpr_workgroup_info 0
		.amdhsa_system_vgpr_workitem_id 0
		.amdhsa_next_free_vgpr 51
		.amdhsa_next_free_sgpr 34
		.amdhsa_named_barrier_count 0
		.amdhsa_reserve_vcc 1
		.amdhsa_float_round_mode_32 0
		.amdhsa_float_round_mode_16_64 0
		.amdhsa_float_denorm_mode_32 3
		.amdhsa_float_denorm_mode_16_64 3
		.amdhsa_fp16_overflow 0
		.amdhsa_memory_ordered 1
		.amdhsa_forward_progress 1
		.amdhsa_inst_pref_size 1
		.amdhsa_round_robin_scheduling 0
		.amdhsa_exception_fp_ieee_invalid_op 0
		.amdhsa_exception_fp_denorm_src 0
		.amdhsa_exception_fp_ieee_div_zero 0
		.amdhsa_exception_fp_ieee_overflow 0
		.amdhsa_exception_fp_ieee_underflow 0
		.amdhsa_exception_fp_ieee_inexact 0
		.amdhsa_exception_int_div_zero 0
	.end_amdhsa_kernel
	.section	.text._Z39paged_attention_ll4mi_QKV_mfma16_kernelI14__hip_bfloat16hLN4vllm18Fp8KVCacheDataTypeE1ES0_Li16ELi128ELi256ELb0ELi13EEvPKT_PKT0_S8_ifPKiSA_SA_iPKfiiiPfSD_PS3_PT2_iSC_SC_,"axG",@progbits,_Z39paged_attention_ll4mi_QKV_mfma16_kernelI14__hip_bfloat16hLN4vllm18Fp8KVCacheDataTypeE1ES0_Li16ELi128ELi256ELb0ELi13EEvPKT_PKT0_S8_ifPKiSA_SA_iPKfiiiPfSD_PS3_PT2_iSC_SC_,comdat
.Lfunc_end1322:
	.size	_Z39paged_attention_ll4mi_QKV_mfma16_kernelI14__hip_bfloat16hLN4vllm18Fp8KVCacheDataTypeE1ES0_Li16ELi128ELi256ELb0ELi13EEvPKT_PKT0_S8_ifPKiSA_SA_iPKfiiiPfSD_PS3_PT2_iSC_SC_, .Lfunc_end1322-_Z39paged_attention_ll4mi_QKV_mfma16_kernelI14__hip_bfloat16hLN4vllm18Fp8KVCacheDataTypeE1ES0_Li16ELi128ELi256ELb0ELi13EEvPKT_PKT0_S8_ifPKiSA_SA_iPKfiiiPfSD_PS3_PT2_iSC_SC_
                                        ; -- End function
	.set _Z39paged_attention_ll4mi_QKV_mfma16_kernelI14__hip_bfloat16hLN4vllm18Fp8KVCacheDataTypeE1ES0_Li16ELi128ELi256ELb0ELi13EEvPKT_PKT0_S8_ifPKiSA_SA_iPKfiiiPfSD_PS3_PT2_iSC_SC_.num_vgpr, max(3, .L__assert_fail.num_vgpr)
	.set _Z39paged_attention_ll4mi_QKV_mfma16_kernelI14__hip_bfloat16hLN4vllm18Fp8KVCacheDataTypeE1ES0_Li16ELi128ELi256ELb0ELi13EEvPKT_PKT0_S8_ifPKiSA_SA_iPKfiiiPfSD_PS3_PT2_iSC_SC_.num_agpr, max(0, .L__assert_fail.num_agpr)
	.set _Z39paged_attention_ll4mi_QKV_mfma16_kernelI14__hip_bfloat16hLN4vllm18Fp8KVCacheDataTypeE1ES0_Li16ELi128ELi256ELb0ELi13EEvPKT_PKT0_S8_ifPKiSA_SA_iPKfiiiPfSD_PS3_PT2_iSC_SC_.numbered_sgpr, max(33, .L__assert_fail.numbered_sgpr)
	.set _Z39paged_attention_ll4mi_QKV_mfma16_kernelI14__hip_bfloat16hLN4vllm18Fp8KVCacheDataTypeE1ES0_Li16ELi128ELi256ELb0ELi13EEvPKT_PKT0_S8_ifPKiSA_SA_iPKfiiiPfSD_PS3_PT2_iSC_SC_.num_named_barrier, max(0, .L__assert_fail.num_named_barrier)
	.set _Z39paged_attention_ll4mi_QKV_mfma16_kernelI14__hip_bfloat16hLN4vllm18Fp8KVCacheDataTypeE1ES0_Li16ELi128ELi256ELb0ELi13EEvPKT_PKT0_S8_ifPKiSA_SA_iPKfiiiPfSD_PS3_PT2_iSC_SC_.private_seg_size, 0+max(.L__assert_fail.private_seg_size)
	.set _Z39paged_attention_ll4mi_QKV_mfma16_kernelI14__hip_bfloat16hLN4vllm18Fp8KVCacheDataTypeE1ES0_Li16ELi128ELi256ELb0ELi13EEvPKT_PKT0_S8_ifPKiSA_SA_iPKfiiiPfSD_PS3_PT2_iSC_SC_.uses_vcc, or(1, .L__assert_fail.uses_vcc)
	.set _Z39paged_attention_ll4mi_QKV_mfma16_kernelI14__hip_bfloat16hLN4vllm18Fp8KVCacheDataTypeE1ES0_Li16ELi128ELi256ELb0ELi13EEvPKT_PKT0_S8_ifPKiSA_SA_iPKfiiiPfSD_PS3_PT2_iSC_SC_.uses_flat_scratch, or(0, .L__assert_fail.uses_flat_scratch)
	.set _Z39paged_attention_ll4mi_QKV_mfma16_kernelI14__hip_bfloat16hLN4vllm18Fp8KVCacheDataTypeE1ES0_Li16ELi128ELi256ELb0ELi13EEvPKT_PKT0_S8_ifPKiSA_SA_iPKfiiiPfSD_PS3_PT2_iSC_SC_.has_dyn_sized_stack, or(0, .L__assert_fail.has_dyn_sized_stack)
	.set _Z39paged_attention_ll4mi_QKV_mfma16_kernelI14__hip_bfloat16hLN4vllm18Fp8KVCacheDataTypeE1ES0_Li16ELi128ELi256ELb0ELi13EEvPKT_PKT0_S8_ifPKiSA_SA_iPKfiiiPfSD_PS3_PT2_iSC_SC_.has_recursion, or(0, .L__assert_fail.has_recursion)
	.set _Z39paged_attention_ll4mi_QKV_mfma16_kernelI14__hip_bfloat16hLN4vllm18Fp8KVCacheDataTypeE1ES0_Li16ELi128ELi256ELb0ELi13EEvPKT_PKT0_S8_ifPKiSA_SA_iPKfiiiPfSD_PS3_PT2_iSC_SC_.has_indirect_call, or(0, .L__assert_fail.has_indirect_call)
	.section	.AMDGPU.csdata,"",@progbits
; Kernel info:
; codeLenInByte = 68
; TotalNumSgprs: 36
; NumVgprs: 51
; ScratchSize: 64
; MemoryBound: 0
; FloatMode: 240
; IeeeMode: 1
; LDSByteSize: 0 bytes/workgroup (compile time only)
; SGPRBlocks: 0
; VGPRBlocks: 3
; NumSGPRsForWavesPerEU: 36
; NumVGPRsForWavesPerEU: 51
; NamedBarCnt: 0
; Occupancy: 16
; WaveLimiterHint : 1
; COMPUTE_PGM_RSRC2:SCRATCH_EN: 1
; COMPUTE_PGM_RSRC2:USER_SGPR: 2
; COMPUTE_PGM_RSRC2:TRAP_HANDLER: 0
; COMPUTE_PGM_RSRC2:TGID_X_EN: 1
; COMPUTE_PGM_RSRC2:TGID_Y_EN: 0
; COMPUTE_PGM_RSRC2:TGID_Z_EN: 0
; COMPUTE_PGM_RSRC2:TIDIG_COMP_CNT: 0
	.section	.text._Z39paged_attention_ll4mi_QKV_mfma16_kernelI14__hip_bfloat16hLN4vllm18Fp8KVCacheDataTypeE1ES0_Li16ELi128ELi256ELb0ELi14EEvPKT_PKT0_S8_ifPKiSA_SA_iPKfiiiPfSD_PS3_PT2_iSC_SC_,"axG",@progbits,_Z39paged_attention_ll4mi_QKV_mfma16_kernelI14__hip_bfloat16hLN4vllm18Fp8KVCacheDataTypeE1ES0_Li16ELi128ELi256ELb0ELi14EEvPKT_PKT0_S8_ifPKiSA_SA_iPKfiiiPfSD_PS3_PT2_iSC_SC_,comdat
	.protected	_Z39paged_attention_ll4mi_QKV_mfma16_kernelI14__hip_bfloat16hLN4vllm18Fp8KVCacheDataTypeE1ES0_Li16ELi128ELi256ELb0ELi14EEvPKT_PKT0_S8_ifPKiSA_SA_iPKfiiiPfSD_PS3_PT2_iSC_SC_ ; -- Begin function _Z39paged_attention_ll4mi_QKV_mfma16_kernelI14__hip_bfloat16hLN4vllm18Fp8KVCacheDataTypeE1ES0_Li16ELi128ELi256ELb0ELi14EEvPKT_PKT0_S8_ifPKiSA_SA_iPKfiiiPfSD_PS3_PT2_iSC_SC_
	.globl	_Z39paged_attention_ll4mi_QKV_mfma16_kernelI14__hip_bfloat16hLN4vllm18Fp8KVCacheDataTypeE1ES0_Li16ELi128ELi256ELb0ELi14EEvPKT_PKT0_S8_ifPKiSA_SA_iPKfiiiPfSD_PS3_PT2_iSC_SC_
	.p2align	8
	.type	_Z39paged_attention_ll4mi_QKV_mfma16_kernelI14__hip_bfloat16hLN4vllm18Fp8KVCacheDataTypeE1ES0_Li16ELi128ELi256ELb0ELi14EEvPKT_PKT0_S8_ifPKiSA_SA_iPKfiiiPfSD_PS3_PT2_iSC_SC_,@function
_Z39paged_attention_ll4mi_QKV_mfma16_kernelI14__hip_bfloat16hLN4vllm18Fp8KVCacheDataTypeE1ES0_Li16ELi128ELi256ELb0ELi14EEvPKT_PKT0_S8_ifPKiSA_SA_iPKfiiiPfSD_PS3_PT2_iSC_SC_: ; @_Z39paged_attention_ll4mi_QKV_mfma16_kernelI14__hip_bfloat16hLN4vllm18Fp8KVCacheDataTypeE1ES0_Li16ELi128ELi256ELb0ELi14EEvPKT_PKT0_S8_ifPKiSA_SA_iPKfiiiPfSD_PS3_PT2_iSC_SC_
; %bb.0:
	s_get_pc_i64 s[2:3]
	s_add_nc_u64 s[2:3], s[2:3], __PRETTY_FUNCTION__._Z39paged_attention_ll4mi_QKV_mfma16_kernelI14__hip_bfloat16hLN4vllm18Fp8KVCacheDataTypeE1ES0_Li16ELi128ELi256ELb0ELi14EEvPKT_PKT0_S8_ifPKiSA_SA_iPKfiiiPfSD_PS3_PT2_iSC_SC_@rel64+4
	s_delay_alu instid0(SALU_CYCLE_1)
	v_dual_mov_b32 v0, 0xbb3 :: v_dual_mov_b32 v1, s2
	v_mov_b32_e32 v2, s3
	s_add_nc_u64 s[8:9], s[0:1], 0x90
	s_get_pc_i64 s[0:1]
	s_add_nc_u64 s[0:1], s[0:1], __assert_fail@rel64+4
	s_mov_b32 s32, 0
	s_swap_pc_i64 s[30:31], s[0:1]
	.section	.rodata,"a",@progbits
	.p2align	6, 0x0
	.amdhsa_kernel _Z39paged_attention_ll4mi_QKV_mfma16_kernelI14__hip_bfloat16hLN4vllm18Fp8KVCacheDataTypeE1ES0_Li16ELi128ELi256ELb0ELi14EEvPKT_PKT0_S8_ifPKiSA_SA_iPKfiiiPfSD_PS3_PT2_iSC_SC_
		.amdhsa_group_segment_fixed_size 0
		.amdhsa_private_segment_fixed_size 64
		.amdhsa_kernarg_size 400
		.amdhsa_user_sgpr_count 2
		.amdhsa_user_sgpr_dispatch_ptr 0
		.amdhsa_user_sgpr_queue_ptr 0
		.amdhsa_user_sgpr_kernarg_segment_ptr 1
		.amdhsa_user_sgpr_dispatch_id 0
		.amdhsa_user_sgpr_kernarg_preload_length 0
		.amdhsa_user_sgpr_kernarg_preload_offset 0
		.amdhsa_user_sgpr_private_segment_size 0
		.amdhsa_wavefront_size32 1
		.amdhsa_uses_dynamic_stack 0
		.amdhsa_enable_private_segment 1
		.amdhsa_system_sgpr_workgroup_id_x 1
		.amdhsa_system_sgpr_workgroup_id_y 0
		.amdhsa_system_sgpr_workgroup_id_z 0
		.amdhsa_system_sgpr_workgroup_info 0
		.amdhsa_system_vgpr_workitem_id 0
		.amdhsa_next_free_vgpr 51
		.amdhsa_next_free_sgpr 34
		.amdhsa_named_barrier_count 0
		.amdhsa_reserve_vcc 1
		.amdhsa_float_round_mode_32 0
		.amdhsa_float_round_mode_16_64 0
		.amdhsa_float_denorm_mode_32 3
		.amdhsa_float_denorm_mode_16_64 3
		.amdhsa_fp16_overflow 0
		.amdhsa_memory_ordered 1
		.amdhsa_forward_progress 1
		.amdhsa_inst_pref_size 1
		.amdhsa_round_robin_scheduling 0
		.amdhsa_exception_fp_ieee_invalid_op 0
		.amdhsa_exception_fp_denorm_src 0
		.amdhsa_exception_fp_ieee_div_zero 0
		.amdhsa_exception_fp_ieee_overflow 0
		.amdhsa_exception_fp_ieee_underflow 0
		.amdhsa_exception_fp_ieee_inexact 0
		.amdhsa_exception_int_div_zero 0
	.end_amdhsa_kernel
	.section	.text._Z39paged_attention_ll4mi_QKV_mfma16_kernelI14__hip_bfloat16hLN4vllm18Fp8KVCacheDataTypeE1ES0_Li16ELi128ELi256ELb0ELi14EEvPKT_PKT0_S8_ifPKiSA_SA_iPKfiiiPfSD_PS3_PT2_iSC_SC_,"axG",@progbits,_Z39paged_attention_ll4mi_QKV_mfma16_kernelI14__hip_bfloat16hLN4vllm18Fp8KVCacheDataTypeE1ES0_Li16ELi128ELi256ELb0ELi14EEvPKT_PKT0_S8_ifPKiSA_SA_iPKfiiiPfSD_PS3_PT2_iSC_SC_,comdat
.Lfunc_end1323:
	.size	_Z39paged_attention_ll4mi_QKV_mfma16_kernelI14__hip_bfloat16hLN4vllm18Fp8KVCacheDataTypeE1ES0_Li16ELi128ELi256ELb0ELi14EEvPKT_PKT0_S8_ifPKiSA_SA_iPKfiiiPfSD_PS3_PT2_iSC_SC_, .Lfunc_end1323-_Z39paged_attention_ll4mi_QKV_mfma16_kernelI14__hip_bfloat16hLN4vllm18Fp8KVCacheDataTypeE1ES0_Li16ELi128ELi256ELb0ELi14EEvPKT_PKT0_S8_ifPKiSA_SA_iPKfiiiPfSD_PS3_PT2_iSC_SC_
                                        ; -- End function
	.set _Z39paged_attention_ll4mi_QKV_mfma16_kernelI14__hip_bfloat16hLN4vllm18Fp8KVCacheDataTypeE1ES0_Li16ELi128ELi256ELb0ELi14EEvPKT_PKT0_S8_ifPKiSA_SA_iPKfiiiPfSD_PS3_PT2_iSC_SC_.num_vgpr, max(3, .L__assert_fail.num_vgpr)
	.set _Z39paged_attention_ll4mi_QKV_mfma16_kernelI14__hip_bfloat16hLN4vllm18Fp8KVCacheDataTypeE1ES0_Li16ELi128ELi256ELb0ELi14EEvPKT_PKT0_S8_ifPKiSA_SA_iPKfiiiPfSD_PS3_PT2_iSC_SC_.num_agpr, max(0, .L__assert_fail.num_agpr)
	.set _Z39paged_attention_ll4mi_QKV_mfma16_kernelI14__hip_bfloat16hLN4vllm18Fp8KVCacheDataTypeE1ES0_Li16ELi128ELi256ELb0ELi14EEvPKT_PKT0_S8_ifPKiSA_SA_iPKfiiiPfSD_PS3_PT2_iSC_SC_.numbered_sgpr, max(33, .L__assert_fail.numbered_sgpr)
	.set _Z39paged_attention_ll4mi_QKV_mfma16_kernelI14__hip_bfloat16hLN4vllm18Fp8KVCacheDataTypeE1ES0_Li16ELi128ELi256ELb0ELi14EEvPKT_PKT0_S8_ifPKiSA_SA_iPKfiiiPfSD_PS3_PT2_iSC_SC_.num_named_barrier, max(0, .L__assert_fail.num_named_barrier)
	.set _Z39paged_attention_ll4mi_QKV_mfma16_kernelI14__hip_bfloat16hLN4vllm18Fp8KVCacheDataTypeE1ES0_Li16ELi128ELi256ELb0ELi14EEvPKT_PKT0_S8_ifPKiSA_SA_iPKfiiiPfSD_PS3_PT2_iSC_SC_.private_seg_size, 0+max(.L__assert_fail.private_seg_size)
	.set _Z39paged_attention_ll4mi_QKV_mfma16_kernelI14__hip_bfloat16hLN4vllm18Fp8KVCacheDataTypeE1ES0_Li16ELi128ELi256ELb0ELi14EEvPKT_PKT0_S8_ifPKiSA_SA_iPKfiiiPfSD_PS3_PT2_iSC_SC_.uses_vcc, or(1, .L__assert_fail.uses_vcc)
	.set _Z39paged_attention_ll4mi_QKV_mfma16_kernelI14__hip_bfloat16hLN4vllm18Fp8KVCacheDataTypeE1ES0_Li16ELi128ELi256ELb0ELi14EEvPKT_PKT0_S8_ifPKiSA_SA_iPKfiiiPfSD_PS3_PT2_iSC_SC_.uses_flat_scratch, or(0, .L__assert_fail.uses_flat_scratch)
	.set _Z39paged_attention_ll4mi_QKV_mfma16_kernelI14__hip_bfloat16hLN4vllm18Fp8KVCacheDataTypeE1ES0_Li16ELi128ELi256ELb0ELi14EEvPKT_PKT0_S8_ifPKiSA_SA_iPKfiiiPfSD_PS3_PT2_iSC_SC_.has_dyn_sized_stack, or(0, .L__assert_fail.has_dyn_sized_stack)
	.set _Z39paged_attention_ll4mi_QKV_mfma16_kernelI14__hip_bfloat16hLN4vllm18Fp8KVCacheDataTypeE1ES0_Li16ELi128ELi256ELb0ELi14EEvPKT_PKT0_S8_ifPKiSA_SA_iPKfiiiPfSD_PS3_PT2_iSC_SC_.has_recursion, or(0, .L__assert_fail.has_recursion)
	.set _Z39paged_attention_ll4mi_QKV_mfma16_kernelI14__hip_bfloat16hLN4vllm18Fp8KVCacheDataTypeE1ES0_Li16ELi128ELi256ELb0ELi14EEvPKT_PKT0_S8_ifPKiSA_SA_iPKfiiiPfSD_PS3_PT2_iSC_SC_.has_indirect_call, or(0, .L__assert_fail.has_indirect_call)
	.section	.AMDGPU.csdata,"",@progbits
; Kernel info:
; codeLenInByte = 68
; TotalNumSgprs: 36
; NumVgprs: 51
; ScratchSize: 64
; MemoryBound: 0
; FloatMode: 240
; IeeeMode: 1
; LDSByteSize: 0 bytes/workgroup (compile time only)
; SGPRBlocks: 0
; VGPRBlocks: 3
; NumSGPRsForWavesPerEU: 36
; NumVGPRsForWavesPerEU: 51
; NamedBarCnt: 0
; Occupancy: 16
; WaveLimiterHint : 1
; COMPUTE_PGM_RSRC2:SCRATCH_EN: 1
; COMPUTE_PGM_RSRC2:USER_SGPR: 2
; COMPUTE_PGM_RSRC2:TRAP_HANDLER: 0
; COMPUTE_PGM_RSRC2:TGID_X_EN: 1
; COMPUTE_PGM_RSRC2:TGID_Y_EN: 0
; COMPUTE_PGM_RSRC2:TGID_Z_EN: 0
; COMPUTE_PGM_RSRC2:TIDIG_COMP_CNT: 0
	.section	.text._Z39paged_attention_ll4mi_QKV_mfma16_kernelI14__hip_bfloat16hLN4vllm18Fp8KVCacheDataTypeE1ES0_Li16ELi128ELi256ELb0ELi15EEvPKT_PKT0_S8_ifPKiSA_SA_iPKfiiiPfSD_PS3_PT2_iSC_SC_,"axG",@progbits,_Z39paged_attention_ll4mi_QKV_mfma16_kernelI14__hip_bfloat16hLN4vllm18Fp8KVCacheDataTypeE1ES0_Li16ELi128ELi256ELb0ELi15EEvPKT_PKT0_S8_ifPKiSA_SA_iPKfiiiPfSD_PS3_PT2_iSC_SC_,comdat
	.protected	_Z39paged_attention_ll4mi_QKV_mfma16_kernelI14__hip_bfloat16hLN4vllm18Fp8KVCacheDataTypeE1ES0_Li16ELi128ELi256ELb0ELi15EEvPKT_PKT0_S8_ifPKiSA_SA_iPKfiiiPfSD_PS3_PT2_iSC_SC_ ; -- Begin function _Z39paged_attention_ll4mi_QKV_mfma16_kernelI14__hip_bfloat16hLN4vllm18Fp8KVCacheDataTypeE1ES0_Li16ELi128ELi256ELb0ELi15EEvPKT_PKT0_S8_ifPKiSA_SA_iPKfiiiPfSD_PS3_PT2_iSC_SC_
	.globl	_Z39paged_attention_ll4mi_QKV_mfma16_kernelI14__hip_bfloat16hLN4vllm18Fp8KVCacheDataTypeE1ES0_Li16ELi128ELi256ELb0ELi15EEvPKT_PKT0_S8_ifPKiSA_SA_iPKfiiiPfSD_PS3_PT2_iSC_SC_
	.p2align	8
	.type	_Z39paged_attention_ll4mi_QKV_mfma16_kernelI14__hip_bfloat16hLN4vllm18Fp8KVCacheDataTypeE1ES0_Li16ELi128ELi256ELb0ELi15EEvPKT_PKT0_S8_ifPKiSA_SA_iPKfiiiPfSD_PS3_PT2_iSC_SC_,@function
_Z39paged_attention_ll4mi_QKV_mfma16_kernelI14__hip_bfloat16hLN4vllm18Fp8KVCacheDataTypeE1ES0_Li16ELi128ELi256ELb0ELi15EEvPKT_PKT0_S8_ifPKiSA_SA_iPKfiiiPfSD_PS3_PT2_iSC_SC_: ; @_Z39paged_attention_ll4mi_QKV_mfma16_kernelI14__hip_bfloat16hLN4vllm18Fp8KVCacheDataTypeE1ES0_Li16ELi128ELi256ELb0ELi15EEvPKT_PKT0_S8_ifPKiSA_SA_iPKfiiiPfSD_PS3_PT2_iSC_SC_
; %bb.0:
	s_get_pc_i64 s[2:3]
	s_add_nc_u64 s[2:3], s[2:3], __PRETTY_FUNCTION__._Z39paged_attention_ll4mi_QKV_mfma16_kernelI14__hip_bfloat16hLN4vllm18Fp8KVCacheDataTypeE1ES0_Li16ELi128ELi256ELb0ELi15EEvPKT_PKT0_S8_ifPKiSA_SA_iPKfiiiPfSD_PS3_PT2_iSC_SC_@rel64+4
	s_delay_alu instid0(SALU_CYCLE_1)
	v_dual_mov_b32 v0, 0xbb3 :: v_dual_mov_b32 v1, s2
	v_mov_b32_e32 v2, s3
	s_add_nc_u64 s[8:9], s[0:1], 0x90
	s_get_pc_i64 s[0:1]
	s_add_nc_u64 s[0:1], s[0:1], __assert_fail@rel64+4
	s_mov_b32 s32, 0
	s_swap_pc_i64 s[30:31], s[0:1]
	.section	.rodata,"a",@progbits
	.p2align	6, 0x0
	.amdhsa_kernel _Z39paged_attention_ll4mi_QKV_mfma16_kernelI14__hip_bfloat16hLN4vllm18Fp8KVCacheDataTypeE1ES0_Li16ELi128ELi256ELb0ELi15EEvPKT_PKT0_S8_ifPKiSA_SA_iPKfiiiPfSD_PS3_PT2_iSC_SC_
		.amdhsa_group_segment_fixed_size 0
		.amdhsa_private_segment_fixed_size 64
		.amdhsa_kernarg_size 400
		.amdhsa_user_sgpr_count 2
		.amdhsa_user_sgpr_dispatch_ptr 0
		.amdhsa_user_sgpr_queue_ptr 0
		.amdhsa_user_sgpr_kernarg_segment_ptr 1
		.amdhsa_user_sgpr_dispatch_id 0
		.amdhsa_user_sgpr_kernarg_preload_length 0
		.amdhsa_user_sgpr_kernarg_preload_offset 0
		.amdhsa_user_sgpr_private_segment_size 0
		.amdhsa_wavefront_size32 1
		.amdhsa_uses_dynamic_stack 0
		.amdhsa_enable_private_segment 1
		.amdhsa_system_sgpr_workgroup_id_x 1
		.amdhsa_system_sgpr_workgroup_id_y 0
		.amdhsa_system_sgpr_workgroup_id_z 0
		.amdhsa_system_sgpr_workgroup_info 0
		.amdhsa_system_vgpr_workitem_id 0
		.amdhsa_next_free_vgpr 51
		.amdhsa_next_free_sgpr 34
		.amdhsa_named_barrier_count 0
		.amdhsa_reserve_vcc 1
		.amdhsa_float_round_mode_32 0
		.amdhsa_float_round_mode_16_64 0
		.amdhsa_float_denorm_mode_32 3
		.amdhsa_float_denorm_mode_16_64 3
		.amdhsa_fp16_overflow 0
		.amdhsa_memory_ordered 1
		.amdhsa_forward_progress 1
		.amdhsa_inst_pref_size 1
		.amdhsa_round_robin_scheduling 0
		.amdhsa_exception_fp_ieee_invalid_op 0
		.amdhsa_exception_fp_denorm_src 0
		.amdhsa_exception_fp_ieee_div_zero 0
		.amdhsa_exception_fp_ieee_overflow 0
		.amdhsa_exception_fp_ieee_underflow 0
		.amdhsa_exception_fp_ieee_inexact 0
		.amdhsa_exception_int_div_zero 0
	.end_amdhsa_kernel
	.section	.text._Z39paged_attention_ll4mi_QKV_mfma16_kernelI14__hip_bfloat16hLN4vllm18Fp8KVCacheDataTypeE1ES0_Li16ELi128ELi256ELb0ELi15EEvPKT_PKT0_S8_ifPKiSA_SA_iPKfiiiPfSD_PS3_PT2_iSC_SC_,"axG",@progbits,_Z39paged_attention_ll4mi_QKV_mfma16_kernelI14__hip_bfloat16hLN4vllm18Fp8KVCacheDataTypeE1ES0_Li16ELi128ELi256ELb0ELi15EEvPKT_PKT0_S8_ifPKiSA_SA_iPKfiiiPfSD_PS3_PT2_iSC_SC_,comdat
.Lfunc_end1324:
	.size	_Z39paged_attention_ll4mi_QKV_mfma16_kernelI14__hip_bfloat16hLN4vllm18Fp8KVCacheDataTypeE1ES0_Li16ELi128ELi256ELb0ELi15EEvPKT_PKT0_S8_ifPKiSA_SA_iPKfiiiPfSD_PS3_PT2_iSC_SC_, .Lfunc_end1324-_Z39paged_attention_ll4mi_QKV_mfma16_kernelI14__hip_bfloat16hLN4vllm18Fp8KVCacheDataTypeE1ES0_Li16ELi128ELi256ELb0ELi15EEvPKT_PKT0_S8_ifPKiSA_SA_iPKfiiiPfSD_PS3_PT2_iSC_SC_
                                        ; -- End function
	.set _Z39paged_attention_ll4mi_QKV_mfma16_kernelI14__hip_bfloat16hLN4vllm18Fp8KVCacheDataTypeE1ES0_Li16ELi128ELi256ELb0ELi15EEvPKT_PKT0_S8_ifPKiSA_SA_iPKfiiiPfSD_PS3_PT2_iSC_SC_.num_vgpr, max(3, .L__assert_fail.num_vgpr)
	.set _Z39paged_attention_ll4mi_QKV_mfma16_kernelI14__hip_bfloat16hLN4vllm18Fp8KVCacheDataTypeE1ES0_Li16ELi128ELi256ELb0ELi15EEvPKT_PKT0_S8_ifPKiSA_SA_iPKfiiiPfSD_PS3_PT2_iSC_SC_.num_agpr, max(0, .L__assert_fail.num_agpr)
	.set _Z39paged_attention_ll4mi_QKV_mfma16_kernelI14__hip_bfloat16hLN4vllm18Fp8KVCacheDataTypeE1ES0_Li16ELi128ELi256ELb0ELi15EEvPKT_PKT0_S8_ifPKiSA_SA_iPKfiiiPfSD_PS3_PT2_iSC_SC_.numbered_sgpr, max(33, .L__assert_fail.numbered_sgpr)
	.set _Z39paged_attention_ll4mi_QKV_mfma16_kernelI14__hip_bfloat16hLN4vllm18Fp8KVCacheDataTypeE1ES0_Li16ELi128ELi256ELb0ELi15EEvPKT_PKT0_S8_ifPKiSA_SA_iPKfiiiPfSD_PS3_PT2_iSC_SC_.num_named_barrier, max(0, .L__assert_fail.num_named_barrier)
	.set _Z39paged_attention_ll4mi_QKV_mfma16_kernelI14__hip_bfloat16hLN4vllm18Fp8KVCacheDataTypeE1ES0_Li16ELi128ELi256ELb0ELi15EEvPKT_PKT0_S8_ifPKiSA_SA_iPKfiiiPfSD_PS3_PT2_iSC_SC_.private_seg_size, 0+max(.L__assert_fail.private_seg_size)
	.set _Z39paged_attention_ll4mi_QKV_mfma16_kernelI14__hip_bfloat16hLN4vllm18Fp8KVCacheDataTypeE1ES0_Li16ELi128ELi256ELb0ELi15EEvPKT_PKT0_S8_ifPKiSA_SA_iPKfiiiPfSD_PS3_PT2_iSC_SC_.uses_vcc, or(1, .L__assert_fail.uses_vcc)
	.set _Z39paged_attention_ll4mi_QKV_mfma16_kernelI14__hip_bfloat16hLN4vllm18Fp8KVCacheDataTypeE1ES0_Li16ELi128ELi256ELb0ELi15EEvPKT_PKT0_S8_ifPKiSA_SA_iPKfiiiPfSD_PS3_PT2_iSC_SC_.uses_flat_scratch, or(0, .L__assert_fail.uses_flat_scratch)
	.set _Z39paged_attention_ll4mi_QKV_mfma16_kernelI14__hip_bfloat16hLN4vllm18Fp8KVCacheDataTypeE1ES0_Li16ELi128ELi256ELb0ELi15EEvPKT_PKT0_S8_ifPKiSA_SA_iPKfiiiPfSD_PS3_PT2_iSC_SC_.has_dyn_sized_stack, or(0, .L__assert_fail.has_dyn_sized_stack)
	.set _Z39paged_attention_ll4mi_QKV_mfma16_kernelI14__hip_bfloat16hLN4vllm18Fp8KVCacheDataTypeE1ES0_Li16ELi128ELi256ELb0ELi15EEvPKT_PKT0_S8_ifPKiSA_SA_iPKfiiiPfSD_PS3_PT2_iSC_SC_.has_recursion, or(0, .L__assert_fail.has_recursion)
	.set _Z39paged_attention_ll4mi_QKV_mfma16_kernelI14__hip_bfloat16hLN4vllm18Fp8KVCacheDataTypeE1ES0_Li16ELi128ELi256ELb0ELi15EEvPKT_PKT0_S8_ifPKiSA_SA_iPKfiiiPfSD_PS3_PT2_iSC_SC_.has_indirect_call, or(0, .L__assert_fail.has_indirect_call)
	.section	.AMDGPU.csdata,"",@progbits
; Kernel info:
; codeLenInByte = 68
; TotalNumSgprs: 36
; NumVgprs: 51
; ScratchSize: 64
; MemoryBound: 0
; FloatMode: 240
; IeeeMode: 1
; LDSByteSize: 0 bytes/workgroup (compile time only)
; SGPRBlocks: 0
; VGPRBlocks: 3
; NumSGPRsForWavesPerEU: 36
; NumVGPRsForWavesPerEU: 51
; NamedBarCnt: 0
; Occupancy: 16
; WaveLimiterHint : 1
; COMPUTE_PGM_RSRC2:SCRATCH_EN: 1
; COMPUTE_PGM_RSRC2:USER_SGPR: 2
; COMPUTE_PGM_RSRC2:TRAP_HANDLER: 0
; COMPUTE_PGM_RSRC2:TGID_X_EN: 1
; COMPUTE_PGM_RSRC2:TGID_Y_EN: 0
; COMPUTE_PGM_RSRC2:TGID_Z_EN: 0
; COMPUTE_PGM_RSRC2:TIDIG_COMP_CNT: 0
	.section	.text._Z39paged_attention_ll4mi_QKV_mfma16_kernelI14__hip_bfloat16hLN4vllm18Fp8KVCacheDataTypeE1ES0_Li16ELi128ELi256ELb0ELi16EEvPKT_PKT0_S8_ifPKiSA_SA_iPKfiiiPfSD_PS3_PT2_iSC_SC_,"axG",@progbits,_Z39paged_attention_ll4mi_QKV_mfma16_kernelI14__hip_bfloat16hLN4vllm18Fp8KVCacheDataTypeE1ES0_Li16ELi128ELi256ELb0ELi16EEvPKT_PKT0_S8_ifPKiSA_SA_iPKfiiiPfSD_PS3_PT2_iSC_SC_,comdat
	.protected	_Z39paged_attention_ll4mi_QKV_mfma16_kernelI14__hip_bfloat16hLN4vllm18Fp8KVCacheDataTypeE1ES0_Li16ELi128ELi256ELb0ELi16EEvPKT_PKT0_S8_ifPKiSA_SA_iPKfiiiPfSD_PS3_PT2_iSC_SC_ ; -- Begin function _Z39paged_attention_ll4mi_QKV_mfma16_kernelI14__hip_bfloat16hLN4vllm18Fp8KVCacheDataTypeE1ES0_Li16ELi128ELi256ELb0ELi16EEvPKT_PKT0_S8_ifPKiSA_SA_iPKfiiiPfSD_PS3_PT2_iSC_SC_
	.globl	_Z39paged_attention_ll4mi_QKV_mfma16_kernelI14__hip_bfloat16hLN4vllm18Fp8KVCacheDataTypeE1ES0_Li16ELi128ELi256ELb0ELi16EEvPKT_PKT0_S8_ifPKiSA_SA_iPKfiiiPfSD_PS3_PT2_iSC_SC_
	.p2align	8
	.type	_Z39paged_attention_ll4mi_QKV_mfma16_kernelI14__hip_bfloat16hLN4vllm18Fp8KVCacheDataTypeE1ES0_Li16ELi128ELi256ELb0ELi16EEvPKT_PKT0_S8_ifPKiSA_SA_iPKfiiiPfSD_PS3_PT2_iSC_SC_,@function
_Z39paged_attention_ll4mi_QKV_mfma16_kernelI14__hip_bfloat16hLN4vllm18Fp8KVCacheDataTypeE1ES0_Li16ELi128ELi256ELb0ELi16EEvPKT_PKT0_S8_ifPKiSA_SA_iPKfiiiPfSD_PS3_PT2_iSC_SC_: ; @_Z39paged_attention_ll4mi_QKV_mfma16_kernelI14__hip_bfloat16hLN4vllm18Fp8KVCacheDataTypeE1ES0_Li16ELi128ELi256ELb0ELi16EEvPKT_PKT0_S8_ifPKiSA_SA_iPKfiiiPfSD_PS3_PT2_iSC_SC_
; %bb.0:
	s_get_pc_i64 s[2:3]
	s_add_nc_u64 s[2:3], s[2:3], __PRETTY_FUNCTION__._Z39paged_attention_ll4mi_QKV_mfma16_kernelI14__hip_bfloat16hLN4vllm18Fp8KVCacheDataTypeE1ES0_Li16ELi128ELi256ELb0ELi16EEvPKT_PKT0_S8_ifPKiSA_SA_iPKfiiiPfSD_PS3_PT2_iSC_SC_@rel64+4
	s_delay_alu instid0(SALU_CYCLE_1)
	v_dual_mov_b32 v0, 0xbb3 :: v_dual_mov_b32 v1, s2
	v_mov_b32_e32 v2, s3
	s_add_nc_u64 s[8:9], s[0:1], 0x90
	s_get_pc_i64 s[0:1]
	s_add_nc_u64 s[0:1], s[0:1], __assert_fail@rel64+4
	s_mov_b32 s32, 0
	s_swap_pc_i64 s[30:31], s[0:1]
	.section	.rodata,"a",@progbits
	.p2align	6, 0x0
	.amdhsa_kernel _Z39paged_attention_ll4mi_QKV_mfma16_kernelI14__hip_bfloat16hLN4vllm18Fp8KVCacheDataTypeE1ES0_Li16ELi128ELi256ELb0ELi16EEvPKT_PKT0_S8_ifPKiSA_SA_iPKfiiiPfSD_PS3_PT2_iSC_SC_
		.amdhsa_group_segment_fixed_size 0
		.amdhsa_private_segment_fixed_size 64
		.amdhsa_kernarg_size 400
		.amdhsa_user_sgpr_count 2
		.amdhsa_user_sgpr_dispatch_ptr 0
		.amdhsa_user_sgpr_queue_ptr 0
		.amdhsa_user_sgpr_kernarg_segment_ptr 1
		.amdhsa_user_sgpr_dispatch_id 0
		.amdhsa_user_sgpr_kernarg_preload_length 0
		.amdhsa_user_sgpr_kernarg_preload_offset 0
		.amdhsa_user_sgpr_private_segment_size 0
		.amdhsa_wavefront_size32 1
		.amdhsa_uses_dynamic_stack 0
		.amdhsa_enable_private_segment 1
		.amdhsa_system_sgpr_workgroup_id_x 1
		.amdhsa_system_sgpr_workgroup_id_y 0
		.amdhsa_system_sgpr_workgroup_id_z 0
		.amdhsa_system_sgpr_workgroup_info 0
		.amdhsa_system_vgpr_workitem_id 0
		.amdhsa_next_free_vgpr 51
		.amdhsa_next_free_sgpr 34
		.amdhsa_named_barrier_count 0
		.amdhsa_reserve_vcc 1
		.amdhsa_float_round_mode_32 0
		.amdhsa_float_round_mode_16_64 0
		.amdhsa_float_denorm_mode_32 3
		.amdhsa_float_denorm_mode_16_64 3
		.amdhsa_fp16_overflow 0
		.amdhsa_memory_ordered 1
		.amdhsa_forward_progress 1
		.amdhsa_inst_pref_size 1
		.amdhsa_round_robin_scheduling 0
		.amdhsa_exception_fp_ieee_invalid_op 0
		.amdhsa_exception_fp_denorm_src 0
		.amdhsa_exception_fp_ieee_div_zero 0
		.amdhsa_exception_fp_ieee_overflow 0
		.amdhsa_exception_fp_ieee_underflow 0
		.amdhsa_exception_fp_ieee_inexact 0
		.amdhsa_exception_int_div_zero 0
	.end_amdhsa_kernel
	.section	.text._Z39paged_attention_ll4mi_QKV_mfma16_kernelI14__hip_bfloat16hLN4vllm18Fp8KVCacheDataTypeE1ES0_Li16ELi128ELi256ELb0ELi16EEvPKT_PKT0_S8_ifPKiSA_SA_iPKfiiiPfSD_PS3_PT2_iSC_SC_,"axG",@progbits,_Z39paged_attention_ll4mi_QKV_mfma16_kernelI14__hip_bfloat16hLN4vllm18Fp8KVCacheDataTypeE1ES0_Li16ELi128ELi256ELb0ELi16EEvPKT_PKT0_S8_ifPKiSA_SA_iPKfiiiPfSD_PS3_PT2_iSC_SC_,comdat
.Lfunc_end1325:
	.size	_Z39paged_attention_ll4mi_QKV_mfma16_kernelI14__hip_bfloat16hLN4vllm18Fp8KVCacheDataTypeE1ES0_Li16ELi128ELi256ELb0ELi16EEvPKT_PKT0_S8_ifPKiSA_SA_iPKfiiiPfSD_PS3_PT2_iSC_SC_, .Lfunc_end1325-_Z39paged_attention_ll4mi_QKV_mfma16_kernelI14__hip_bfloat16hLN4vllm18Fp8KVCacheDataTypeE1ES0_Li16ELi128ELi256ELb0ELi16EEvPKT_PKT0_S8_ifPKiSA_SA_iPKfiiiPfSD_PS3_PT2_iSC_SC_
                                        ; -- End function
	.set _Z39paged_attention_ll4mi_QKV_mfma16_kernelI14__hip_bfloat16hLN4vllm18Fp8KVCacheDataTypeE1ES0_Li16ELi128ELi256ELb0ELi16EEvPKT_PKT0_S8_ifPKiSA_SA_iPKfiiiPfSD_PS3_PT2_iSC_SC_.num_vgpr, max(3, .L__assert_fail.num_vgpr)
	.set _Z39paged_attention_ll4mi_QKV_mfma16_kernelI14__hip_bfloat16hLN4vllm18Fp8KVCacheDataTypeE1ES0_Li16ELi128ELi256ELb0ELi16EEvPKT_PKT0_S8_ifPKiSA_SA_iPKfiiiPfSD_PS3_PT2_iSC_SC_.num_agpr, max(0, .L__assert_fail.num_agpr)
	.set _Z39paged_attention_ll4mi_QKV_mfma16_kernelI14__hip_bfloat16hLN4vllm18Fp8KVCacheDataTypeE1ES0_Li16ELi128ELi256ELb0ELi16EEvPKT_PKT0_S8_ifPKiSA_SA_iPKfiiiPfSD_PS3_PT2_iSC_SC_.numbered_sgpr, max(33, .L__assert_fail.numbered_sgpr)
	.set _Z39paged_attention_ll4mi_QKV_mfma16_kernelI14__hip_bfloat16hLN4vllm18Fp8KVCacheDataTypeE1ES0_Li16ELi128ELi256ELb0ELi16EEvPKT_PKT0_S8_ifPKiSA_SA_iPKfiiiPfSD_PS3_PT2_iSC_SC_.num_named_barrier, max(0, .L__assert_fail.num_named_barrier)
	.set _Z39paged_attention_ll4mi_QKV_mfma16_kernelI14__hip_bfloat16hLN4vllm18Fp8KVCacheDataTypeE1ES0_Li16ELi128ELi256ELb0ELi16EEvPKT_PKT0_S8_ifPKiSA_SA_iPKfiiiPfSD_PS3_PT2_iSC_SC_.private_seg_size, 0+max(.L__assert_fail.private_seg_size)
	.set _Z39paged_attention_ll4mi_QKV_mfma16_kernelI14__hip_bfloat16hLN4vllm18Fp8KVCacheDataTypeE1ES0_Li16ELi128ELi256ELb0ELi16EEvPKT_PKT0_S8_ifPKiSA_SA_iPKfiiiPfSD_PS3_PT2_iSC_SC_.uses_vcc, or(1, .L__assert_fail.uses_vcc)
	.set _Z39paged_attention_ll4mi_QKV_mfma16_kernelI14__hip_bfloat16hLN4vllm18Fp8KVCacheDataTypeE1ES0_Li16ELi128ELi256ELb0ELi16EEvPKT_PKT0_S8_ifPKiSA_SA_iPKfiiiPfSD_PS3_PT2_iSC_SC_.uses_flat_scratch, or(0, .L__assert_fail.uses_flat_scratch)
	.set _Z39paged_attention_ll4mi_QKV_mfma16_kernelI14__hip_bfloat16hLN4vllm18Fp8KVCacheDataTypeE1ES0_Li16ELi128ELi256ELb0ELi16EEvPKT_PKT0_S8_ifPKiSA_SA_iPKfiiiPfSD_PS3_PT2_iSC_SC_.has_dyn_sized_stack, or(0, .L__assert_fail.has_dyn_sized_stack)
	.set _Z39paged_attention_ll4mi_QKV_mfma16_kernelI14__hip_bfloat16hLN4vllm18Fp8KVCacheDataTypeE1ES0_Li16ELi128ELi256ELb0ELi16EEvPKT_PKT0_S8_ifPKiSA_SA_iPKfiiiPfSD_PS3_PT2_iSC_SC_.has_recursion, or(0, .L__assert_fail.has_recursion)
	.set _Z39paged_attention_ll4mi_QKV_mfma16_kernelI14__hip_bfloat16hLN4vllm18Fp8KVCacheDataTypeE1ES0_Li16ELi128ELi256ELb0ELi16EEvPKT_PKT0_S8_ifPKiSA_SA_iPKfiiiPfSD_PS3_PT2_iSC_SC_.has_indirect_call, or(0, .L__assert_fail.has_indirect_call)
	.section	.AMDGPU.csdata,"",@progbits
; Kernel info:
; codeLenInByte = 68
; TotalNumSgprs: 36
; NumVgprs: 51
; ScratchSize: 64
; MemoryBound: 0
; FloatMode: 240
; IeeeMode: 1
; LDSByteSize: 0 bytes/workgroup (compile time only)
; SGPRBlocks: 0
; VGPRBlocks: 3
; NumSGPRsForWavesPerEU: 36
; NumVGPRsForWavesPerEU: 51
; NamedBarCnt: 0
; Occupancy: 16
; WaveLimiterHint : 1
; COMPUTE_PGM_RSRC2:SCRATCH_EN: 1
; COMPUTE_PGM_RSRC2:USER_SGPR: 2
; COMPUTE_PGM_RSRC2:TRAP_HANDLER: 0
; COMPUTE_PGM_RSRC2:TGID_X_EN: 1
; COMPUTE_PGM_RSRC2:TGID_Y_EN: 0
; COMPUTE_PGM_RSRC2:TGID_Z_EN: 0
; COMPUTE_PGM_RSRC2:TIDIG_COMP_CNT: 0
	.section	.text._Z39paged_attention_ll4mi_QKV_mfma16_kernelI14__hip_bfloat16hLN4vllm18Fp8KVCacheDataTypeE1ES0_Li16ELi128ELi256ELb0ELi1EEvPKT_PKT0_S8_ifPKiSA_SA_iPKfiiiPfSD_PS3_PT2_iSC_SC_,"axG",@progbits,_Z39paged_attention_ll4mi_QKV_mfma16_kernelI14__hip_bfloat16hLN4vllm18Fp8KVCacheDataTypeE1ES0_Li16ELi128ELi256ELb0ELi1EEvPKT_PKT0_S8_ifPKiSA_SA_iPKfiiiPfSD_PS3_PT2_iSC_SC_,comdat
	.protected	_Z39paged_attention_ll4mi_QKV_mfma16_kernelI14__hip_bfloat16hLN4vllm18Fp8KVCacheDataTypeE1ES0_Li16ELi128ELi256ELb0ELi1EEvPKT_PKT0_S8_ifPKiSA_SA_iPKfiiiPfSD_PS3_PT2_iSC_SC_ ; -- Begin function _Z39paged_attention_ll4mi_QKV_mfma16_kernelI14__hip_bfloat16hLN4vllm18Fp8KVCacheDataTypeE1ES0_Li16ELi128ELi256ELb0ELi1EEvPKT_PKT0_S8_ifPKiSA_SA_iPKfiiiPfSD_PS3_PT2_iSC_SC_
	.globl	_Z39paged_attention_ll4mi_QKV_mfma16_kernelI14__hip_bfloat16hLN4vllm18Fp8KVCacheDataTypeE1ES0_Li16ELi128ELi256ELb0ELi1EEvPKT_PKT0_S8_ifPKiSA_SA_iPKfiiiPfSD_PS3_PT2_iSC_SC_
	.p2align	8
	.type	_Z39paged_attention_ll4mi_QKV_mfma16_kernelI14__hip_bfloat16hLN4vllm18Fp8KVCacheDataTypeE1ES0_Li16ELi128ELi256ELb0ELi1EEvPKT_PKT0_S8_ifPKiSA_SA_iPKfiiiPfSD_PS3_PT2_iSC_SC_,@function
_Z39paged_attention_ll4mi_QKV_mfma16_kernelI14__hip_bfloat16hLN4vllm18Fp8KVCacheDataTypeE1ES0_Li16ELi128ELi256ELb0ELi1EEvPKT_PKT0_S8_ifPKiSA_SA_iPKfiiiPfSD_PS3_PT2_iSC_SC_: ; @_Z39paged_attention_ll4mi_QKV_mfma16_kernelI14__hip_bfloat16hLN4vllm18Fp8KVCacheDataTypeE1ES0_Li16ELi128ELi256ELb0ELi1EEvPKT_PKT0_S8_ifPKiSA_SA_iPKfiiiPfSD_PS3_PT2_iSC_SC_
; %bb.0:
	s_get_pc_i64 s[2:3]
	s_add_nc_u64 s[2:3], s[2:3], __PRETTY_FUNCTION__._Z39paged_attention_ll4mi_QKV_mfma16_kernelI14__hip_bfloat16hLN4vllm18Fp8KVCacheDataTypeE1ES0_Li16ELi128ELi256ELb0ELi1EEvPKT_PKT0_S8_ifPKiSA_SA_iPKfiiiPfSD_PS3_PT2_iSC_SC_@rel64+4
	s_delay_alu instid0(SALU_CYCLE_1)
	v_dual_mov_b32 v0, 0xbb3 :: v_dual_mov_b32 v1, s2
	v_mov_b32_e32 v2, s3
	s_add_nc_u64 s[8:9], s[0:1], 0x90
	s_get_pc_i64 s[0:1]
	s_add_nc_u64 s[0:1], s[0:1], __assert_fail@rel64+4
	s_mov_b32 s32, 0
	s_swap_pc_i64 s[30:31], s[0:1]
	.section	.rodata,"a",@progbits
	.p2align	6, 0x0
	.amdhsa_kernel _Z39paged_attention_ll4mi_QKV_mfma16_kernelI14__hip_bfloat16hLN4vllm18Fp8KVCacheDataTypeE1ES0_Li16ELi128ELi256ELb0ELi1EEvPKT_PKT0_S8_ifPKiSA_SA_iPKfiiiPfSD_PS3_PT2_iSC_SC_
		.amdhsa_group_segment_fixed_size 0
		.amdhsa_private_segment_fixed_size 64
		.amdhsa_kernarg_size 400
		.amdhsa_user_sgpr_count 2
		.amdhsa_user_sgpr_dispatch_ptr 0
		.amdhsa_user_sgpr_queue_ptr 0
		.amdhsa_user_sgpr_kernarg_segment_ptr 1
		.amdhsa_user_sgpr_dispatch_id 0
		.amdhsa_user_sgpr_kernarg_preload_length 0
		.amdhsa_user_sgpr_kernarg_preload_offset 0
		.amdhsa_user_sgpr_private_segment_size 0
		.amdhsa_wavefront_size32 1
		.amdhsa_uses_dynamic_stack 0
		.amdhsa_enable_private_segment 1
		.amdhsa_system_sgpr_workgroup_id_x 1
		.amdhsa_system_sgpr_workgroup_id_y 0
		.amdhsa_system_sgpr_workgroup_id_z 0
		.amdhsa_system_sgpr_workgroup_info 0
		.amdhsa_system_vgpr_workitem_id 0
		.amdhsa_next_free_vgpr 51
		.amdhsa_next_free_sgpr 34
		.amdhsa_named_barrier_count 0
		.amdhsa_reserve_vcc 1
		.amdhsa_float_round_mode_32 0
		.amdhsa_float_round_mode_16_64 0
		.amdhsa_float_denorm_mode_32 3
		.amdhsa_float_denorm_mode_16_64 3
		.amdhsa_fp16_overflow 0
		.amdhsa_memory_ordered 1
		.amdhsa_forward_progress 1
		.amdhsa_inst_pref_size 1
		.amdhsa_round_robin_scheduling 0
		.amdhsa_exception_fp_ieee_invalid_op 0
		.amdhsa_exception_fp_denorm_src 0
		.amdhsa_exception_fp_ieee_div_zero 0
		.amdhsa_exception_fp_ieee_overflow 0
		.amdhsa_exception_fp_ieee_underflow 0
		.amdhsa_exception_fp_ieee_inexact 0
		.amdhsa_exception_int_div_zero 0
	.end_amdhsa_kernel
	.section	.text._Z39paged_attention_ll4mi_QKV_mfma16_kernelI14__hip_bfloat16hLN4vllm18Fp8KVCacheDataTypeE1ES0_Li16ELi128ELi256ELb0ELi1EEvPKT_PKT0_S8_ifPKiSA_SA_iPKfiiiPfSD_PS3_PT2_iSC_SC_,"axG",@progbits,_Z39paged_attention_ll4mi_QKV_mfma16_kernelI14__hip_bfloat16hLN4vllm18Fp8KVCacheDataTypeE1ES0_Li16ELi128ELi256ELb0ELi1EEvPKT_PKT0_S8_ifPKiSA_SA_iPKfiiiPfSD_PS3_PT2_iSC_SC_,comdat
.Lfunc_end1326:
	.size	_Z39paged_attention_ll4mi_QKV_mfma16_kernelI14__hip_bfloat16hLN4vllm18Fp8KVCacheDataTypeE1ES0_Li16ELi128ELi256ELb0ELi1EEvPKT_PKT0_S8_ifPKiSA_SA_iPKfiiiPfSD_PS3_PT2_iSC_SC_, .Lfunc_end1326-_Z39paged_attention_ll4mi_QKV_mfma16_kernelI14__hip_bfloat16hLN4vllm18Fp8KVCacheDataTypeE1ES0_Li16ELi128ELi256ELb0ELi1EEvPKT_PKT0_S8_ifPKiSA_SA_iPKfiiiPfSD_PS3_PT2_iSC_SC_
                                        ; -- End function
	.set _Z39paged_attention_ll4mi_QKV_mfma16_kernelI14__hip_bfloat16hLN4vllm18Fp8KVCacheDataTypeE1ES0_Li16ELi128ELi256ELb0ELi1EEvPKT_PKT0_S8_ifPKiSA_SA_iPKfiiiPfSD_PS3_PT2_iSC_SC_.num_vgpr, max(3, .L__assert_fail.num_vgpr)
	.set _Z39paged_attention_ll4mi_QKV_mfma16_kernelI14__hip_bfloat16hLN4vllm18Fp8KVCacheDataTypeE1ES0_Li16ELi128ELi256ELb0ELi1EEvPKT_PKT0_S8_ifPKiSA_SA_iPKfiiiPfSD_PS3_PT2_iSC_SC_.num_agpr, max(0, .L__assert_fail.num_agpr)
	.set _Z39paged_attention_ll4mi_QKV_mfma16_kernelI14__hip_bfloat16hLN4vllm18Fp8KVCacheDataTypeE1ES0_Li16ELi128ELi256ELb0ELi1EEvPKT_PKT0_S8_ifPKiSA_SA_iPKfiiiPfSD_PS3_PT2_iSC_SC_.numbered_sgpr, max(33, .L__assert_fail.numbered_sgpr)
	.set _Z39paged_attention_ll4mi_QKV_mfma16_kernelI14__hip_bfloat16hLN4vllm18Fp8KVCacheDataTypeE1ES0_Li16ELi128ELi256ELb0ELi1EEvPKT_PKT0_S8_ifPKiSA_SA_iPKfiiiPfSD_PS3_PT2_iSC_SC_.num_named_barrier, max(0, .L__assert_fail.num_named_barrier)
	.set _Z39paged_attention_ll4mi_QKV_mfma16_kernelI14__hip_bfloat16hLN4vllm18Fp8KVCacheDataTypeE1ES0_Li16ELi128ELi256ELb0ELi1EEvPKT_PKT0_S8_ifPKiSA_SA_iPKfiiiPfSD_PS3_PT2_iSC_SC_.private_seg_size, 0+max(.L__assert_fail.private_seg_size)
	.set _Z39paged_attention_ll4mi_QKV_mfma16_kernelI14__hip_bfloat16hLN4vllm18Fp8KVCacheDataTypeE1ES0_Li16ELi128ELi256ELb0ELi1EEvPKT_PKT0_S8_ifPKiSA_SA_iPKfiiiPfSD_PS3_PT2_iSC_SC_.uses_vcc, or(1, .L__assert_fail.uses_vcc)
	.set _Z39paged_attention_ll4mi_QKV_mfma16_kernelI14__hip_bfloat16hLN4vllm18Fp8KVCacheDataTypeE1ES0_Li16ELi128ELi256ELb0ELi1EEvPKT_PKT0_S8_ifPKiSA_SA_iPKfiiiPfSD_PS3_PT2_iSC_SC_.uses_flat_scratch, or(0, .L__assert_fail.uses_flat_scratch)
	.set _Z39paged_attention_ll4mi_QKV_mfma16_kernelI14__hip_bfloat16hLN4vllm18Fp8KVCacheDataTypeE1ES0_Li16ELi128ELi256ELb0ELi1EEvPKT_PKT0_S8_ifPKiSA_SA_iPKfiiiPfSD_PS3_PT2_iSC_SC_.has_dyn_sized_stack, or(0, .L__assert_fail.has_dyn_sized_stack)
	.set _Z39paged_attention_ll4mi_QKV_mfma16_kernelI14__hip_bfloat16hLN4vllm18Fp8KVCacheDataTypeE1ES0_Li16ELi128ELi256ELb0ELi1EEvPKT_PKT0_S8_ifPKiSA_SA_iPKfiiiPfSD_PS3_PT2_iSC_SC_.has_recursion, or(0, .L__assert_fail.has_recursion)
	.set _Z39paged_attention_ll4mi_QKV_mfma16_kernelI14__hip_bfloat16hLN4vllm18Fp8KVCacheDataTypeE1ES0_Li16ELi128ELi256ELb0ELi1EEvPKT_PKT0_S8_ifPKiSA_SA_iPKfiiiPfSD_PS3_PT2_iSC_SC_.has_indirect_call, or(0, .L__assert_fail.has_indirect_call)
	.section	.AMDGPU.csdata,"",@progbits
; Kernel info:
; codeLenInByte = 68
; TotalNumSgprs: 36
; NumVgprs: 51
; ScratchSize: 64
; MemoryBound: 0
; FloatMode: 240
; IeeeMode: 1
; LDSByteSize: 0 bytes/workgroup (compile time only)
; SGPRBlocks: 0
; VGPRBlocks: 3
; NumSGPRsForWavesPerEU: 36
; NumVGPRsForWavesPerEU: 51
; NamedBarCnt: 0
; Occupancy: 16
; WaveLimiterHint : 1
; COMPUTE_PGM_RSRC2:SCRATCH_EN: 1
; COMPUTE_PGM_RSRC2:USER_SGPR: 2
; COMPUTE_PGM_RSRC2:TRAP_HANDLER: 0
; COMPUTE_PGM_RSRC2:TGID_X_EN: 1
; COMPUTE_PGM_RSRC2:TGID_Y_EN: 0
; COMPUTE_PGM_RSRC2:TGID_Z_EN: 0
; COMPUTE_PGM_RSRC2:TIDIG_COMP_CNT: 0
	.section	.text._Z39paged_attention_ll4mi_QKV_mfma16_kernelI14__hip_bfloat16hLN4vllm18Fp8KVCacheDataTypeE1ES0_Li16ELi128ELi256ELb0ELi2EEvPKT_PKT0_S8_ifPKiSA_SA_iPKfiiiPfSD_PS3_PT2_iSC_SC_,"axG",@progbits,_Z39paged_attention_ll4mi_QKV_mfma16_kernelI14__hip_bfloat16hLN4vllm18Fp8KVCacheDataTypeE1ES0_Li16ELi128ELi256ELb0ELi2EEvPKT_PKT0_S8_ifPKiSA_SA_iPKfiiiPfSD_PS3_PT2_iSC_SC_,comdat
	.protected	_Z39paged_attention_ll4mi_QKV_mfma16_kernelI14__hip_bfloat16hLN4vllm18Fp8KVCacheDataTypeE1ES0_Li16ELi128ELi256ELb0ELi2EEvPKT_PKT0_S8_ifPKiSA_SA_iPKfiiiPfSD_PS3_PT2_iSC_SC_ ; -- Begin function _Z39paged_attention_ll4mi_QKV_mfma16_kernelI14__hip_bfloat16hLN4vllm18Fp8KVCacheDataTypeE1ES0_Li16ELi128ELi256ELb0ELi2EEvPKT_PKT0_S8_ifPKiSA_SA_iPKfiiiPfSD_PS3_PT2_iSC_SC_
	.globl	_Z39paged_attention_ll4mi_QKV_mfma16_kernelI14__hip_bfloat16hLN4vllm18Fp8KVCacheDataTypeE1ES0_Li16ELi128ELi256ELb0ELi2EEvPKT_PKT0_S8_ifPKiSA_SA_iPKfiiiPfSD_PS3_PT2_iSC_SC_
	.p2align	8
	.type	_Z39paged_attention_ll4mi_QKV_mfma16_kernelI14__hip_bfloat16hLN4vllm18Fp8KVCacheDataTypeE1ES0_Li16ELi128ELi256ELb0ELi2EEvPKT_PKT0_S8_ifPKiSA_SA_iPKfiiiPfSD_PS3_PT2_iSC_SC_,@function
_Z39paged_attention_ll4mi_QKV_mfma16_kernelI14__hip_bfloat16hLN4vllm18Fp8KVCacheDataTypeE1ES0_Li16ELi128ELi256ELb0ELi2EEvPKT_PKT0_S8_ifPKiSA_SA_iPKfiiiPfSD_PS3_PT2_iSC_SC_: ; @_Z39paged_attention_ll4mi_QKV_mfma16_kernelI14__hip_bfloat16hLN4vllm18Fp8KVCacheDataTypeE1ES0_Li16ELi128ELi256ELb0ELi2EEvPKT_PKT0_S8_ifPKiSA_SA_iPKfiiiPfSD_PS3_PT2_iSC_SC_
; %bb.0:
	s_get_pc_i64 s[2:3]
	s_add_nc_u64 s[2:3], s[2:3], __PRETTY_FUNCTION__._Z39paged_attention_ll4mi_QKV_mfma16_kernelI14__hip_bfloat16hLN4vllm18Fp8KVCacheDataTypeE1ES0_Li16ELi128ELi256ELb0ELi2EEvPKT_PKT0_S8_ifPKiSA_SA_iPKfiiiPfSD_PS3_PT2_iSC_SC_@rel64+4
	s_delay_alu instid0(SALU_CYCLE_1)
	v_dual_mov_b32 v0, 0xbb3 :: v_dual_mov_b32 v1, s2
	v_mov_b32_e32 v2, s3
	s_add_nc_u64 s[8:9], s[0:1], 0x90
	s_get_pc_i64 s[0:1]
	s_add_nc_u64 s[0:1], s[0:1], __assert_fail@rel64+4
	s_mov_b32 s32, 0
	s_swap_pc_i64 s[30:31], s[0:1]
	.section	.rodata,"a",@progbits
	.p2align	6, 0x0
	.amdhsa_kernel _Z39paged_attention_ll4mi_QKV_mfma16_kernelI14__hip_bfloat16hLN4vllm18Fp8KVCacheDataTypeE1ES0_Li16ELi128ELi256ELb0ELi2EEvPKT_PKT0_S8_ifPKiSA_SA_iPKfiiiPfSD_PS3_PT2_iSC_SC_
		.amdhsa_group_segment_fixed_size 0
		.amdhsa_private_segment_fixed_size 64
		.amdhsa_kernarg_size 400
		.amdhsa_user_sgpr_count 2
		.amdhsa_user_sgpr_dispatch_ptr 0
		.amdhsa_user_sgpr_queue_ptr 0
		.amdhsa_user_sgpr_kernarg_segment_ptr 1
		.amdhsa_user_sgpr_dispatch_id 0
		.amdhsa_user_sgpr_kernarg_preload_length 0
		.amdhsa_user_sgpr_kernarg_preload_offset 0
		.amdhsa_user_sgpr_private_segment_size 0
		.amdhsa_wavefront_size32 1
		.amdhsa_uses_dynamic_stack 0
		.amdhsa_enable_private_segment 1
		.amdhsa_system_sgpr_workgroup_id_x 1
		.amdhsa_system_sgpr_workgroup_id_y 0
		.amdhsa_system_sgpr_workgroup_id_z 0
		.amdhsa_system_sgpr_workgroup_info 0
		.amdhsa_system_vgpr_workitem_id 0
		.amdhsa_next_free_vgpr 51
		.amdhsa_next_free_sgpr 34
		.amdhsa_named_barrier_count 0
		.amdhsa_reserve_vcc 1
		.amdhsa_float_round_mode_32 0
		.amdhsa_float_round_mode_16_64 0
		.amdhsa_float_denorm_mode_32 3
		.amdhsa_float_denorm_mode_16_64 3
		.amdhsa_fp16_overflow 0
		.amdhsa_memory_ordered 1
		.amdhsa_forward_progress 1
		.amdhsa_inst_pref_size 1
		.amdhsa_round_robin_scheduling 0
		.amdhsa_exception_fp_ieee_invalid_op 0
		.amdhsa_exception_fp_denorm_src 0
		.amdhsa_exception_fp_ieee_div_zero 0
		.amdhsa_exception_fp_ieee_overflow 0
		.amdhsa_exception_fp_ieee_underflow 0
		.amdhsa_exception_fp_ieee_inexact 0
		.amdhsa_exception_int_div_zero 0
	.end_amdhsa_kernel
	.section	.text._Z39paged_attention_ll4mi_QKV_mfma16_kernelI14__hip_bfloat16hLN4vllm18Fp8KVCacheDataTypeE1ES0_Li16ELi128ELi256ELb0ELi2EEvPKT_PKT0_S8_ifPKiSA_SA_iPKfiiiPfSD_PS3_PT2_iSC_SC_,"axG",@progbits,_Z39paged_attention_ll4mi_QKV_mfma16_kernelI14__hip_bfloat16hLN4vllm18Fp8KVCacheDataTypeE1ES0_Li16ELi128ELi256ELb0ELi2EEvPKT_PKT0_S8_ifPKiSA_SA_iPKfiiiPfSD_PS3_PT2_iSC_SC_,comdat
.Lfunc_end1327:
	.size	_Z39paged_attention_ll4mi_QKV_mfma16_kernelI14__hip_bfloat16hLN4vllm18Fp8KVCacheDataTypeE1ES0_Li16ELi128ELi256ELb0ELi2EEvPKT_PKT0_S8_ifPKiSA_SA_iPKfiiiPfSD_PS3_PT2_iSC_SC_, .Lfunc_end1327-_Z39paged_attention_ll4mi_QKV_mfma16_kernelI14__hip_bfloat16hLN4vllm18Fp8KVCacheDataTypeE1ES0_Li16ELi128ELi256ELb0ELi2EEvPKT_PKT0_S8_ifPKiSA_SA_iPKfiiiPfSD_PS3_PT2_iSC_SC_
                                        ; -- End function
	.set _Z39paged_attention_ll4mi_QKV_mfma16_kernelI14__hip_bfloat16hLN4vllm18Fp8KVCacheDataTypeE1ES0_Li16ELi128ELi256ELb0ELi2EEvPKT_PKT0_S8_ifPKiSA_SA_iPKfiiiPfSD_PS3_PT2_iSC_SC_.num_vgpr, max(3, .L__assert_fail.num_vgpr)
	.set _Z39paged_attention_ll4mi_QKV_mfma16_kernelI14__hip_bfloat16hLN4vllm18Fp8KVCacheDataTypeE1ES0_Li16ELi128ELi256ELb0ELi2EEvPKT_PKT0_S8_ifPKiSA_SA_iPKfiiiPfSD_PS3_PT2_iSC_SC_.num_agpr, max(0, .L__assert_fail.num_agpr)
	.set _Z39paged_attention_ll4mi_QKV_mfma16_kernelI14__hip_bfloat16hLN4vllm18Fp8KVCacheDataTypeE1ES0_Li16ELi128ELi256ELb0ELi2EEvPKT_PKT0_S8_ifPKiSA_SA_iPKfiiiPfSD_PS3_PT2_iSC_SC_.numbered_sgpr, max(33, .L__assert_fail.numbered_sgpr)
	.set _Z39paged_attention_ll4mi_QKV_mfma16_kernelI14__hip_bfloat16hLN4vllm18Fp8KVCacheDataTypeE1ES0_Li16ELi128ELi256ELb0ELi2EEvPKT_PKT0_S8_ifPKiSA_SA_iPKfiiiPfSD_PS3_PT2_iSC_SC_.num_named_barrier, max(0, .L__assert_fail.num_named_barrier)
	.set _Z39paged_attention_ll4mi_QKV_mfma16_kernelI14__hip_bfloat16hLN4vllm18Fp8KVCacheDataTypeE1ES0_Li16ELi128ELi256ELb0ELi2EEvPKT_PKT0_S8_ifPKiSA_SA_iPKfiiiPfSD_PS3_PT2_iSC_SC_.private_seg_size, 0+max(.L__assert_fail.private_seg_size)
	.set _Z39paged_attention_ll4mi_QKV_mfma16_kernelI14__hip_bfloat16hLN4vllm18Fp8KVCacheDataTypeE1ES0_Li16ELi128ELi256ELb0ELi2EEvPKT_PKT0_S8_ifPKiSA_SA_iPKfiiiPfSD_PS3_PT2_iSC_SC_.uses_vcc, or(1, .L__assert_fail.uses_vcc)
	.set _Z39paged_attention_ll4mi_QKV_mfma16_kernelI14__hip_bfloat16hLN4vllm18Fp8KVCacheDataTypeE1ES0_Li16ELi128ELi256ELb0ELi2EEvPKT_PKT0_S8_ifPKiSA_SA_iPKfiiiPfSD_PS3_PT2_iSC_SC_.uses_flat_scratch, or(0, .L__assert_fail.uses_flat_scratch)
	.set _Z39paged_attention_ll4mi_QKV_mfma16_kernelI14__hip_bfloat16hLN4vllm18Fp8KVCacheDataTypeE1ES0_Li16ELi128ELi256ELb0ELi2EEvPKT_PKT0_S8_ifPKiSA_SA_iPKfiiiPfSD_PS3_PT2_iSC_SC_.has_dyn_sized_stack, or(0, .L__assert_fail.has_dyn_sized_stack)
	.set _Z39paged_attention_ll4mi_QKV_mfma16_kernelI14__hip_bfloat16hLN4vllm18Fp8KVCacheDataTypeE1ES0_Li16ELi128ELi256ELb0ELi2EEvPKT_PKT0_S8_ifPKiSA_SA_iPKfiiiPfSD_PS3_PT2_iSC_SC_.has_recursion, or(0, .L__assert_fail.has_recursion)
	.set _Z39paged_attention_ll4mi_QKV_mfma16_kernelI14__hip_bfloat16hLN4vllm18Fp8KVCacheDataTypeE1ES0_Li16ELi128ELi256ELb0ELi2EEvPKT_PKT0_S8_ifPKiSA_SA_iPKfiiiPfSD_PS3_PT2_iSC_SC_.has_indirect_call, or(0, .L__assert_fail.has_indirect_call)
	.section	.AMDGPU.csdata,"",@progbits
; Kernel info:
; codeLenInByte = 68
; TotalNumSgprs: 36
; NumVgprs: 51
; ScratchSize: 64
; MemoryBound: 0
; FloatMode: 240
; IeeeMode: 1
; LDSByteSize: 0 bytes/workgroup (compile time only)
; SGPRBlocks: 0
; VGPRBlocks: 3
; NumSGPRsForWavesPerEU: 36
; NumVGPRsForWavesPerEU: 51
; NamedBarCnt: 0
; Occupancy: 16
; WaveLimiterHint : 1
; COMPUTE_PGM_RSRC2:SCRATCH_EN: 1
; COMPUTE_PGM_RSRC2:USER_SGPR: 2
; COMPUTE_PGM_RSRC2:TRAP_HANDLER: 0
; COMPUTE_PGM_RSRC2:TGID_X_EN: 1
; COMPUTE_PGM_RSRC2:TGID_Y_EN: 0
; COMPUTE_PGM_RSRC2:TGID_Z_EN: 0
; COMPUTE_PGM_RSRC2:TIDIG_COMP_CNT: 0
	.section	.text._Z39paged_attention_ll4mi_QKV_mfma16_kernelI14__hip_bfloat16hLN4vllm18Fp8KVCacheDataTypeE1ES0_Li16ELi128ELi256ELb0ELi3EEvPKT_PKT0_S8_ifPKiSA_SA_iPKfiiiPfSD_PS3_PT2_iSC_SC_,"axG",@progbits,_Z39paged_attention_ll4mi_QKV_mfma16_kernelI14__hip_bfloat16hLN4vllm18Fp8KVCacheDataTypeE1ES0_Li16ELi128ELi256ELb0ELi3EEvPKT_PKT0_S8_ifPKiSA_SA_iPKfiiiPfSD_PS3_PT2_iSC_SC_,comdat
	.protected	_Z39paged_attention_ll4mi_QKV_mfma16_kernelI14__hip_bfloat16hLN4vllm18Fp8KVCacheDataTypeE1ES0_Li16ELi128ELi256ELb0ELi3EEvPKT_PKT0_S8_ifPKiSA_SA_iPKfiiiPfSD_PS3_PT2_iSC_SC_ ; -- Begin function _Z39paged_attention_ll4mi_QKV_mfma16_kernelI14__hip_bfloat16hLN4vllm18Fp8KVCacheDataTypeE1ES0_Li16ELi128ELi256ELb0ELi3EEvPKT_PKT0_S8_ifPKiSA_SA_iPKfiiiPfSD_PS3_PT2_iSC_SC_
	.globl	_Z39paged_attention_ll4mi_QKV_mfma16_kernelI14__hip_bfloat16hLN4vllm18Fp8KVCacheDataTypeE1ES0_Li16ELi128ELi256ELb0ELi3EEvPKT_PKT0_S8_ifPKiSA_SA_iPKfiiiPfSD_PS3_PT2_iSC_SC_
	.p2align	8
	.type	_Z39paged_attention_ll4mi_QKV_mfma16_kernelI14__hip_bfloat16hLN4vllm18Fp8KVCacheDataTypeE1ES0_Li16ELi128ELi256ELb0ELi3EEvPKT_PKT0_S8_ifPKiSA_SA_iPKfiiiPfSD_PS3_PT2_iSC_SC_,@function
_Z39paged_attention_ll4mi_QKV_mfma16_kernelI14__hip_bfloat16hLN4vllm18Fp8KVCacheDataTypeE1ES0_Li16ELi128ELi256ELb0ELi3EEvPKT_PKT0_S8_ifPKiSA_SA_iPKfiiiPfSD_PS3_PT2_iSC_SC_: ; @_Z39paged_attention_ll4mi_QKV_mfma16_kernelI14__hip_bfloat16hLN4vllm18Fp8KVCacheDataTypeE1ES0_Li16ELi128ELi256ELb0ELi3EEvPKT_PKT0_S8_ifPKiSA_SA_iPKfiiiPfSD_PS3_PT2_iSC_SC_
; %bb.0:
	s_get_pc_i64 s[2:3]
	s_add_nc_u64 s[2:3], s[2:3], __PRETTY_FUNCTION__._Z39paged_attention_ll4mi_QKV_mfma16_kernelI14__hip_bfloat16hLN4vllm18Fp8KVCacheDataTypeE1ES0_Li16ELi128ELi256ELb0ELi3EEvPKT_PKT0_S8_ifPKiSA_SA_iPKfiiiPfSD_PS3_PT2_iSC_SC_@rel64+4
	s_delay_alu instid0(SALU_CYCLE_1)
	v_dual_mov_b32 v0, 0xbb3 :: v_dual_mov_b32 v1, s2
	v_mov_b32_e32 v2, s3
	s_add_nc_u64 s[8:9], s[0:1], 0x90
	s_get_pc_i64 s[0:1]
	s_add_nc_u64 s[0:1], s[0:1], __assert_fail@rel64+4
	s_mov_b32 s32, 0
	s_swap_pc_i64 s[30:31], s[0:1]
	.section	.rodata,"a",@progbits
	.p2align	6, 0x0
	.amdhsa_kernel _Z39paged_attention_ll4mi_QKV_mfma16_kernelI14__hip_bfloat16hLN4vllm18Fp8KVCacheDataTypeE1ES0_Li16ELi128ELi256ELb0ELi3EEvPKT_PKT0_S8_ifPKiSA_SA_iPKfiiiPfSD_PS3_PT2_iSC_SC_
		.amdhsa_group_segment_fixed_size 0
		.amdhsa_private_segment_fixed_size 64
		.amdhsa_kernarg_size 400
		.amdhsa_user_sgpr_count 2
		.amdhsa_user_sgpr_dispatch_ptr 0
		.amdhsa_user_sgpr_queue_ptr 0
		.amdhsa_user_sgpr_kernarg_segment_ptr 1
		.amdhsa_user_sgpr_dispatch_id 0
		.amdhsa_user_sgpr_kernarg_preload_length 0
		.amdhsa_user_sgpr_kernarg_preload_offset 0
		.amdhsa_user_sgpr_private_segment_size 0
		.amdhsa_wavefront_size32 1
		.amdhsa_uses_dynamic_stack 0
		.amdhsa_enable_private_segment 1
		.amdhsa_system_sgpr_workgroup_id_x 1
		.amdhsa_system_sgpr_workgroup_id_y 0
		.amdhsa_system_sgpr_workgroup_id_z 0
		.amdhsa_system_sgpr_workgroup_info 0
		.amdhsa_system_vgpr_workitem_id 0
		.amdhsa_next_free_vgpr 51
		.amdhsa_next_free_sgpr 34
		.amdhsa_named_barrier_count 0
		.amdhsa_reserve_vcc 1
		.amdhsa_float_round_mode_32 0
		.amdhsa_float_round_mode_16_64 0
		.amdhsa_float_denorm_mode_32 3
		.amdhsa_float_denorm_mode_16_64 3
		.amdhsa_fp16_overflow 0
		.amdhsa_memory_ordered 1
		.amdhsa_forward_progress 1
		.amdhsa_inst_pref_size 1
		.amdhsa_round_robin_scheduling 0
		.amdhsa_exception_fp_ieee_invalid_op 0
		.amdhsa_exception_fp_denorm_src 0
		.amdhsa_exception_fp_ieee_div_zero 0
		.amdhsa_exception_fp_ieee_overflow 0
		.amdhsa_exception_fp_ieee_underflow 0
		.amdhsa_exception_fp_ieee_inexact 0
		.amdhsa_exception_int_div_zero 0
	.end_amdhsa_kernel
	.section	.text._Z39paged_attention_ll4mi_QKV_mfma16_kernelI14__hip_bfloat16hLN4vllm18Fp8KVCacheDataTypeE1ES0_Li16ELi128ELi256ELb0ELi3EEvPKT_PKT0_S8_ifPKiSA_SA_iPKfiiiPfSD_PS3_PT2_iSC_SC_,"axG",@progbits,_Z39paged_attention_ll4mi_QKV_mfma16_kernelI14__hip_bfloat16hLN4vllm18Fp8KVCacheDataTypeE1ES0_Li16ELi128ELi256ELb0ELi3EEvPKT_PKT0_S8_ifPKiSA_SA_iPKfiiiPfSD_PS3_PT2_iSC_SC_,comdat
.Lfunc_end1328:
	.size	_Z39paged_attention_ll4mi_QKV_mfma16_kernelI14__hip_bfloat16hLN4vllm18Fp8KVCacheDataTypeE1ES0_Li16ELi128ELi256ELb0ELi3EEvPKT_PKT0_S8_ifPKiSA_SA_iPKfiiiPfSD_PS3_PT2_iSC_SC_, .Lfunc_end1328-_Z39paged_attention_ll4mi_QKV_mfma16_kernelI14__hip_bfloat16hLN4vllm18Fp8KVCacheDataTypeE1ES0_Li16ELi128ELi256ELb0ELi3EEvPKT_PKT0_S8_ifPKiSA_SA_iPKfiiiPfSD_PS3_PT2_iSC_SC_
                                        ; -- End function
	.set _Z39paged_attention_ll4mi_QKV_mfma16_kernelI14__hip_bfloat16hLN4vllm18Fp8KVCacheDataTypeE1ES0_Li16ELi128ELi256ELb0ELi3EEvPKT_PKT0_S8_ifPKiSA_SA_iPKfiiiPfSD_PS3_PT2_iSC_SC_.num_vgpr, max(3, .L__assert_fail.num_vgpr)
	.set _Z39paged_attention_ll4mi_QKV_mfma16_kernelI14__hip_bfloat16hLN4vllm18Fp8KVCacheDataTypeE1ES0_Li16ELi128ELi256ELb0ELi3EEvPKT_PKT0_S8_ifPKiSA_SA_iPKfiiiPfSD_PS3_PT2_iSC_SC_.num_agpr, max(0, .L__assert_fail.num_agpr)
	.set _Z39paged_attention_ll4mi_QKV_mfma16_kernelI14__hip_bfloat16hLN4vllm18Fp8KVCacheDataTypeE1ES0_Li16ELi128ELi256ELb0ELi3EEvPKT_PKT0_S8_ifPKiSA_SA_iPKfiiiPfSD_PS3_PT2_iSC_SC_.numbered_sgpr, max(33, .L__assert_fail.numbered_sgpr)
	.set _Z39paged_attention_ll4mi_QKV_mfma16_kernelI14__hip_bfloat16hLN4vllm18Fp8KVCacheDataTypeE1ES0_Li16ELi128ELi256ELb0ELi3EEvPKT_PKT0_S8_ifPKiSA_SA_iPKfiiiPfSD_PS3_PT2_iSC_SC_.num_named_barrier, max(0, .L__assert_fail.num_named_barrier)
	.set _Z39paged_attention_ll4mi_QKV_mfma16_kernelI14__hip_bfloat16hLN4vllm18Fp8KVCacheDataTypeE1ES0_Li16ELi128ELi256ELb0ELi3EEvPKT_PKT0_S8_ifPKiSA_SA_iPKfiiiPfSD_PS3_PT2_iSC_SC_.private_seg_size, 0+max(.L__assert_fail.private_seg_size)
	.set _Z39paged_attention_ll4mi_QKV_mfma16_kernelI14__hip_bfloat16hLN4vllm18Fp8KVCacheDataTypeE1ES0_Li16ELi128ELi256ELb0ELi3EEvPKT_PKT0_S8_ifPKiSA_SA_iPKfiiiPfSD_PS3_PT2_iSC_SC_.uses_vcc, or(1, .L__assert_fail.uses_vcc)
	.set _Z39paged_attention_ll4mi_QKV_mfma16_kernelI14__hip_bfloat16hLN4vllm18Fp8KVCacheDataTypeE1ES0_Li16ELi128ELi256ELb0ELi3EEvPKT_PKT0_S8_ifPKiSA_SA_iPKfiiiPfSD_PS3_PT2_iSC_SC_.uses_flat_scratch, or(0, .L__assert_fail.uses_flat_scratch)
	.set _Z39paged_attention_ll4mi_QKV_mfma16_kernelI14__hip_bfloat16hLN4vllm18Fp8KVCacheDataTypeE1ES0_Li16ELi128ELi256ELb0ELi3EEvPKT_PKT0_S8_ifPKiSA_SA_iPKfiiiPfSD_PS3_PT2_iSC_SC_.has_dyn_sized_stack, or(0, .L__assert_fail.has_dyn_sized_stack)
	.set _Z39paged_attention_ll4mi_QKV_mfma16_kernelI14__hip_bfloat16hLN4vllm18Fp8KVCacheDataTypeE1ES0_Li16ELi128ELi256ELb0ELi3EEvPKT_PKT0_S8_ifPKiSA_SA_iPKfiiiPfSD_PS3_PT2_iSC_SC_.has_recursion, or(0, .L__assert_fail.has_recursion)
	.set _Z39paged_attention_ll4mi_QKV_mfma16_kernelI14__hip_bfloat16hLN4vllm18Fp8KVCacheDataTypeE1ES0_Li16ELi128ELi256ELb0ELi3EEvPKT_PKT0_S8_ifPKiSA_SA_iPKfiiiPfSD_PS3_PT2_iSC_SC_.has_indirect_call, or(0, .L__assert_fail.has_indirect_call)
	.section	.AMDGPU.csdata,"",@progbits
; Kernel info:
; codeLenInByte = 68
; TotalNumSgprs: 36
; NumVgprs: 51
; ScratchSize: 64
; MemoryBound: 0
; FloatMode: 240
; IeeeMode: 1
; LDSByteSize: 0 bytes/workgroup (compile time only)
; SGPRBlocks: 0
; VGPRBlocks: 3
; NumSGPRsForWavesPerEU: 36
; NumVGPRsForWavesPerEU: 51
; NamedBarCnt: 0
; Occupancy: 16
; WaveLimiterHint : 1
; COMPUTE_PGM_RSRC2:SCRATCH_EN: 1
; COMPUTE_PGM_RSRC2:USER_SGPR: 2
; COMPUTE_PGM_RSRC2:TRAP_HANDLER: 0
; COMPUTE_PGM_RSRC2:TGID_X_EN: 1
; COMPUTE_PGM_RSRC2:TGID_Y_EN: 0
; COMPUTE_PGM_RSRC2:TGID_Z_EN: 0
; COMPUTE_PGM_RSRC2:TIDIG_COMP_CNT: 0
	.section	.text._Z39paged_attention_ll4mi_QKV_mfma16_kernelI14__hip_bfloat16hLN4vllm18Fp8KVCacheDataTypeE1ES0_Li16ELi128ELi256ELb0ELi4EEvPKT_PKT0_S8_ifPKiSA_SA_iPKfiiiPfSD_PS3_PT2_iSC_SC_,"axG",@progbits,_Z39paged_attention_ll4mi_QKV_mfma16_kernelI14__hip_bfloat16hLN4vllm18Fp8KVCacheDataTypeE1ES0_Li16ELi128ELi256ELb0ELi4EEvPKT_PKT0_S8_ifPKiSA_SA_iPKfiiiPfSD_PS3_PT2_iSC_SC_,comdat
	.protected	_Z39paged_attention_ll4mi_QKV_mfma16_kernelI14__hip_bfloat16hLN4vllm18Fp8KVCacheDataTypeE1ES0_Li16ELi128ELi256ELb0ELi4EEvPKT_PKT0_S8_ifPKiSA_SA_iPKfiiiPfSD_PS3_PT2_iSC_SC_ ; -- Begin function _Z39paged_attention_ll4mi_QKV_mfma16_kernelI14__hip_bfloat16hLN4vllm18Fp8KVCacheDataTypeE1ES0_Li16ELi128ELi256ELb0ELi4EEvPKT_PKT0_S8_ifPKiSA_SA_iPKfiiiPfSD_PS3_PT2_iSC_SC_
	.globl	_Z39paged_attention_ll4mi_QKV_mfma16_kernelI14__hip_bfloat16hLN4vllm18Fp8KVCacheDataTypeE1ES0_Li16ELi128ELi256ELb0ELi4EEvPKT_PKT0_S8_ifPKiSA_SA_iPKfiiiPfSD_PS3_PT2_iSC_SC_
	.p2align	8
	.type	_Z39paged_attention_ll4mi_QKV_mfma16_kernelI14__hip_bfloat16hLN4vllm18Fp8KVCacheDataTypeE1ES0_Li16ELi128ELi256ELb0ELi4EEvPKT_PKT0_S8_ifPKiSA_SA_iPKfiiiPfSD_PS3_PT2_iSC_SC_,@function
_Z39paged_attention_ll4mi_QKV_mfma16_kernelI14__hip_bfloat16hLN4vllm18Fp8KVCacheDataTypeE1ES0_Li16ELi128ELi256ELb0ELi4EEvPKT_PKT0_S8_ifPKiSA_SA_iPKfiiiPfSD_PS3_PT2_iSC_SC_: ; @_Z39paged_attention_ll4mi_QKV_mfma16_kernelI14__hip_bfloat16hLN4vllm18Fp8KVCacheDataTypeE1ES0_Li16ELi128ELi256ELb0ELi4EEvPKT_PKT0_S8_ifPKiSA_SA_iPKfiiiPfSD_PS3_PT2_iSC_SC_
; %bb.0:
	s_get_pc_i64 s[2:3]
	s_add_nc_u64 s[2:3], s[2:3], __PRETTY_FUNCTION__._Z39paged_attention_ll4mi_QKV_mfma16_kernelI14__hip_bfloat16hLN4vllm18Fp8KVCacheDataTypeE1ES0_Li16ELi128ELi256ELb0ELi4EEvPKT_PKT0_S8_ifPKiSA_SA_iPKfiiiPfSD_PS3_PT2_iSC_SC_@rel64+4
	s_delay_alu instid0(SALU_CYCLE_1)
	v_dual_mov_b32 v0, 0xbb3 :: v_dual_mov_b32 v1, s2
	v_mov_b32_e32 v2, s3
	s_add_nc_u64 s[8:9], s[0:1], 0x90
	s_get_pc_i64 s[0:1]
	s_add_nc_u64 s[0:1], s[0:1], __assert_fail@rel64+4
	s_mov_b32 s32, 0
	s_swap_pc_i64 s[30:31], s[0:1]
	.section	.rodata,"a",@progbits
	.p2align	6, 0x0
	.amdhsa_kernel _Z39paged_attention_ll4mi_QKV_mfma16_kernelI14__hip_bfloat16hLN4vllm18Fp8KVCacheDataTypeE1ES0_Li16ELi128ELi256ELb0ELi4EEvPKT_PKT0_S8_ifPKiSA_SA_iPKfiiiPfSD_PS3_PT2_iSC_SC_
		.amdhsa_group_segment_fixed_size 0
		.amdhsa_private_segment_fixed_size 64
		.amdhsa_kernarg_size 400
		.amdhsa_user_sgpr_count 2
		.amdhsa_user_sgpr_dispatch_ptr 0
		.amdhsa_user_sgpr_queue_ptr 0
		.amdhsa_user_sgpr_kernarg_segment_ptr 1
		.amdhsa_user_sgpr_dispatch_id 0
		.amdhsa_user_sgpr_kernarg_preload_length 0
		.amdhsa_user_sgpr_kernarg_preload_offset 0
		.amdhsa_user_sgpr_private_segment_size 0
		.amdhsa_wavefront_size32 1
		.amdhsa_uses_dynamic_stack 0
		.amdhsa_enable_private_segment 1
		.amdhsa_system_sgpr_workgroup_id_x 1
		.amdhsa_system_sgpr_workgroup_id_y 0
		.amdhsa_system_sgpr_workgroup_id_z 0
		.amdhsa_system_sgpr_workgroup_info 0
		.amdhsa_system_vgpr_workitem_id 0
		.amdhsa_next_free_vgpr 51
		.amdhsa_next_free_sgpr 34
		.amdhsa_named_barrier_count 0
		.amdhsa_reserve_vcc 1
		.amdhsa_float_round_mode_32 0
		.amdhsa_float_round_mode_16_64 0
		.amdhsa_float_denorm_mode_32 3
		.amdhsa_float_denorm_mode_16_64 3
		.amdhsa_fp16_overflow 0
		.amdhsa_memory_ordered 1
		.amdhsa_forward_progress 1
		.amdhsa_inst_pref_size 1
		.amdhsa_round_robin_scheduling 0
		.amdhsa_exception_fp_ieee_invalid_op 0
		.amdhsa_exception_fp_denorm_src 0
		.amdhsa_exception_fp_ieee_div_zero 0
		.amdhsa_exception_fp_ieee_overflow 0
		.amdhsa_exception_fp_ieee_underflow 0
		.amdhsa_exception_fp_ieee_inexact 0
		.amdhsa_exception_int_div_zero 0
	.end_amdhsa_kernel
	.section	.text._Z39paged_attention_ll4mi_QKV_mfma16_kernelI14__hip_bfloat16hLN4vllm18Fp8KVCacheDataTypeE1ES0_Li16ELi128ELi256ELb0ELi4EEvPKT_PKT0_S8_ifPKiSA_SA_iPKfiiiPfSD_PS3_PT2_iSC_SC_,"axG",@progbits,_Z39paged_attention_ll4mi_QKV_mfma16_kernelI14__hip_bfloat16hLN4vllm18Fp8KVCacheDataTypeE1ES0_Li16ELi128ELi256ELb0ELi4EEvPKT_PKT0_S8_ifPKiSA_SA_iPKfiiiPfSD_PS3_PT2_iSC_SC_,comdat
.Lfunc_end1329:
	.size	_Z39paged_attention_ll4mi_QKV_mfma16_kernelI14__hip_bfloat16hLN4vllm18Fp8KVCacheDataTypeE1ES0_Li16ELi128ELi256ELb0ELi4EEvPKT_PKT0_S8_ifPKiSA_SA_iPKfiiiPfSD_PS3_PT2_iSC_SC_, .Lfunc_end1329-_Z39paged_attention_ll4mi_QKV_mfma16_kernelI14__hip_bfloat16hLN4vllm18Fp8KVCacheDataTypeE1ES0_Li16ELi128ELi256ELb0ELi4EEvPKT_PKT0_S8_ifPKiSA_SA_iPKfiiiPfSD_PS3_PT2_iSC_SC_
                                        ; -- End function
	.set _Z39paged_attention_ll4mi_QKV_mfma16_kernelI14__hip_bfloat16hLN4vllm18Fp8KVCacheDataTypeE1ES0_Li16ELi128ELi256ELb0ELi4EEvPKT_PKT0_S8_ifPKiSA_SA_iPKfiiiPfSD_PS3_PT2_iSC_SC_.num_vgpr, max(3, .L__assert_fail.num_vgpr)
	.set _Z39paged_attention_ll4mi_QKV_mfma16_kernelI14__hip_bfloat16hLN4vllm18Fp8KVCacheDataTypeE1ES0_Li16ELi128ELi256ELb0ELi4EEvPKT_PKT0_S8_ifPKiSA_SA_iPKfiiiPfSD_PS3_PT2_iSC_SC_.num_agpr, max(0, .L__assert_fail.num_agpr)
	.set _Z39paged_attention_ll4mi_QKV_mfma16_kernelI14__hip_bfloat16hLN4vllm18Fp8KVCacheDataTypeE1ES0_Li16ELi128ELi256ELb0ELi4EEvPKT_PKT0_S8_ifPKiSA_SA_iPKfiiiPfSD_PS3_PT2_iSC_SC_.numbered_sgpr, max(33, .L__assert_fail.numbered_sgpr)
	.set _Z39paged_attention_ll4mi_QKV_mfma16_kernelI14__hip_bfloat16hLN4vllm18Fp8KVCacheDataTypeE1ES0_Li16ELi128ELi256ELb0ELi4EEvPKT_PKT0_S8_ifPKiSA_SA_iPKfiiiPfSD_PS3_PT2_iSC_SC_.num_named_barrier, max(0, .L__assert_fail.num_named_barrier)
	.set _Z39paged_attention_ll4mi_QKV_mfma16_kernelI14__hip_bfloat16hLN4vllm18Fp8KVCacheDataTypeE1ES0_Li16ELi128ELi256ELb0ELi4EEvPKT_PKT0_S8_ifPKiSA_SA_iPKfiiiPfSD_PS3_PT2_iSC_SC_.private_seg_size, 0+max(.L__assert_fail.private_seg_size)
	.set _Z39paged_attention_ll4mi_QKV_mfma16_kernelI14__hip_bfloat16hLN4vllm18Fp8KVCacheDataTypeE1ES0_Li16ELi128ELi256ELb0ELi4EEvPKT_PKT0_S8_ifPKiSA_SA_iPKfiiiPfSD_PS3_PT2_iSC_SC_.uses_vcc, or(1, .L__assert_fail.uses_vcc)
	.set _Z39paged_attention_ll4mi_QKV_mfma16_kernelI14__hip_bfloat16hLN4vllm18Fp8KVCacheDataTypeE1ES0_Li16ELi128ELi256ELb0ELi4EEvPKT_PKT0_S8_ifPKiSA_SA_iPKfiiiPfSD_PS3_PT2_iSC_SC_.uses_flat_scratch, or(0, .L__assert_fail.uses_flat_scratch)
	.set _Z39paged_attention_ll4mi_QKV_mfma16_kernelI14__hip_bfloat16hLN4vllm18Fp8KVCacheDataTypeE1ES0_Li16ELi128ELi256ELb0ELi4EEvPKT_PKT0_S8_ifPKiSA_SA_iPKfiiiPfSD_PS3_PT2_iSC_SC_.has_dyn_sized_stack, or(0, .L__assert_fail.has_dyn_sized_stack)
	.set _Z39paged_attention_ll4mi_QKV_mfma16_kernelI14__hip_bfloat16hLN4vllm18Fp8KVCacheDataTypeE1ES0_Li16ELi128ELi256ELb0ELi4EEvPKT_PKT0_S8_ifPKiSA_SA_iPKfiiiPfSD_PS3_PT2_iSC_SC_.has_recursion, or(0, .L__assert_fail.has_recursion)
	.set _Z39paged_attention_ll4mi_QKV_mfma16_kernelI14__hip_bfloat16hLN4vllm18Fp8KVCacheDataTypeE1ES0_Li16ELi128ELi256ELb0ELi4EEvPKT_PKT0_S8_ifPKiSA_SA_iPKfiiiPfSD_PS3_PT2_iSC_SC_.has_indirect_call, or(0, .L__assert_fail.has_indirect_call)
	.section	.AMDGPU.csdata,"",@progbits
; Kernel info:
; codeLenInByte = 68
; TotalNumSgprs: 36
; NumVgprs: 51
; ScratchSize: 64
; MemoryBound: 0
; FloatMode: 240
; IeeeMode: 1
; LDSByteSize: 0 bytes/workgroup (compile time only)
; SGPRBlocks: 0
; VGPRBlocks: 3
; NumSGPRsForWavesPerEU: 36
; NumVGPRsForWavesPerEU: 51
; NamedBarCnt: 0
; Occupancy: 16
; WaveLimiterHint : 1
; COMPUTE_PGM_RSRC2:SCRATCH_EN: 1
; COMPUTE_PGM_RSRC2:USER_SGPR: 2
; COMPUTE_PGM_RSRC2:TRAP_HANDLER: 0
; COMPUTE_PGM_RSRC2:TGID_X_EN: 1
; COMPUTE_PGM_RSRC2:TGID_Y_EN: 0
; COMPUTE_PGM_RSRC2:TGID_Z_EN: 0
; COMPUTE_PGM_RSRC2:TIDIG_COMP_CNT: 0
	.section	.text._Z38paged_attention_ll4mi_QKV_mfma4_kernelI14__hip_bfloat16hLN4vllm18Fp8KVCacheDataTypeE1EhLi32ELi128ELi256ELb1ELi1EEvPKT_PKT0_S8_ifPKiSA_SA_iPKfiiiPfSD_PS3_PT2_iSC_SC_,"axG",@progbits,_Z38paged_attention_ll4mi_QKV_mfma4_kernelI14__hip_bfloat16hLN4vllm18Fp8KVCacheDataTypeE1EhLi32ELi128ELi256ELb1ELi1EEvPKT_PKT0_S8_ifPKiSA_SA_iPKfiiiPfSD_PS3_PT2_iSC_SC_,comdat
	.protected	_Z38paged_attention_ll4mi_QKV_mfma4_kernelI14__hip_bfloat16hLN4vllm18Fp8KVCacheDataTypeE1EhLi32ELi128ELi256ELb1ELi1EEvPKT_PKT0_S8_ifPKiSA_SA_iPKfiiiPfSD_PS3_PT2_iSC_SC_ ; -- Begin function _Z38paged_attention_ll4mi_QKV_mfma4_kernelI14__hip_bfloat16hLN4vllm18Fp8KVCacheDataTypeE1EhLi32ELi128ELi256ELb1ELi1EEvPKT_PKT0_S8_ifPKiSA_SA_iPKfiiiPfSD_PS3_PT2_iSC_SC_
	.globl	_Z38paged_attention_ll4mi_QKV_mfma4_kernelI14__hip_bfloat16hLN4vllm18Fp8KVCacheDataTypeE1EhLi32ELi128ELi256ELb1ELi1EEvPKT_PKT0_S8_ifPKiSA_SA_iPKfiiiPfSD_PS3_PT2_iSC_SC_
	.p2align	8
	.type	_Z38paged_attention_ll4mi_QKV_mfma4_kernelI14__hip_bfloat16hLN4vllm18Fp8KVCacheDataTypeE1EhLi32ELi128ELi256ELb1ELi1EEvPKT_PKT0_S8_ifPKiSA_SA_iPKfiiiPfSD_PS3_PT2_iSC_SC_,@function
_Z38paged_attention_ll4mi_QKV_mfma4_kernelI14__hip_bfloat16hLN4vllm18Fp8KVCacheDataTypeE1EhLi32ELi128ELi256ELb1ELi1EEvPKT_PKT0_S8_ifPKiSA_SA_iPKfiiiPfSD_PS3_PT2_iSC_SC_: ; @_Z38paged_attention_ll4mi_QKV_mfma4_kernelI14__hip_bfloat16hLN4vllm18Fp8KVCacheDataTypeE1EhLi32ELi128ELi256ELb1ELi1EEvPKT_PKT0_S8_ifPKiSA_SA_iPKfiiiPfSD_PS3_PT2_iSC_SC_
; %bb.0:
	s_get_pc_i64 s[2:3]
	s_add_nc_u64 s[2:3], s[2:3], __PRETTY_FUNCTION__._Z38paged_attention_ll4mi_QKV_mfma4_kernelI14__hip_bfloat16hLN4vllm18Fp8KVCacheDataTypeE1EhLi32ELi128ELi256ELb1ELi1EEvPKT_PKT0_S8_ifPKiSA_SA_iPKfiiiPfSD_PS3_PT2_iSC_SC_@rel64+4
	s_delay_alu instid0(SALU_CYCLE_1)
	v_dual_mov_b32 v0, 0xbce :: v_dual_mov_b32 v1, s2
	v_mov_b32_e32 v2, s3
	s_add_nc_u64 s[8:9], s[0:1], 0x90
	s_get_pc_i64 s[0:1]
	s_add_nc_u64 s[0:1], s[0:1], __assert_fail@rel64+4
	s_mov_b32 s32, 0
	s_swap_pc_i64 s[30:31], s[0:1]
	.section	.rodata,"a",@progbits
	.p2align	6, 0x0
	.amdhsa_kernel _Z38paged_attention_ll4mi_QKV_mfma4_kernelI14__hip_bfloat16hLN4vllm18Fp8KVCacheDataTypeE1EhLi32ELi128ELi256ELb1ELi1EEvPKT_PKT0_S8_ifPKiSA_SA_iPKfiiiPfSD_PS3_PT2_iSC_SC_
		.amdhsa_group_segment_fixed_size 0
		.amdhsa_private_segment_fixed_size 64
		.amdhsa_kernarg_size 400
		.amdhsa_user_sgpr_count 2
		.amdhsa_user_sgpr_dispatch_ptr 0
		.amdhsa_user_sgpr_queue_ptr 0
		.amdhsa_user_sgpr_kernarg_segment_ptr 1
		.amdhsa_user_sgpr_dispatch_id 0
		.amdhsa_user_sgpr_kernarg_preload_length 0
		.amdhsa_user_sgpr_kernarg_preload_offset 0
		.amdhsa_user_sgpr_private_segment_size 0
		.amdhsa_wavefront_size32 1
		.amdhsa_uses_dynamic_stack 0
		.amdhsa_enable_private_segment 1
		.amdhsa_system_sgpr_workgroup_id_x 1
		.amdhsa_system_sgpr_workgroup_id_y 0
		.amdhsa_system_sgpr_workgroup_id_z 0
		.amdhsa_system_sgpr_workgroup_info 0
		.amdhsa_system_vgpr_workitem_id 0
		.amdhsa_next_free_vgpr 51
		.amdhsa_next_free_sgpr 34
		.amdhsa_named_barrier_count 0
		.amdhsa_reserve_vcc 1
		.amdhsa_float_round_mode_32 0
		.amdhsa_float_round_mode_16_64 0
		.amdhsa_float_denorm_mode_32 3
		.amdhsa_float_denorm_mode_16_64 3
		.amdhsa_fp16_overflow 0
		.amdhsa_memory_ordered 1
		.amdhsa_forward_progress 1
		.amdhsa_inst_pref_size 1
		.amdhsa_round_robin_scheduling 0
		.amdhsa_exception_fp_ieee_invalid_op 0
		.amdhsa_exception_fp_denorm_src 0
		.amdhsa_exception_fp_ieee_div_zero 0
		.amdhsa_exception_fp_ieee_overflow 0
		.amdhsa_exception_fp_ieee_underflow 0
		.amdhsa_exception_fp_ieee_inexact 0
		.amdhsa_exception_int_div_zero 0
	.end_amdhsa_kernel
	.section	.text._Z38paged_attention_ll4mi_QKV_mfma4_kernelI14__hip_bfloat16hLN4vllm18Fp8KVCacheDataTypeE1EhLi32ELi128ELi256ELb1ELi1EEvPKT_PKT0_S8_ifPKiSA_SA_iPKfiiiPfSD_PS3_PT2_iSC_SC_,"axG",@progbits,_Z38paged_attention_ll4mi_QKV_mfma4_kernelI14__hip_bfloat16hLN4vllm18Fp8KVCacheDataTypeE1EhLi32ELi128ELi256ELb1ELi1EEvPKT_PKT0_S8_ifPKiSA_SA_iPKfiiiPfSD_PS3_PT2_iSC_SC_,comdat
.Lfunc_end1330:
	.size	_Z38paged_attention_ll4mi_QKV_mfma4_kernelI14__hip_bfloat16hLN4vllm18Fp8KVCacheDataTypeE1EhLi32ELi128ELi256ELb1ELi1EEvPKT_PKT0_S8_ifPKiSA_SA_iPKfiiiPfSD_PS3_PT2_iSC_SC_, .Lfunc_end1330-_Z38paged_attention_ll4mi_QKV_mfma4_kernelI14__hip_bfloat16hLN4vllm18Fp8KVCacheDataTypeE1EhLi32ELi128ELi256ELb1ELi1EEvPKT_PKT0_S8_ifPKiSA_SA_iPKfiiiPfSD_PS3_PT2_iSC_SC_
                                        ; -- End function
	.set _Z38paged_attention_ll4mi_QKV_mfma4_kernelI14__hip_bfloat16hLN4vllm18Fp8KVCacheDataTypeE1EhLi32ELi128ELi256ELb1ELi1EEvPKT_PKT0_S8_ifPKiSA_SA_iPKfiiiPfSD_PS3_PT2_iSC_SC_.num_vgpr, max(3, .L__assert_fail.num_vgpr)
	.set _Z38paged_attention_ll4mi_QKV_mfma4_kernelI14__hip_bfloat16hLN4vllm18Fp8KVCacheDataTypeE1EhLi32ELi128ELi256ELb1ELi1EEvPKT_PKT0_S8_ifPKiSA_SA_iPKfiiiPfSD_PS3_PT2_iSC_SC_.num_agpr, max(0, .L__assert_fail.num_agpr)
	.set _Z38paged_attention_ll4mi_QKV_mfma4_kernelI14__hip_bfloat16hLN4vllm18Fp8KVCacheDataTypeE1EhLi32ELi128ELi256ELb1ELi1EEvPKT_PKT0_S8_ifPKiSA_SA_iPKfiiiPfSD_PS3_PT2_iSC_SC_.numbered_sgpr, max(33, .L__assert_fail.numbered_sgpr)
	.set _Z38paged_attention_ll4mi_QKV_mfma4_kernelI14__hip_bfloat16hLN4vllm18Fp8KVCacheDataTypeE1EhLi32ELi128ELi256ELb1ELi1EEvPKT_PKT0_S8_ifPKiSA_SA_iPKfiiiPfSD_PS3_PT2_iSC_SC_.num_named_barrier, max(0, .L__assert_fail.num_named_barrier)
	.set _Z38paged_attention_ll4mi_QKV_mfma4_kernelI14__hip_bfloat16hLN4vllm18Fp8KVCacheDataTypeE1EhLi32ELi128ELi256ELb1ELi1EEvPKT_PKT0_S8_ifPKiSA_SA_iPKfiiiPfSD_PS3_PT2_iSC_SC_.private_seg_size, 0+max(.L__assert_fail.private_seg_size)
	.set _Z38paged_attention_ll4mi_QKV_mfma4_kernelI14__hip_bfloat16hLN4vllm18Fp8KVCacheDataTypeE1EhLi32ELi128ELi256ELb1ELi1EEvPKT_PKT0_S8_ifPKiSA_SA_iPKfiiiPfSD_PS3_PT2_iSC_SC_.uses_vcc, or(1, .L__assert_fail.uses_vcc)
	.set _Z38paged_attention_ll4mi_QKV_mfma4_kernelI14__hip_bfloat16hLN4vllm18Fp8KVCacheDataTypeE1EhLi32ELi128ELi256ELb1ELi1EEvPKT_PKT0_S8_ifPKiSA_SA_iPKfiiiPfSD_PS3_PT2_iSC_SC_.uses_flat_scratch, or(0, .L__assert_fail.uses_flat_scratch)
	.set _Z38paged_attention_ll4mi_QKV_mfma4_kernelI14__hip_bfloat16hLN4vllm18Fp8KVCacheDataTypeE1EhLi32ELi128ELi256ELb1ELi1EEvPKT_PKT0_S8_ifPKiSA_SA_iPKfiiiPfSD_PS3_PT2_iSC_SC_.has_dyn_sized_stack, or(0, .L__assert_fail.has_dyn_sized_stack)
	.set _Z38paged_attention_ll4mi_QKV_mfma4_kernelI14__hip_bfloat16hLN4vllm18Fp8KVCacheDataTypeE1EhLi32ELi128ELi256ELb1ELi1EEvPKT_PKT0_S8_ifPKiSA_SA_iPKfiiiPfSD_PS3_PT2_iSC_SC_.has_recursion, or(0, .L__assert_fail.has_recursion)
	.set _Z38paged_attention_ll4mi_QKV_mfma4_kernelI14__hip_bfloat16hLN4vllm18Fp8KVCacheDataTypeE1EhLi32ELi128ELi256ELb1ELi1EEvPKT_PKT0_S8_ifPKiSA_SA_iPKfiiiPfSD_PS3_PT2_iSC_SC_.has_indirect_call, or(0, .L__assert_fail.has_indirect_call)
	.section	.AMDGPU.csdata,"",@progbits
; Kernel info:
; codeLenInByte = 68
; TotalNumSgprs: 36
; NumVgprs: 51
; ScratchSize: 64
; MemoryBound: 0
; FloatMode: 240
; IeeeMode: 1
; LDSByteSize: 0 bytes/workgroup (compile time only)
; SGPRBlocks: 0
; VGPRBlocks: 3
; NumSGPRsForWavesPerEU: 36
; NumVGPRsForWavesPerEU: 51
; NamedBarCnt: 0
; Occupancy: 16
; WaveLimiterHint : 1
; COMPUTE_PGM_RSRC2:SCRATCH_EN: 1
; COMPUTE_PGM_RSRC2:USER_SGPR: 2
; COMPUTE_PGM_RSRC2:TRAP_HANDLER: 0
; COMPUTE_PGM_RSRC2:TGID_X_EN: 1
; COMPUTE_PGM_RSRC2:TGID_Y_EN: 0
; COMPUTE_PGM_RSRC2:TGID_Z_EN: 0
; COMPUTE_PGM_RSRC2:TIDIG_COMP_CNT: 0
	.section	.text._Z38paged_attention_ll4mi_QKV_mfma4_kernelI14__hip_bfloat16hLN4vllm18Fp8KVCacheDataTypeE1EhLi32ELi128ELi256ELb1ELi2EEvPKT_PKT0_S8_ifPKiSA_SA_iPKfiiiPfSD_PS3_PT2_iSC_SC_,"axG",@progbits,_Z38paged_attention_ll4mi_QKV_mfma4_kernelI14__hip_bfloat16hLN4vllm18Fp8KVCacheDataTypeE1EhLi32ELi128ELi256ELb1ELi2EEvPKT_PKT0_S8_ifPKiSA_SA_iPKfiiiPfSD_PS3_PT2_iSC_SC_,comdat
	.protected	_Z38paged_attention_ll4mi_QKV_mfma4_kernelI14__hip_bfloat16hLN4vllm18Fp8KVCacheDataTypeE1EhLi32ELi128ELi256ELb1ELi2EEvPKT_PKT0_S8_ifPKiSA_SA_iPKfiiiPfSD_PS3_PT2_iSC_SC_ ; -- Begin function _Z38paged_attention_ll4mi_QKV_mfma4_kernelI14__hip_bfloat16hLN4vllm18Fp8KVCacheDataTypeE1EhLi32ELi128ELi256ELb1ELi2EEvPKT_PKT0_S8_ifPKiSA_SA_iPKfiiiPfSD_PS3_PT2_iSC_SC_
	.globl	_Z38paged_attention_ll4mi_QKV_mfma4_kernelI14__hip_bfloat16hLN4vllm18Fp8KVCacheDataTypeE1EhLi32ELi128ELi256ELb1ELi2EEvPKT_PKT0_S8_ifPKiSA_SA_iPKfiiiPfSD_PS3_PT2_iSC_SC_
	.p2align	8
	.type	_Z38paged_attention_ll4mi_QKV_mfma4_kernelI14__hip_bfloat16hLN4vllm18Fp8KVCacheDataTypeE1EhLi32ELi128ELi256ELb1ELi2EEvPKT_PKT0_S8_ifPKiSA_SA_iPKfiiiPfSD_PS3_PT2_iSC_SC_,@function
_Z38paged_attention_ll4mi_QKV_mfma4_kernelI14__hip_bfloat16hLN4vllm18Fp8KVCacheDataTypeE1EhLi32ELi128ELi256ELb1ELi2EEvPKT_PKT0_S8_ifPKiSA_SA_iPKfiiiPfSD_PS3_PT2_iSC_SC_: ; @_Z38paged_attention_ll4mi_QKV_mfma4_kernelI14__hip_bfloat16hLN4vllm18Fp8KVCacheDataTypeE1EhLi32ELi128ELi256ELb1ELi2EEvPKT_PKT0_S8_ifPKiSA_SA_iPKfiiiPfSD_PS3_PT2_iSC_SC_
; %bb.0:
	s_get_pc_i64 s[2:3]
	s_add_nc_u64 s[2:3], s[2:3], __PRETTY_FUNCTION__._Z38paged_attention_ll4mi_QKV_mfma4_kernelI14__hip_bfloat16hLN4vllm18Fp8KVCacheDataTypeE1EhLi32ELi128ELi256ELb1ELi2EEvPKT_PKT0_S8_ifPKiSA_SA_iPKfiiiPfSD_PS3_PT2_iSC_SC_@rel64+4
	s_delay_alu instid0(SALU_CYCLE_1)
	v_dual_mov_b32 v0, 0xbce :: v_dual_mov_b32 v1, s2
	v_mov_b32_e32 v2, s3
	s_add_nc_u64 s[8:9], s[0:1], 0x90
	s_get_pc_i64 s[0:1]
	s_add_nc_u64 s[0:1], s[0:1], __assert_fail@rel64+4
	s_mov_b32 s32, 0
	s_swap_pc_i64 s[30:31], s[0:1]
	.section	.rodata,"a",@progbits
	.p2align	6, 0x0
	.amdhsa_kernel _Z38paged_attention_ll4mi_QKV_mfma4_kernelI14__hip_bfloat16hLN4vllm18Fp8KVCacheDataTypeE1EhLi32ELi128ELi256ELb1ELi2EEvPKT_PKT0_S8_ifPKiSA_SA_iPKfiiiPfSD_PS3_PT2_iSC_SC_
		.amdhsa_group_segment_fixed_size 0
		.amdhsa_private_segment_fixed_size 64
		.amdhsa_kernarg_size 400
		.amdhsa_user_sgpr_count 2
		.amdhsa_user_sgpr_dispatch_ptr 0
		.amdhsa_user_sgpr_queue_ptr 0
		.amdhsa_user_sgpr_kernarg_segment_ptr 1
		.amdhsa_user_sgpr_dispatch_id 0
		.amdhsa_user_sgpr_kernarg_preload_length 0
		.amdhsa_user_sgpr_kernarg_preload_offset 0
		.amdhsa_user_sgpr_private_segment_size 0
		.amdhsa_wavefront_size32 1
		.amdhsa_uses_dynamic_stack 0
		.amdhsa_enable_private_segment 1
		.amdhsa_system_sgpr_workgroup_id_x 1
		.amdhsa_system_sgpr_workgroup_id_y 0
		.amdhsa_system_sgpr_workgroup_id_z 0
		.amdhsa_system_sgpr_workgroup_info 0
		.amdhsa_system_vgpr_workitem_id 0
		.amdhsa_next_free_vgpr 51
		.amdhsa_next_free_sgpr 34
		.amdhsa_named_barrier_count 0
		.amdhsa_reserve_vcc 1
		.amdhsa_float_round_mode_32 0
		.amdhsa_float_round_mode_16_64 0
		.amdhsa_float_denorm_mode_32 3
		.amdhsa_float_denorm_mode_16_64 3
		.amdhsa_fp16_overflow 0
		.amdhsa_memory_ordered 1
		.amdhsa_forward_progress 1
		.amdhsa_inst_pref_size 1
		.amdhsa_round_robin_scheduling 0
		.amdhsa_exception_fp_ieee_invalid_op 0
		.amdhsa_exception_fp_denorm_src 0
		.amdhsa_exception_fp_ieee_div_zero 0
		.amdhsa_exception_fp_ieee_overflow 0
		.amdhsa_exception_fp_ieee_underflow 0
		.amdhsa_exception_fp_ieee_inexact 0
		.amdhsa_exception_int_div_zero 0
	.end_amdhsa_kernel
	.section	.text._Z38paged_attention_ll4mi_QKV_mfma4_kernelI14__hip_bfloat16hLN4vllm18Fp8KVCacheDataTypeE1EhLi32ELi128ELi256ELb1ELi2EEvPKT_PKT0_S8_ifPKiSA_SA_iPKfiiiPfSD_PS3_PT2_iSC_SC_,"axG",@progbits,_Z38paged_attention_ll4mi_QKV_mfma4_kernelI14__hip_bfloat16hLN4vllm18Fp8KVCacheDataTypeE1EhLi32ELi128ELi256ELb1ELi2EEvPKT_PKT0_S8_ifPKiSA_SA_iPKfiiiPfSD_PS3_PT2_iSC_SC_,comdat
.Lfunc_end1331:
	.size	_Z38paged_attention_ll4mi_QKV_mfma4_kernelI14__hip_bfloat16hLN4vllm18Fp8KVCacheDataTypeE1EhLi32ELi128ELi256ELb1ELi2EEvPKT_PKT0_S8_ifPKiSA_SA_iPKfiiiPfSD_PS3_PT2_iSC_SC_, .Lfunc_end1331-_Z38paged_attention_ll4mi_QKV_mfma4_kernelI14__hip_bfloat16hLN4vllm18Fp8KVCacheDataTypeE1EhLi32ELi128ELi256ELb1ELi2EEvPKT_PKT0_S8_ifPKiSA_SA_iPKfiiiPfSD_PS3_PT2_iSC_SC_
                                        ; -- End function
	.set _Z38paged_attention_ll4mi_QKV_mfma4_kernelI14__hip_bfloat16hLN4vllm18Fp8KVCacheDataTypeE1EhLi32ELi128ELi256ELb1ELi2EEvPKT_PKT0_S8_ifPKiSA_SA_iPKfiiiPfSD_PS3_PT2_iSC_SC_.num_vgpr, max(3, .L__assert_fail.num_vgpr)
	.set _Z38paged_attention_ll4mi_QKV_mfma4_kernelI14__hip_bfloat16hLN4vllm18Fp8KVCacheDataTypeE1EhLi32ELi128ELi256ELb1ELi2EEvPKT_PKT0_S8_ifPKiSA_SA_iPKfiiiPfSD_PS3_PT2_iSC_SC_.num_agpr, max(0, .L__assert_fail.num_agpr)
	.set _Z38paged_attention_ll4mi_QKV_mfma4_kernelI14__hip_bfloat16hLN4vllm18Fp8KVCacheDataTypeE1EhLi32ELi128ELi256ELb1ELi2EEvPKT_PKT0_S8_ifPKiSA_SA_iPKfiiiPfSD_PS3_PT2_iSC_SC_.numbered_sgpr, max(33, .L__assert_fail.numbered_sgpr)
	.set _Z38paged_attention_ll4mi_QKV_mfma4_kernelI14__hip_bfloat16hLN4vllm18Fp8KVCacheDataTypeE1EhLi32ELi128ELi256ELb1ELi2EEvPKT_PKT0_S8_ifPKiSA_SA_iPKfiiiPfSD_PS3_PT2_iSC_SC_.num_named_barrier, max(0, .L__assert_fail.num_named_barrier)
	.set _Z38paged_attention_ll4mi_QKV_mfma4_kernelI14__hip_bfloat16hLN4vllm18Fp8KVCacheDataTypeE1EhLi32ELi128ELi256ELb1ELi2EEvPKT_PKT0_S8_ifPKiSA_SA_iPKfiiiPfSD_PS3_PT2_iSC_SC_.private_seg_size, 0+max(.L__assert_fail.private_seg_size)
	.set _Z38paged_attention_ll4mi_QKV_mfma4_kernelI14__hip_bfloat16hLN4vllm18Fp8KVCacheDataTypeE1EhLi32ELi128ELi256ELb1ELi2EEvPKT_PKT0_S8_ifPKiSA_SA_iPKfiiiPfSD_PS3_PT2_iSC_SC_.uses_vcc, or(1, .L__assert_fail.uses_vcc)
	.set _Z38paged_attention_ll4mi_QKV_mfma4_kernelI14__hip_bfloat16hLN4vllm18Fp8KVCacheDataTypeE1EhLi32ELi128ELi256ELb1ELi2EEvPKT_PKT0_S8_ifPKiSA_SA_iPKfiiiPfSD_PS3_PT2_iSC_SC_.uses_flat_scratch, or(0, .L__assert_fail.uses_flat_scratch)
	.set _Z38paged_attention_ll4mi_QKV_mfma4_kernelI14__hip_bfloat16hLN4vllm18Fp8KVCacheDataTypeE1EhLi32ELi128ELi256ELb1ELi2EEvPKT_PKT0_S8_ifPKiSA_SA_iPKfiiiPfSD_PS3_PT2_iSC_SC_.has_dyn_sized_stack, or(0, .L__assert_fail.has_dyn_sized_stack)
	.set _Z38paged_attention_ll4mi_QKV_mfma4_kernelI14__hip_bfloat16hLN4vllm18Fp8KVCacheDataTypeE1EhLi32ELi128ELi256ELb1ELi2EEvPKT_PKT0_S8_ifPKiSA_SA_iPKfiiiPfSD_PS3_PT2_iSC_SC_.has_recursion, or(0, .L__assert_fail.has_recursion)
	.set _Z38paged_attention_ll4mi_QKV_mfma4_kernelI14__hip_bfloat16hLN4vllm18Fp8KVCacheDataTypeE1EhLi32ELi128ELi256ELb1ELi2EEvPKT_PKT0_S8_ifPKiSA_SA_iPKfiiiPfSD_PS3_PT2_iSC_SC_.has_indirect_call, or(0, .L__assert_fail.has_indirect_call)
	.section	.AMDGPU.csdata,"",@progbits
; Kernel info:
; codeLenInByte = 68
; TotalNumSgprs: 36
; NumVgprs: 51
; ScratchSize: 64
; MemoryBound: 0
; FloatMode: 240
; IeeeMode: 1
; LDSByteSize: 0 bytes/workgroup (compile time only)
; SGPRBlocks: 0
; VGPRBlocks: 3
; NumSGPRsForWavesPerEU: 36
; NumVGPRsForWavesPerEU: 51
; NamedBarCnt: 0
; Occupancy: 16
; WaveLimiterHint : 1
; COMPUTE_PGM_RSRC2:SCRATCH_EN: 1
; COMPUTE_PGM_RSRC2:USER_SGPR: 2
; COMPUTE_PGM_RSRC2:TRAP_HANDLER: 0
; COMPUTE_PGM_RSRC2:TGID_X_EN: 1
; COMPUTE_PGM_RSRC2:TGID_Y_EN: 0
; COMPUTE_PGM_RSRC2:TGID_Z_EN: 0
; COMPUTE_PGM_RSRC2:TIDIG_COMP_CNT: 0
	.section	.text._Z38paged_attention_ll4mi_QKV_mfma4_kernelI14__hip_bfloat16hLN4vllm18Fp8KVCacheDataTypeE1EhLi32ELi128ELi256ELb1ELi3EEvPKT_PKT0_S8_ifPKiSA_SA_iPKfiiiPfSD_PS3_PT2_iSC_SC_,"axG",@progbits,_Z38paged_attention_ll4mi_QKV_mfma4_kernelI14__hip_bfloat16hLN4vllm18Fp8KVCacheDataTypeE1EhLi32ELi128ELi256ELb1ELi3EEvPKT_PKT0_S8_ifPKiSA_SA_iPKfiiiPfSD_PS3_PT2_iSC_SC_,comdat
	.protected	_Z38paged_attention_ll4mi_QKV_mfma4_kernelI14__hip_bfloat16hLN4vllm18Fp8KVCacheDataTypeE1EhLi32ELi128ELi256ELb1ELi3EEvPKT_PKT0_S8_ifPKiSA_SA_iPKfiiiPfSD_PS3_PT2_iSC_SC_ ; -- Begin function _Z38paged_attention_ll4mi_QKV_mfma4_kernelI14__hip_bfloat16hLN4vllm18Fp8KVCacheDataTypeE1EhLi32ELi128ELi256ELb1ELi3EEvPKT_PKT0_S8_ifPKiSA_SA_iPKfiiiPfSD_PS3_PT2_iSC_SC_
	.globl	_Z38paged_attention_ll4mi_QKV_mfma4_kernelI14__hip_bfloat16hLN4vllm18Fp8KVCacheDataTypeE1EhLi32ELi128ELi256ELb1ELi3EEvPKT_PKT0_S8_ifPKiSA_SA_iPKfiiiPfSD_PS3_PT2_iSC_SC_
	.p2align	8
	.type	_Z38paged_attention_ll4mi_QKV_mfma4_kernelI14__hip_bfloat16hLN4vllm18Fp8KVCacheDataTypeE1EhLi32ELi128ELi256ELb1ELi3EEvPKT_PKT0_S8_ifPKiSA_SA_iPKfiiiPfSD_PS3_PT2_iSC_SC_,@function
_Z38paged_attention_ll4mi_QKV_mfma4_kernelI14__hip_bfloat16hLN4vllm18Fp8KVCacheDataTypeE1EhLi32ELi128ELi256ELb1ELi3EEvPKT_PKT0_S8_ifPKiSA_SA_iPKfiiiPfSD_PS3_PT2_iSC_SC_: ; @_Z38paged_attention_ll4mi_QKV_mfma4_kernelI14__hip_bfloat16hLN4vllm18Fp8KVCacheDataTypeE1EhLi32ELi128ELi256ELb1ELi3EEvPKT_PKT0_S8_ifPKiSA_SA_iPKfiiiPfSD_PS3_PT2_iSC_SC_
; %bb.0:
	s_get_pc_i64 s[2:3]
	s_add_nc_u64 s[2:3], s[2:3], __PRETTY_FUNCTION__._Z38paged_attention_ll4mi_QKV_mfma4_kernelI14__hip_bfloat16hLN4vllm18Fp8KVCacheDataTypeE1EhLi32ELi128ELi256ELb1ELi3EEvPKT_PKT0_S8_ifPKiSA_SA_iPKfiiiPfSD_PS3_PT2_iSC_SC_@rel64+4
	s_delay_alu instid0(SALU_CYCLE_1)
	v_dual_mov_b32 v0, 0xbce :: v_dual_mov_b32 v1, s2
	v_mov_b32_e32 v2, s3
	s_add_nc_u64 s[8:9], s[0:1], 0x90
	s_get_pc_i64 s[0:1]
	s_add_nc_u64 s[0:1], s[0:1], __assert_fail@rel64+4
	s_mov_b32 s32, 0
	s_swap_pc_i64 s[30:31], s[0:1]
	.section	.rodata,"a",@progbits
	.p2align	6, 0x0
	.amdhsa_kernel _Z38paged_attention_ll4mi_QKV_mfma4_kernelI14__hip_bfloat16hLN4vllm18Fp8KVCacheDataTypeE1EhLi32ELi128ELi256ELb1ELi3EEvPKT_PKT0_S8_ifPKiSA_SA_iPKfiiiPfSD_PS3_PT2_iSC_SC_
		.amdhsa_group_segment_fixed_size 0
		.amdhsa_private_segment_fixed_size 64
		.amdhsa_kernarg_size 400
		.amdhsa_user_sgpr_count 2
		.amdhsa_user_sgpr_dispatch_ptr 0
		.amdhsa_user_sgpr_queue_ptr 0
		.amdhsa_user_sgpr_kernarg_segment_ptr 1
		.amdhsa_user_sgpr_dispatch_id 0
		.amdhsa_user_sgpr_kernarg_preload_length 0
		.amdhsa_user_sgpr_kernarg_preload_offset 0
		.amdhsa_user_sgpr_private_segment_size 0
		.amdhsa_wavefront_size32 1
		.amdhsa_uses_dynamic_stack 0
		.amdhsa_enable_private_segment 1
		.amdhsa_system_sgpr_workgroup_id_x 1
		.amdhsa_system_sgpr_workgroup_id_y 0
		.amdhsa_system_sgpr_workgroup_id_z 0
		.amdhsa_system_sgpr_workgroup_info 0
		.amdhsa_system_vgpr_workitem_id 0
		.amdhsa_next_free_vgpr 51
		.amdhsa_next_free_sgpr 34
		.amdhsa_named_barrier_count 0
		.amdhsa_reserve_vcc 1
		.amdhsa_float_round_mode_32 0
		.amdhsa_float_round_mode_16_64 0
		.amdhsa_float_denorm_mode_32 3
		.amdhsa_float_denorm_mode_16_64 3
		.amdhsa_fp16_overflow 0
		.amdhsa_memory_ordered 1
		.amdhsa_forward_progress 1
		.amdhsa_inst_pref_size 1
		.amdhsa_round_robin_scheduling 0
		.amdhsa_exception_fp_ieee_invalid_op 0
		.amdhsa_exception_fp_denorm_src 0
		.amdhsa_exception_fp_ieee_div_zero 0
		.amdhsa_exception_fp_ieee_overflow 0
		.amdhsa_exception_fp_ieee_underflow 0
		.amdhsa_exception_fp_ieee_inexact 0
		.amdhsa_exception_int_div_zero 0
	.end_amdhsa_kernel
	.section	.text._Z38paged_attention_ll4mi_QKV_mfma4_kernelI14__hip_bfloat16hLN4vllm18Fp8KVCacheDataTypeE1EhLi32ELi128ELi256ELb1ELi3EEvPKT_PKT0_S8_ifPKiSA_SA_iPKfiiiPfSD_PS3_PT2_iSC_SC_,"axG",@progbits,_Z38paged_attention_ll4mi_QKV_mfma4_kernelI14__hip_bfloat16hLN4vllm18Fp8KVCacheDataTypeE1EhLi32ELi128ELi256ELb1ELi3EEvPKT_PKT0_S8_ifPKiSA_SA_iPKfiiiPfSD_PS3_PT2_iSC_SC_,comdat
.Lfunc_end1332:
	.size	_Z38paged_attention_ll4mi_QKV_mfma4_kernelI14__hip_bfloat16hLN4vllm18Fp8KVCacheDataTypeE1EhLi32ELi128ELi256ELb1ELi3EEvPKT_PKT0_S8_ifPKiSA_SA_iPKfiiiPfSD_PS3_PT2_iSC_SC_, .Lfunc_end1332-_Z38paged_attention_ll4mi_QKV_mfma4_kernelI14__hip_bfloat16hLN4vllm18Fp8KVCacheDataTypeE1EhLi32ELi128ELi256ELb1ELi3EEvPKT_PKT0_S8_ifPKiSA_SA_iPKfiiiPfSD_PS3_PT2_iSC_SC_
                                        ; -- End function
	.set _Z38paged_attention_ll4mi_QKV_mfma4_kernelI14__hip_bfloat16hLN4vllm18Fp8KVCacheDataTypeE1EhLi32ELi128ELi256ELb1ELi3EEvPKT_PKT0_S8_ifPKiSA_SA_iPKfiiiPfSD_PS3_PT2_iSC_SC_.num_vgpr, max(3, .L__assert_fail.num_vgpr)
	.set _Z38paged_attention_ll4mi_QKV_mfma4_kernelI14__hip_bfloat16hLN4vllm18Fp8KVCacheDataTypeE1EhLi32ELi128ELi256ELb1ELi3EEvPKT_PKT0_S8_ifPKiSA_SA_iPKfiiiPfSD_PS3_PT2_iSC_SC_.num_agpr, max(0, .L__assert_fail.num_agpr)
	.set _Z38paged_attention_ll4mi_QKV_mfma4_kernelI14__hip_bfloat16hLN4vllm18Fp8KVCacheDataTypeE1EhLi32ELi128ELi256ELb1ELi3EEvPKT_PKT0_S8_ifPKiSA_SA_iPKfiiiPfSD_PS3_PT2_iSC_SC_.numbered_sgpr, max(33, .L__assert_fail.numbered_sgpr)
	.set _Z38paged_attention_ll4mi_QKV_mfma4_kernelI14__hip_bfloat16hLN4vllm18Fp8KVCacheDataTypeE1EhLi32ELi128ELi256ELb1ELi3EEvPKT_PKT0_S8_ifPKiSA_SA_iPKfiiiPfSD_PS3_PT2_iSC_SC_.num_named_barrier, max(0, .L__assert_fail.num_named_barrier)
	.set _Z38paged_attention_ll4mi_QKV_mfma4_kernelI14__hip_bfloat16hLN4vllm18Fp8KVCacheDataTypeE1EhLi32ELi128ELi256ELb1ELi3EEvPKT_PKT0_S8_ifPKiSA_SA_iPKfiiiPfSD_PS3_PT2_iSC_SC_.private_seg_size, 0+max(.L__assert_fail.private_seg_size)
	.set _Z38paged_attention_ll4mi_QKV_mfma4_kernelI14__hip_bfloat16hLN4vllm18Fp8KVCacheDataTypeE1EhLi32ELi128ELi256ELb1ELi3EEvPKT_PKT0_S8_ifPKiSA_SA_iPKfiiiPfSD_PS3_PT2_iSC_SC_.uses_vcc, or(1, .L__assert_fail.uses_vcc)
	.set _Z38paged_attention_ll4mi_QKV_mfma4_kernelI14__hip_bfloat16hLN4vllm18Fp8KVCacheDataTypeE1EhLi32ELi128ELi256ELb1ELi3EEvPKT_PKT0_S8_ifPKiSA_SA_iPKfiiiPfSD_PS3_PT2_iSC_SC_.uses_flat_scratch, or(0, .L__assert_fail.uses_flat_scratch)
	.set _Z38paged_attention_ll4mi_QKV_mfma4_kernelI14__hip_bfloat16hLN4vllm18Fp8KVCacheDataTypeE1EhLi32ELi128ELi256ELb1ELi3EEvPKT_PKT0_S8_ifPKiSA_SA_iPKfiiiPfSD_PS3_PT2_iSC_SC_.has_dyn_sized_stack, or(0, .L__assert_fail.has_dyn_sized_stack)
	.set _Z38paged_attention_ll4mi_QKV_mfma4_kernelI14__hip_bfloat16hLN4vllm18Fp8KVCacheDataTypeE1EhLi32ELi128ELi256ELb1ELi3EEvPKT_PKT0_S8_ifPKiSA_SA_iPKfiiiPfSD_PS3_PT2_iSC_SC_.has_recursion, or(0, .L__assert_fail.has_recursion)
	.set _Z38paged_attention_ll4mi_QKV_mfma4_kernelI14__hip_bfloat16hLN4vllm18Fp8KVCacheDataTypeE1EhLi32ELi128ELi256ELb1ELi3EEvPKT_PKT0_S8_ifPKiSA_SA_iPKfiiiPfSD_PS3_PT2_iSC_SC_.has_indirect_call, or(0, .L__assert_fail.has_indirect_call)
	.section	.AMDGPU.csdata,"",@progbits
; Kernel info:
; codeLenInByte = 68
; TotalNumSgprs: 36
; NumVgprs: 51
; ScratchSize: 64
; MemoryBound: 0
; FloatMode: 240
; IeeeMode: 1
; LDSByteSize: 0 bytes/workgroup (compile time only)
; SGPRBlocks: 0
; VGPRBlocks: 3
; NumSGPRsForWavesPerEU: 36
; NumVGPRsForWavesPerEU: 51
; NamedBarCnt: 0
; Occupancy: 16
; WaveLimiterHint : 1
; COMPUTE_PGM_RSRC2:SCRATCH_EN: 1
; COMPUTE_PGM_RSRC2:USER_SGPR: 2
; COMPUTE_PGM_RSRC2:TRAP_HANDLER: 0
; COMPUTE_PGM_RSRC2:TGID_X_EN: 1
; COMPUTE_PGM_RSRC2:TGID_Y_EN: 0
; COMPUTE_PGM_RSRC2:TGID_Z_EN: 0
; COMPUTE_PGM_RSRC2:TIDIG_COMP_CNT: 0
	.section	.text._Z38paged_attention_ll4mi_QKV_mfma4_kernelI14__hip_bfloat16hLN4vllm18Fp8KVCacheDataTypeE1EhLi32ELi128ELi256ELb1ELi4EEvPKT_PKT0_S8_ifPKiSA_SA_iPKfiiiPfSD_PS3_PT2_iSC_SC_,"axG",@progbits,_Z38paged_attention_ll4mi_QKV_mfma4_kernelI14__hip_bfloat16hLN4vllm18Fp8KVCacheDataTypeE1EhLi32ELi128ELi256ELb1ELi4EEvPKT_PKT0_S8_ifPKiSA_SA_iPKfiiiPfSD_PS3_PT2_iSC_SC_,comdat
	.protected	_Z38paged_attention_ll4mi_QKV_mfma4_kernelI14__hip_bfloat16hLN4vllm18Fp8KVCacheDataTypeE1EhLi32ELi128ELi256ELb1ELi4EEvPKT_PKT0_S8_ifPKiSA_SA_iPKfiiiPfSD_PS3_PT2_iSC_SC_ ; -- Begin function _Z38paged_attention_ll4mi_QKV_mfma4_kernelI14__hip_bfloat16hLN4vllm18Fp8KVCacheDataTypeE1EhLi32ELi128ELi256ELb1ELi4EEvPKT_PKT0_S8_ifPKiSA_SA_iPKfiiiPfSD_PS3_PT2_iSC_SC_
	.globl	_Z38paged_attention_ll4mi_QKV_mfma4_kernelI14__hip_bfloat16hLN4vllm18Fp8KVCacheDataTypeE1EhLi32ELi128ELi256ELb1ELi4EEvPKT_PKT0_S8_ifPKiSA_SA_iPKfiiiPfSD_PS3_PT2_iSC_SC_
	.p2align	8
	.type	_Z38paged_attention_ll4mi_QKV_mfma4_kernelI14__hip_bfloat16hLN4vllm18Fp8KVCacheDataTypeE1EhLi32ELi128ELi256ELb1ELi4EEvPKT_PKT0_S8_ifPKiSA_SA_iPKfiiiPfSD_PS3_PT2_iSC_SC_,@function
_Z38paged_attention_ll4mi_QKV_mfma4_kernelI14__hip_bfloat16hLN4vllm18Fp8KVCacheDataTypeE1EhLi32ELi128ELi256ELb1ELi4EEvPKT_PKT0_S8_ifPKiSA_SA_iPKfiiiPfSD_PS3_PT2_iSC_SC_: ; @_Z38paged_attention_ll4mi_QKV_mfma4_kernelI14__hip_bfloat16hLN4vllm18Fp8KVCacheDataTypeE1EhLi32ELi128ELi256ELb1ELi4EEvPKT_PKT0_S8_ifPKiSA_SA_iPKfiiiPfSD_PS3_PT2_iSC_SC_
; %bb.0:
	s_get_pc_i64 s[2:3]
	s_add_nc_u64 s[2:3], s[2:3], __PRETTY_FUNCTION__._Z38paged_attention_ll4mi_QKV_mfma4_kernelI14__hip_bfloat16hLN4vllm18Fp8KVCacheDataTypeE1EhLi32ELi128ELi256ELb1ELi4EEvPKT_PKT0_S8_ifPKiSA_SA_iPKfiiiPfSD_PS3_PT2_iSC_SC_@rel64+4
	s_delay_alu instid0(SALU_CYCLE_1)
	v_dual_mov_b32 v0, 0xbce :: v_dual_mov_b32 v1, s2
	v_mov_b32_e32 v2, s3
	s_add_nc_u64 s[8:9], s[0:1], 0x90
	s_get_pc_i64 s[0:1]
	s_add_nc_u64 s[0:1], s[0:1], __assert_fail@rel64+4
	s_mov_b32 s32, 0
	s_swap_pc_i64 s[30:31], s[0:1]
	.section	.rodata,"a",@progbits
	.p2align	6, 0x0
	.amdhsa_kernel _Z38paged_attention_ll4mi_QKV_mfma4_kernelI14__hip_bfloat16hLN4vllm18Fp8KVCacheDataTypeE1EhLi32ELi128ELi256ELb1ELi4EEvPKT_PKT0_S8_ifPKiSA_SA_iPKfiiiPfSD_PS3_PT2_iSC_SC_
		.amdhsa_group_segment_fixed_size 0
		.amdhsa_private_segment_fixed_size 64
		.amdhsa_kernarg_size 400
		.amdhsa_user_sgpr_count 2
		.amdhsa_user_sgpr_dispatch_ptr 0
		.amdhsa_user_sgpr_queue_ptr 0
		.amdhsa_user_sgpr_kernarg_segment_ptr 1
		.amdhsa_user_sgpr_dispatch_id 0
		.amdhsa_user_sgpr_kernarg_preload_length 0
		.amdhsa_user_sgpr_kernarg_preload_offset 0
		.amdhsa_user_sgpr_private_segment_size 0
		.amdhsa_wavefront_size32 1
		.amdhsa_uses_dynamic_stack 0
		.amdhsa_enable_private_segment 1
		.amdhsa_system_sgpr_workgroup_id_x 1
		.amdhsa_system_sgpr_workgroup_id_y 0
		.amdhsa_system_sgpr_workgroup_id_z 0
		.amdhsa_system_sgpr_workgroup_info 0
		.amdhsa_system_vgpr_workitem_id 0
		.amdhsa_next_free_vgpr 51
		.amdhsa_next_free_sgpr 34
		.amdhsa_named_barrier_count 0
		.amdhsa_reserve_vcc 1
		.amdhsa_float_round_mode_32 0
		.amdhsa_float_round_mode_16_64 0
		.amdhsa_float_denorm_mode_32 3
		.amdhsa_float_denorm_mode_16_64 3
		.amdhsa_fp16_overflow 0
		.amdhsa_memory_ordered 1
		.amdhsa_forward_progress 1
		.amdhsa_inst_pref_size 1
		.amdhsa_round_robin_scheduling 0
		.amdhsa_exception_fp_ieee_invalid_op 0
		.amdhsa_exception_fp_denorm_src 0
		.amdhsa_exception_fp_ieee_div_zero 0
		.amdhsa_exception_fp_ieee_overflow 0
		.amdhsa_exception_fp_ieee_underflow 0
		.amdhsa_exception_fp_ieee_inexact 0
		.amdhsa_exception_int_div_zero 0
	.end_amdhsa_kernel
	.section	.text._Z38paged_attention_ll4mi_QKV_mfma4_kernelI14__hip_bfloat16hLN4vllm18Fp8KVCacheDataTypeE1EhLi32ELi128ELi256ELb1ELi4EEvPKT_PKT0_S8_ifPKiSA_SA_iPKfiiiPfSD_PS3_PT2_iSC_SC_,"axG",@progbits,_Z38paged_attention_ll4mi_QKV_mfma4_kernelI14__hip_bfloat16hLN4vllm18Fp8KVCacheDataTypeE1EhLi32ELi128ELi256ELb1ELi4EEvPKT_PKT0_S8_ifPKiSA_SA_iPKfiiiPfSD_PS3_PT2_iSC_SC_,comdat
.Lfunc_end1333:
	.size	_Z38paged_attention_ll4mi_QKV_mfma4_kernelI14__hip_bfloat16hLN4vllm18Fp8KVCacheDataTypeE1EhLi32ELi128ELi256ELb1ELi4EEvPKT_PKT0_S8_ifPKiSA_SA_iPKfiiiPfSD_PS3_PT2_iSC_SC_, .Lfunc_end1333-_Z38paged_attention_ll4mi_QKV_mfma4_kernelI14__hip_bfloat16hLN4vllm18Fp8KVCacheDataTypeE1EhLi32ELi128ELi256ELb1ELi4EEvPKT_PKT0_S8_ifPKiSA_SA_iPKfiiiPfSD_PS3_PT2_iSC_SC_
                                        ; -- End function
	.set _Z38paged_attention_ll4mi_QKV_mfma4_kernelI14__hip_bfloat16hLN4vllm18Fp8KVCacheDataTypeE1EhLi32ELi128ELi256ELb1ELi4EEvPKT_PKT0_S8_ifPKiSA_SA_iPKfiiiPfSD_PS3_PT2_iSC_SC_.num_vgpr, max(3, .L__assert_fail.num_vgpr)
	.set _Z38paged_attention_ll4mi_QKV_mfma4_kernelI14__hip_bfloat16hLN4vllm18Fp8KVCacheDataTypeE1EhLi32ELi128ELi256ELb1ELi4EEvPKT_PKT0_S8_ifPKiSA_SA_iPKfiiiPfSD_PS3_PT2_iSC_SC_.num_agpr, max(0, .L__assert_fail.num_agpr)
	.set _Z38paged_attention_ll4mi_QKV_mfma4_kernelI14__hip_bfloat16hLN4vllm18Fp8KVCacheDataTypeE1EhLi32ELi128ELi256ELb1ELi4EEvPKT_PKT0_S8_ifPKiSA_SA_iPKfiiiPfSD_PS3_PT2_iSC_SC_.numbered_sgpr, max(33, .L__assert_fail.numbered_sgpr)
	.set _Z38paged_attention_ll4mi_QKV_mfma4_kernelI14__hip_bfloat16hLN4vllm18Fp8KVCacheDataTypeE1EhLi32ELi128ELi256ELb1ELi4EEvPKT_PKT0_S8_ifPKiSA_SA_iPKfiiiPfSD_PS3_PT2_iSC_SC_.num_named_barrier, max(0, .L__assert_fail.num_named_barrier)
	.set _Z38paged_attention_ll4mi_QKV_mfma4_kernelI14__hip_bfloat16hLN4vllm18Fp8KVCacheDataTypeE1EhLi32ELi128ELi256ELb1ELi4EEvPKT_PKT0_S8_ifPKiSA_SA_iPKfiiiPfSD_PS3_PT2_iSC_SC_.private_seg_size, 0+max(.L__assert_fail.private_seg_size)
	.set _Z38paged_attention_ll4mi_QKV_mfma4_kernelI14__hip_bfloat16hLN4vllm18Fp8KVCacheDataTypeE1EhLi32ELi128ELi256ELb1ELi4EEvPKT_PKT0_S8_ifPKiSA_SA_iPKfiiiPfSD_PS3_PT2_iSC_SC_.uses_vcc, or(1, .L__assert_fail.uses_vcc)
	.set _Z38paged_attention_ll4mi_QKV_mfma4_kernelI14__hip_bfloat16hLN4vllm18Fp8KVCacheDataTypeE1EhLi32ELi128ELi256ELb1ELi4EEvPKT_PKT0_S8_ifPKiSA_SA_iPKfiiiPfSD_PS3_PT2_iSC_SC_.uses_flat_scratch, or(0, .L__assert_fail.uses_flat_scratch)
	.set _Z38paged_attention_ll4mi_QKV_mfma4_kernelI14__hip_bfloat16hLN4vllm18Fp8KVCacheDataTypeE1EhLi32ELi128ELi256ELb1ELi4EEvPKT_PKT0_S8_ifPKiSA_SA_iPKfiiiPfSD_PS3_PT2_iSC_SC_.has_dyn_sized_stack, or(0, .L__assert_fail.has_dyn_sized_stack)
	.set _Z38paged_attention_ll4mi_QKV_mfma4_kernelI14__hip_bfloat16hLN4vllm18Fp8KVCacheDataTypeE1EhLi32ELi128ELi256ELb1ELi4EEvPKT_PKT0_S8_ifPKiSA_SA_iPKfiiiPfSD_PS3_PT2_iSC_SC_.has_recursion, or(0, .L__assert_fail.has_recursion)
	.set _Z38paged_attention_ll4mi_QKV_mfma4_kernelI14__hip_bfloat16hLN4vllm18Fp8KVCacheDataTypeE1EhLi32ELi128ELi256ELb1ELi4EEvPKT_PKT0_S8_ifPKiSA_SA_iPKfiiiPfSD_PS3_PT2_iSC_SC_.has_indirect_call, or(0, .L__assert_fail.has_indirect_call)
	.section	.AMDGPU.csdata,"",@progbits
; Kernel info:
; codeLenInByte = 68
; TotalNumSgprs: 36
; NumVgprs: 51
; ScratchSize: 64
; MemoryBound: 0
; FloatMode: 240
; IeeeMode: 1
; LDSByteSize: 0 bytes/workgroup (compile time only)
; SGPRBlocks: 0
; VGPRBlocks: 3
; NumSGPRsForWavesPerEU: 36
; NumVGPRsForWavesPerEU: 51
; NamedBarCnt: 0
; Occupancy: 16
; WaveLimiterHint : 1
; COMPUTE_PGM_RSRC2:SCRATCH_EN: 1
; COMPUTE_PGM_RSRC2:USER_SGPR: 2
; COMPUTE_PGM_RSRC2:TRAP_HANDLER: 0
; COMPUTE_PGM_RSRC2:TGID_X_EN: 1
; COMPUTE_PGM_RSRC2:TGID_Y_EN: 0
; COMPUTE_PGM_RSRC2:TGID_Z_EN: 0
; COMPUTE_PGM_RSRC2:TIDIG_COMP_CNT: 0
	.section	.text._Z39paged_attention_ll4mi_QKV_mfma16_kernelI14__hip_bfloat16hLN4vllm18Fp8KVCacheDataTypeE1EhLi32ELi128ELi256ELb1ELi5EEvPKT_PKT0_S8_ifPKiSA_SA_iPKfiiiPfSD_PS3_PT2_iSC_SC_,"axG",@progbits,_Z39paged_attention_ll4mi_QKV_mfma16_kernelI14__hip_bfloat16hLN4vllm18Fp8KVCacheDataTypeE1EhLi32ELi128ELi256ELb1ELi5EEvPKT_PKT0_S8_ifPKiSA_SA_iPKfiiiPfSD_PS3_PT2_iSC_SC_,comdat
	.protected	_Z39paged_attention_ll4mi_QKV_mfma16_kernelI14__hip_bfloat16hLN4vllm18Fp8KVCacheDataTypeE1EhLi32ELi128ELi256ELb1ELi5EEvPKT_PKT0_S8_ifPKiSA_SA_iPKfiiiPfSD_PS3_PT2_iSC_SC_ ; -- Begin function _Z39paged_attention_ll4mi_QKV_mfma16_kernelI14__hip_bfloat16hLN4vllm18Fp8KVCacheDataTypeE1EhLi32ELi128ELi256ELb1ELi5EEvPKT_PKT0_S8_ifPKiSA_SA_iPKfiiiPfSD_PS3_PT2_iSC_SC_
	.globl	_Z39paged_attention_ll4mi_QKV_mfma16_kernelI14__hip_bfloat16hLN4vllm18Fp8KVCacheDataTypeE1EhLi32ELi128ELi256ELb1ELi5EEvPKT_PKT0_S8_ifPKiSA_SA_iPKfiiiPfSD_PS3_PT2_iSC_SC_
	.p2align	8
	.type	_Z39paged_attention_ll4mi_QKV_mfma16_kernelI14__hip_bfloat16hLN4vllm18Fp8KVCacheDataTypeE1EhLi32ELi128ELi256ELb1ELi5EEvPKT_PKT0_S8_ifPKiSA_SA_iPKfiiiPfSD_PS3_PT2_iSC_SC_,@function
_Z39paged_attention_ll4mi_QKV_mfma16_kernelI14__hip_bfloat16hLN4vllm18Fp8KVCacheDataTypeE1EhLi32ELi128ELi256ELb1ELi5EEvPKT_PKT0_S8_ifPKiSA_SA_iPKfiiiPfSD_PS3_PT2_iSC_SC_: ; @_Z39paged_attention_ll4mi_QKV_mfma16_kernelI14__hip_bfloat16hLN4vllm18Fp8KVCacheDataTypeE1EhLi32ELi128ELi256ELb1ELi5EEvPKT_PKT0_S8_ifPKiSA_SA_iPKfiiiPfSD_PS3_PT2_iSC_SC_
; %bb.0:
	s_get_pc_i64 s[2:3]
	s_add_nc_u64 s[2:3], s[2:3], __PRETTY_FUNCTION__._Z39paged_attention_ll4mi_QKV_mfma16_kernelI14__hip_bfloat16hLN4vllm18Fp8KVCacheDataTypeE1EhLi32ELi128ELi256ELb1ELi5EEvPKT_PKT0_S8_ifPKiSA_SA_iPKfiiiPfSD_PS3_PT2_iSC_SC_@rel64+4
	s_delay_alu instid0(SALU_CYCLE_1)
	v_dual_mov_b32 v0, 0xbb3 :: v_dual_mov_b32 v1, s2
	v_mov_b32_e32 v2, s3
	s_add_nc_u64 s[8:9], s[0:1], 0x90
	s_get_pc_i64 s[0:1]
	s_add_nc_u64 s[0:1], s[0:1], __assert_fail@rel64+4
	s_mov_b32 s32, 0
	s_swap_pc_i64 s[30:31], s[0:1]
	.section	.rodata,"a",@progbits
	.p2align	6, 0x0
	.amdhsa_kernel _Z39paged_attention_ll4mi_QKV_mfma16_kernelI14__hip_bfloat16hLN4vllm18Fp8KVCacheDataTypeE1EhLi32ELi128ELi256ELb1ELi5EEvPKT_PKT0_S8_ifPKiSA_SA_iPKfiiiPfSD_PS3_PT2_iSC_SC_
		.amdhsa_group_segment_fixed_size 0
		.amdhsa_private_segment_fixed_size 64
		.amdhsa_kernarg_size 400
		.amdhsa_user_sgpr_count 2
		.amdhsa_user_sgpr_dispatch_ptr 0
		.amdhsa_user_sgpr_queue_ptr 0
		.amdhsa_user_sgpr_kernarg_segment_ptr 1
		.amdhsa_user_sgpr_dispatch_id 0
		.amdhsa_user_sgpr_kernarg_preload_length 0
		.amdhsa_user_sgpr_kernarg_preload_offset 0
		.amdhsa_user_sgpr_private_segment_size 0
		.amdhsa_wavefront_size32 1
		.amdhsa_uses_dynamic_stack 0
		.amdhsa_enable_private_segment 1
		.amdhsa_system_sgpr_workgroup_id_x 1
		.amdhsa_system_sgpr_workgroup_id_y 0
		.amdhsa_system_sgpr_workgroup_id_z 0
		.amdhsa_system_sgpr_workgroup_info 0
		.amdhsa_system_vgpr_workitem_id 0
		.amdhsa_next_free_vgpr 51
		.amdhsa_next_free_sgpr 34
		.amdhsa_named_barrier_count 0
		.amdhsa_reserve_vcc 1
		.amdhsa_float_round_mode_32 0
		.amdhsa_float_round_mode_16_64 0
		.amdhsa_float_denorm_mode_32 3
		.amdhsa_float_denorm_mode_16_64 3
		.amdhsa_fp16_overflow 0
		.amdhsa_memory_ordered 1
		.amdhsa_forward_progress 1
		.amdhsa_inst_pref_size 1
		.amdhsa_round_robin_scheduling 0
		.amdhsa_exception_fp_ieee_invalid_op 0
		.amdhsa_exception_fp_denorm_src 0
		.amdhsa_exception_fp_ieee_div_zero 0
		.amdhsa_exception_fp_ieee_overflow 0
		.amdhsa_exception_fp_ieee_underflow 0
		.amdhsa_exception_fp_ieee_inexact 0
		.amdhsa_exception_int_div_zero 0
	.end_amdhsa_kernel
	.section	.text._Z39paged_attention_ll4mi_QKV_mfma16_kernelI14__hip_bfloat16hLN4vllm18Fp8KVCacheDataTypeE1EhLi32ELi128ELi256ELb1ELi5EEvPKT_PKT0_S8_ifPKiSA_SA_iPKfiiiPfSD_PS3_PT2_iSC_SC_,"axG",@progbits,_Z39paged_attention_ll4mi_QKV_mfma16_kernelI14__hip_bfloat16hLN4vllm18Fp8KVCacheDataTypeE1EhLi32ELi128ELi256ELb1ELi5EEvPKT_PKT0_S8_ifPKiSA_SA_iPKfiiiPfSD_PS3_PT2_iSC_SC_,comdat
.Lfunc_end1334:
	.size	_Z39paged_attention_ll4mi_QKV_mfma16_kernelI14__hip_bfloat16hLN4vllm18Fp8KVCacheDataTypeE1EhLi32ELi128ELi256ELb1ELi5EEvPKT_PKT0_S8_ifPKiSA_SA_iPKfiiiPfSD_PS3_PT2_iSC_SC_, .Lfunc_end1334-_Z39paged_attention_ll4mi_QKV_mfma16_kernelI14__hip_bfloat16hLN4vllm18Fp8KVCacheDataTypeE1EhLi32ELi128ELi256ELb1ELi5EEvPKT_PKT0_S8_ifPKiSA_SA_iPKfiiiPfSD_PS3_PT2_iSC_SC_
                                        ; -- End function
	.set _Z39paged_attention_ll4mi_QKV_mfma16_kernelI14__hip_bfloat16hLN4vllm18Fp8KVCacheDataTypeE1EhLi32ELi128ELi256ELb1ELi5EEvPKT_PKT0_S8_ifPKiSA_SA_iPKfiiiPfSD_PS3_PT2_iSC_SC_.num_vgpr, max(3, .L__assert_fail.num_vgpr)
	.set _Z39paged_attention_ll4mi_QKV_mfma16_kernelI14__hip_bfloat16hLN4vllm18Fp8KVCacheDataTypeE1EhLi32ELi128ELi256ELb1ELi5EEvPKT_PKT0_S8_ifPKiSA_SA_iPKfiiiPfSD_PS3_PT2_iSC_SC_.num_agpr, max(0, .L__assert_fail.num_agpr)
	.set _Z39paged_attention_ll4mi_QKV_mfma16_kernelI14__hip_bfloat16hLN4vllm18Fp8KVCacheDataTypeE1EhLi32ELi128ELi256ELb1ELi5EEvPKT_PKT0_S8_ifPKiSA_SA_iPKfiiiPfSD_PS3_PT2_iSC_SC_.numbered_sgpr, max(33, .L__assert_fail.numbered_sgpr)
	.set _Z39paged_attention_ll4mi_QKV_mfma16_kernelI14__hip_bfloat16hLN4vllm18Fp8KVCacheDataTypeE1EhLi32ELi128ELi256ELb1ELi5EEvPKT_PKT0_S8_ifPKiSA_SA_iPKfiiiPfSD_PS3_PT2_iSC_SC_.num_named_barrier, max(0, .L__assert_fail.num_named_barrier)
	.set _Z39paged_attention_ll4mi_QKV_mfma16_kernelI14__hip_bfloat16hLN4vllm18Fp8KVCacheDataTypeE1EhLi32ELi128ELi256ELb1ELi5EEvPKT_PKT0_S8_ifPKiSA_SA_iPKfiiiPfSD_PS3_PT2_iSC_SC_.private_seg_size, 0+max(.L__assert_fail.private_seg_size)
	.set _Z39paged_attention_ll4mi_QKV_mfma16_kernelI14__hip_bfloat16hLN4vllm18Fp8KVCacheDataTypeE1EhLi32ELi128ELi256ELb1ELi5EEvPKT_PKT0_S8_ifPKiSA_SA_iPKfiiiPfSD_PS3_PT2_iSC_SC_.uses_vcc, or(1, .L__assert_fail.uses_vcc)
	.set _Z39paged_attention_ll4mi_QKV_mfma16_kernelI14__hip_bfloat16hLN4vllm18Fp8KVCacheDataTypeE1EhLi32ELi128ELi256ELb1ELi5EEvPKT_PKT0_S8_ifPKiSA_SA_iPKfiiiPfSD_PS3_PT2_iSC_SC_.uses_flat_scratch, or(0, .L__assert_fail.uses_flat_scratch)
	.set _Z39paged_attention_ll4mi_QKV_mfma16_kernelI14__hip_bfloat16hLN4vllm18Fp8KVCacheDataTypeE1EhLi32ELi128ELi256ELb1ELi5EEvPKT_PKT0_S8_ifPKiSA_SA_iPKfiiiPfSD_PS3_PT2_iSC_SC_.has_dyn_sized_stack, or(0, .L__assert_fail.has_dyn_sized_stack)
	.set _Z39paged_attention_ll4mi_QKV_mfma16_kernelI14__hip_bfloat16hLN4vllm18Fp8KVCacheDataTypeE1EhLi32ELi128ELi256ELb1ELi5EEvPKT_PKT0_S8_ifPKiSA_SA_iPKfiiiPfSD_PS3_PT2_iSC_SC_.has_recursion, or(0, .L__assert_fail.has_recursion)
	.set _Z39paged_attention_ll4mi_QKV_mfma16_kernelI14__hip_bfloat16hLN4vllm18Fp8KVCacheDataTypeE1EhLi32ELi128ELi256ELb1ELi5EEvPKT_PKT0_S8_ifPKiSA_SA_iPKfiiiPfSD_PS3_PT2_iSC_SC_.has_indirect_call, or(0, .L__assert_fail.has_indirect_call)
	.section	.AMDGPU.csdata,"",@progbits
; Kernel info:
; codeLenInByte = 68
; TotalNumSgprs: 36
; NumVgprs: 51
; ScratchSize: 64
; MemoryBound: 0
; FloatMode: 240
; IeeeMode: 1
; LDSByteSize: 0 bytes/workgroup (compile time only)
; SGPRBlocks: 0
; VGPRBlocks: 3
; NumSGPRsForWavesPerEU: 36
; NumVGPRsForWavesPerEU: 51
; NamedBarCnt: 0
; Occupancy: 16
; WaveLimiterHint : 1
; COMPUTE_PGM_RSRC2:SCRATCH_EN: 1
; COMPUTE_PGM_RSRC2:USER_SGPR: 2
; COMPUTE_PGM_RSRC2:TRAP_HANDLER: 0
; COMPUTE_PGM_RSRC2:TGID_X_EN: 1
; COMPUTE_PGM_RSRC2:TGID_Y_EN: 0
; COMPUTE_PGM_RSRC2:TGID_Z_EN: 0
; COMPUTE_PGM_RSRC2:TIDIG_COMP_CNT: 0
	.section	.text._Z39paged_attention_ll4mi_QKV_mfma16_kernelI14__hip_bfloat16hLN4vllm18Fp8KVCacheDataTypeE1EhLi32ELi128ELi256ELb1ELi6EEvPKT_PKT0_S8_ifPKiSA_SA_iPKfiiiPfSD_PS3_PT2_iSC_SC_,"axG",@progbits,_Z39paged_attention_ll4mi_QKV_mfma16_kernelI14__hip_bfloat16hLN4vllm18Fp8KVCacheDataTypeE1EhLi32ELi128ELi256ELb1ELi6EEvPKT_PKT0_S8_ifPKiSA_SA_iPKfiiiPfSD_PS3_PT2_iSC_SC_,comdat
	.protected	_Z39paged_attention_ll4mi_QKV_mfma16_kernelI14__hip_bfloat16hLN4vllm18Fp8KVCacheDataTypeE1EhLi32ELi128ELi256ELb1ELi6EEvPKT_PKT0_S8_ifPKiSA_SA_iPKfiiiPfSD_PS3_PT2_iSC_SC_ ; -- Begin function _Z39paged_attention_ll4mi_QKV_mfma16_kernelI14__hip_bfloat16hLN4vllm18Fp8KVCacheDataTypeE1EhLi32ELi128ELi256ELb1ELi6EEvPKT_PKT0_S8_ifPKiSA_SA_iPKfiiiPfSD_PS3_PT2_iSC_SC_
	.globl	_Z39paged_attention_ll4mi_QKV_mfma16_kernelI14__hip_bfloat16hLN4vllm18Fp8KVCacheDataTypeE1EhLi32ELi128ELi256ELb1ELi6EEvPKT_PKT0_S8_ifPKiSA_SA_iPKfiiiPfSD_PS3_PT2_iSC_SC_
	.p2align	8
	.type	_Z39paged_attention_ll4mi_QKV_mfma16_kernelI14__hip_bfloat16hLN4vllm18Fp8KVCacheDataTypeE1EhLi32ELi128ELi256ELb1ELi6EEvPKT_PKT0_S8_ifPKiSA_SA_iPKfiiiPfSD_PS3_PT2_iSC_SC_,@function
_Z39paged_attention_ll4mi_QKV_mfma16_kernelI14__hip_bfloat16hLN4vllm18Fp8KVCacheDataTypeE1EhLi32ELi128ELi256ELb1ELi6EEvPKT_PKT0_S8_ifPKiSA_SA_iPKfiiiPfSD_PS3_PT2_iSC_SC_: ; @_Z39paged_attention_ll4mi_QKV_mfma16_kernelI14__hip_bfloat16hLN4vllm18Fp8KVCacheDataTypeE1EhLi32ELi128ELi256ELb1ELi6EEvPKT_PKT0_S8_ifPKiSA_SA_iPKfiiiPfSD_PS3_PT2_iSC_SC_
; %bb.0:
	s_get_pc_i64 s[2:3]
	s_add_nc_u64 s[2:3], s[2:3], __PRETTY_FUNCTION__._Z39paged_attention_ll4mi_QKV_mfma16_kernelI14__hip_bfloat16hLN4vllm18Fp8KVCacheDataTypeE1EhLi32ELi128ELi256ELb1ELi6EEvPKT_PKT0_S8_ifPKiSA_SA_iPKfiiiPfSD_PS3_PT2_iSC_SC_@rel64+4
	s_delay_alu instid0(SALU_CYCLE_1)
	v_dual_mov_b32 v0, 0xbb3 :: v_dual_mov_b32 v1, s2
	v_mov_b32_e32 v2, s3
	s_add_nc_u64 s[8:9], s[0:1], 0x90
	s_get_pc_i64 s[0:1]
	s_add_nc_u64 s[0:1], s[0:1], __assert_fail@rel64+4
	s_mov_b32 s32, 0
	s_swap_pc_i64 s[30:31], s[0:1]
	.section	.rodata,"a",@progbits
	.p2align	6, 0x0
	.amdhsa_kernel _Z39paged_attention_ll4mi_QKV_mfma16_kernelI14__hip_bfloat16hLN4vllm18Fp8KVCacheDataTypeE1EhLi32ELi128ELi256ELb1ELi6EEvPKT_PKT0_S8_ifPKiSA_SA_iPKfiiiPfSD_PS3_PT2_iSC_SC_
		.amdhsa_group_segment_fixed_size 0
		.amdhsa_private_segment_fixed_size 64
		.amdhsa_kernarg_size 400
		.amdhsa_user_sgpr_count 2
		.amdhsa_user_sgpr_dispatch_ptr 0
		.amdhsa_user_sgpr_queue_ptr 0
		.amdhsa_user_sgpr_kernarg_segment_ptr 1
		.amdhsa_user_sgpr_dispatch_id 0
		.amdhsa_user_sgpr_kernarg_preload_length 0
		.amdhsa_user_sgpr_kernarg_preload_offset 0
		.amdhsa_user_sgpr_private_segment_size 0
		.amdhsa_wavefront_size32 1
		.amdhsa_uses_dynamic_stack 0
		.amdhsa_enable_private_segment 1
		.amdhsa_system_sgpr_workgroup_id_x 1
		.amdhsa_system_sgpr_workgroup_id_y 0
		.amdhsa_system_sgpr_workgroup_id_z 0
		.amdhsa_system_sgpr_workgroup_info 0
		.amdhsa_system_vgpr_workitem_id 0
		.amdhsa_next_free_vgpr 51
		.amdhsa_next_free_sgpr 34
		.amdhsa_named_barrier_count 0
		.amdhsa_reserve_vcc 1
		.amdhsa_float_round_mode_32 0
		.amdhsa_float_round_mode_16_64 0
		.amdhsa_float_denorm_mode_32 3
		.amdhsa_float_denorm_mode_16_64 3
		.amdhsa_fp16_overflow 0
		.amdhsa_memory_ordered 1
		.amdhsa_forward_progress 1
		.amdhsa_inst_pref_size 1
		.amdhsa_round_robin_scheduling 0
		.amdhsa_exception_fp_ieee_invalid_op 0
		.amdhsa_exception_fp_denorm_src 0
		.amdhsa_exception_fp_ieee_div_zero 0
		.amdhsa_exception_fp_ieee_overflow 0
		.amdhsa_exception_fp_ieee_underflow 0
		.amdhsa_exception_fp_ieee_inexact 0
		.amdhsa_exception_int_div_zero 0
	.end_amdhsa_kernel
	.section	.text._Z39paged_attention_ll4mi_QKV_mfma16_kernelI14__hip_bfloat16hLN4vllm18Fp8KVCacheDataTypeE1EhLi32ELi128ELi256ELb1ELi6EEvPKT_PKT0_S8_ifPKiSA_SA_iPKfiiiPfSD_PS3_PT2_iSC_SC_,"axG",@progbits,_Z39paged_attention_ll4mi_QKV_mfma16_kernelI14__hip_bfloat16hLN4vllm18Fp8KVCacheDataTypeE1EhLi32ELi128ELi256ELb1ELi6EEvPKT_PKT0_S8_ifPKiSA_SA_iPKfiiiPfSD_PS3_PT2_iSC_SC_,comdat
.Lfunc_end1335:
	.size	_Z39paged_attention_ll4mi_QKV_mfma16_kernelI14__hip_bfloat16hLN4vllm18Fp8KVCacheDataTypeE1EhLi32ELi128ELi256ELb1ELi6EEvPKT_PKT0_S8_ifPKiSA_SA_iPKfiiiPfSD_PS3_PT2_iSC_SC_, .Lfunc_end1335-_Z39paged_attention_ll4mi_QKV_mfma16_kernelI14__hip_bfloat16hLN4vllm18Fp8KVCacheDataTypeE1EhLi32ELi128ELi256ELb1ELi6EEvPKT_PKT0_S8_ifPKiSA_SA_iPKfiiiPfSD_PS3_PT2_iSC_SC_
                                        ; -- End function
	.set _Z39paged_attention_ll4mi_QKV_mfma16_kernelI14__hip_bfloat16hLN4vllm18Fp8KVCacheDataTypeE1EhLi32ELi128ELi256ELb1ELi6EEvPKT_PKT0_S8_ifPKiSA_SA_iPKfiiiPfSD_PS3_PT2_iSC_SC_.num_vgpr, max(3, .L__assert_fail.num_vgpr)
	.set _Z39paged_attention_ll4mi_QKV_mfma16_kernelI14__hip_bfloat16hLN4vllm18Fp8KVCacheDataTypeE1EhLi32ELi128ELi256ELb1ELi6EEvPKT_PKT0_S8_ifPKiSA_SA_iPKfiiiPfSD_PS3_PT2_iSC_SC_.num_agpr, max(0, .L__assert_fail.num_agpr)
	.set _Z39paged_attention_ll4mi_QKV_mfma16_kernelI14__hip_bfloat16hLN4vllm18Fp8KVCacheDataTypeE1EhLi32ELi128ELi256ELb1ELi6EEvPKT_PKT0_S8_ifPKiSA_SA_iPKfiiiPfSD_PS3_PT2_iSC_SC_.numbered_sgpr, max(33, .L__assert_fail.numbered_sgpr)
	.set _Z39paged_attention_ll4mi_QKV_mfma16_kernelI14__hip_bfloat16hLN4vllm18Fp8KVCacheDataTypeE1EhLi32ELi128ELi256ELb1ELi6EEvPKT_PKT0_S8_ifPKiSA_SA_iPKfiiiPfSD_PS3_PT2_iSC_SC_.num_named_barrier, max(0, .L__assert_fail.num_named_barrier)
	.set _Z39paged_attention_ll4mi_QKV_mfma16_kernelI14__hip_bfloat16hLN4vllm18Fp8KVCacheDataTypeE1EhLi32ELi128ELi256ELb1ELi6EEvPKT_PKT0_S8_ifPKiSA_SA_iPKfiiiPfSD_PS3_PT2_iSC_SC_.private_seg_size, 0+max(.L__assert_fail.private_seg_size)
	.set _Z39paged_attention_ll4mi_QKV_mfma16_kernelI14__hip_bfloat16hLN4vllm18Fp8KVCacheDataTypeE1EhLi32ELi128ELi256ELb1ELi6EEvPKT_PKT0_S8_ifPKiSA_SA_iPKfiiiPfSD_PS3_PT2_iSC_SC_.uses_vcc, or(1, .L__assert_fail.uses_vcc)
	.set _Z39paged_attention_ll4mi_QKV_mfma16_kernelI14__hip_bfloat16hLN4vllm18Fp8KVCacheDataTypeE1EhLi32ELi128ELi256ELb1ELi6EEvPKT_PKT0_S8_ifPKiSA_SA_iPKfiiiPfSD_PS3_PT2_iSC_SC_.uses_flat_scratch, or(0, .L__assert_fail.uses_flat_scratch)
	.set _Z39paged_attention_ll4mi_QKV_mfma16_kernelI14__hip_bfloat16hLN4vllm18Fp8KVCacheDataTypeE1EhLi32ELi128ELi256ELb1ELi6EEvPKT_PKT0_S8_ifPKiSA_SA_iPKfiiiPfSD_PS3_PT2_iSC_SC_.has_dyn_sized_stack, or(0, .L__assert_fail.has_dyn_sized_stack)
	.set _Z39paged_attention_ll4mi_QKV_mfma16_kernelI14__hip_bfloat16hLN4vllm18Fp8KVCacheDataTypeE1EhLi32ELi128ELi256ELb1ELi6EEvPKT_PKT0_S8_ifPKiSA_SA_iPKfiiiPfSD_PS3_PT2_iSC_SC_.has_recursion, or(0, .L__assert_fail.has_recursion)
	.set _Z39paged_attention_ll4mi_QKV_mfma16_kernelI14__hip_bfloat16hLN4vllm18Fp8KVCacheDataTypeE1EhLi32ELi128ELi256ELb1ELi6EEvPKT_PKT0_S8_ifPKiSA_SA_iPKfiiiPfSD_PS3_PT2_iSC_SC_.has_indirect_call, or(0, .L__assert_fail.has_indirect_call)
	.section	.AMDGPU.csdata,"",@progbits
; Kernel info:
; codeLenInByte = 68
; TotalNumSgprs: 36
; NumVgprs: 51
; ScratchSize: 64
; MemoryBound: 0
; FloatMode: 240
; IeeeMode: 1
; LDSByteSize: 0 bytes/workgroup (compile time only)
; SGPRBlocks: 0
; VGPRBlocks: 3
; NumSGPRsForWavesPerEU: 36
; NumVGPRsForWavesPerEU: 51
; NamedBarCnt: 0
; Occupancy: 16
; WaveLimiterHint : 1
; COMPUTE_PGM_RSRC2:SCRATCH_EN: 1
; COMPUTE_PGM_RSRC2:USER_SGPR: 2
; COMPUTE_PGM_RSRC2:TRAP_HANDLER: 0
; COMPUTE_PGM_RSRC2:TGID_X_EN: 1
; COMPUTE_PGM_RSRC2:TGID_Y_EN: 0
; COMPUTE_PGM_RSRC2:TGID_Z_EN: 0
; COMPUTE_PGM_RSRC2:TIDIG_COMP_CNT: 0
	.section	.text._Z39paged_attention_ll4mi_QKV_mfma16_kernelI14__hip_bfloat16hLN4vllm18Fp8KVCacheDataTypeE1EhLi32ELi128ELi256ELb1ELi7EEvPKT_PKT0_S8_ifPKiSA_SA_iPKfiiiPfSD_PS3_PT2_iSC_SC_,"axG",@progbits,_Z39paged_attention_ll4mi_QKV_mfma16_kernelI14__hip_bfloat16hLN4vllm18Fp8KVCacheDataTypeE1EhLi32ELi128ELi256ELb1ELi7EEvPKT_PKT0_S8_ifPKiSA_SA_iPKfiiiPfSD_PS3_PT2_iSC_SC_,comdat
	.protected	_Z39paged_attention_ll4mi_QKV_mfma16_kernelI14__hip_bfloat16hLN4vllm18Fp8KVCacheDataTypeE1EhLi32ELi128ELi256ELb1ELi7EEvPKT_PKT0_S8_ifPKiSA_SA_iPKfiiiPfSD_PS3_PT2_iSC_SC_ ; -- Begin function _Z39paged_attention_ll4mi_QKV_mfma16_kernelI14__hip_bfloat16hLN4vllm18Fp8KVCacheDataTypeE1EhLi32ELi128ELi256ELb1ELi7EEvPKT_PKT0_S8_ifPKiSA_SA_iPKfiiiPfSD_PS3_PT2_iSC_SC_
	.globl	_Z39paged_attention_ll4mi_QKV_mfma16_kernelI14__hip_bfloat16hLN4vllm18Fp8KVCacheDataTypeE1EhLi32ELi128ELi256ELb1ELi7EEvPKT_PKT0_S8_ifPKiSA_SA_iPKfiiiPfSD_PS3_PT2_iSC_SC_
	.p2align	8
	.type	_Z39paged_attention_ll4mi_QKV_mfma16_kernelI14__hip_bfloat16hLN4vllm18Fp8KVCacheDataTypeE1EhLi32ELi128ELi256ELb1ELi7EEvPKT_PKT0_S8_ifPKiSA_SA_iPKfiiiPfSD_PS3_PT2_iSC_SC_,@function
_Z39paged_attention_ll4mi_QKV_mfma16_kernelI14__hip_bfloat16hLN4vllm18Fp8KVCacheDataTypeE1EhLi32ELi128ELi256ELb1ELi7EEvPKT_PKT0_S8_ifPKiSA_SA_iPKfiiiPfSD_PS3_PT2_iSC_SC_: ; @_Z39paged_attention_ll4mi_QKV_mfma16_kernelI14__hip_bfloat16hLN4vllm18Fp8KVCacheDataTypeE1EhLi32ELi128ELi256ELb1ELi7EEvPKT_PKT0_S8_ifPKiSA_SA_iPKfiiiPfSD_PS3_PT2_iSC_SC_
; %bb.0:
	s_get_pc_i64 s[2:3]
	s_add_nc_u64 s[2:3], s[2:3], __PRETTY_FUNCTION__._Z39paged_attention_ll4mi_QKV_mfma16_kernelI14__hip_bfloat16hLN4vllm18Fp8KVCacheDataTypeE1EhLi32ELi128ELi256ELb1ELi7EEvPKT_PKT0_S8_ifPKiSA_SA_iPKfiiiPfSD_PS3_PT2_iSC_SC_@rel64+4
	s_delay_alu instid0(SALU_CYCLE_1)
	v_dual_mov_b32 v0, 0xbb3 :: v_dual_mov_b32 v1, s2
	v_mov_b32_e32 v2, s3
	s_add_nc_u64 s[8:9], s[0:1], 0x90
	s_get_pc_i64 s[0:1]
	s_add_nc_u64 s[0:1], s[0:1], __assert_fail@rel64+4
	s_mov_b32 s32, 0
	s_swap_pc_i64 s[30:31], s[0:1]
	.section	.rodata,"a",@progbits
	.p2align	6, 0x0
	.amdhsa_kernel _Z39paged_attention_ll4mi_QKV_mfma16_kernelI14__hip_bfloat16hLN4vllm18Fp8KVCacheDataTypeE1EhLi32ELi128ELi256ELb1ELi7EEvPKT_PKT0_S8_ifPKiSA_SA_iPKfiiiPfSD_PS3_PT2_iSC_SC_
		.amdhsa_group_segment_fixed_size 0
		.amdhsa_private_segment_fixed_size 64
		.amdhsa_kernarg_size 400
		.amdhsa_user_sgpr_count 2
		.amdhsa_user_sgpr_dispatch_ptr 0
		.amdhsa_user_sgpr_queue_ptr 0
		.amdhsa_user_sgpr_kernarg_segment_ptr 1
		.amdhsa_user_sgpr_dispatch_id 0
		.amdhsa_user_sgpr_kernarg_preload_length 0
		.amdhsa_user_sgpr_kernarg_preload_offset 0
		.amdhsa_user_sgpr_private_segment_size 0
		.amdhsa_wavefront_size32 1
		.amdhsa_uses_dynamic_stack 0
		.amdhsa_enable_private_segment 1
		.amdhsa_system_sgpr_workgroup_id_x 1
		.amdhsa_system_sgpr_workgroup_id_y 0
		.amdhsa_system_sgpr_workgroup_id_z 0
		.amdhsa_system_sgpr_workgroup_info 0
		.amdhsa_system_vgpr_workitem_id 0
		.amdhsa_next_free_vgpr 51
		.amdhsa_next_free_sgpr 34
		.amdhsa_named_barrier_count 0
		.amdhsa_reserve_vcc 1
		.amdhsa_float_round_mode_32 0
		.amdhsa_float_round_mode_16_64 0
		.amdhsa_float_denorm_mode_32 3
		.amdhsa_float_denorm_mode_16_64 3
		.amdhsa_fp16_overflow 0
		.amdhsa_memory_ordered 1
		.amdhsa_forward_progress 1
		.amdhsa_inst_pref_size 1
		.amdhsa_round_robin_scheduling 0
		.amdhsa_exception_fp_ieee_invalid_op 0
		.amdhsa_exception_fp_denorm_src 0
		.amdhsa_exception_fp_ieee_div_zero 0
		.amdhsa_exception_fp_ieee_overflow 0
		.amdhsa_exception_fp_ieee_underflow 0
		.amdhsa_exception_fp_ieee_inexact 0
		.amdhsa_exception_int_div_zero 0
	.end_amdhsa_kernel
	.section	.text._Z39paged_attention_ll4mi_QKV_mfma16_kernelI14__hip_bfloat16hLN4vllm18Fp8KVCacheDataTypeE1EhLi32ELi128ELi256ELb1ELi7EEvPKT_PKT0_S8_ifPKiSA_SA_iPKfiiiPfSD_PS3_PT2_iSC_SC_,"axG",@progbits,_Z39paged_attention_ll4mi_QKV_mfma16_kernelI14__hip_bfloat16hLN4vllm18Fp8KVCacheDataTypeE1EhLi32ELi128ELi256ELb1ELi7EEvPKT_PKT0_S8_ifPKiSA_SA_iPKfiiiPfSD_PS3_PT2_iSC_SC_,comdat
.Lfunc_end1336:
	.size	_Z39paged_attention_ll4mi_QKV_mfma16_kernelI14__hip_bfloat16hLN4vllm18Fp8KVCacheDataTypeE1EhLi32ELi128ELi256ELb1ELi7EEvPKT_PKT0_S8_ifPKiSA_SA_iPKfiiiPfSD_PS3_PT2_iSC_SC_, .Lfunc_end1336-_Z39paged_attention_ll4mi_QKV_mfma16_kernelI14__hip_bfloat16hLN4vllm18Fp8KVCacheDataTypeE1EhLi32ELi128ELi256ELb1ELi7EEvPKT_PKT0_S8_ifPKiSA_SA_iPKfiiiPfSD_PS3_PT2_iSC_SC_
                                        ; -- End function
	.set _Z39paged_attention_ll4mi_QKV_mfma16_kernelI14__hip_bfloat16hLN4vllm18Fp8KVCacheDataTypeE1EhLi32ELi128ELi256ELb1ELi7EEvPKT_PKT0_S8_ifPKiSA_SA_iPKfiiiPfSD_PS3_PT2_iSC_SC_.num_vgpr, max(3, .L__assert_fail.num_vgpr)
	.set _Z39paged_attention_ll4mi_QKV_mfma16_kernelI14__hip_bfloat16hLN4vllm18Fp8KVCacheDataTypeE1EhLi32ELi128ELi256ELb1ELi7EEvPKT_PKT0_S8_ifPKiSA_SA_iPKfiiiPfSD_PS3_PT2_iSC_SC_.num_agpr, max(0, .L__assert_fail.num_agpr)
	.set _Z39paged_attention_ll4mi_QKV_mfma16_kernelI14__hip_bfloat16hLN4vllm18Fp8KVCacheDataTypeE1EhLi32ELi128ELi256ELb1ELi7EEvPKT_PKT0_S8_ifPKiSA_SA_iPKfiiiPfSD_PS3_PT2_iSC_SC_.numbered_sgpr, max(33, .L__assert_fail.numbered_sgpr)
	.set _Z39paged_attention_ll4mi_QKV_mfma16_kernelI14__hip_bfloat16hLN4vllm18Fp8KVCacheDataTypeE1EhLi32ELi128ELi256ELb1ELi7EEvPKT_PKT0_S8_ifPKiSA_SA_iPKfiiiPfSD_PS3_PT2_iSC_SC_.num_named_barrier, max(0, .L__assert_fail.num_named_barrier)
	.set _Z39paged_attention_ll4mi_QKV_mfma16_kernelI14__hip_bfloat16hLN4vllm18Fp8KVCacheDataTypeE1EhLi32ELi128ELi256ELb1ELi7EEvPKT_PKT0_S8_ifPKiSA_SA_iPKfiiiPfSD_PS3_PT2_iSC_SC_.private_seg_size, 0+max(.L__assert_fail.private_seg_size)
	.set _Z39paged_attention_ll4mi_QKV_mfma16_kernelI14__hip_bfloat16hLN4vllm18Fp8KVCacheDataTypeE1EhLi32ELi128ELi256ELb1ELi7EEvPKT_PKT0_S8_ifPKiSA_SA_iPKfiiiPfSD_PS3_PT2_iSC_SC_.uses_vcc, or(1, .L__assert_fail.uses_vcc)
	.set _Z39paged_attention_ll4mi_QKV_mfma16_kernelI14__hip_bfloat16hLN4vllm18Fp8KVCacheDataTypeE1EhLi32ELi128ELi256ELb1ELi7EEvPKT_PKT0_S8_ifPKiSA_SA_iPKfiiiPfSD_PS3_PT2_iSC_SC_.uses_flat_scratch, or(0, .L__assert_fail.uses_flat_scratch)
	.set _Z39paged_attention_ll4mi_QKV_mfma16_kernelI14__hip_bfloat16hLN4vllm18Fp8KVCacheDataTypeE1EhLi32ELi128ELi256ELb1ELi7EEvPKT_PKT0_S8_ifPKiSA_SA_iPKfiiiPfSD_PS3_PT2_iSC_SC_.has_dyn_sized_stack, or(0, .L__assert_fail.has_dyn_sized_stack)
	.set _Z39paged_attention_ll4mi_QKV_mfma16_kernelI14__hip_bfloat16hLN4vllm18Fp8KVCacheDataTypeE1EhLi32ELi128ELi256ELb1ELi7EEvPKT_PKT0_S8_ifPKiSA_SA_iPKfiiiPfSD_PS3_PT2_iSC_SC_.has_recursion, or(0, .L__assert_fail.has_recursion)
	.set _Z39paged_attention_ll4mi_QKV_mfma16_kernelI14__hip_bfloat16hLN4vllm18Fp8KVCacheDataTypeE1EhLi32ELi128ELi256ELb1ELi7EEvPKT_PKT0_S8_ifPKiSA_SA_iPKfiiiPfSD_PS3_PT2_iSC_SC_.has_indirect_call, or(0, .L__assert_fail.has_indirect_call)
	.section	.AMDGPU.csdata,"",@progbits
; Kernel info:
; codeLenInByte = 68
; TotalNumSgprs: 36
; NumVgprs: 51
; ScratchSize: 64
; MemoryBound: 0
; FloatMode: 240
; IeeeMode: 1
; LDSByteSize: 0 bytes/workgroup (compile time only)
; SGPRBlocks: 0
; VGPRBlocks: 3
; NumSGPRsForWavesPerEU: 36
; NumVGPRsForWavesPerEU: 51
; NamedBarCnt: 0
; Occupancy: 16
; WaveLimiterHint : 1
; COMPUTE_PGM_RSRC2:SCRATCH_EN: 1
; COMPUTE_PGM_RSRC2:USER_SGPR: 2
; COMPUTE_PGM_RSRC2:TRAP_HANDLER: 0
; COMPUTE_PGM_RSRC2:TGID_X_EN: 1
; COMPUTE_PGM_RSRC2:TGID_Y_EN: 0
; COMPUTE_PGM_RSRC2:TGID_Z_EN: 0
; COMPUTE_PGM_RSRC2:TIDIG_COMP_CNT: 0
	.section	.text._Z39paged_attention_ll4mi_QKV_mfma16_kernelI14__hip_bfloat16hLN4vllm18Fp8KVCacheDataTypeE1EhLi32ELi128ELi256ELb1ELi8EEvPKT_PKT0_S8_ifPKiSA_SA_iPKfiiiPfSD_PS3_PT2_iSC_SC_,"axG",@progbits,_Z39paged_attention_ll4mi_QKV_mfma16_kernelI14__hip_bfloat16hLN4vllm18Fp8KVCacheDataTypeE1EhLi32ELi128ELi256ELb1ELi8EEvPKT_PKT0_S8_ifPKiSA_SA_iPKfiiiPfSD_PS3_PT2_iSC_SC_,comdat
	.protected	_Z39paged_attention_ll4mi_QKV_mfma16_kernelI14__hip_bfloat16hLN4vllm18Fp8KVCacheDataTypeE1EhLi32ELi128ELi256ELb1ELi8EEvPKT_PKT0_S8_ifPKiSA_SA_iPKfiiiPfSD_PS3_PT2_iSC_SC_ ; -- Begin function _Z39paged_attention_ll4mi_QKV_mfma16_kernelI14__hip_bfloat16hLN4vllm18Fp8KVCacheDataTypeE1EhLi32ELi128ELi256ELb1ELi8EEvPKT_PKT0_S8_ifPKiSA_SA_iPKfiiiPfSD_PS3_PT2_iSC_SC_
	.globl	_Z39paged_attention_ll4mi_QKV_mfma16_kernelI14__hip_bfloat16hLN4vllm18Fp8KVCacheDataTypeE1EhLi32ELi128ELi256ELb1ELi8EEvPKT_PKT0_S8_ifPKiSA_SA_iPKfiiiPfSD_PS3_PT2_iSC_SC_
	.p2align	8
	.type	_Z39paged_attention_ll4mi_QKV_mfma16_kernelI14__hip_bfloat16hLN4vllm18Fp8KVCacheDataTypeE1EhLi32ELi128ELi256ELb1ELi8EEvPKT_PKT0_S8_ifPKiSA_SA_iPKfiiiPfSD_PS3_PT2_iSC_SC_,@function
_Z39paged_attention_ll4mi_QKV_mfma16_kernelI14__hip_bfloat16hLN4vllm18Fp8KVCacheDataTypeE1EhLi32ELi128ELi256ELb1ELi8EEvPKT_PKT0_S8_ifPKiSA_SA_iPKfiiiPfSD_PS3_PT2_iSC_SC_: ; @_Z39paged_attention_ll4mi_QKV_mfma16_kernelI14__hip_bfloat16hLN4vllm18Fp8KVCacheDataTypeE1EhLi32ELi128ELi256ELb1ELi8EEvPKT_PKT0_S8_ifPKiSA_SA_iPKfiiiPfSD_PS3_PT2_iSC_SC_
; %bb.0:
	s_get_pc_i64 s[2:3]
	s_add_nc_u64 s[2:3], s[2:3], __PRETTY_FUNCTION__._Z39paged_attention_ll4mi_QKV_mfma16_kernelI14__hip_bfloat16hLN4vllm18Fp8KVCacheDataTypeE1EhLi32ELi128ELi256ELb1ELi8EEvPKT_PKT0_S8_ifPKiSA_SA_iPKfiiiPfSD_PS3_PT2_iSC_SC_@rel64+4
	s_delay_alu instid0(SALU_CYCLE_1)
	v_dual_mov_b32 v0, 0xbb3 :: v_dual_mov_b32 v1, s2
	v_mov_b32_e32 v2, s3
	s_add_nc_u64 s[8:9], s[0:1], 0x90
	s_get_pc_i64 s[0:1]
	s_add_nc_u64 s[0:1], s[0:1], __assert_fail@rel64+4
	s_mov_b32 s32, 0
	s_swap_pc_i64 s[30:31], s[0:1]
	.section	.rodata,"a",@progbits
	.p2align	6, 0x0
	.amdhsa_kernel _Z39paged_attention_ll4mi_QKV_mfma16_kernelI14__hip_bfloat16hLN4vllm18Fp8KVCacheDataTypeE1EhLi32ELi128ELi256ELb1ELi8EEvPKT_PKT0_S8_ifPKiSA_SA_iPKfiiiPfSD_PS3_PT2_iSC_SC_
		.amdhsa_group_segment_fixed_size 0
		.amdhsa_private_segment_fixed_size 64
		.amdhsa_kernarg_size 400
		.amdhsa_user_sgpr_count 2
		.amdhsa_user_sgpr_dispatch_ptr 0
		.amdhsa_user_sgpr_queue_ptr 0
		.amdhsa_user_sgpr_kernarg_segment_ptr 1
		.amdhsa_user_sgpr_dispatch_id 0
		.amdhsa_user_sgpr_kernarg_preload_length 0
		.amdhsa_user_sgpr_kernarg_preload_offset 0
		.amdhsa_user_sgpr_private_segment_size 0
		.amdhsa_wavefront_size32 1
		.amdhsa_uses_dynamic_stack 0
		.amdhsa_enable_private_segment 1
		.amdhsa_system_sgpr_workgroup_id_x 1
		.amdhsa_system_sgpr_workgroup_id_y 0
		.amdhsa_system_sgpr_workgroup_id_z 0
		.amdhsa_system_sgpr_workgroup_info 0
		.amdhsa_system_vgpr_workitem_id 0
		.amdhsa_next_free_vgpr 51
		.amdhsa_next_free_sgpr 34
		.amdhsa_named_barrier_count 0
		.amdhsa_reserve_vcc 1
		.amdhsa_float_round_mode_32 0
		.amdhsa_float_round_mode_16_64 0
		.amdhsa_float_denorm_mode_32 3
		.amdhsa_float_denorm_mode_16_64 3
		.amdhsa_fp16_overflow 0
		.amdhsa_memory_ordered 1
		.amdhsa_forward_progress 1
		.amdhsa_inst_pref_size 1
		.amdhsa_round_robin_scheduling 0
		.amdhsa_exception_fp_ieee_invalid_op 0
		.amdhsa_exception_fp_denorm_src 0
		.amdhsa_exception_fp_ieee_div_zero 0
		.amdhsa_exception_fp_ieee_overflow 0
		.amdhsa_exception_fp_ieee_underflow 0
		.amdhsa_exception_fp_ieee_inexact 0
		.amdhsa_exception_int_div_zero 0
	.end_amdhsa_kernel
	.section	.text._Z39paged_attention_ll4mi_QKV_mfma16_kernelI14__hip_bfloat16hLN4vllm18Fp8KVCacheDataTypeE1EhLi32ELi128ELi256ELb1ELi8EEvPKT_PKT0_S8_ifPKiSA_SA_iPKfiiiPfSD_PS3_PT2_iSC_SC_,"axG",@progbits,_Z39paged_attention_ll4mi_QKV_mfma16_kernelI14__hip_bfloat16hLN4vllm18Fp8KVCacheDataTypeE1EhLi32ELi128ELi256ELb1ELi8EEvPKT_PKT0_S8_ifPKiSA_SA_iPKfiiiPfSD_PS3_PT2_iSC_SC_,comdat
.Lfunc_end1337:
	.size	_Z39paged_attention_ll4mi_QKV_mfma16_kernelI14__hip_bfloat16hLN4vllm18Fp8KVCacheDataTypeE1EhLi32ELi128ELi256ELb1ELi8EEvPKT_PKT0_S8_ifPKiSA_SA_iPKfiiiPfSD_PS3_PT2_iSC_SC_, .Lfunc_end1337-_Z39paged_attention_ll4mi_QKV_mfma16_kernelI14__hip_bfloat16hLN4vllm18Fp8KVCacheDataTypeE1EhLi32ELi128ELi256ELb1ELi8EEvPKT_PKT0_S8_ifPKiSA_SA_iPKfiiiPfSD_PS3_PT2_iSC_SC_
                                        ; -- End function
	.set _Z39paged_attention_ll4mi_QKV_mfma16_kernelI14__hip_bfloat16hLN4vllm18Fp8KVCacheDataTypeE1EhLi32ELi128ELi256ELb1ELi8EEvPKT_PKT0_S8_ifPKiSA_SA_iPKfiiiPfSD_PS3_PT2_iSC_SC_.num_vgpr, max(3, .L__assert_fail.num_vgpr)
	.set _Z39paged_attention_ll4mi_QKV_mfma16_kernelI14__hip_bfloat16hLN4vllm18Fp8KVCacheDataTypeE1EhLi32ELi128ELi256ELb1ELi8EEvPKT_PKT0_S8_ifPKiSA_SA_iPKfiiiPfSD_PS3_PT2_iSC_SC_.num_agpr, max(0, .L__assert_fail.num_agpr)
	.set _Z39paged_attention_ll4mi_QKV_mfma16_kernelI14__hip_bfloat16hLN4vllm18Fp8KVCacheDataTypeE1EhLi32ELi128ELi256ELb1ELi8EEvPKT_PKT0_S8_ifPKiSA_SA_iPKfiiiPfSD_PS3_PT2_iSC_SC_.numbered_sgpr, max(33, .L__assert_fail.numbered_sgpr)
	.set _Z39paged_attention_ll4mi_QKV_mfma16_kernelI14__hip_bfloat16hLN4vllm18Fp8KVCacheDataTypeE1EhLi32ELi128ELi256ELb1ELi8EEvPKT_PKT0_S8_ifPKiSA_SA_iPKfiiiPfSD_PS3_PT2_iSC_SC_.num_named_barrier, max(0, .L__assert_fail.num_named_barrier)
	.set _Z39paged_attention_ll4mi_QKV_mfma16_kernelI14__hip_bfloat16hLN4vllm18Fp8KVCacheDataTypeE1EhLi32ELi128ELi256ELb1ELi8EEvPKT_PKT0_S8_ifPKiSA_SA_iPKfiiiPfSD_PS3_PT2_iSC_SC_.private_seg_size, 0+max(.L__assert_fail.private_seg_size)
	.set _Z39paged_attention_ll4mi_QKV_mfma16_kernelI14__hip_bfloat16hLN4vllm18Fp8KVCacheDataTypeE1EhLi32ELi128ELi256ELb1ELi8EEvPKT_PKT0_S8_ifPKiSA_SA_iPKfiiiPfSD_PS3_PT2_iSC_SC_.uses_vcc, or(1, .L__assert_fail.uses_vcc)
	.set _Z39paged_attention_ll4mi_QKV_mfma16_kernelI14__hip_bfloat16hLN4vllm18Fp8KVCacheDataTypeE1EhLi32ELi128ELi256ELb1ELi8EEvPKT_PKT0_S8_ifPKiSA_SA_iPKfiiiPfSD_PS3_PT2_iSC_SC_.uses_flat_scratch, or(0, .L__assert_fail.uses_flat_scratch)
	.set _Z39paged_attention_ll4mi_QKV_mfma16_kernelI14__hip_bfloat16hLN4vllm18Fp8KVCacheDataTypeE1EhLi32ELi128ELi256ELb1ELi8EEvPKT_PKT0_S8_ifPKiSA_SA_iPKfiiiPfSD_PS3_PT2_iSC_SC_.has_dyn_sized_stack, or(0, .L__assert_fail.has_dyn_sized_stack)
	.set _Z39paged_attention_ll4mi_QKV_mfma16_kernelI14__hip_bfloat16hLN4vllm18Fp8KVCacheDataTypeE1EhLi32ELi128ELi256ELb1ELi8EEvPKT_PKT0_S8_ifPKiSA_SA_iPKfiiiPfSD_PS3_PT2_iSC_SC_.has_recursion, or(0, .L__assert_fail.has_recursion)
	.set _Z39paged_attention_ll4mi_QKV_mfma16_kernelI14__hip_bfloat16hLN4vllm18Fp8KVCacheDataTypeE1EhLi32ELi128ELi256ELb1ELi8EEvPKT_PKT0_S8_ifPKiSA_SA_iPKfiiiPfSD_PS3_PT2_iSC_SC_.has_indirect_call, or(0, .L__assert_fail.has_indirect_call)
	.section	.AMDGPU.csdata,"",@progbits
; Kernel info:
; codeLenInByte = 68
; TotalNumSgprs: 36
; NumVgprs: 51
; ScratchSize: 64
; MemoryBound: 0
; FloatMode: 240
; IeeeMode: 1
; LDSByteSize: 0 bytes/workgroup (compile time only)
; SGPRBlocks: 0
; VGPRBlocks: 3
; NumSGPRsForWavesPerEU: 36
; NumVGPRsForWavesPerEU: 51
; NamedBarCnt: 0
; Occupancy: 16
; WaveLimiterHint : 1
; COMPUTE_PGM_RSRC2:SCRATCH_EN: 1
; COMPUTE_PGM_RSRC2:USER_SGPR: 2
; COMPUTE_PGM_RSRC2:TRAP_HANDLER: 0
; COMPUTE_PGM_RSRC2:TGID_X_EN: 1
; COMPUTE_PGM_RSRC2:TGID_Y_EN: 0
; COMPUTE_PGM_RSRC2:TGID_Z_EN: 0
; COMPUTE_PGM_RSRC2:TIDIG_COMP_CNT: 0
	.section	.text._Z39paged_attention_ll4mi_QKV_mfma16_kernelI14__hip_bfloat16hLN4vllm18Fp8KVCacheDataTypeE1EhLi32ELi128ELi256ELb1ELi9EEvPKT_PKT0_S8_ifPKiSA_SA_iPKfiiiPfSD_PS3_PT2_iSC_SC_,"axG",@progbits,_Z39paged_attention_ll4mi_QKV_mfma16_kernelI14__hip_bfloat16hLN4vllm18Fp8KVCacheDataTypeE1EhLi32ELi128ELi256ELb1ELi9EEvPKT_PKT0_S8_ifPKiSA_SA_iPKfiiiPfSD_PS3_PT2_iSC_SC_,comdat
	.protected	_Z39paged_attention_ll4mi_QKV_mfma16_kernelI14__hip_bfloat16hLN4vllm18Fp8KVCacheDataTypeE1EhLi32ELi128ELi256ELb1ELi9EEvPKT_PKT0_S8_ifPKiSA_SA_iPKfiiiPfSD_PS3_PT2_iSC_SC_ ; -- Begin function _Z39paged_attention_ll4mi_QKV_mfma16_kernelI14__hip_bfloat16hLN4vllm18Fp8KVCacheDataTypeE1EhLi32ELi128ELi256ELb1ELi9EEvPKT_PKT0_S8_ifPKiSA_SA_iPKfiiiPfSD_PS3_PT2_iSC_SC_
	.globl	_Z39paged_attention_ll4mi_QKV_mfma16_kernelI14__hip_bfloat16hLN4vllm18Fp8KVCacheDataTypeE1EhLi32ELi128ELi256ELb1ELi9EEvPKT_PKT0_S8_ifPKiSA_SA_iPKfiiiPfSD_PS3_PT2_iSC_SC_
	.p2align	8
	.type	_Z39paged_attention_ll4mi_QKV_mfma16_kernelI14__hip_bfloat16hLN4vllm18Fp8KVCacheDataTypeE1EhLi32ELi128ELi256ELb1ELi9EEvPKT_PKT0_S8_ifPKiSA_SA_iPKfiiiPfSD_PS3_PT2_iSC_SC_,@function
_Z39paged_attention_ll4mi_QKV_mfma16_kernelI14__hip_bfloat16hLN4vllm18Fp8KVCacheDataTypeE1EhLi32ELi128ELi256ELb1ELi9EEvPKT_PKT0_S8_ifPKiSA_SA_iPKfiiiPfSD_PS3_PT2_iSC_SC_: ; @_Z39paged_attention_ll4mi_QKV_mfma16_kernelI14__hip_bfloat16hLN4vllm18Fp8KVCacheDataTypeE1EhLi32ELi128ELi256ELb1ELi9EEvPKT_PKT0_S8_ifPKiSA_SA_iPKfiiiPfSD_PS3_PT2_iSC_SC_
; %bb.0:
	s_get_pc_i64 s[2:3]
	s_add_nc_u64 s[2:3], s[2:3], __PRETTY_FUNCTION__._Z39paged_attention_ll4mi_QKV_mfma16_kernelI14__hip_bfloat16hLN4vllm18Fp8KVCacheDataTypeE1EhLi32ELi128ELi256ELb1ELi9EEvPKT_PKT0_S8_ifPKiSA_SA_iPKfiiiPfSD_PS3_PT2_iSC_SC_@rel64+4
	s_delay_alu instid0(SALU_CYCLE_1)
	v_dual_mov_b32 v0, 0xbb3 :: v_dual_mov_b32 v1, s2
	v_mov_b32_e32 v2, s3
	s_add_nc_u64 s[8:9], s[0:1], 0x90
	s_get_pc_i64 s[0:1]
	s_add_nc_u64 s[0:1], s[0:1], __assert_fail@rel64+4
	s_mov_b32 s32, 0
	s_swap_pc_i64 s[30:31], s[0:1]
	.section	.rodata,"a",@progbits
	.p2align	6, 0x0
	.amdhsa_kernel _Z39paged_attention_ll4mi_QKV_mfma16_kernelI14__hip_bfloat16hLN4vllm18Fp8KVCacheDataTypeE1EhLi32ELi128ELi256ELb1ELi9EEvPKT_PKT0_S8_ifPKiSA_SA_iPKfiiiPfSD_PS3_PT2_iSC_SC_
		.amdhsa_group_segment_fixed_size 0
		.amdhsa_private_segment_fixed_size 64
		.amdhsa_kernarg_size 400
		.amdhsa_user_sgpr_count 2
		.amdhsa_user_sgpr_dispatch_ptr 0
		.amdhsa_user_sgpr_queue_ptr 0
		.amdhsa_user_sgpr_kernarg_segment_ptr 1
		.amdhsa_user_sgpr_dispatch_id 0
		.amdhsa_user_sgpr_kernarg_preload_length 0
		.amdhsa_user_sgpr_kernarg_preload_offset 0
		.amdhsa_user_sgpr_private_segment_size 0
		.amdhsa_wavefront_size32 1
		.amdhsa_uses_dynamic_stack 0
		.amdhsa_enable_private_segment 1
		.amdhsa_system_sgpr_workgroup_id_x 1
		.amdhsa_system_sgpr_workgroup_id_y 0
		.amdhsa_system_sgpr_workgroup_id_z 0
		.amdhsa_system_sgpr_workgroup_info 0
		.amdhsa_system_vgpr_workitem_id 0
		.amdhsa_next_free_vgpr 51
		.amdhsa_next_free_sgpr 34
		.amdhsa_named_barrier_count 0
		.amdhsa_reserve_vcc 1
		.amdhsa_float_round_mode_32 0
		.amdhsa_float_round_mode_16_64 0
		.amdhsa_float_denorm_mode_32 3
		.amdhsa_float_denorm_mode_16_64 3
		.amdhsa_fp16_overflow 0
		.amdhsa_memory_ordered 1
		.amdhsa_forward_progress 1
		.amdhsa_inst_pref_size 1
		.amdhsa_round_robin_scheduling 0
		.amdhsa_exception_fp_ieee_invalid_op 0
		.amdhsa_exception_fp_denorm_src 0
		.amdhsa_exception_fp_ieee_div_zero 0
		.amdhsa_exception_fp_ieee_overflow 0
		.amdhsa_exception_fp_ieee_underflow 0
		.amdhsa_exception_fp_ieee_inexact 0
		.amdhsa_exception_int_div_zero 0
	.end_amdhsa_kernel
	.section	.text._Z39paged_attention_ll4mi_QKV_mfma16_kernelI14__hip_bfloat16hLN4vllm18Fp8KVCacheDataTypeE1EhLi32ELi128ELi256ELb1ELi9EEvPKT_PKT0_S8_ifPKiSA_SA_iPKfiiiPfSD_PS3_PT2_iSC_SC_,"axG",@progbits,_Z39paged_attention_ll4mi_QKV_mfma16_kernelI14__hip_bfloat16hLN4vllm18Fp8KVCacheDataTypeE1EhLi32ELi128ELi256ELb1ELi9EEvPKT_PKT0_S8_ifPKiSA_SA_iPKfiiiPfSD_PS3_PT2_iSC_SC_,comdat
.Lfunc_end1338:
	.size	_Z39paged_attention_ll4mi_QKV_mfma16_kernelI14__hip_bfloat16hLN4vllm18Fp8KVCacheDataTypeE1EhLi32ELi128ELi256ELb1ELi9EEvPKT_PKT0_S8_ifPKiSA_SA_iPKfiiiPfSD_PS3_PT2_iSC_SC_, .Lfunc_end1338-_Z39paged_attention_ll4mi_QKV_mfma16_kernelI14__hip_bfloat16hLN4vllm18Fp8KVCacheDataTypeE1EhLi32ELi128ELi256ELb1ELi9EEvPKT_PKT0_S8_ifPKiSA_SA_iPKfiiiPfSD_PS3_PT2_iSC_SC_
                                        ; -- End function
	.set _Z39paged_attention_ll4mi_QKV_mfma16_kernelI14__hip_bfloat16hLN4vllm18Fp8KVCacheDataTypeE1EhLi32ELi128ELi256ELb1ELi9EEvPKT_PKT0_S8_ifPKiSA_SA_iPKfiiiPfSD_PS3_PT2_iSC_SC_.num_vgpr, max(3, .L__assert_fail.num_vgpr)
	.set _Z39paged_attention_ll4mi_QKV_mfma16_kernelI14__hip_bfloat16hLN4vllm18Fp8KVCacheDataTypeE1EhLi32ELi128ELi256ELb1ELi9EEvPKT_PKT0_S8_ifPKiSA_SA_iPKfiiiPfSD_PS3_PT2_iSC_SC_.num_agpr, max(0, .L__assert_fail.num_agpr)
	.set _Z39paged_attention_ll4mi_QKV_mfma16_kernelI14__hip_bfloat16hLN4vllm18Fp8KVCacheDataTypeE1EhLi32ELi128ELi256ELb1ELi9EEvPKT_PKT0_S8_ifPKiSA_SA_iPKfiiiPfSD_PS3_PT2_iSC_SC_.numbered_sgpr, max(33, .L__assert_fail.numbered_sgpr)
	.set _Z39paged_attention_ll4mi_QKV_mfma16_kernelI14__hip_bfloat16hLN4vllm18Fp8KVCacheDataTypeE1EhLi32ELi128ELi256ELb1ELi9EEvPKT_PKT0_S8_ifPKiSA_SA_iPKfiiiPfSD_PS3_PT2_iSC_SC_.num_named_barrier, max(0, .L__assert_fail.num_named_barrier)
	.set _Z39paged_attention_ll4mi_QKV_mfma16_kernelI14__hip_bfloat16hLN4vllm18Fp8KVCacheDataTypeE1EhLi32ELi128ELi256ELb1ELi9EEvPKT_PKT0_S8_ifPKiSA_SA_iPKfiiiPfSD_PS3_PT2_iSC_SC_.private_seg_size, 0+max(.L__assert_fail.private_seg_size)
	.set _Z39paged_attention_ll4mi_QKV_mfma16_kernelI14__hip_bfloat16hLN4vllm18Fp8KVCacheDataTypeE1EhLi32ELi128ELi256ELb1ELi9EEvPKT_PKT0_S8_ifPKiSA_SA_iPKfiiiPfSD_PS3_PT2_iSC_SC_.uses_vcc, or(1, .L__assert_fail.uses_vcc)
	.set _Z39paged_attention_ll4mi_QKV_mfma16_kernelI14__hip_bfloat16hLN4vllm18Fp8KVCacheDataTypeE1EhLi32ELi128ELi256ELb1ELi9EEvPKT_PKT0_S8_ifPKiSA_SA_iPKfiiiPfSD_PS3_PT2_iSC_SC_.uses_flat_scratch, or(0, .L__assert_fail.uses_flat_scratch)
	.set _Z39paged_attention_ll4mi_QKV_mfma16_kernelI14__hip_bfloat16hLN4vllm18Fp8KVCacheDataTypeE1EhLi32ELi128ELi256ELb1ELi9EEvPKT_PKT0_S8_ifPKiSA_SA_iPKfiiiPfSD_PS3_PT2_iSC_SC_.has_dyn_sized_stack, or(0, .L__assert_fail.has_dyn_sized_stack)
	.set _Z39paged_attention_ll4mi_QKV_mfma16_kernelI14__hip_bfloat16hLN4vllm18Fp8KVCacheDataTypeE1EhLi32ELi128ELi256ELb1ELi9EEvPKT_PKT0_S8_ifPKiSA_SA_iPKfiiiPfSD_PS3_PT2_iSC_SC_.has_recursion, or(0, .L__assert_fail.has_recursion)
	.set _Z39paged_attention_ll4mi_QKV_mfma16_kernelI14__hip_bfloat16hLN4vllm18Fp8KVCacheDataTypeE1EhLi32ELi128ELi256ELb1ELi9EEvPKT_PKT0_S8_ifPKiSA_SA_iPKfiiiPfSD_PS3_PT2_iSC_SC_.has_indirect_call, or(0, .L__assert_fail.has_indirect_call)
	.section	.AMDGPU.csdata,"",@progbits
; Kernel info:
; codeLenInByte = 68
; TotalNumSgprs: 36
; NumVgprs: 51
; ScratchSize: 64
; MemoryBound: 0
; FloatMode: 240
; IeeeMode: 1
; LDSByteSize: 0 bytes/workgroup (compile time only)
; SGPRBlocks: 0
; VGPRBlocks: 3
; NumSGPRsForWavesPerEU: 36
; NumVGPRsForWavesPerEU: 51
; NamedBarCnt: 0
; Occupancy: 16
; WaveLimiterHint : 1
; COMPUTE_PGM_RSRC2:SCRATCH_EN: 1
; COMPUTE_PGM_RSRC2:USER_SGPR: 2
; COMPUTE_PGM_RSRC2:TRAP_HANDLER: 0
; COMPUTE_PGM_RSRC2:TGID_X_EN: 1
; COMPUTE_PGM_RSRC2:TGID_Y_EN: 0
; COMPUTE_PGM_RSRC2:TGID_Z_EN: 0
; COMPUTE_PGM_RSRC2:TIDIG_COMP_CNT: 0
	.section	.text._Z39paged_attention_ll4mi_QKV_mfma16_kernelI14__hip_bfloat16hLN4vllm18Fp8KVCacheDataTypeE1EhLi32ELi128ELi256ELb1ELi10EEvPKT_PKT0_S8_ifPKiSA_SA_iPKfiiiPfSD_PS3_PT2_iSC_SC_,"axG",@progbits,_Z39paged_attention_ll4mi_QKV_mfma16_kernelI14__hip_bfloat16hLN4vllm18Fp8KVCacheDataTypeE1EhLi32ELi128ELi256ELb1ELi10EEvPKT_PKT0_S8_ifPKiSA_SA_iPKfiiiPfSD_PS3_PT2_iSC_SC_,comdat
	.protected	_Z39paged_attention_ll4mi_QKV_mfma16_kernelI14__hip_bfloat16hLN4vllm18Fp8KVCacheDataTypeE1EhLi32ELi128ELi256ELb1ELi10EEvPKT_PKT0_S8_ifPKiSA_SA_iPKfiiiPfSD_PS3_PT2_iSC_SC_ ; -- Begin function _Z39paged_attention_ll4mi_QKV_mfma16_kernelI14__hip_bfloat16hLN4vllm18Fp8KVCacheDataTypeE1EhLi32ELi128ELi256ELb1ELi10EEvPKT_PKT0_S8_ifPKiSA_SA_iPKfiiiPfSD_PS3_PT2_iSC_SC_
	.globl	_Z39paged_attention_ll4mi_QKV_mfma16_kernelI14__hip_bfloat16hLN4vllm18Fp8KVCacheDataTypeE1EhLi32ELi128ELi256ELb1ELi10EEvPKT_PKT0_S8_ifPKiSA_SA_iPKfiiiPfSD_PS3_PT2_iSC_SC_
	.p2align	8
	.type	_Z39paged_attention_ll4mi_QKV_mfma16_kernelI14__hip_bfloat16hLN4vllm18Fp8KVCacheDataTypeE1EhLi32ELi128ELi256ELb1ELi10EEvPKT_PKT0_S8_ifPKiSA_SA_iPKfiiiPfSD_PS3_PT2_iSC_SC_,@function
_Z39paged_attention_ll4mi_QKV_mfma16_kernelI14__hip_bfloat16hLN4vllm18Fp8KVCacheDataTypeE1EhLi32ELi128ELi256ELb1ELi10EEvPKT_PKT0_S8_ifPKiSA_SA_iPKfiiiPfSD_PS3_PT2_iSC_SC_: ; @_Z39paged_attention_ll4mi_QKV_mfma16_kernelI14__hip_bfloat16hLN4vllm18Fp8KVCacheDataTypeE1EhLi32ELi128ELi256ELb1ELi10EEvPKT_PKT0_S8_ifPKiSA_SA_iPKfiiiPfSD_PS3_PT2_iSC_SC_
; %bb.0:
	s_get_pc_i64 s[2:3]
	s_add_nc_u64 s[2:3], s[2:3], __PRETTY_FUNCTION__._Z39paged_attention_ll4mi_QKV_mfma16_kernelI14__hip_bfloat16hLN4vllm18Fp8KVCacheDataTypeE1EhLi32ELi128ELi256ELb1ELi10EEvPKT_PKT0_S8_ifPKiSA_SA_iPKfiiiPfSD_PS3_PT2_iSC_SC_@rel64+4
	s_delay_alu instid0(SALU_CYCLE_1)
	v_dual_mov_b32 v0, 0xbb3 :: v_dual_mov_b32 v1, s2
	v_mov_b32_e32 v2, s3
	s_add_nc_u64 s[8:9], s[0:1], 0x90
	s_get_pc_i64 s[0:1]
	s_add_nc_u64 s[0:1], s[0:1], __assert_fail@rel64+4
	s_mov_b32 s32, 0
	s_swap_pc_i64 s[30:31], s[0:1]
	.section	.rodata,"a",@progbits
	.p2align	6, 0x0
	.amdhsa_kernel _Z39paged_attention_ll4mi_QKV_mfma16_kernelI14__hip_bfloat16hLN4vllm18Fp8KVCacheDataTypeE1EhLi32ELi128ELi256ELb1ELi10EEvPKT_PKT0_S8_ifPKiSA_SA_iPKfiiiPfSD_PS3_PT2_iSC_SC_
		.amdhsa_group_segment_fixed_size 0
		.amdhsa_private_segment_fixed_size 64
		.amdhsa_kernarg_size 400
		.amdhsa_user_sgpr_count 2
		.amdhsa_user_sgpr_dispatch_ptr 0
		.amdhsa_user_sgpr_queue_ptr 0
		.amdhsa_user_sgpr_kernarg_segment_ptr 1
		.amdhsa_user_sgpr_dispatch_id 0
		.amdhsa_user_sgpr_kernarg_preload_length 0
		.amdhsa_user_sgpr_kernarg_preload_offset 0
		.amdhsa_user_sgpr_private_segment_size 0
		.amdhsa_wavefront_size32 1
		.amdhsa_uses_dynamic_stack 0
		.amdhsa_enable_private_segment 1
		.amdhsa_system_sgpr_workgroup_id_x 1
		.amdhsa_system_sgpr_workgroup_id_y 0
		.amdhsa_system_sgpr_workgroup_id_z 0
		.amdhsa_system_sgpr_workgroup_info 0
		.amdhsa_system_vgpr_workitem_id 0
		.amdhsa_next_free_vgpr 51
		.amdhsa_next_free_sgpr 34
		.amdhsa_named_barrier_count 0
		.amdhsa_reserve_vcc 1
		.amdhsa_float_round_mode_32 0
		.amdhsa_float_round_mode_16_64 0
		.amdhsa_float_denorm_mode_32 3
		.amdhsa_float_denorm_mode_16_64 3
		.amdhsa_fp16_overflow 0
		.amdhsa_memory_ordered 1
		.amdhsa_forward_progress 1
		.amdhsa_inst_pref_size 1
		.amdhsa_round_robin_scheduling 0
		.amdhsa_exception_fp_ieee_invalid_op 0
		.amdhsa_exception_fp_denorm_src 0
		.amdhsa_exception_fp_ieee_div_zero 0
		.amdhsa_exception_fp_ieee_overflow 0
		.amdhsa_exception_fp_ieee_underflow 0
		.amdhsa_exception_fp_ieee_inexact 0
		.amdhsa_exception_int_div_zero 0
	.end_amdhsa_kernel
	.section	.text._Z39paged_attention_ll4mi_QKV_mfma16_kernelI14__hip_bfloat16hLN4vllm18Fp8KVCacheDataTypeE1EhLi32ELi128ELi256ELb1ELi10EEvPKT_PKT0_S8_ifPKiSA_SA_iPKfiiiPfSD_PS3_PT2_iSC_SC_,"axG",@progbits,_Z39paged_attention_ll4mi_QKV_mfma16_kernelI14__hip_bfloat16hLN4vllm18Fp8KVCacheDataTypeE1EhLi32ELi128ELi256ELb1ELi10EEvPKT_PKT0_S8_ifPKiSA_SA_iPKfiiiPfSD_PS3_PT2_iSC_SC_,comdat
.Lfunc_end1339:
	.size	_Z39paged_attention_ll4mi_QKV_mfma16_kernelI14__hip_bfloat16hLN4vllm18Fp8KVCacheDataTypeE1EhLi32ELi128ELi256ELb1ELi10EEvPKT_PKT0_S8_ifPKiSA_SA_iPKfiiiPfSD_PS3_PT2_iSC_SC_, .Lfunc_end1339-_Z39paged_attention_ll4mi_QKV_mfma16_kernelI14__hip_bfloat16hLN4vllm18Fp8KVCacheDataTypeE1EhLi32ELi128ELi256ELb1ELi10EEvPKT_PKT0_S8_ifPKiSA_SA_iPKfiiiPfSD_PS3_PT2_iSC_SC_
                                        ; -- End function
	.set _Z39paged_attention_ll4mi_QKV_mfma16_kernelI14__hip_bfloat16hLN4vllm18Fp8KVCacheDataTypeE1EhLi32ELi128ELi256ELb1ELi10EEvPKT_PKT0_S8_ifPKiSA_SA_iPKfiiiPfSD_PS3_PT2_iSC_SC_.num_vgpr, max(3, .L__assert_fail.num_vgpr)
	.set _Z39paged_attention_ll4mi_QKV_mfma16_kernelI14__hip_bfloat16hLN4vllm18Fp8KVCacheDataTypeE1EhLi32ELi128ELi256ELb1ELi10EEvPKT_PKT0_S8_ifPKiSA_SA_iPKfiiiPfSD_PS3_PT2_iSC_SC_.num_agpr, max(0, .L__assert_fail.num_agpr)
	.set _Z39paged_attention_ll4mi_QKV_mfma16_kernelI14__hip_bfloat16hLN4vllm18Fp8KVCacheDataTypeE1EhLi32ELi128ELi256ELb1ELi10EEvPKT_PKT0_S8_ifPKiSA_SA_iPKfiiiPfSD_PS3_PT2_iSC_SC_.numbered_sgpr, max(33, .L__assert_fail.numbered_sgpr)
	.set _Z39paged_attention_ll4mi_QKV_mfma16_kernelI14__hip_bfloat16hLN4vllm18Fp8KVCacheDataTypeE1EhLi32ELi128ELi256ELb1ELi10EEvPKT_PKT0_S8_ifPKiSA_SA_iPKfiiiPfSD_PS3_PT2_iSC_SC_.num_named_barrier, max(0, .L__assert_fail.num_named_barrier)
	.set _Z39paged_attention_ll4mi_QKV_mfma16_kernelI14__hip_bfloat16hLN4vllm18Fp8KVCacheDataTypeE1EhLi32ELi128ELi256ELb1ELi10EEvPKT_PKT0_S8_ifPKiSA_SA_iPKfiiiPfSD_PS3_PT2_iSC_SC_.private_seg_size, 0+max(.L__assert_fail.private_seg_size)
	.set _Z39paged_attention_ll4mi_QKV_mfma16_kernelI14__hip_bfloat16hLN4vllm18Fp8KVCacheDataTypeE1EhLi32ELi128ELi256ELb1ELi10EEvPKT_PKT0_S8_ifPKiSA_SA_iPKfiiiPfSD_PS3_PT2_iSC_SC_.uses_vcc, or(1, .L__assert_fail.uses_vcc)
	.set _Z39paged_attention_ll4mi_QKV_mfma16_kernelI14__hip_bfloat16hLN4vllm18Fp8KVCacheDataTypeE1EhLi32ELi128ELi256ELb1ELi10EEvPKT_PKT0_S8_ifPKiSA_SA_iPKfiiiPfSD_PS3_PT2_iSC_SC_.uses_flat_scratch, or(0, .L__assert_fail.uses_flat_scratch)
	.set _Z39paged_attention_ll4mi_QKV_mfma16_kernelI14__hip_bfloat16hLN4vllm18Fp8KVCacheDataTypeE1EhLi32ELi128ELi256ELb1ELi10EEvPKT_PKT0_S8_ifPKiSA_SA_iPKfiiiPfSD_PS3_PT2_iSC_SC_.has_dyn_sized_stack, or(0, .L__assert_fail.has_dyn_sized_stack)
	.set _Z39paged_attention_ll4mi_QKV_mfma16_kernelI14__hip_bfloat16hLN4vllm18Fp8KVCacheDataTypeE1EhLi32ELi128ELi256ELb1ELi10EEvPKT_PKT0_S8_ifPKiSA_SA_iPKfiiiPfSD_PS3_PT2_iSC_SC_.has_recursion, or(0, .L__assert_fail.has_recursion)
	.set _Z39paged_attention_ll4mi_QKV_mfma16_kernelI14__hip_bfloat16hLN4vllm18Fp8KVCacheDataTypeE1EhLi32ELi128ELi256ELb1ELi10EEvPKT_PKT0_S8_ifPKiSA_SA_iPKfiiiPfSD_PS3_PT2_iSC_SC_.has_indirect_call, or(0, .L__assert_fail.has_indirect_call)
	.section	.AMDGPU.csdata,"",@progbits
; Kernel info:
; codeLenInByte = 68
; TotalNumSgprs: 36
; NumVgprs: 51
; ScratchSize: 64
; MemoryBound: 0
; FloatMode: 240
; IeeeMode: 1
; LDSByteSize: 0 bytes/workgroup (compile time only)
; SGPRBlocks: 0
; VGPRBlocks: 3
; NumSGPRsForWavesPerEU: 36
; NumVGPRsForWavesPerEU: 51
; NamedBarCnt: 0
; Occupancy: 16
; WaveLimiterHint : 1
; COMPUTE_PGM_RSRC2:SCRATCH_EN: 1
; COMPUTE_PGM_RSRC2:USER_SGPR: 2
; COMPUTE_PGM_RSRC2:TRAP_HANDLER: 0
; COMPUTE_PGM_RSRC2:TGID_X_EN: 1
; COMPUTE_PGM_RSRC2:TGID_Y_EN: 0
; COMPUTE_PGM_RSRC2:TGID_Z_EN: 0
; COMPUTE_PGM_RSRC2:TIDIG_COMP_CNT: 0
	.section	.text._Z39paged_attention_ll4mi_QKV_mfma16_kernelI14__hip_bfloat16hLN4vllm18Fp8KVCacheDataTypeE1EhLi32ELi128ELi256ELb1ELi11EEvPKT_PKT0_S8_ifPKiSA_SA_iPKfiiiPfSD_PS3_PT2_iSC_SC_,"axG",@progbits,_Z39paged_attention_ll4mi_QKV_mfma16_kernelI14__hip_bfloat16hLN4vllm18Fp8KVCacheDataTypeE1EhLi32ELi128ELi256ELb1ELi11EEvPKT_PKT0_S8_ifPKiSA_SA_iPKfiiiPfSD_PS3_PT2_iSC_SC_,comdat
	.protected	_Z39paged_attention_ll4mi_QKV_mfma16_kernelI14__hip_bfloat16hLN4vllm18Fp8KVCacheDataTypeE1EhLi32ELi128ELi256ELb1ELi11EEvPKT_PKT0_S8_ifPKiSA_SA_iPKfiiiPfSD_PS3_PT2_iSC_SC_ ; -- Begin function _Z39paged_attention_ll4mi_QKV_mfma16_kernelI14__hip_bfloat16hLN4vllm18Fp8KVCacheDataTypeE1EhLi32ELi128ELi256ELb1ELi11EEvPKT_PKT0_S8_ifPKiSA_SA_iPKfiiiPfSD_PS3_PT2_iSC_SC_
	.globl	_Z39paged_attention_ll4mi_QKV_mfma16_kernelI14__hip_bfloat16hLN4vllm18Fp8KVCacheDataTypeE1EhLi32ELi128ELi256ELb1ELi11EEvPKT_PKT0_S8_ifPKiSA_SA_iPKfiiiPfSD_PS3_PT2_iSC_SC_
	.p2align	8
	.type	_Z39paged_attention_ll4mi_QKV_mfma16_kernelI14__hip_bfloat16hLN4vllm18Fp8KVCacheDataTypeE1EhLi32ELi128ELi256ELb1ELi11EEvPKT_PKT0_S8_ifPKiSA_SA_iPKfiiiPfSD_PS3_PT2_iSC_SC_,@function
_Z39paged_attention_ll4mi_QKV_mfma16_kernelI14__hip_bfloat16hLN4vllm18Fp8KVCacheDataTypeE1EhLi32ELi128ELi256ELb1ELi11EEvPKT_PKT0_S8_ifPKiSA_SA_iPKfiiiPfSD_PS3_PT2_iSC_SC_: ; @_Z39paged_attention_ll4mi_QKV_mfma16_kernelI14__hip_bfloat16hLN4vllm18Fp8KVCacheDataTypeE1EhLi32ELi128ELi256ELb1ELi11EEvPKT_PKT0_S8_ifPKiSA_SA_iPKfiiiPfSD_PS3_PT2_iSC_SC_
; %bb.0:
	s_get_pc_i64 s[2:3]
	s_add_nc_u64 s[2:3], s[2:3], __PRETTY_FUNCTION__._Z39paged_attention_ll4mi_QKV_mfma16_kernelI14__hip_bfloat16hLN4vllm18Fp8KVCacheDataTypeE1EhLi32ELi128ELi256ELb1ELi11EEvPKT_PKT0_S8_ifPKiSA_SA_iPKfiiiPfSD_PS3_PT2_iSC_SC_@rel64+4
	s_delay_alu instid0(SALU_CYCLE_1)
	v_dual_mov_b32 v0, 0xbb3 :: v_dual_mov_b32 v1, s2
	v_mov_b32_e32 v2, s3
	s_add_nc_u64 s[8:9], s[0:1], 0x90
	s_get_pc_i64 s[0:1]
	s_add_nc_u64 s[0:1], s[0:1], __assert_fail@rel64+4
	s_mov_b32 s32, 0
	s_swap_pc_i64 s[30:31], s[0:1]
	.section	.rodata,"a",@progbits
	.p2align	6, 0x0
	.amdhsa_kernel _Z39paged_attention_ll4mi_QKV_mfma16_kernelI14__hip_bfloat16hLN4vllm18Fp8KVCacheDataTypeE1EhLi32ELi128ELi256ELb1ELi11EEvPKT_PKT0_S8_ifPKiSA_SA_iPKfiiiPfSD_PS3_PT2_iSC_SC_
		.amdhsa_group_segment_fixed_size 0
		.amdhsa_private_segment_fixed_size 64
		.amdhsa_kernarg_size 400
		.amdhsa_user_sgpr_count 2
		.amdhsa_user_sgpr_dispatch_ptr 0
		.amdhsa_user_sgpr_queue_ptr 0
		.amdhsa_user_sgpr_kernarg_segment_ptr 1
		.amdhsa_user_sgpr_dispatch_id 0
		.amdhsa_user_sgpr_kernarg_preload_length 0
		.amdhsa_user_sgpr_kernarg_preload_offset 0
		.amdhsa_user_sgpr_private_segment_size 0
		.amdhsa_wavefront_size32 1
		.amdhsa_uses_dynamic_stack 0
		.amdhsa_enable_private_segment 1
		.amdhsa_system_sgpr_workgroup_id_x 1
		.amdhsa_system_sgpr_workgroup_id_y 0
		.amdhsa_system_sgpr_workgroup_id_z 0
		.amdhsa_system_sgpr_workgroup_info 0
		.amdhsa_system_vgpr_workitem_id 0
		.amdhsa_next_free_vgpr 51
		.amdhsa_next_free_sgpr 34
		.amdhsa_named_barrier_count 0
		.amdhsa_reserve_vcc 1
		.amdhsa_float_round_mode_32 0
		.amdhsa_float_round_mode_16_64 0
		.amdhsa_float_denorm_mode_32 3
		.amdhsa_float_denorm_mode_16_64 3
		.amdhsa_fp16_overflow 0
		.amdhsa_memory_ordered 1
		.amdhsa_forward_progress 1
		.amdhsa_inst_pref_size 1
		.amdhsa_round_robin_scheduling 0
		.amdhsa_exception_fp_ieee_invalid_op 0
		.amdhsa_exception_fp_denorm_src 0
		.amdhsa_exception_fp_ieee_div_zero 0
		.amdhsa_exception_fp_ieee_overflow 0
		.amdhsa_exception_fp_ieee_underflow 0
		.amdhsa_exception_fp_ieee_inexact 0
		.amdhsa_exception_int_div_zero 0
	.end_amdhsa_kernel
	.section	.text._Z39paged_attention_ll4mi_QKV_mfma16_kernelI14__hip_bfloat16hLN4vllm18Fp8KVCacheDataTypeE1EhLi32ELi128ELi256ELb1ELi11EEvPKT_PKT0_S8_ifPKiSA_SA_iPKfiiiPfSD_PS3_PT2_iSC_SC_,"axG",@progbits,_Z39paged_attention_ll4mi_QKV_mfma16_kernelI14__hip_bfloat16hLN4vllm18Fp8KVCacheDataTypeE1EhLi32ELi128ELi256ELb1ELi11EEvPKT_PKT0_S8_ifPKiSA_SA_iPKfiiiPfSD_PS3_PT2_iSC_SC_,comdat
.Lfunc_end1340:
	.size	_Z39paged_attention_ll4mi_QKV_mfma16_kernelI14__hip_bfloat16hLN4vllm18Fp8KVCacheDataTypeE1EhLi32ELi128ELi256ELb1ELi11EEvPKT_PKT0_S8_ifPKiSA_SA_iPKfiiiPfSD_PS3_PT2_iSC_SC_, .Lfunc_end1340-_Z39paged_attention_ll4mi_QKV_mfma16_kernelI14__hip_bfloat16hLN4vllm18Fp8KVCacheDataTypeE1EhLi32ELi128ELi256ELb1ELi11EEvPKT_PKT0_S8_ifPKiSA_SA_iPKfiiiPfSD_PS3_PT2_iSC_SC_
                                        ; -- End function
	.set _Z39paged_attention_ll4mi_QKV_mfma16_kernelI14__hip_bfloat16hLN4vllm18Fp8KVCacheDataTypeE1EhLi32ELi128ELi256ELb1ELi11EEvPKT_PKT0_S8_ifPKiSA_SA_iPKfiiiPfSD_PS3_PT2_iSC_SC_.num_vgpr, max(3, .L__assert_fail.num_vgpr)
	.set _Z39paged_attention_ll4mi_QKV_mfma16_kernelI14__hip_bfloat16hLN4vllm18Fp8KVCacheDataTypeE1EhLi32ELi128ELi256ELb1ELi11EEvPKT_PKT0_S8_ifPKiSA_SA_iPKfiiiPfSD_PS3_PT2_iSC_SC_.num_agpr, max(0, .L__assert_fail.num_agpr)
	.set _Z39paged_attention_ll4mi_QKV_mfma16_kernelI14__hip_bfloat16hLN4vllm18Fp8KVCacheDataTypeE1EhLi32ELi128ELi256ELb1ELi11EEvPKT_PKT0_S8_ifPKiSA_SA_iPKfiiiPfSD_PS3_PT2_iSC_SC_.numbered_sgpr, max(33, .L__assert_fail.numbered_sgpr)
	.set _Z39paged_attention_ll4mi_QKV_mfma16_kernelI14__hip_bfloat16hLN4vllm18Fp8KVCacheDataTypeE1EhLi32ELi128ELi256ELb1ELi11EEvPKT_PKT0_S8_ifPKiSA_SA_iPKfiiiPfSD_PS3_PT2_iSC_SC_.num_named_barrier, max(0, .L__assert_fail.num_named_barrier)
	.set _Z39paged_attention_ll4mi_QKV_mfma16_kernelI14__hip_bfloat16hLN4vllm18Fp8KVCacheDataTypeE1EhLi32ELi128ELi256ELb1ELi11EEvPKT_PKT0_S8_ifPKiSA_SA_iPKfiiiPfSD_PS3_PT2_iSC_SC_.private_seg_size, 0+max(.L__assert_fail.private_seg_size)
	.set _Z39paged_attention_ll4mi_QKV_mfma16_kernelI14__hip_bfloat16hLN4vllm18Fp8KVCacheDataTypeE1EhLi32ELi128ELi256ELb1ELi11EEvPKT_PKT0_S8_ifPKiSA_SA_iPKfiiiPfSD_PS3_PT2_iSC_SC_.uses_vcc, or(1, .L__assert_fail.uses_vcc)
	.set _Z39paged_attention_ll4mi_QKV_mfma16_kernelI14__hip_bfloat16hLN4vllm18Fp8KVCacheDataTypeE1EhLi32ELi128ELi256ELb1ELi11EEvPKT_PKT0_S8_ifPKiSA_SA_iPKfiiiPfSD_PS3_PT2_iSC_SC_.uses_flat_scratch, or(0, .L__assert_fail.uses_flat_scratch)
	.set _Z39paged_attention_ll4mi_QKV_mfma16_kernelI14__hip_bfloat16hLN4vllm18Fp8KVCacheDataTypeE1EhLi32ELi128ELi256ELb1ELi11EEvPKT_PKT0_S8_ifPKiSA_SA_iPKfiiiPfSD_PS3_PT2_iSC_SC_.has_dyn_sized_stack, or(0, .L__assert_fail.has_dyn_sized_stack)
	.set _Z39paged_attention_ll4mi_QKV_mfma16_kernelI14__hip_bfloat16hLN4vllm18Fp8KVCacheDataTypeE1EhLi32ELi128ELi256ELb1ELi11EEvPKT_PKT0_S8_ifPKiSA_SA_iPKfiiiPfSD_PS3_PT2_iSC_SC_.has_recursion, or(0, .L__assert_fail.has_recursion)
	.set _Z39paged_attention_ll4mi_QKV_mfma16_kernelI14__hip_bfloat16hLN4vllm18Fp8KVCacheDataTypeE1EhLi32ELi128ELi256ELb1ELi11EEvPKT_PKT0_S8_ifPKiSA_SA_iPKfiiiPfSD_PS3_PT2_iSC_SC_.has_indirect_call, or(0, .L__assert_fail.has_indirect_call)
	.section	.AMDGPU.csdata,"",@progbits
; Kernel info:
; codeLenInByte = 68
; TotalNumSgprs: 36
; NumVgprs: 51
; ScratchSize: 64
; MemoryBound: 0
; FloatMode: 240
; IeeeMode: 1
; LDSByteSize: 0 bytes/workgroup (compile time only)
; SGPRBlocks: 0
; VGPRBlocks: 3
; NumSGPRsForWavesPerEU: 36
; NumVGPRsForWavesPerEU: 51
; NamedBarCnt: 0
; Occupancy: 16
; WaveLimiterHint : 1
; COMPUTE_PGM_RSRC2:SCRATCH_EN: 1
; COMPUTE_PGM_RSRC2:USER_SGPR: 2
; COMPUTE_PGM_RSRC2:TRAP_HANDLER: 0
; COMPUTE_PGM_RSRC2:TGID_X_EN: 1
; COMPUTE_PGM_RSRC2:TGID_Y_EN: 0
; COMPUTE_PGM_RSRC2:TGID_Z_EN: 0
; COMPUTE_PGM_RSRC2:TIDIG_COMP_CNT: 0
	.section	.text._Z39paged_attention_ll4mi_QKV_mfma16_kernelI14__hip_bfloat16hLN4vllm18Fp8KVCacheDataTypeE1EhLi32ELi128ELi256ELb1ELi12EEvPKT_PKT0_S8_ifPKiSA_SA_iPKfiiiPfSD_PS3_PT2_iSC_SC_,"axG",@progbits,_Z39paged_attention_ll4mi_QKV_mfma16_kernelI14__hip_bfloat16hLN4vllm18Fp8KVCacheDataTypeE1EhLi32ELi128ELi256ELb1ELi12EEvPKT_PKT0_S8_ifPKiSA_SA_iPKfiiiPfSD_PS3_PT2_iSC_SC_,comdat
	.protected	_Z39paged_attention_ll4mi_QKV_mfma16_kernelI14__hip_bfloat16hLN4vllm18Fp8KVCacheDataTypeE1EhLi32ELi128ELi256ELb1ELi12EEvPKT_PKT0_S8_ifPKiSA_SA_iPKfiiiPfSD_PS3_PT2_iSC_SC_ ; -- Begin function _Z39paged_attention_ll4mi_QKV_mfma16_kernelI14__hip_bfloat16hLN4vllm18Fp8KVCacheDataTypeE1EhLi32ELi128ELi256ELb1ELi12EEvPKT_PKT0_S8_ifPKiSA_SA_iPKfiiiPfSD_PS3_PT2_iSC_SC_
	.globl	_Z39paged_attention_ll4mi_QKV_mfma16_kernelI14__hip_bfloat16hLN4vllm18Fp8KVCacheDataTypeE1EhLi32ELi128ELi256ELb1ELi12EEvPKT_PKT0_S8_ifPKiSA_SA_iPKfiiiPfSD_PS3_PT2_iSC_SC_
	.p2align	8
	.type	_Z39paged_attention_ll4mi_QKV_mfma16_kernelI14__hip_bfloat16hLN4vllm18Fp8KVCacheDataTypeE1EhLi32ELi128ELi256ELb1ELi12EEvPKT_PKT0_S8_ifPKiSA_SA_iPKfiiiPfSD_PS3_PT2_iSC_SC_,@function
_Z39paged_attention_ll4mi_QKV_mfma16_kernelI14__hip_bfloat16hLN4vllm18Fp8KVCacheDataTypeE1EhLi32ELi128ELi256ELb1ELi12EEvPKT_PKT0_S8_ifPKiSA_SA_iPKfiiiPfSD_PS3_PT2_iSC_SC_: ; @_Z39paged_attention_ll4mi_QKV_mfma16_kernelI14__hip_bfloat16hLN4vllm18Fp8KVCacheDataTypeE1EhLi32ELi128ELi256ELb1ELi12EEvPKT_PKT0_S8_ifPKiSA_SA_iPKfiiiPfSD_PS3_PT2_iSC_SC_
; %bb.0:
	s_get_pc_i64 s[2:3]
	s_add_nc_u64 s[2:3], s[2:3], __PRETTY_FUNCTION__._Z39paged_attention_ll4mi_QKV_mfma16_kernelI14__hip_bfloat16hLN4vllm18Fp8KVCacheDataTypeE1EhLi32ELi128ELi256ELb1ELi12EEvPKT_PKT0_S8_ifPKiSA_SA_iPKfiiiPfSD_PS3_PT2_iSC_SC_@rel64+4
	s_delay_alu instid0(SALU_CYCLE_1)
	v_dual_mov_b32 v0, 0xbb3 :: v_dual_mov_b32 v1, s2
	v_mov_b32_e32 v2, s3
	s_add_nc_u64 s[8:9], s[0:1], 0x90
	s_get_pc_i64 s[0:1]
	s_add_nc_u64 s[0:1], s[0:1], __assert_fail@rel64+4
	s_mov_b32 s32, 0
	s_swap_pc_i64 s[30:31], s[0:1]
	.section	.rodata,"a",@progbits
	.p2align	6, 0x0
	.amdhsa_kernel _Z39paged_attention_ll4mi_QKV_mfma16_kernelI14__hip_bfloat16hLN4vllm18Fp8KVCacheDataTypeE1EhLi32ELi128ELi256ELb1ELi12EEvPKT_PKT0_S8_ifPKiSA_SA_iPKfiiiPfSD_PS3_PT2_iSC_SC_
		.amdhsa_group_segment_fixed_size 0
		.amdhsa_private_segment_fixed_size 64
		.amdhsa_kernarg_size 400
		.amdhsa_user_sgpr_count 2
		.amdhsa_user_sgpr_dispatch_ptr 0
		.amdhsa_user_sgpr_queue_ptr 0
		.amdhsa_user_sgpr_kernarg_segment_ptr 1
		.amdhsa_user_sgpr_dispatch_id 0
		.amdhsa_user_sgpr_kernarg_preload_length 0
		.amdhsa_user_sgpr_kernarg_preload_offset 0
		.amdhsa_user_sgpr_private_segment_size 0
		.amdhsa_wavefront_size32 1
		.amdhsa_uses_dynamic_stack 0
		.amdhsa_enable_private_segment 1
		.amdhsa_system_sgpr_workgroup_id_x 1
		.amdhsa_system_sgpr_workgroup_id_y 0
		.amdhsa_system_sgpr_workgroup_id_z 0
		.amdhsa_system_sgpr_workgroup_info 0
		.amdhsa_system_vgpr_workitem_id 0
		.amdhsa_next_free_vgpr 51
		.amdhsa_next_free_sgpr 34
		.amdhsa_named_barrier_count 0
		.amdhsa_reserve_vcc 1
		.amdhsa_float_round_mode_32 0
		.amdhsa_float_round_mode_16_64 0
		.amdhsa_float_denorm_mode_32 3
		.amdhsa_float_denorm_mode_16_64 3
		.amdhsa_fp16_overflow 0
		.amdhsa_memory_ordered 1
		.amdhsa_forward_progress 1
		.amdhsa_inst_pref_size 1
		.amdhsa_round_robin_scheduling 0
		.amdhsa_exception_fp_ieee_invalid_op 0
		.amdhsa_exception_fp_denorm_src 0
		.amdhsa_exception_fp_ieee_div_zero 0
		.amdhsa_exception_fp_ieee_overflow 0
		.amdhsa_exception_fp_ieee_underflow 0
		.amdhsa_exception_fp_ieee_inexact 0
		.amdhsa_exception_int_div_zero 0
	.end_amdhsa_kernel
	.section	.text._Z39paged_attention_ll4mi_QKV_mfma16_kernelI14__hip_bfloat16hLN4vllm18Fp8KVCacheDataTypeE1EhLi32ELi128ELi256ELb1ELi12EEvPKT_PKT0_S8_ifPKiSA_SA_iPKfiiiPfSD_PS3_PT2_iSC_SC_,"axG",@progbits,_Z39paged_attention_ll4mi_QKV_mfma16_kernelI14__hip_bfloat16hLN4vllm18Fp8KVCacheDataTypeE1EhLi32ELi128ELi256ELb1ELi12EEvPKT_PKT0_S8_ifPKiSA_SA_iPKfiiiPfSD_PS3_PT2_iSC_SC_,comdat
.Lfunc_end1341:
	.size	_Z39paged_attention_ll4mi_QKV_mfma16_kernelI14__hip_bfloat16hLN4vllm18Fp8KVCacheDataTypeE1EhLi32ELi128ELi256ELb1ELi12EEvPKT_PKT0_S8_ifPKiSA_SA_iPKfiiiPfSD_PS3_PT2_iSC_SC_, .Lfunc_end1341-_Z39paged_attention_ll4mi_QKV_mfma16_kernelI14__hip_bfloat16hLN4vllm18Fp8KVCacheDataTypeE1EhLi32ELi128ELi256ELb1ELi12EEvPKT_PKT0_S8_ifPKiSA_SA_iPKfiiiPfSD_PS3_PT2_iSC_SC_
                                        ; -- End function
	.set _Z39paged_attention_ll4mi_QKV_mfma16_kernelI14__hip_bfloat16hLN4vllm18Fp8KVCacheDataTypeE1EhLi32ELi128ELi256ELb1ELi12EEvPKT_PKT0_S8_ifPKiSA_SA_iPKfiiiPfSD_PS3_PT2_iSC_SC_.num_vgpr, max(3, .L__assert_fail.num_vgpr)
	.set _Z39paged_attention_ll4mi_QKV_mfma16_kernelI14__hip_bfloat16hLN4vllm18Fp8KVCacheDataTypeE1EhLi32ELi128ELi256ELb1ELi12EEvPKT_PKT0_S8_ifPKiSA_SA_iPKfiiiPfSD_PS3_PT2_iSC_SC_.num_agpr, max(0, .L__assert_fail.num_agpr)
	.set _Z39paged_attention_ll4mi_QKV_mfma16_kernelI14__hip_bfloat16hLN4vllm18Fp8KVCacheDataTypeE1EhLi32ELi128ELi256ELb1ELi12EEvPKT_PKT0_S8_ifPKiSA_SA_iPKfiiiPfSD_PS3_PT2_iSC_SC_.numbered_sgpr, max(33, .L__assert_fail.numbered_sgpr)
	.set _Z39paged_attention_ll4mi_QKV_mfma16_kernelI14__hip_bfloat16hLN4vllm18Fp8KVCacheDataTypeE1EhLi32ELi128ELi256ELb1ELi12EEvPKT_PKT0_S8_ifPKiSA_SA_iPKfiiiPfSD_PS3_PT2_iSC_SC_.num_named_barrier, max(0, .L__assert_fail.num_named_barrier)
	.set _Z39paged_attention_ll4mi_QKV_mfma16_kernelI14__hip_bfloat16hLN4vllm18Fp8KVCacheDataTypeE1EhLi32ELi128ELi256ELb1ELi12EEvPKT_PKT0_S8_ifPKiSA_SA_iPKfiiiPfSD_PS3_PT2_iSC_SC_.private_seg_size, 0+max(.L__assert_fail.private_seg_size)
	.set _Z39paged_attention_ll4mi_QKV_mfma16_kernelI14__hip_bfloat16hLN4vllm18Fp8KVCacheDataTypeE1EhLi32ELi128ELi256ELb1ELi12EEvPKT_PKT0_S8_ifPKiSA_SA_iPKfiiiPfSD_PS3_PT2_iSC_SC_.uses_vcc, or(1, .L__assert_fail.uses_vcc)
	.set _Z39paged_attention_ll4mi_QKV_mfma16_kernelI14__hip_bfloat16hLN4vllm18Fp8KVCacheDataTypeE1EhLi32ELi128ELi256ELb1ELi12EEvPKT_PKT0_S8_ifPKiSA_SA_iPKfiiiPfSD_PS3_PT2_iSC_SC_.uses_flat_scratch, or(0, .L__assert_fail.uses_flat_scratch)
	.set _Z39paged_attention_ll4mi_QKV_mfma16_kernelI14__hip_bfloat16hLN4vllm18Fp8KVCacheDataTypeE1EhLi32ELi128ELi256ELb1ELi12EEvPKT_PKT0_S8_ifPKiSA_SA_iPKfiiiPfSD_PS3_PT2_iSC_SC_.has_dyn_sized_stack, or(0, .L__assert_fail.has_dyn_sized_stack)
	.set _Z39paged_attention_ll4mi_QKV_mfma16_kernelI14__hip_bfloat16hLN4vllm18Fp8KVCacheDataTypeE1EhLi32ELi128ELi256ELb1ELi12EEvPKT_PKT0_S8_ifPKiSA_SA_iPKfiiiPfSD_PS3_PT2_iSC_SC_.has_recursion, or(0, .L__assert_fail.has_recursion)
	.set _Z39paged_attention_ll4mi_QKV_mfma16_kernelI14__hip_bfloat16hLN4vllm18Fp8KVCacheDataTypeE1EhLi32ELi128ELi256ELb1ELi12EEvPKT_PKT0_S8_ifPKiSA_SA_iPKfiiiPfSD_PS3_PT2_iSC_SC_.has_indirect_call, or(0, .L__assert_fail.has_indirect_call)
	.section	.AMDGPU.csdata,"",@progbits
; Kernel info:
; codeLenInByte = 68
; TotalNumSgprs: 36
; NumVgprs: 51
; ScratchSize: 64
; MemoryBound: 0
; FloatMode: 240
; IeeeMode: 1
; LDSByteSize: 0 bytes/workgroup (compile time only)
; SGPRBlocks: 0
; VGPRBlocks: 3
; NumSGPRsForWavesPerEU: 36
; NumVGPRsForWavesPerEU: 51
; NamedBarCnt: 0
; Occupancy: 16
; WaveLimiterHint : 1
; COMPUTE_PGM_RSRC2:SCRATCH_EN: 1
; COMPUTE_PGM_RSRC2:USER_SGPR: 2
; COMPUTE_PGM_RSRC2:TRAP_HANDLER: 0
; COMPUTE_PGM_RSRC2:TGID_X_EN: 1
; COMPUTE_PGM_RSRC2:TGID_Y_EN: 0
; COMPUTE_PGM_RSRC2:TGID_Z_EN: 0
; COMPUTE_PGM_RSRC2:TIDIG_COMP_CNT: 0
	.section	.text._Z39paged_attention_ll4mi_QKV_mfma16_kernelI14__hip_bfloat16hLN4vllm18Fp8KVCacheDataTypeE1EhLi32ELi128ELi256ELb1ELi13EEvPKT_PKT0_S8_ifPKiSA_SA_iPKfiiiPfSD_PS3_PT2_iSC_SC_,"axG",@progbits,_Z39paged_attention_ll4mi_QKV_mfma16_kernelI14__hip_bfloat16hLN4vllm18Fp8KVCacheDataTypeE1EhLi32ELi128ELi256ELb1ELi13EEvPKT_PKT0_S8_ifPKiSA_SA_iPKfiiiPfSD_PS3_PT2_iSC_SC_,comdat
	.protected	_Z39paged_attention_ll4mi_QKV_mfma16_kernelI14__hip_bfloat16hLN4vllm18Fp8KVCacheDataTypeE1EhLi32ELi128ELi256ELb1ELi13EEvPKT_PKT0_S8_ifPKiSA_SA_iPKfiiiPfSD_PS3_PT2_iSC_SC_ ; -- Begin function _Z39paged_attention_ll4mi_QKV_mfma16_kernelI14__hip_bfloat16hLN4vllm18Fp8KVCacheDataTypeE1EhLi32ELi128ELi256ELb1ELi13EEvPKT_PKT0_S8_ifPKiSA_SA_iPKfiiiPfSD_PS3_PT2_iSC_SC_
	.globl	_Z39paged_attention_ll4mi_QKV_mfma16_kernelI14__hip_bfloat16hLN4vllm18Fp8KVCacheDataTypeE1EhLi32ELi128ELi256ELb1ELi13EEvPKT_PKT0_S8_ifPKiSA_SA_iPKfiiiPfSD_PS3_PT2_iSC_SC_
	.p2align	8
	.type	_Z39paged_attention_ll4mi_QKV_mfma16_kernelI14__hip_bfloat16hLN4vllm18Fp8KVCacheDataTypeE1EhLi32ELi128ELi256ELb1ELi13EEvPKT_PKT0_S8_ifPKiSA_SA_iPKfiiiPfSD_PS3_PT2_iSC_SC_,@function
_Z39paged_attention_ll4mi_QKV_mfma16_kernelI14__hip_bfloat16hLN4vllm18Fp8KVCacheDataTypeE1EhLi32ELi128ELi256ELb1ELi13EEvPKT_PKT0_S8_ifPKiSA_SA_iPKfiiiPfSD_PS3_PT2_iSC_SC_: ; @_Z39paged_attention_ll4mi_QKV_mfma16_kernelI14__hip_bfloat16hLN4vllm18Fp8KVCacheDataTypeE1EhLi32ELi128ELi256ELb1ELi13EEvPKT_PKT0_S8_ifPKiSA_SA_iPKfiiiPfSD_PS3_PT2_iSC_SC_
; %bb.0:
	s_get_pc_i64 s[2:3]
	s_add_nc_u64 s[2:3], s[2:3], __PRETTY_FUNCTION__._Z39paged_attention_ll4mi_QKV_mfma16_kernelI14__hip_bfloat16hLN4vllm18Fp8KVCacheDataTypeE1EhLi32ELi128ELi256ELb1ELi13EEvPKT_PKT0_S8_ifPKiSA_SA_iPKfiiiPfSD_PS3_PT2_iSC_SC_@rel64+4
	s_delay_alu instid0(SALU_CYCLE_1)
	v_dual_mov_b32 v0, 0xbb3 :: v_dual_mov_b32 v1, s2
	v_mov_b32_e32 v2, s3
	s_add_nc_u64 s[8:9], s[0:1], 0x90
	s_get_pc_i64 s[0:1]
	s_add_nc_u64 s[0:1], s[0:1], __assert_fail@rel64+4
	s_mov_b32 s32, 0
	s_swap_pc_i64 s[30:31], s[0:1]
	.section	.rodata,"a",@progbits
	.p2align	6, 0x0
	.amdhsa_kernel _Z39paged_attention_ll4mi_QKV_mfma16_kernelI14__hip_bfloat16hLN4vllm18Fp8KVCacheDataTypeE1EhLi32ELi128ELi256ELb1ELi13EEvPKT_PKT0_S8_ifPKiSA_SA_iPKfiiiPfSD_PS3_PT2_iSC_SC_
		.amdhsa_group_segment_fixed_size 0
		.amdhsa_private_segment_fixed_size 64
		.amdhsa_kernarg_size 400
		.amdhsa_user_sgpr_count 2
		.amdhsa_user_sgpr_dispatch_ptr 0
		.amdhsa_user_sgpr_queue_ptr 0
		.amdhsa_user_sgpr_kernarg_segment_ptr 1
		.amdhsa_user_sgpr_dispatch_id 0
		.amdhsa_user_sgpr_kernarg_preload_length 0
		.amdhsa_user_sgpr_kernarg_preload_offset 0
		.amdhsa_user_sgpr_private_segment_size 0
		.amdhsa_wavefront_size32 1
		.amdhsa_uses_dynamic_stack 0
		.amdhsa_enable_private_segment 1
		.amdhsa_system_sgpr_workgroup_id_x 1
		.amdhsa_system_sgpr_workgroup_id_y 0
		.amdhsa_system_sgpr_workgroup_id_z 0
		.amdhsa_system_sgpr_workgroup_info 0
		.amdhsa_system_vgpr_workitem_id 0
		.amdhsa_next_free_vgpr 51
		.amdhsa_next_free_sgpr 34
		.amdhsa_named_barrier_count 0
		.amdhsa_reserve_vcc 1
		.amdhsa_float_round_mode_32 0
		.amdhsa_float_round_mode_16_64 0
		.amdhsa_float_denorm_mode_32 3
		.amdhsa_float_denorm_mode_16_64 3
		.amdhsa_fp16_overflow 0
		.amdhsa_memory_ordered 1
		.amdhsa_forward_progress 1
		.amdhsa_inst_pref_size 1
		.amdhsa_round_robin_scheduling 0
		.amdhsa_exception_fp_ieee_invalid_op 0
		.amdhsa_exception_fp_denorm_src 0
		.amdhsa_exception_fp_ieee_div_zero 0
		.amdhsa_exception_fp_ieee_overflow 0
		.amdhsa_exception_fp_ieee_underflow 0
		.amdhsa_exception_fp_ieee_inexact 0
		.amdhsa_exception_int_div_zero 0
	.end_amdhsa_kernel
	.section	.text._Z39paged_attention_ll4mi_QKV_mfma16_kernelI14__hip_bfloat16hLN4vllm18Fp8KVCacheDataTypeE1EhLi32ELi128ELi256ELb1ELi13EEvPKT_PKT0_S8_ifPKiSA_SA_iPKfiiiPfSD_PS3_PT2_iSC_SC_,"axG",@progbits,_Z39paged_attention_ll4mi_QKV_mfma16_kernelI14__hip_bfloat16hLN4vllm18Fp8KVCacheDataTypeE1EhLi32ELi128ELi256ELb1ELi13EEvPKT_PKT0_S8_ifPKiSA_SA_iPKfiiiPfSD_PS3_PT2_iSC_SC_,comdat
.Lfunc_end1342:
	.size	_Z39paged_attention_ll4mi_QKV_mfma16_kernelI14__hip_bfloat16hLN4vllm18Fp8KVCacheDataTypeE1EhLi32ELi128ELi256ELb1ELi13EEvPKT_PKT0_S8_ifPKiSA_SA_iPKfiiiPfSD_PS3_PT2_iSC_SC_, .Lfunc_end1342-_Z39paged_attention_ll4mi_QKV_mfma16_kernelI14__hip_bfloat16hLN4vllm18Fp8KVCacheDataTypeE1EhLi32ELi128ELi256ELb1ELi13EEvPKT_PKT0_S8_ifPKiSA_SA_iPKfiiiPfSD_PS3_PT2_iSC_SC_
                                        ; -- End function
	.set _Z39paged_attention_ll4mi_QKV_mfma16_kernelI14__hip_bfloat16hLN4vllm18Fp8KVCacheDataTypeE1EhLi32ELi128ELi256ELb1ELi13EEvPKT_PKT0_S8_ifPKiSA_SA_iPKfiiiPfSD_PS3_PT2_iSC_SC_.num_vgpr, max(3, .L__assert_fail.num_vgpr)
	.set _Z39paged_attention_ll4mi_QKV_mfma16_kernelI14__hip_bfloat16hLN4vllm18Fp8KVCacheDataTypeE1EhLi32ELi128ELi256ELb1ELi13EEvPKT_PKT0_S8_ifPKiSA_SA_iPKfiiiPfSD_PS3_PT2_iSC_SC_.num_agpr, max(0, .L__assert_fail.num_agpr)
	.set _Z39paged_attention_ll4mi_QKV_mfma16_kernelI14__hip_bfloat16hLN4vllm18Fp8KVCacheDataTypeE1EhLi32ELi128ELi256ELb1ELi13EEvPKT_PKT0_S8_ifPKiSA_SA_iPKfiiiPfSD_PS3_PT2_iSC_SC_.numbered_sgpr, max(33, .L__assert_fail.numbered_sgpr)
	.set _Z39paged_attention_ll4mi_QKV_mfma16_kernelI14__hip_bfloat16hLN4vllm18Fp8KVCacheDataTypeE1EhLi32ELi128ELi256ELb1ELi13EEvPKT_PKT0_S8_ifPKiSA_SA_iPKfiiiPfSD_PS3_PT2_iSC_SC_.num_named_barrier, max(0, .L__assert_fail.num_named_barrier)
	.set _Z39paged_attention_ll4mi_QKV_mfma16_kernelI14__hip_bfloat16hLN4vllm18Fp8KVCacheDataTypeE1EhLi32ELi128ELi256ELb1ELi13EEvPKT_PKT0_S8_ifPKiSA_SA_iPKfiiiPfSD_PS3_PT2_iSC_SC_.private_seg_size, 0+max(.L__assert_fail.private_seg_size)
	.set _Z39paged_attention_ll4mi_QKV_mfma16_kernelI14__hip_bfloat16hLN4vllm18Fp8KVCacheDataTypeE1EhLi32ELi128ELi256ELb1ELi13EEvPKT_PKT0_S8_ifPKiSA_SA_iPKfiiiPfSD_PS3_PT2_iSC_SC_.uses_vcc, or(1, .L__assert_fail.uses_vcc)
	.set _Z39paged_attention_ll4mi_QKV_mfma16_kernelI14__hip_bfloat16hLN4vllm18Fp8KVCacheDataTypeE1EhLi32ELi128ELi256ELb1ELi13EEvPKT_PKT0_S8_ifPKiSA_SA_iPKfiiiPfSD_PS3_PT2_iSC_SC_.uses_flat_scratch, or(0, .L__assert_fail.uses_flat_scratch)
	.set _Z39paged_attention_ll4mi_QKV_mfma16_kernelI14__hip_bfloat16hLN4vllm18Fp8KVCacheDataTypeE1EhLi32ELi128ELi256ELb1ELi13EEvPKT_PKT0_S8_ifPKiSA_SA_iPKfiiiPfSD_PS3_PT2_iSC_SC_.has_dyn_sized_stack, or(0, .L__assert_fail.has_dyn_sized_stack)
	.set _Z39paged_attention_ll4mi_QKV_mfma16_kernelI14__hip_bfloat16hLN4vllm18Fp8KVCacheDataTypeE1EhLi32ELi128ELi256ELb1ELi13EEvPKT_PKT0_S8_ifPKiSA_SA_iPKfiiiPfSD_PS3_PT2_iSC_SC_.has_recursion, or(0, .L__assert_fail.has_recursion)
	.set _Z39paged_attention_ll4mi_QKV_mfma16_kernelI14__hip_bfloat16hLN4vllm18Fp8KVCacheDataTypeE1EhLi32ELi128ELi256ELb1ELi13EEvPKT_PKT0_S8_ifPKiSA_SA_iPKfiiiPfSD_PS3_PT2_iSC_SC_.has_indirect_call, or(0, .L__assert_fail.has_indirect_call)
	.section	.AMDGPU.csdata,"",@progbits
; Kernel info:
; codeLenInByte = 68
; TotalNumSgprs: 36
; NumVgprs: 51
; ScratchSize: 64
; MemoryBound: 0
; FloatMode: 240
; IeeeMode: 1
; LDSByteSize: 0 bytes/workgroup (compile time only)
; SGPRBlocks: 0
; VGPRBlocks: 3
; NumSGPRsForWavesPerEU: 36
; NumVGPRsForWavesPerEU: 51
; NamedBarCnt: 0
; Occupancy: 16
; WaveLimiterHint : 1
; COMPUTE_PGM_RSRC2:SCRATCH_EN: 1
; COMPUTE_PGM_RSRC2:USER_SGPR: 2
; COMPUTE_PGM_RSRC2:TRAP_HANDLER: 0
; COMPUTE_PGM_RSRC2:TGID_X_EN: 1
; COMPUTE_PGM_RSRC2:TGID_Y_EN: 0
; COMPUTE_PGM_RSRC2:TGID_Z_EN: 0
; COMPUTE_PGM_RSRC2:TIDIG_COMP_CNT: 0
	.section	.text._Z39paged_attention_ll4mi_QKV_mfma16_kernelI14__hip_bfloat16hLN4vllm18Fp8KVCacheDataTypeE1EhLi32ELi128ELi256ELb1ELi14EEvPKT_PKT0_S8_ifPKiSA_SA_iPKfiiiPfSD_PS3_PT2_iSC_SC_,"axG",@progbits,_Z39paged_attention_ll4mi_QKV_mfma16_kernelI14__hip_bfloat16hLN4vllm18Fp8KVCacheDataTypeE1EhLi32ELi128ELi256ELb1ELi14EEvPKT_PKT0_S8_ifPKiSA_SA_iPKfiiiPfSD_PS3_PT2_iSC_SC_,comdat
	.protected	_Z39paged_attention_ll4mi_QKV_mfma16_kernelI14__hip_bfloat16hLN4vllm18Fp8KVCacheDataTypeE1EhLi32ELi128ELi256ELb1ELi14EEvPKT_PKT0_S8_ifPKiSA_SA_iPKfiiiPfSD_PS3_PT2_iSC_SC_ ; -- Begin function _Z39paged_attention_ll4mi_QKV_mfma16_kernelI14__hip_bfloat16hLN4vllm18Fp8KVCacheDataTypeE1EhLi32ELi128ELi256ELb1ELi14EEvPKT_PKT0_S8_ifPKiSA_SA_iPKfiiiPfSD_PS3_PT2_iSC_SC_
	.globl	_Z39paged_attention_ll4mi_QKV_mfma16_kernelI14__hip_bfloat16hLN4vllm18Fp8KVCacheDataTypeE1EhLi32ELi128ELi256ELb1ELi14EEvPKT_PKT0_S8_ifPKiSA_SA_iPKfiiiPfSD_PS3_PT2_iSC_SC_
	.p2align	8
	.type	_Z39paged_attention_ll4mi_QKV_mfma16_kernelI14__hip_bfloat16hLN4vllm18Fp8KVCacheDataTypeE1EhLi32ELi128ELi256ELb1ELi14EEvPKT_PKT0_S8_ifPKiSA_SA_iPKfiiiPfSD_PS3_PT2_iSC_SC_,@function
_Z39paged_attention_ll4mi_QKV_mfma16_kernelI14__hip_bfloat16hLN4vllm18Fp8KVCacheDataTypeE1EhLi32ELi128ELi256ELb1ELi14EEvPKT_PKT0_S8_ifPKiSA_SA_iPKfiiiPfSD_PS3_PT2_iSC_SC_: ; @_Z39paged_attention_ll4mi_QKV_mfma16_kernelI14__hip_bfloat16hLN4vllm18Fp8KVCacheDataTypeE1EhLi32ELi128ELi256ELb1ELi14EEvPKT_PKT0_S8_ifPKiSA_SA_iPKfiiiPfSD_PS3_PT2_iSC_SC_
; %bb.0:
	s_get_pc_i64 s[2:3]
	s_add_nc_u64 s[2:3], s[2:3], __PRETTY_FUNCTION__._Z39paged_attention_ll4mi_QKV_mfma16_kernelI14__hip_bfloat16hLN4vllm18Fp8KVCacheDataTypeE1EhLi32ELi128ELi256ELb1ELi14EEvPKT_PKT0_S8_ifPKiSA_SA_iPKfiiiPfSD_PS3_PT2_iSC_SC_@rel64+4
	s_delay_alu instid0(SALU_CYCLE_1)
	v_dual_mov_b32 v0, 0xbb3 :: v_dual_mov_b32 v1, s2
	v_mov_b32_e32 v2, s3
	s_add_nc_u64 s[8:9], s[0:1], 0x90
	s_get_pc_i64 s[0:1]
	s_add_nc_u64 s[0:1], s[0:1], __assert_fail@rel64+4
	s_mov_b32 s32, 0
	s_swap_pc_i64 s[30:31], s[0:1]
	.section	.rodata,"a",@progbits
	.p2align	6, 0x0
	.amdhsa_kernel _Z39paged_attention_ll4mi_QKV_mfma16_kernelI14__hip_bfloat16hLN4vllm18Fp8KVCacheDataTypeE1EhLi32ELi128ELi256ELb1ELi14EEvPKT_PKT0_S8_ifPKiSA_SA_iPKfiiiPfSD_PS3_PT2_iSC_SC_
		.amdhsa_group_segment_fixed_size 0
		.amdhsa_private_segment_fixed_size 64
		.amdhsa_kernarg_size 400
		.amdhsa_user_sgpr_count 2
		.amdhsa_user_sgpr_dispatch_ptr 0
		.amdhsa_user_sgpr_queue_ptr 0
		.amdhsa_user_sgpr_kernarg_segment_ptr 1
		.amdhsa_user_sgpr_dispatch_id 0
		.amdhsa_user_sgpr_kernarg_preload_length 0
		.amdhsa_user_sgpr_kernarg_preload_offset 0
		.amdhsa_user_sgpr_private_segment_size 0
		.amdhsa_wavefront_size32 1
		.amdhsa_uses_dynamic_stack 0
		.amdhsa_enable_private_segment 1
		.amdhsa_system_sgpr_workgroup_id_x 1
		.amdhsa_system_sgpr_workgroup_id_y 0
		.amdhsa_system_sgpr_workgroup_id_z 0
		.amdhsa_system_sgpr_workgroup_info 0
		.amdhsa_system_vgpr_workitem_id 0
		.amdhsa_next_free_vgpr 51
		.amdhsa_next_free_sgpr 34
		.amdhsa_named_barrier_count 0
		.amdhsa_reserve_vcc 1
		.amdhsa_float_round_mode_32 0
		.amdhsa_float_round_mode_16_64 0
		.amdhsa_float_denorm_mode_32 3
		.amdhsa_float_denorm_mode_16_64 3
		.amdhsa_fp16_overflow 0
		.amdhsa_memory_ordered 1
		.amdhsa_forward_progress 1
		.amdhsa_inst_pref_size 1
		.amdhsa_round_robin_scheduling 0
		.amdhsa_exception_fp_ieee_invalid_op 0
		.amdhsa_exception_fp_denorm_src 0
		.amdhsa_exception_fp_ieee_div_zero 0
		.amdhsa_exception_fp_ieee_overflow 0
		.amdhsa_exception_fp_ieee_underflow 0
		.amdhsa_exception_fp_ieee_inexact 0
		.amdhsa_exception_int_div_zero 0
	.end_amdhsa_kernel
	.section	.text._Z39paged_attention_ll4mi_QKV_mfma16_kernelI14__hip_bfloat16hLN4vllm18Fp8KVCacheDataTypeE1EhLi32ELi128ELi256ELb1ELi14EEvPKT_PKT0_S8_ifPKiSA_SA_iPKfiiiPfSD_PS3_PT2_iSC_SC_,"axG",@progbits,_Z39paged_attention_ll4mi_QKV_mfma16_kernelI14__hip_bfloat16hLN4vllm18Fp8KVCacheDataTypeE1EhLi32ELi128ELi256ELb1ELi14EEvPKT_PKT0_S8_ifPKiSA_SA_iPKfiiiPfSD_PS3_PT2_iSC_SC_,comdat
.Lfunc_end1343:
	.size	_Z39paged_attention_ll4mi_QKV_mfma16_kernelI14__hip_bfloat16hLN4vllm18Fp8KVCacheDataTypeE1EhLi32ELi128ELi256ELb1ELi14EEvPKT_PKT0_S8_ifPKiSA_SA_iPKfiiiPfSD_PS3_PT2_iSC_SC_, .Lfunc_end1343-_Z39paged_attention_ll4mi_QKV_mfma16_kernelI14__hip_bfloat16hLN4vllm18Fp8KVCacheDataTypeE1EhLi32ELi128ELi256ELb1ELi14EEvPKT_PKT0_S8_ifPKiSA_SA_iPKfiiiPfSD_PS3_PT2_iSC_SC_
                                        ; -- End function
	.set _Z39paged_attention_ll4mi_QKV_mfma16_kernelI14__hip_bfloat16hLN4vllm18Fp8KVCacheDataTypeE1EhLi32ELi128ELi256ELb1ELi14EEvPKT_PKT0_S8_ifPKiSA_SA_iPKfiiiPfSD_PS3_PT2_iSC_SC_.num_vgpr, max(3, .L__assert_fail.num_vgpr)
	.set _Z39paged_attention_ll4mi_QKV_mfma16_kernelI14__hip_bfloat16hLN4vllm18Fp8KVCacheDataTypeE1EhLi32ELi128ELi256ELb1ELi14EEvPKT_PKT0_S8_ifPKiSA_SA_iPKfiiiPfSD_PS3_PT2_iSC_SC_.num_agpr, max(0, .L__assert_fail.num_agpr)
	.set _Z39paged_attention_ll4mi_QKV_mfma16_kernelI14__hip_bfloat16hLN4vllm18Fp8KVCacheDataTypeE1EhLi32ELi128ELi256ELb1ELi14EEvPKT_PKT0_S8_ifPKiSA_SA_iPKfiiiPfSD_PS3_PT2_iSC_SC_.numbered_sgpr, max(33, .L__assert_fail.numbered_sgpr)
	.set _Z39paged_attention_ll4mi_QKV_mfma16_kernelI14__hip_bfloat16hLN4vllm18Fp8KVCacheDataTypeE1EhLi32ELi128ELi256ELb1ELi14EEvPKT_PKT0_S8_ifPKiSA_SA_iPKfiiiPfSD_PS3_PT2_iSC_SC_.num_named_barrier, max(0, .L__assert_fail.num_named_barrier)
	.set _Z39paged_attention_ll4mi_QKV_mfma16_kernelI14__hip_bfloat16hLN4vllm18Fp8KVCacheDataTypeE1EhLi32ELi128ELi256ELb1ELi14EEvPKT_PKT0_S8_ifPKiSA_SA_iPKfiiiPfSD_PS3_PT2_iSC_SC_.private_seg_size, 0+max(.L__assert_fail.private_seg_size)
	.set _Z39paged_attention_ll4mi_QKV_mfma16_kernelI14__hip_bfloat16hLN4vllm18Fp8KVCacheDataTypeE1EhLi32ELi128ELi256ELb1ELi14EEvPKT_PKT0_S8_ifPKiSA_SA_iPKfiiiPfSD_PS3_PT2_iSC_SC_.uses_vcc, or(1, .L__assert_fail.uses_vcc)
	.set _Z39paged_attention_ll4mi_QKV_mfma16_kernelI14__hip_bfloat16hLN4vllm18Fp8KVCacheDataTypeE1EhLi32ELi128ELi256ELb1ELi14EEvPKT_PKT0_S8_ifPKiSA_SA_iPKfiiiPfSD_PS3_PT2_iSC_SC_.uses_flat_scratch, or(0, .L__assert_fail.uses_flat_scratch)
	.set _Z39paged_attention_ll4mi_QKV_mfma16_kernelI14__hip_bfloat16hLN4vllm18Fp8KVCacheDataTypeE1EhLi32ELi128ELi256ELb1ELi14EEvPKT_PKT0_S8_ifPKiSA_SA_iPKfiiiPfSD_PS3_PT2_iSC_SC_.has_dyn_sized_stack, or(0, .L__assert_fail.has_dyn_sized_stack)
	.set _Z39paged_attention_ll4mi_QKV_mfma16_kernelI14__hip_bfloat16hLN4vllm18Fp8KVCacheDataTypeE1EhLi32ELi128ELi256ELb1ELi14EEvPKT_PKT0_S8_ifPKiSA_SA_iPKfiiiPfSD_PS3_PT2_iSC_SC_.has_recursion, or(0, .L__assert_fail.has_recursion)
	.set _Z39paged_attention_ll4mi_QKV_mfma16_kernelI14__hip_bfloat16hLN4vllm18Fp8KVCacheDataTypeE1EhLi32ELi128ELi256ELb1ELi14EEvPKT_PKT0_S8_ifPKiSA_SA_iPKfiiiPfSD_PS3_PT2_iSC_SC_.has_indirect_call, or(0, .L__assert_fail.has_indirect_call)
	.section	.AMDGPU.csdata,"",@progbits
; Kernel info:
; codeLenInByte = 68
; TotalNumSgprs: 36
; NumVgprs: 51
; ScratchSize: 64
; MemoryBound: 0
; FloatMode: 240
; IeeeMode: 1
; LDSByteSize: 0 bytes/workgroup (compile time only)
; SGPRBlocks: 0
; VGPRBlocks: 3
; NumSGPRsForWavesPerEU: 36
; NumVGPRsForWavesPerEU: 51
; NamedBarCnt: 0
; Occupancy: 16
; WaveLimiterHint : 1
; COMPUTE_PGM_RSRC2:SCRATCH_EN: 1
; COMPUTE_PGM_RSRC2:USER_SGPR: 2
; COMPUTE_PGM_RSRC2:TRAP_HANDLER: 0
; COMPUTE_PGM_RSRC2:TGID_X_EN: 1
; COMPUTE_PGM_RSRC2:TGID_Y_EN: 0
; COMPUTE_PGM_RSRC2:TGID_Z_EN: 0
; COMPUTE_PGM_RSRC2:TIDIG_COMP_CNT: 0
	.section	.text._Z39paged_attention_ll4mi_QKV_mfma16_kernelI14__hip_bfloat16hLN4vllm18Fp8KVCacheDataTypeE1EhLi32ELi128ELi256ELb1ELi15EEvPKT_PKT0_S8_ifPKiSA_SA_iPKfiiiPfSD_PS3_PT2_iSC_SC_,"axG",@progbits,_Z39paged_attention_ll4mi_QKV_mfma16_kernelI14__hip_bfloat16hLN4vllm18Fp8KVCacheDataTypeE1EhLi32ELi128ELi256ELb1ELi15EEvPKT_PKT0_S8_ifPKiSA_SA_iPKfiiiPfSD_PS3_PT2_iSC_SC_,comdat
	.protected	_Z39paged_attention_ll4mi_QKV_mfma16_kernelI14__hip_bfloat16hLN4vllm18Fp8KVCacheDataTypeE1EhLi32ELi128ELi256ELb1ELi15EEvPKT_PKT0_S8_ifPKiSA_SA_iPKfiiiPfSD_PS3_PT2_iSC_SC_ ; -- Begin function _Z39paged_attention_ll4mi_QKV_mfma16_kernelI14__hip_bfloat16hLN4vllm18Fp8KVCacheDataTypeE1EhLi32ELi128ELi256ELb1ELi15EEvPKT_PKT0_S8_ifPKiSA_SA_iPKfiiiPfSD_PS3_PT2_iSC_SC_
	.globl	_Z39paged_attention_ll4mi_QKV_mfma16_kernelI14__hip_bfloat16hLN4vllm18Fp8KVCacheDataTypeE1EhLi32ELi128ELi256ELb1ELi15EEvPKT_PKT0_S8_ifPKiSA_SA_iPKfiiiPfSD_PS3_PT2_iSC_SC_
	.p2align	8
	.type	_Z39paged_attention_ll4mi_QKV_mfma16_kernelI14__hip_bfloat16hLN4vllm18Fp8KVCacheDataTypeE1EhLi32ELi128ELi256ELb1ELi15EEvPKT_PKT0_S8_ifPKiSA_SA_iPKfiiiPfSD_PS3_PT2_iSC_SC_,@function
_Z39paged_attention_ll4mi_QKV_mfma16_kernelI14__hip_bfloat16hLN4vllm18Fp8KVCacheDataTypeE1EhLi32ELi128ELi256ELb1ELi15EEvPKT_PKT0_S8_ifPKiSA_SA_iPKfiiiPfSD_PS3_PT2_iSC_SC_: ; @_Z39paged_attention_ll4mi_QKV_mfma16_kernelI14__hip_bfloat16hLN4vllm18Fp8KVCacheDataTypeE1EhLi32ELi128ELi256ELb1ELi15EEvPKT_PKT0_S8_ifPKiSA_SA_iPKfiiiPfSD_PS3_PT2_iSC_SC_
; %bb.0:
	s_get_pc_i64 s[2:3]
	s_add_nc_u64 s[2:3], s[2:3], __PRETTY_FUNCTION__._Z39paged_attention_ll4mi_QKV_mfma16_kernelI14__hip_bfloat16hLN4vllm18Fp8KVCacheDataTypeE1EhLi32ELi128ELi256ELb1ELi15EEvPKT_PKT0_S8_ifPKiSA_SA_iPKfiiiPfSD_PS3_PT2_iSC_SC_@rel64+4
	s_delay_alu instid0(SALU_CYCLE_1)
	v_dual_mov_b32 v0, 0xbb3 :: v_dual_mov_b32 v1, s2
	v_mov_b32_e32 v2, s3
	s_add_nc_u64 s[8:9], s[0:1], 0x90
	s_get_pc_i64 s[0:1]
	s_add_nc_u64 s[0:1], s[0:1], __assert_fail@rel64+4
	s_mov_b32 s32, 0
	s_swap_pc_i64 s[30:31], s[0:1]
	.section	.rodata,"a",@progbits
	.p2align	6, 0x0
	.amdhsa_kernel _Z39paged_attention_ll4mi_QKV_mfma16_kernelI14__hip_bfloat16hLN4vllm18Fp8KVCacheDataTypeE1EhLi32ELi128ELi256ELb1ELi15EEvPKT_PKT0_S8_ifPKiSA_SA_iPKfiiiPfSD_PS3_PT2_iSC_SC_
		.amdhsa_group_segment_fixed_size 0
		.amdhsa_private_segment_fixed_size 64
		.amdhsa_kernarg_size 400
		.amdhsa_user_sgpr_count 2
		.amdhsa_user_sgpr_dispatch_ptr 0
		.amdhsa_user_sgpr_queue_ptr 0
		.amdhsa_user_sgpr_kernarg_segment_ptr 1
		.amdhsa_user_sgpr_dispatch_id 0
		.amdhsa_user_sgpr_kernarg_preload_length 0
		.amdhsa_user_sgpr_kernarg_preload_offset 0
		.amdhsa_user_sgpr_private_segment_size 0
		.amdhsa_wavefront_size32 1
		.amdhsa_uses_dynamic_stack 0
		.amdhsa_enable_private_segment 1
		.amdhsa_system_sgpr_workgroup_id_x 1
		.amdhsa_system_sgpr_workgroup_id_y 0
		.amdhsa_system_sgpr_workgroup_id_z 0
		.amdhsa_system_sgpr_workgroup_info 0
		.amdhsa_system_vgpr_workitem_id 0
		.amdhsa_next_free_vgpr 51
		.amdhsa_next_free_sgpr 34
		.amdhsa_named_barrier_count 0
		.amdhsa_reserve_vcc 1
		.amdhsa_float_round_mode_32 0
		.amdhsa_float_round_mode_16_64 0
		.amdhsa_float_denorm_mode_32 3
		.amdhsa_float_denorm_mode_16_64 3
		.amdhsa_fp16_overflow 0
		.amdhsa_memory_ordered 1
		.amdhsa_forward_progress 1
		.amdhsa_inst_pref_size 1
		.amdhsa_round_robin_scheduling 0
		.amdhsa_exception_fp_ieee_invalid_op 0
		.amdhsa_exception_fp_denorm_src 0
		.amdhsa_exception_fp_ieee_div_zero 0
		.amdhsa_exception_fp_ieee_overflow 0
		.amdhsa_exception_fp_ieee_underflow 0
		.amdhsa_exception_fp_ieee_inexact 0
		.amdhsa_exception_int_div_zero 0
	.end_amdhsa_kernel
	.section	.text._Z39paged_attention_ll4mi_QKV_mfma16_kernelI14__hip_bfloat16hLN4vllm18Fp8KVCacheDataTypeE1EhLi32ELi128ELi256ELb1ELi15EEvPKT_PKT0_S8_ifPKiSA_SA_iPKfiiiPfSD_PS3_PT2_iSC_SC_,"axG",@progbits,_Z39paged_attention_ll4mi_QKV_mfma16_kernelI14__hip_bfloat16hLN4vllm18Fp8KVCacheDataTypeE1EhLi32ELi128ELi256ELb1ELi15EEvPKT_PKT0_S8_ifPKiSA_SA_iPKfiiiPfSD_PS3_PT2_iSC_SC_,comdat
.Lfunc_end1344:
	.size	_Z39paged_attention_ll4mi_QKV_mfma16_kernelI14__hip_bfloat16hLN4vllm18Fp8KVCacheDataTypeE1EhLi32ELi128ELi256ELb1ELi15EEvPKT_PKT0_S8_ifPKiSA_SA_iPKfiiiPfSD_PS3_PT2_iSC_SC_, .Lfunc_end1344-_Z39paged_attention_ll4mi_QKV_mfma16_kernelI14__hip_bfloat16hLN4vllm18Fp8KVCacheDataTypeE1EhLi32ELi128ELi256ELb1ELi15EEvPKT_PKT0_S8_ifPKiSA_SA_iPKfiiiPfSD_PS3_PT2_iSC_SC_
                                        ; -- End function
	.set _Z39paged_attention_ll4mi_QKV_mfma16_kernelI14__hip_bfloat16hLN4vllm18Fp8KVCacheDataTypeE1EhLi32ELi128ELi256ELb1ELi15EEvPKT_PKT0_S8_ifPKiSA_SA_iPKfiiiPfSD_PS3_PT2_iSC_SC_.num_vgpr, max(3, .L__assert_fail.num_vgpr)
	.set _Z39paged_attention_ll4mi_QKV_mfma16_kernelI14__hip_bfloat16hLN4vllm18Fp8KVCacheDataTypeE1EhLi32ELi128ELi256ELb1ELi15EEvPKT_PKT0_S8_ifPKiSA_SA_iPKfiiiPfSD_PS3_PT2_iSC_SC_.num_agpr, max(0, .L__assert_fail.num_agpr)
	.set _Z39paged_attention_ll4mi_QKV_mfma16_kernelI14__hip_bfloat16hLN4vllm18Fp8KVCacheDataTypeE1EhLi32ELi128ELi256ELb1ELi15EEvPKT_PKT0_S8_ifPKiSA_SA_iPKfiiiPfSD_PS3_PT2_iSC_SC_.numbered_sgpr, max(33, .L__assert_fail.numbered_sgpr)
	.set _Z39paged_attention_ll4mi_QKV_mfma16_kernelI14__hip_bfloat16hLN4vllm18Fp8KVCacheDataTypeE1EhLi32ELi128ELi256ELb1ELi15EEvPKT_PKT0_S8_ifPKiSA_SA_iPKfiiiPfSD_PS3_PT2_iSC_SC_.num_named_barrier, max(0, .L__assert_fail.num_named_barrier)
	.set _Z39paged_attention_ll4mi_QKV_mfma16_kernelI14__hip_bfloat16hLN4vllm18Fp8KVCacheDataTypeE1EhLi32ELi128ELi256ELb1ELi15EEvPKT_PKT0_S8_ifPKiSA_SA_iPKfiiiPfSD_PS3_PT2_iSC_SC_.private_seg_size, 0+max(.L__assert_fail.private_seg_size)
	.set _Z39paged_attention_ll4mi_QKV_mfma16_kernelI14__hip_bfloat16hLN4vllm18Fp8KVCacheDataTypeE1EhLi32ELi128ELi256ELb1ELi15EEvPKT_PKT0_S8_ifPKiSA_SA_iPKfiiiPfSD_PS3_PT2_iSC_SC_.uses_vcc, or(1, .L__assert_fail.uses_vcc)
	.set _Z39paged_attention_ll4mi_QKV_mfma16_kernelI14__hip_bfloat16hLN4vllm18Fp8KVCacheDataTypeE1EhLi32ELi128ELi256ELb1ELi15EEvPKT_PKT0_S8_ifPKiSA_SA_iPKfiiiPfSD_PS3_PT2_iSC_SC_.uses_flat_scratch, or(0, .L__assert_fail.uses_flat_scratch)
	.set _Z39paged_attention_ll4mi_QKV_mfma16_kernelI14__hip_bfloat16hLN4vllm18Fp8KVCacheDataTypeE1EhLi32ELi128ELi256ELb1ELi15EEvPKT_PKT0_S8_ifPKiSA_SA_iPKfiiiPfSD_PS3_PT2_iSC_SC_.has_dyn_sized_stack, or(0, .L__assert_fail.has_dyn_sized_stack)
	.set _Z39paged_attention_ll4mi_QKV_mfma16_kernelI14__hip_bfloat16hLN4vllm18Fp8KVCacheDataTypeE1EhLi32ELi128ELi256ELb1ELi15EEvPKT_PKT0_S8_ifPKiSA_SA_iPKfiiiPfSD_PS3_PT2_iSC_SC_.has_recursion, or(0, .L__assert_fail.has_recursion)
	.set _Z39paged_attention_ll4mi_QKV_mfma16_kernelI14__hip_bfloat16hLN4vllm18Fp8KVCacheDataTypeE1EhLi32ELi128ELi256ELb1ELi15EEvPKT_PKT0_S8_ifPKiSA_SA_iPKfiiiPfSD_PS3_PT2_iSC_SC_.has_indirect_call, or(0, .L__assert_fail.has_indirect_call)
	.section	.AMDGPU.csdata,"",@progbits
; Kernel info:
; codeLenInByte = 68
; TotalNumSgprs: 36
; NumVgprs: 51
; ScratchSize: 64
; MemoryBound: 0
; FloatMode: 240
; IeeeMode: 1
; LDSByteSize: 0 bytes/workgroup (compile time only)
; SGPRBlocks: 0
; VGPRBlocks: 3
; NumSGPRsForWavesPerEU: 36
; NumVGPRsForWavesPerEU: 51
; NamedBarCnt: 0
; Occupancy: 16
; WaveLimiterHint : 1
; COMPUTE_PGM_RSRC2:SCRATCH_EN: 1
; COMPUTE_PGM_RSRC2:USER_SGPR: 2
; COMPUTE_PGM_RSRC2:TRAP_HANDLER: 0
; COMPUTE_PGM_RSRC2:TGID_X_EN: 1
; COMPUTE_PGM_RSRC2:TGID_Y_EN: 0
; COMPUTE_PGM_RSRC2:TGID_Z_EN: 0
; COMPUTE_PGM_RSRC2:TIDIG_COMP_CNT: 0
	.section	.text._Z39paged_attention_ll4mi_QKV_mfma16_kernelI14__hip_bfloat16hLN4vllm18Fp8KVCacheDataTypeE1EhLi32ELi128ELi256ELb1ELi16EEvPKT_PKT0_S8_ifPKiSA_SA_iPKfiiiPfSD_PS3_PT2_iSC_SC_,"axG",@progbits,_Z39paged_attention_ll4mi_QKV_mfma16_kernelI14__hip_bfloat16hLN4vllm18Fp8KVCacheDataTypeE1EhLi32ELi128ELi256ELb1ELi16EEvPKT_PKT0_S8_ifPKiSA_SA_iPKfiiiPfSD_PS3_PT2_iSC_SC_,comdat
	.protected	_Z39paged_attention_ll4mi_QKV_mfma16_kernelI14__hip_bfloat16hLN4vllm18Fp8KVCacheDataTypeE1EhLi32ELi128ELi256ELb1ELi16EEvPKT_PKT0_S8_ifPKiSA_SA_iPKfiiiPfSD_PS3_PT2_iSC_SC_ ; -- Begin function _Z39paged_attention_ll4mi_QKV_mfma16_kernelI14__hip_bfloat16hLN4vllm18Fp8KVCacheDataTypeE1EhLi32ELi128ELi256ELb1ELi16EEvPKT_PKT0_S8_ifPKiSA_SA_iPKfiiiPfSD_PS3_PT2_iSC_SC_
	.globl	_Z39paged_attention_ll4mi_QKV_mfma16_kernelI14__hip_bfloat16hLN4vllm18Fp8KVCacheDataTypeE1EhLi32ELi128ELi256ELb1ELi16EEvPKT_PKT0_S8_ifPKiSA_SA_iPKfiiiPfSD_PS3_PT2_iSC_SC_
	.p2align	8
	.type	_Z39paged_attention_ll4mi_QKV_mfma16_kernelI14__hip_bfloat16hLN4vllm18Fp8KVCacheDataTypeE1EhLi32ELi128ELi256ELb1ELi16EEvPKT_PKT0_S8_ifPKiSA_SA_iPKfiiiPfSD_PS3_PT2_iSC_SC_,@function
_Z39paged_attention_ll4mi_QKV_mfma16_kernelI14__hip_bfloat16hLN4vllm18Fp8KVCacheDataTypeE1EhLi32ELi128ELi256ELb1ELi16EEvPKT_PKT0_S8_ifPKiSA_SA_iPKfiiiPfSD_PS3_PT2_iSC_SC_: ; @_Z39paged_attention_ll4mi_QKV_mfma16_kernelI14__hip_bfloat16hLN4vllm18Fp8KVCacheDataTypeE1EhLi32ELi128ELi256ELb1ELi16EEvPKT_PKT0_S8_ifPKiSA_SA_iPKfiiiPfSD_PS3_PT2_iSC_SC_
; %bb.0:
	s_get_pc_i64 s[2:3]
	s_add_nc_u64 s[2:3], s[2:3], __PRETTY_FUNCTION__._Z39paged_attention_ll4mi_QKV_mfma16_kernelI14__hip_bfloat16hLN4vllm18Fp8KVCacheDataTypeE1EhLi32ELi128ELi256ELb1ELi16EEvPKT_PKT0_S8_ifPKiSA_SA_iPKfiiiPfSD_PS3_PT2_iSC_SC_@rel64+4
	s_delay_alu instid0(SALU_CYCLE_1)
	v_dual_mov_b32 v0, 0xbb3 :: v_dual_mov_b32 v1, s2
	v_mov_b32_e32 v2, s3
	s_add_nc_u64 s[8:9], s[0:1], 0x90
	s_get_pc_i64 s[0:1]
	s_add_nc_u64 s[0:1], s[0:1], __assert_fail@rel64+4
	s_mov_b32 s32, 0
	s_swap_pc_i64 s[30:31], s[0:1]
	.section	.rodata,"a",@progbits
	.p2align	6, 0x0
	.amdhsa_kernel _Z39paged_attention_ll4mi_QKV_mfma16_kernelI14__hip_bfloat16hLN4vllm18Fp8KVCacheDataTypeE1EhLi32ELi128ELi256ELb1ELi16EEvPKT_PKT0_S8_ifPKiSA_SA_iPKfiiiPfSD_PS3_PT2_iSC_SC_
		.amdhsa_group_segment_fixed_size 0
		.amdhsa_private_segment_fixed_size 64
		.amdhsa_kernarg_size 400
		.amdhsa_user_sgpr_count 2
		.amdhsa_user_sgpr_dispatch_ptr 0
		.amdhsa_user_sgpr_queue_ptr 0
		.amdhsa_user_sgpr_kernarg_segment_ptr 1
		.amdhsa_user_sgpr_dispatch_id 0
		.amdhsa_user_sgpr_kernarg_preload_length 0
		.amdhsa_user_sgpr_kernarg_preload_offset 0
		.amdhsa_user_sgpr_private_segment_size 0
		.amdhsa_wavefront_size32 1
		.amdhsa_uses_dynamic_stack 0
		.amdhsa_enable_private_segment 1
		.amdhsa_system_sgpr_workgroup_id_x 1
		.amdhsa_system_sgpr_workgroup_id_y 0
		.amdhsa_system_sgpr_workgroup_id_z 0
		.amdhsa_system_sgpr_workgroup_info 0
		.amdhsa_system_vgpr_workitem_id 0
		.amdhsa_next_free_vgpr 51
		.amdhsa_next_free_sgpr 34
		.amdhsa_named_barrier_count 0
		.amdhsa_reserve_vcc 1
		.amdhsa_float_round_mode_32 0
		.amdhsa_float_round_mode_16_64 0
		.amdhsa_float_denorm_mode_32 3
		.amdhsa_float_denorm_mode_16_64 3
		.amdhsa_fp16_overflow 0
		.amdhsa_memory_ordered 1
		.amdhsa_forward_progress 1
		.amdhsa_inst_pref_size 1
		.amdhsa_round_robin_scheduling 0
		.amdhsa_exception_fp_ieee_invalid_op 0
		.amdhsa_exception_fp_denorm_src 0
		.amdhsa_exception_fp_ieee_div_zero 0
		.amdhsa_exception_fp_ieee_overflow 0
		.amdhsa_exception_fp_ieee_underflow 0
		.amdhsa_exception_fp_ieee_inexact 0
		.amdhsa_exception_int_div_zero 0
	.end_amdhsa_kernel
	.section	.text._Z39paged_attention_ll4mi_QKV_mfma16_kernelI14__hip_bfloat16hLN4vllm18Fp8KVCacheDataTypeE1EhLi32ELi128ELi256ELb1ELi16EEvPKT_PKT0_S8_ifPKiSA_SA_iPKfiiiPfSD_PS3_PT2_iSC_SC_,"axG",@progbits,_Z39paged_attention_ll4mi_QKV_mfma16_kernelI14__hip_bfloat16hLN4vllm18Fp8KVCacheDataTypeE1EhLi32ELi128ELi256ELb1ELi16EEvPKT_PKT0_S8_ifPKiSA_SA_iPKfiiiPfSD_PS3_PT2_iSC_SC_,comdat
.Lfunc_end1345:
	.size	_Z39paged_attention_ll4mi_QKV_mfma16_kernelI14__hip_bfloat16hLN4vllm18Fp8KVCacheDataTypeE1EhLi32ELi128ELi256ELb1ELi16EEvPKT_PKT0_S8_ifPKiSA_SA_iPKfiiiPfSD_PS3_PT2_iSC_SC_, .Lfunc_end1345-_Z39paged_attention_ll4mi_QKV_mfma16_kernelI14__hip_bfloat16hLN4vllm18Fp8KVCacheDataTypeE1EhLi32ELi128ELi256ELb1ELi16EEvPKT_PKT0_S8_ifPKiSA_SA_iPKfiiiPfSD_PS3_PT2_iSC_SC_
                                        ; -- End function
	.set _Z39paged_attention_ll4mi_QKV_mfma16_kernelI14__hip_bfloat16hLN4vllm18Fp8KVCacheDataTypeE1EhLi32ELi128ELi256ELb1ELi16EEvPKT_PKT0_S8_ifPKiSA_SA_iPKfiiiPfSD_PS3_PT2_iSC_SC_.num_vgpr, max(3, .L__assert_fail.num_vgpr)
	.set _Z39paged_attention_ll4mi_QKV_mfma16_kernelI14__hip_bfloat16hLN4vllm18Fp8KVCacheDataTypeE1EhLi32ELi128ELi256ELb1ELi16EEvPKT_PKT0_S8_ifPKiSA_SA_iPKfiiiPfSD_PS3_PT2_iSC_SC_.num_agpr, max(0, .L__assert_fail.num_agpr)
	.set _Z39paged_attention_ll4mi_QKV_mfma16_kernelI14__hip_bfloat16hLN4vllm18Fp8KVCacheDataTypeE1EhLi32ELi128ELi256ELb1ELi16EEvPKT_PKT0_S8_ifPKiSA_SA_iPKfiiiPfSD_PS3_PT2_iSC_SC_.numbered_sgpr, max(33, .L__assert_fail.numbered_sgpr)
	.set _Z39paged_attention_ll4mi_QKV_mfma16_kernelI14__hip_bfloat16hLN4vllm18Fp8KVCacheDataTypeE1EhLi32ELi128ELi256ELb1ELi16EEvPKT_PKT0_S8_ifPKiSA_SA_iPKfiiiPfSD_PS3_PT2_iSC_SC_.num_named_barrier, max(0, .L__assert_fail.num_named_barrier)
	.set _Z39paged_attention_ll4mi_QKV_mfma16_kernelI14__hip_bfloat16hLN4vllm18Fp8KVCacheDataTypeE1EhLi32ELi128ELi256ELb1ELi16EEvPKT_PKT0_S8_ifPKiSA_SA_iPKfiiiPfSD_PS3_PT2_iSC_SC_.private_seg_size, 0+max(.L__assert_fail.private_seg_size)
	.set _Z39paged_attention_ll4mi_QKV_mfma16_kernelI14__hip_bfloat16hLN4vllm18Fp8KVCacheDataTypeE1EhLi32ELi128ELi256ELb1ELi16EEvPKT_PKT0_S8_ifPKiSA_SA_iPKfiiiPfSD_PS3_PT2_iSC_SC_.uses_vcc, or(1, .L__assert_fail.uses_vcc)
	.set _Z39paged_attention_ll4mi_QKV_mfma16_kernelI14__hip_bfloat16hLN4vllm18Fp8KVCacheDataTypeE1EhLi32ELi128ELi256ELb1ELi16EEvPKT_PKT0_S8_ifPKiSA_SA_iPKfiiiPfSD_PS3_PT2_iSC_SC_.uses_flat_scratch, or(0, .L__assert_fail.uses_flat_scratch)
	.set _Z39paged_attention_ll4mi_QKV_mfma16_kernelI14__hip_bfloat16hLN4vllm18Fp8KVCacheDataTypeE1EhLi32ELi128ELi256ELb1ELi16EEvPKT_PKT0_S8_ifPKiSA_SA_iPKfiiiPfSD_PS3_PT2_iSC_SC_.has_dyn_sized_stack, or(0, .L__assert_fail.has_dyn_sized_stack)
	.set _Z39paged_attention_ll4mi_QKV_mfma16_kernelI14__hip_bfloat16hLN4vllm18Fp8KVCacheDataTypeE1EhLi32ELi128ELi256ELb1ELi16EEvPKT_PKT0_S8_ifPKiSA_SA_iPKfiiiPfSD_PS3_PT2_iSC_SC_.has_recursion, or(0, .L__assert_fail.has_recursion)
	.set _Z39paged_attention_ll4mi_QKV_mfma16_kernelI14__hip_bfloat16hLN4vllm18Fp8KVCacheDataTypeE1EhLi32ELi128ELi256ELb1ELi16EEvPKT_PKT0_S8_ifPKiSA_SA_iPKfiiiPfSD_PS3_PT2_iSC_SC_.has_indirect_call, or(0, .L__assert_fail.has_indirect_call)
	.section	.AMDGPU.csdata,"",@progbits
; Kernel info:
; codeLenInByte = 68
; TotalNumSgprs: 36
; NumVgprs: 51
; ScratchSize: 64
; MemoryBound: 0
; FloatMode: 240
; IeeeMode: 1
; LDSByteSize: 0 bytes/workgroup (compile time only)
; SGPRBlocks: 0
; VGPRBlocks: 3
; NumSGPRsForWavesPerEU: 36
; NumVGPRsForWavesPerEU: 51
; NamedBarCnt: 0
; Occupancy: 16
; WaveLimiterHint : 1
; COMPUTE_PGM_RSRC2:SCRATCH_EN: 1
; COMPUTE_PGM_RSRC2:USER_SGPR: 2
; COMPUTE_PGM_RSRC2:TRAP_HANDLER: 0
; COMPUTE_PGM_RSRC2:TGID_X_EN: 1
; COMPUTE_PGM_RSRC2:TGID_Y_EN: 0
; COMPUTE_PGM_RSRC2:TGID_Z_EN: 0
; COMPUTE_PGM_RSRC2:TIDIG_COMP_CNT: 0
	.section	.text._Z39paged_attention_ll4mi_QKV_mfma16_kernelI14__hip_bfloat16hLN4vllm18Fp8KVCacheDataTypeE1EhLi32ELi128ELi256ELb1ELi1EEvPKT_PKT0_S8_ifPKiSA_SA_iPKfiiiPfSD_PS3_PT2_iSC_SC_,"axG",@progbits,_Z39paged_attention_ll4mi_QKV_mfma16_kernelI14__hip_bfloat16hLN4vllm18Fp8KVCacheDataTypeE1EhLi32ELi128ELi256ELb1ELi1EEvPKT_PKT0_S8_ifPKiSA_SA_iPKfiiiPfSD_PS3_PT2_iSC_SC_,comdat
	.protected	_Z39paged_attention_ll4mi_QKV_mfma16_kernelI14__hip_bfloat16hLN4vllm18Fp8KVCacheDataTypeE1EhLi32ELi128ELi256ELb1ELi1EEvPKT_PKT0_S8_ifPKiSA_SA_iPKfiiiPfSD_PS3_PT2_iSC_SC_ ; -- Begin function _Z39paged_attention_ll4mi_QKV_mfma16_kernelI14__hip_bfloat16hLN4vllm18Fp8KVCacheDataTypeE1EhLi32ELi128ELi256ELb1ELi1EEvPKT_PKT0_S8_ifPKiSA_SA_iPKfiiiPfSD_PS3_PT2_iSC_SC_
	.globl	_Z39paged_attention_ll4mi_QKV_mfma16_kernelI14__hip_bfloat16hLN4vllm18Fp8KVCacheDataTypeE1EhLi32ELi128ELi256ELb1ELi1EEvPKT_PKT0_S8_ifPKiSA_SA_iPKfiiiPfSD_PS3_PT2_iSC_SC_
	.p2align	8
	.type	_Z39paged_attention_ll4mi_QKV_mfma16_kernelI14__hip_bfloat16hLN4vllm18Fp8KVCacheDataTypeE1EhLi32ELi128ELi256ELb1ELi1EEvPKT_PKT0_S8_ifPKiSA_SA_iPKfiiiPfSD_PS3_PT2_iSC_SC_,@function
_Z39paged_attention_ll4mi_QKV_mfma16_kernelI14__hip_bfloat16hLN4vllm18Fp8KVCacheDataTypeE1EhLi32ELi128ELi256ELb1ELi1EEvPKT_PKT0_S8_ifPKiSA_SA_iPKfiiiPfSD_PS3_PT2_iSC_SC_: ; @_Z39paged_attention_ll4mi_QKV_mfma16_kernelI14__hip_bfloat16hLN4vllm18Fp8KVCacheDataTypeE1EhLi32ELi128ELi256ELb1ELi1EEvPKT_PKT0_S8_ifPKiSA_SA_iPKfiiiPfSD_PS3_PT2_iSC_SC_
; %bb.0:
	s_get_pc_i64 s[2:3]
	s_add_nc_u64 s[2:3], s[2:3], __PRETTY_FUNCTION__._Z39paged_attention_ll4mi_QKV_mfma16_kernelI14__hip_bfloat16hLN4vllm18Fp8KVCacheDataTypeE1EhLi32ELi128ELi256ELb1ELi1EEvPKT_PKT0_S8_ifPKiSA_SA_iPKfiiiPfSD_PS3_PT2_iSC_SC_@rel64+4
	s_delay_alu instid0(SALU_CYCLE_1)
	v_dual_mov_b32 v0, 0xbb3 :: v_dual_mov_b32 v1, s2
	v_mov_b32_e32 v2, s3
	s_add_nc_u64 s[8:9], s[0:1], 0x90
	s_get_pc_i64 s[0:1]
	s_add_nc_u64 s[0:1], s[0:1], __assert_fail@rel64+4
	s_mov_b32 s32, 0
	s_swap_pc_i64 s[30:31], s[0:1]
	.section	.rodata,"a",@progbits
	.p2align	6, 0x0
	.amdhsa_kernel _Z39paged_attention_ll4mi_QKV_mfma16_kernelI14__hip_bfloat16hLN4vllm18Fp8KVCacheDataTypeE1EhLi32ELi128ELi256ELb1ELi1EEvPKT_PKT0_S8_ifPKiSA_SA_iPKfiiiPfSD_PS3_PT2_iSC_SC_
		.amdhsa_group_segment_fixed_size 0
		.amdhsa_private_segment_fixed_size 64
		.amdhsa_kernarg_size 400
		.amdhsa_user_sgpr_count 2
		.amdhsa_user_sgpr_dispatch_ptr 0
		.amdhsa_user_sgpr_queue_ptr 0
		.amdhsa_user_sgpr_kernarg_segment_ptr 1
		.amdhsa_user_sgpr_dispatch_id 0
		.amdhsa_user_sgpr_kernarg_preload_length 0
		.amdhsa_user_sgpr_kernarg_preload_offset 0
		.amdhsa_user_sgpr_private_segment_size 0
		.amdhsa_wavefront_size32 1
		.amdhsa_uses_dynamic_stack 0
		.amdhsa_enable_private_segment 1
		.amdhsa_system_sgpr_workgroup_id_x 1
		.amdhsa_system_sgpr_workgroup_id_y 0
		.amdhsa_system_sgpr_workgroup_id_z 0
		.amdhsa_system_sgpr_workgroup_info 0
		.amdhsa_system_vgpr_workitem_id 0
		.amdhsa_next_free_vgpr 51
		.amdhsa_next_free_sgpr 34
		.amdhsa_named_barrier_count 0
		.amdhsa_reserve_vcc 1
		.amdhsa_float_round_mode_32 0
		.amdhsa_float_round_mode_16_64 0
		.amdhsa_float_denorm_mode_32 3
		.amdhsa_float_denorm_mode_16_64 3
		.amdhsa_fp16_overflow 0
		.amdhsa_memory_ordered 1
		.amdhsa_forward_progress 1
		.amdhsa_inst_pref_size 1
		.amdhsa_round_robin_scheduling 0
		.amdhsa_exception_fp_ieee_invalid_op 0
		.amdhsa_exception_fp_denorm_src 0
		.amdhsa_exception_fp_ieee_div_zero 0
		.amdhsa_exception_fp_ieee_overflow 0
		.amdhsa_exception_fp_ieee_underflow 0
		.amdhsa_exception_fp_ieee_inexact 0
		.amdhsa_exception_int_div_zero 0
	.end_amdhsa_kernel
	.section	.text._Z39paged_attention_ll4mi_QKV_mfma16_kernelI14__hip_bfloat16hLN4vllm18Fp8KVCacheDataTypeE1EhLi32ELi128ELi256ELb1ELi1EEvPKT_PKT0_S8_ifPKiSA_SA_iPKfiiiPfSD_PS3_PT2_iSC_SC_,"axG",@progbits,_Z39paged_attention_ll4mi_QKV_mfma16_kernelI14__hip_bfloat16hLN4vllm18Fp8KVCacheDataTypeE1EhLi32ELi128ELi256ELb1ELi1EEvPKT_PKT0_S8_ifPKiSA_SA_iPKfiiiPfSD_PS3_PT2_iSC_SC_,comdat
.Lfunc_end1346:
	.size	_Z39paged_attention_ll4mi_QKV_mfma16_kernelI14__hip_bfloat16hLN4vllm18Fp8KVCacheDataTypeE1EhLi32ELi128ELi256ELb1ELi1EEvPKT_PKT0_S8_ifPKiSA_SA_iPKfiiiPfSD_PS3_PT2_iSC_SC_, .Lfunc_end1346-_Z39paged_attention_ll4mi_QKV_mfma16_kernelI14__hip_bfloat16hLN4vllm18Fp8KVCacheDataTypeE1EhLi32ELi128ELi256ELb1ELi1EEvPKT_PKT0_S8_ifPKiSA_SA_iPKfiiiPfSD_PS3_PT2_iSC_SC_
                                        ; -- End function
	.set _Z39paged_attention_ll4mi_QKV_mfma16_kernelI14__hip_bfloat16hLN4vllm18Fp8KVCacheDataTypeE1EhLi32ELi128ELi256ELb1ELi1EEvPKT_PKT0_S8_ifPKiSA_SA_iPKfiiiPfSD_PS3_PT2_iSC_SC_.num_vgpr, max(3, .L__assert_fail.num_vgpr)
	.set _Z39paged_attention_ll4mi_QKV_mfma16_kernelI14__hip_bfloat16hLN4vllm18Fp8KVCacheDataTypeE1EhLi32ELi128ELi256ELb1ELi1EEvPKT_PKT0_S8_ifPKiSA_SA_iPKfiiiPfSD_PS3_PT2_iSC_SC_.num_agpr, max(0, .L__assert_fail.num_agpr)
	.set _Z39paged_attention_ll4mi_QKV_mfma16_kernelI14__hip_bfloat16hLN4vllm18Fp8KVCacheDataTypeE1EhLi32ELi128ELi256ELb1ELi1EEvPKT_PKT0_S8_ifPKiSA_SA_iPKfiiiPfSD_PS3_PT2_iSC_SC_.numbered_sgpr, max(33, .L__assert_fail.numbered_sgpr)
	.set _Z39paged_attention_ll4mi_QKV_mfma16_kernelI14__hip_bfloat16hLN4vllm18Fp8KVCacheDataTypeE1EhLi32ELi128ELi256ELb1ELi1EEvPKT_PKT0_S8_ifPKiSA_SA_iPKfiiiPfSD_PS3_PT2_iSC_SC_.num_named_barrier, max(0, .L__assert_fail.num_named_barrier)
	.set _Z39paged_attention_ll4mi_QKV_mfma16_kernelI14__hip_bfloat16hLN4vllm18Fp8KVCacheDataTypeE1EhLi32ELi128ELi256ELb1ELi1EEvPKT_PKT0_S8_ifPKiSA_SA_iPKfiiiPfSD_PS3_PT2_iSC_SC_.private_seg_size, 0+max(.L__assert_fail.private_seg_size)
	.set _Z39paged_attention_ll4mi_QKV_mfma16_kernelI14__hip_bfloat16hLN4vllm18Fp8KVCacheDataTypeE1EhLi32ELi128ELi256ELb1ELi1EEvPKT_PKT0_S8_ifPKiSA_SA_iPKfiiiPfSD_PS3_PT2_iSC_SC_.uses_vcc, or(1, .L__assert_fail.uses_vcc)
	.set _Z39paged_attention_ll4mi_QKV_mfma16_kernelI14__hip_bfloat16hLN4vllm18Fp8KVCacheDataTypeE1EhLi32ELi128ELi256ELb1ELi1EEvPKT_PKT0_S8_ifPKiSA_SA_iPKfiiiPfSD_PS3_PT2_iSC_SC_.uses_flat_scratch, or(0, .L__assert_fail.uses_flat_scratch)
	.set _Z39paged_attention_ll4mi_QKV_mfma16_kernelI14__hip_bfloat16hLN4vllm18Fp8KVCacheDataTypeE1EhLi32ELi128ELi256ELb1ELi1EEvPKT_PKT0_S8_ifPKiSA_SA_iPKfiiiPfSD_PS3_PT2_iSC_SC_.has_dyn_sized_stack, or(0, .L__assert_fail.has_dyn_sized_stack)
	.set _Z39paged_attention_ll4mi_QKV_mfma16_kernelI14__hip_bfloat16hLN4vllm18Fp8KVCacheDataTypeE1EhLi32ELi128ELi256ELb1ELi1EEvPKT_PKT0_S8_ifPKiSA_SA_iPKfiiiPfSD_PS3_PT2_iSC_SC_.has_recursion, or(0, .L__assert_fail.has_recursion)
	.set _Z39paged_attention_ll4mi_QKV_mfma16_kernelI14__hip_bfloat16hLN4vllm18Fp8KVCacheDataTypeE1EhLi32ELi128ELi256ELb1ELi1EEvPKT_PKT0_S8_ifPKiSA_SA_iPKfiiiPfSD_PS3_PT2_iSC_SC_.has_indirect_call, or(0, .L__assert_fail.has_indirect_call)
	.section	.AMDGPU.csdata,"",@progbits
; Kernel info:
; codeLenInByte = 68
; TotalNumSgprs: 36
; NumVgprs: 51
; ScratchSize: 64
; MemoryBound: 0
; FloatMode: 240
; IeeeMode: 1
; LDSByteSize: 0 bytes/workgroup (compile time only)
; SGPRBlocks: 0
; VGPRBlocks: 3
; NumSGPRsForWavesPerEU: 36
; NumVGPRsForWavesPerEU: 51
; NamedBarCnt: 0
; Occupancy: 16
; WaveLimiterHint : 1
; COMPUTE_PGM_RSRC2:SCRATCH_EN: 1
; COMPUTE_PGM_RSRC2:USER_SGPR: 2
; COMPUTE_PGM_RSRC2:TRAP_HANDLER: 0
; COMPUTE_PGM_RSRC2:TGID_X_EN: 1
; COMPUTE_PGM_RSRC2:TGID_Y_EN: 0
; COMPUTE_PGM_RSRC2:TGID_Z_EN: 0
; COMPUTE_PGM_RSRC2:TIDIG_COMP_CNT: 0
	.section	.text._Z39paged_attention_ll4mi_QKV_mfma16_kernelI14__hip_bfloat16hLN4vllm18Fp8KVCacheDataTypeE1EhLi32ELi128ELi256ELb1ELi2EEvPKT_PKT0_S8_ifPKiSA_SA_iPKfiiiPfSD_PS3_PT2_iSC_SC_,"axG",@progbits,_Z39paged_attention_ll4mi_QKV_mfma16_kernelI14__hip_bfloat16hLN4vllm18Fp8KVCacheDataTypeE1EhLi32ELi128ELi256ELb1ELi2EEvPKT_PKT0_S8_ifPKiSA_SA_iPKfiiiPfSD_PS3_PT2_iSC_SC_,comdat
	.protected	_Z39paged_attention_ll4mi_QKV_mfma16_kernelI14__hip_bfloat16hLN4vllm18Fp8KVCacheDataTypeE1EhLi32ELi128ELi256ELb1ELi2EEvPKT_PKT0_S8_ifPKiSA_SA_iPKfiiiPfSD_PS3_PT2_iSC_SC_ ; -- Begin function _Z39paged_attention_ll4mi_QKV_mfma16_kernelI14__hip_bfloat16hLN4vllm18Fp8KVCacheDataTypeE1EhLi32ELi128ELi256ELb1ELi2EEvPKT_PKT0_S8_ifPKiSA_SA_iPKfiiiPfSD_PS3_PT2_iSC_SC_
	.globl	_Z39paged_attention_ll4mi_QKV_mfma16_kernelI14__hip_bfloat16hLN4vllm18Fp8KVCacheDataTypeE1EhLi32ELi128ELi256ELb1ELi2EEvPKT_PKT0_S8_ifPKiSA_SA_iPKfiiiPfSD_PS3_PT2_iSC_SC_
	.p2align	8
	.type	_Z39paged_attention_ll4mi_QKV_mfma16_kernelI14__hip_bfloat16hLN4vllm18Fp8KVCacheDataTypeE1EhLi32ELi128ELi256ELb1ELi2EEvPKT_PKT0_S8_ifPKiSA_SA_iPKfiiiPfSD_PS3_PT2_iSC_SC_,@function
_Z39paged_attention_ll4mi_QKV_mfma16_kernelI14__hip_bfloat16hLN4vllm18Fp8KVCacheDataTypeE1EhLi32ELi128ELi256ELb1ELi2EEvPKT_PKT0_S8_ifPKiSA_SA_iPKfiiiPfSD_PS3_PT2_iSC_SC_: ; @_Z39paged_attention_ll4mi_QKV_mfma16_kernelI14__hip_bfloat16hLN4vllm18Fp8KVCacheDataTypeE1EhLi32ELi128ELi256ELb1ELi2EEvPKT_PKT0_S8_ifPKiSA_SA_iPKfiiiPfSD_PS3_PT2_iSC_SC_
; %bb.0:
	s_get_pc_i64 s[2:3]
	s_add_nc_u64 s[2:3], s[2:3], __PRETTY_FUNCTION__._Z39paged_attention_ll4mi_QKV_mfma16_kernelI14__hip_bfloat16hLN4vllm18Fp8KVCacheDataTypeE1EhLi32ELi128ELi256ELb1ELi2EEvPKT_PKT0_S8_ifPKiSA_SA_iPKfiiiPfSD_PS3_PT2_iSC_SC_@rel64+4
	s_delay_alu instid0(SALU_CYCLE_1)
	v_dual_mov_b32 v0, 0xbb3 :: v_dual_mov_b32 v1, s2
	v_mov_b32_e32 v2, s3
	s_add_nc_u64 s[8:9], s[0:1], 0x90
	s_get_pc_i64 s[0:1]
	s_add_nc_u64 s[0:1], s[0:1], __assert_fail@rel64+4
	s_mov_b32 s32, 0
	s_swap_pc_i64 s[30:31], s[0:1]
	.section	.rodata,"a",@progbits
	.p2align	6, 0x0
	.amdhsa_kernel _Z39paged_attention_ll4mi_QKV_mfma16_kernelI14__hip_bfloat16hLN4vllm18Fp8KVCacheDataTypeE1EhLi32ELi128ELi256ELb1ELi2EEvPKT_PKT0_S8_ifPKiSA_SA_iPKfiiiPfSD_PS3_PT2_iSC_SC_
		.amdhsa_group_segment_fixed_size 0
		.amdhsa_private_segment_fixed_size 64
		.amdhsa_kernarg_size 400
		.amdhsa_user_sgpr_count 2
		.amdhsa_user_sgpr_dispatch_ptr 0
		.amdhsa_user_sgpr_queue_ptr 0
		.amdhsa_user_sgpr_kernarg_segment_ptr 1
		.amdhsa_user_sgpr_dispatch_id 0
		.amdhsa_user_sgpr_kernarg_preload_length 0
		.amdhsa_user_sgpr_kernarg_preload_offset 0
		.amdhsa_user_sgpr_private_segment_size 0
		.amdhsa_wavefront_size32 1
		.amdhsa_uses_dynamic_stack 0
		.amdhsa_enable_private_segment 1
		.amdhsa_system_sgpr_workgroup_id_x 1
		.amdhsa_system_sgpr_workgroup_id_y 0
		.amdhsa_system_sgpr_workgroup_id_z 0
		.amdhsa_system_sgpr_workgroup_info 0
		.amdhsa_system_vgpr_workitem_id 0
		.amdhsa_next_free_vgpr 51
		.amdhsa_next_free_sgpr 34
		.amdhsa_named_barrier_count 0
		.amdhsa_reserve_vcc 1
		.amdhsa_float_round_mode_32 0
		.amdhsa_float_round_mode_16_64 0
		.amdhsa_float_denorm_mode_32 3
		.amdhsa_float_denorm_mode_16_64 3
		.amdhsa_fp16_overflow 0
		.amdhsa_memory_ordered 1
		.amdhsa_forward_progress 1
		.amdhsa_inst_pref_size 1
		.amdhsa_round_robin_scheduling 0
		.amdhsa_exception_fp_ieee_invalid_op 0
		.amdhsa_exception_fp_denorm_src 0
		.amdhsa_exception_fp_ieee_div_zero 0
		.amdhsa_exception_fp_ieee_overflow 0
		.amdhsa_exception_fp_ieee_underflow 0
		.amdhsa_exception_fp_ieee_inexact 0
		.amdhsa_exception_int_div_zero 0
	.end_amdhsa_kernel
	.section	.text._Z39paged_attention_ll4mi_QKV_mfma16_kernelI14__hip_bfloat16hLN4vllm18Fp8KVCacheDataTypeE1EhLi32ELi128ELi256ELb1ELi2EEvPKT_PKT0_S8_ifPKiSA_SA_iPKfiiiPfSD_PS3_PT2_iSC_SC_,"axG",@progbits,_Z39paged_attention_ll4mi_QKV_mfma16_kernelI14__hip_bfloat16hLN4vllm18Fp8KVCacheDataTypeE1EhLi32ELi128ELi256ELb1ELi2EEvPKT_PKT0_S8_ifPKiSA_SA_iPKfiiiPfSD_PS3_PT2_iSC_SC_,comdat
.Lfunc_end1347:
	.size	_Z39paged_attention_ll4mi_QKV_mfma16_kernelI14__hip_bfloat16hLN4vllm18Fp8KVCacheDataTypeE1EhLi32ELi128ELi256ELb1ELi2EEvPKT_PKT0_S8_ifPKiSA_SA_iPKfiiiPfSD_PS3_PT2_iSC_SC_, .Lfunc_end1347-_Z39paged_attention_ll4mi_QKV_mfma16_kernelI14__hip_bfloat16hLN4vllm18Fp8KVCacheDataTypeE1EhLi32ELi128ELi256ELb1ELi2EEvPKT_PKT0_S8_ifPKiSA_SA_iPKfiiiPfSD_PS3_PT2_iSC_SC_
                                        ; -- End function
	.set _Z39paged_attention_ll4mi_QKV_mfma16_kernelI14__hip_bfloat16hLN4vllm18Fp8KVCacheDataTypeE1EhLi32ELi128ELi256ELb1ELi2EEvPKT_PKT0_S8_ifPKiSA_SA_iPKfiiiPfSD_PS3_PT2_iSC_SC_.num_vgpr, max(3, .L__assert_fail.num_vgpr)
	.set _Z39paged_attention_ll4mi_QKV_mfma16_kernelI14__hip_bfloat16hLN4vllm18Fp8KVCacheDataTypeE1EhLi32ELi128ELi256ELb1ELi2EEvPKT_PKT0_S8_ifPKiSA_SA_iPKfiiiPfSD_PS3_PT2_iSC_SC_.num_agpr, max(0, .L__assert_fail.num_agpr)
	.set _Z39paged_attention_ll4mi_QKV_mfma16_kernelI14__hip_bfloat16hLN4vllm18Fp8KVCacheDataTypeE1EhLi32ELi128ELi256ELb1ELi2EEvPKT_PKT0_S8_ifPKiSA_SA_iPKfiiiPfSD_PS3_PT2_iSC_SC_.numbered_sgpr, max(33, .L__assert_fail.numbered_sgpr)
	.set _Z39paged_attention_ll4mi_QKV_mfma16_kernelI14__hip_bfloat16hLN4vllm18Fp8KVCacheDataTypeE1EhLi32ELi128ELi256ELb1ELi2EEvPKT_PKT0_S8_ifPKiSA_SA_iPKfiiiPfSD_PS3_PT2_iSC_SC_.num_named_barrier, max(0, .L__assert_fail.num_named_barrier)
	.set _Z39paged_attention_ll4mi_QKV_mfma16_kernelI14__hip_bfloat16hLN4vllm18Fp8KVCacheDataTypeE1EhLi32ELi128ELi256ELb1ELi2EEvPKT_PKT0_S8_ifPKiSA_SA_iPKfiiiPfSD_PS3_PT2_iSC_SC_.private_seg_size, 0+max(.L__assert_fail.private_seg_size)
	.set _Z39paged_attention_ll4mi_QKV_mfma16_kernelI14__hip_bfloat16hLN4vllm18Fp8KVCacheDataTypeE1EhLi32ELi128ELi256ELb1ELi2EEvPKT_PKT0_S8_ifPKiSA_SA_iPKfiiiPfSD_PS3_PT2_iSC_SC_.uses_vcc, or(1, .L__assert_fail.uses_vcc)
	.set _Z39paged_attention_ll4mi_QKV_mfma16_kernelI14__hip_bfloat16hLN4vllm18Fp8KVCacheDataTypeE1EhLi32ELi128ELi256ELb1ELi2EEvPKT_PKT0_S8_ifPKiSA_SA_iPKfiiiPfSD_PS3_PT2_iSC_SC_.uses_flat_scratch, or(0, .L__assert_fail.uses_flat_scratch)
	.set _Z39paged_attention_ll4mi_QKV_mfma16_kernelI14__hip_bfloat16hLN4vllm18Fp8KVCacheDataTypeE1EhLi32ELi128ELi256ELb1ELi2EEvPKT_PKT0_S8_ifPKiSA_SA_iPKfiiiPfSD_PS3_PT2_iSC_SC_.has_dyn_sized_stack, or(0, .L__assert_fail.has_dyn_sized_stack)
	.set _Z39paged_attention_ll4mi_QKV_mfma16_kernelI14__hip_bfloat16hLN4vllm18Fp8KVCacheDataTypeE1EhLi32ELi128ELi256ELb1ELi2EEvPKT_PKT0_S8_ifPKiSA_SA_iPKfiiiPfSD_PS3_PT2_iSC_SC_.has_recursion, or(0, .L__assert_fail.has_recursion)
	.set _Z39paged_attention_ll4mi_QKV_mfma16_kernelI14__hip_bfloat16hLN4vllm18Fp8KVCacheDataTypeE1EhLi32ELi128ELi256ELb1ELi2EEvPKT_PKT0_S8_ifPKiSA_SA_iPKfiiiPfSD_PS3_PT2_iSC_SC_.has_indirect_call, or(0, .L__assert_fail.has_indirect_call)
	.section	.AMDGPU.csdata,"",@progbits
; Kernel info:
; codeLenInByte = 68
; TotalNumSgprs: 36
; NumVgprs: 51
; ScratchSize: 64
; MemoryBound: 0
; FloatMode: 240
; IeeeMode: 1
; LDSByteSize: 0 bytes/workgroup (compile time only)
; SGPRBlocks: 0
; VGPRBlocks: 3
; NumSGPRsForWavesPerEU: 36
; NumVGPRsForWavesPerEU: 51
; NamedBarCnt: 0
; Occupancy: 16
; WaveLimiterHint : 1
; COMPUTE_PGM_RSRC2:SCRATCH_EN: 1
; COMPUTE_PGM_RSRC2:USER_SGPR: 2
; COMPUTE_PGM_RSRC2:TRAP_HANDLER: 0
; COMPUTE_PGM_RSRC2:TGID_X_EN: 1
; COMPUTE_PGM_RSRC2:TGID_Y_EN: 0
; COMPUTE_PGM_RSRC2:TGID_Z_EN: 0
; COMPUTE_PGM_RSRC2:TIDIG_COMP_CNT: 0
	.section	.text._Z39paged_attention_ll4mi_QKV_mfma16_kernelI14__hip_bfloat16hLN4vllm18Fp8KVCacheDataTypeE1EhLi32ELi128ELi256ELb1ELi3EEvPKT_PKT0_S8_ifPKiSA_SA_iPKfiiiPfSD_PS3_PT2_iSC_SC_,"axG",@progbits,_Z39paged_attention_ll4mi_QKV_mfma16_kernelI14__hip_bfloat16hLN4vllm18Fp8KVCacheDataTypeE1EhLi32ELi128ELi256ELb1ELi3EEvPKT_PKT0_S8_ifPKiSA_SA_iPKfiiiPfSD_PS3_PT2_iSC_SC_,comdat
	.protected	_Z39paged_attention_ll4mi_QKV_mfma16_kernelI14__hip_bfloat16hLN4vllm18Fp8KVCacheDataTypeE1EhLi32ELi128ELi256ELb1ELi3EEvPKT_PKT0_S8_ifPKiSA_SA_iPKfiiiPfSD_PS3_PT2_iSC_SC_ ; -- Begin function _Z39paged_attention_ll4mi_QKV_mfma16_kernelI14__hip_bfloat16hLN4vllm18Fp8KVCacheDataTypeE1EhLi32ELi128ELi256ELb1ELi3EEvPKT_PKT0_S8_ifPKiSA_SA_iPKfiiiPfSD_PS3_PT2_iSC_SC_
	.globl	_Z39paged_attention_ll4mi_QKV_mfma16_kernelI14__hip_bfloat16hLN4vllm18Fp8KVCacheDataTypeE1EhLi32ELi128ELi256ELb1ELi3EEvPKT_PKT0_S8_ifPKiSA_SA_iPKfiiiPfSD_PS3_PT2_iSC_SC_
	.p2align	8
	.type	_Z39paged_attention_ll4mi_QKV_mfma16_kernelI14__hip_bfloat16hLN4vllm18Fp8KVCacheDataTypeE1EhLi32ELi128ELi256ELb1ELi3EEvPKT_PKT0_S8_ifPKiSA_SA_iPKfiiiPfSD_PS3_PT2_iSC_SC_,@function
_Z39paged_attention_ll4mi_QKV_mfma16_kernelI14__hip_bfloat16hLN4vllm18Fp8KVCacheDataTypeE1EhLi32ELi128ELi256ELb1ELi3EEvPKT_PKT0_S8_ifPKiSA_SA_iPKfiiiPfSD_PS3_PT2_iSC_SC_: ; @_Z39paged_attention_ll4mi_QKV_mfma16_kernelI14__hip_bfloat16hLN4vllm18Fp8KVCacheDataTypeE1EhLi32ELi128ELi256ELb1ELi3EEvPKT_PKT0_S8_ifPKiSA_SA_iPKfiiiPfSD_PS3_PT2_iSC_SC_
; %bb.0:
	s_get_pc_i64 s[2:3]
	s_add_nc_u64 s[2:3], s[2:3], __PRETTY_FUNCTION__._Z39paged_attention_ll4mi_QKV_mfma16_kernelI14__hip_bfloat16hLN4vllm18Fp8KVCacheDataTypeE1EhLi32ELi128ELi256ELb1ELi3EEvPKT_PKT0_S8_ifPKiSA_SA_iPKfiiiPfSD_PS3_PT2_iSC_SC_@rel64+4
	s_delay_alu instid0(SALU_CYCLE_1)
	v_dual_mov_b32 v0, 0xbb3 :: v_dual_mov_b32 v1, s2
	v_mov_b32_e32 v2, s3
	s_add_nc_u64 s[8:9], s[0:1], 0x90
	s_get_pc_i64 s[0:1]
	s_add_nc_u64 s[0:1], s[0:1], __assert_fail@rel64+4
	s_mov_b32 s32, 0
	s_swap_pc_i64 s[30:31], s[0:1]
	.section	.rodata,"a",@progbits
	.p2align	6, 0x0
	.amdhsa_kernel _Z39paged_attention_ll4mi_QKV_mfma16_kernelI14__hip_bfloat16hLN4vllm18Fp8KVCacheDataTypeE1EhLi32ELi128ELi256ELb1ELi3EEvPKT_PKT0_S8_ifPKiSA_SA_iPKfiiiPfSD_PS3_PT2_iSC_SC_
		.amdhsa_group_segment_fixed_size 0
		.amdhsa_private_segment_fixed_size 64
		.amdhsa_kernarg_size 400
		.amdhsa_user_sgpr_count 2
		.amdhsa_user_sgpr_dispatch_ptr 0
		.amdhsa_user_sgpr_queue_ptr 0
		.amdhsa_user_sgpr_kernarg_segment_ptr 1
		.amdhsa_user_sgpr_dispatch_id 0
		.amdhsa_user_sgpr_kernarg_preload_length 0
		.amdhsa_user_sgpr_kernarg_preload_offset 0
		.amdhsa_user_sgpr_private_segment_size 0
		.amdhsa_wavefront_size32 1
		.amdhsa_uses_dynamic_stack 0
		.amdhsa_enable_private_segment 1
		.amdhsa_system_sgpr_workgroup_id_x 1
		.amdhsa_system_sgpr_workgroup_id_y 0
		.amdhsa_system_sgpr_workgroup_id_z 0
		.amdhsa_system_sgpr_workgroup_info 0
		.amdhsa_system_vgpr_workitem_id 0
		.amdhsa_next_free_vgpr 51
		.amdhsa_next_free_sgpr 34
		.amdhsa_named_barrier_count 0
		.amdhsa_reserve_vcc 1
		.amdhsa_float_round_mode_32 0
		.amdhsa_float_round_mode_16_64 0
		.amdhsa_float_denorm_mode_32 3
		.amdhsa_float_denorm_mode_16_64 3
		.amdhsa_fp16_overflow 0
		.amdhsa_memory_ordered 1
		.amdhsa_forward_progress 1
		.amdhsa_inst_pref_size 1
		.amdhsa_round_robin_scheduling 0
		.amdhsa_exception_fp_ieee_invalid_op 0
		.amdhsa_exception_fp_denorm_src 0
		.amdhsa_exception_fp_ieee_div_zero 0
		.amdhsa_exception_fp_ieee_overflow 0
		.amdhsa_exception_fp_ieee_underflow 0
		.amdhsa_exception_fp_ieee_inexact 0
		.amdhsa_exception_int_div_zero 0
	.end_amdhsa_kernel
	.section	.text._Z39paged_attention_ll4mi_QKV_mfma16_kernelI14__hip_bfloat16hLN4vllm18Fp8KVCacheDataTypeE1EhLi32ELi128ELi256ELb1ELi3EEvPKT_PKT0_S8_ifPKiSA_SA_iPKfiiiPfSD_PS3_PT2_iSC_SC_,"axG",@progbits,_Z39paged_attention_ll4mi_QKV_mfma16_kernelI14__hip_bfloat16hLN4vllm18Fp8KVCacheDataTypeE1EhLi32ELi128ELi256ELb1ELi3EEvPKT_PKT0_S8_ifPKiSA_SA_iPKfiiiPfSD_PS3_PT2_iSC_SC_,comdat
.Lfunc_end1348:
	.size	_Z39paged_attention_ll4mi_QKV_mfma16_kernelI14__hip_bfloat16hLN4vllm18Fp8KVCacheDataTypeE1EhLi32ELi128ELi256ELb1ELi3EEvPKT_PKT0_S8_ifPKiSA_SA_iPKfiiiPfSD_PS3_PT2_iSC_SC_, .Lfunc_end1348-_Z39paged_attention_ll4mi_QKV_mfma16_kernelI14__hip_bfloat16hLN4vllm18Fp8KVCacheDataTypeE1EhLi32ELi128ELi256ELb1ELi3EEvPKT_PKT0_S8_ifPKiSA_SA_iPKfiiiPfSD_PS3_PT2_iSC_SC_
                                        ; -- End function
	.set _Z39paged_attention_ll4mi_QKV_mfma16_kernelI14__hip_bfloat16hLN4vllm18Fp8KVCacheDataTypeE1EhLi32ELi128ELi256ELb1ELi3EEvPKT_PKT0_S8_ifPKiSA_SA_iPKfiiiPfSD_PS3_PT2_iSC_SC_.num_vgpr, max(3, .L__assert_fail.num_vgpr)
	.set _Z39paged_attention_ll4mi_QKV_mfma16_kernelI14__hip_bfloat16hLN4vllm18Fp8KVCacheDataTypeE1EhLi32ELi128ELi256ELb1ELi3EEvPKT_PKT0_S8_ifPKiSA_SA_iPKfiiiPfSD_PS3_PT2_iSC_SC_.num_agpr, max(0, .L__assert_fail.num_agpr)
	.set _Z39paged_attention_ll4mi_QKV_mfma16_kernelI14__hip_bfloat16hLN4vllm18Fp8KVCacheDataTypeE1EhLi32ELi128ELi256ELb1ELi3EEvPKT_PKT0_S8_ifPKiSA_SA_iPKfiiiPfSD_PS3_PT2_iSC_SC_.numbered_sgpr, max(33, .L__assert_fail.numbered_sgpr)
	.set _Z39paged_attention_ll4mi_QKV_mfma16_kernelI14__hip_bfloat16hLN4vllm18Fp8KVCacheDataTypeE1EhLi32ELi128ELi256ELb1ELi3EEvPKT_PKT0_S8_ifPKiSA_SA_iPKfiiiPfSD_PS3_PT2_iSC_SC_.num_named_barrier, max(0, .L__assert_fail.num_named_barrier)
	.set _Z39paged_attention_ll4mi_QKV_mfma16_kernelI14__hip_bfloat16hLN4vllm18Fp8KVCacheDataTypeE1EhLi32ELi128ELi256ELb1ELi3EEvPKT_PKT0_S8_ifPKiSA_SA_iPKfiiiPfSD_PS3_PT2_iSC_SC_.private_seg_size, 0+max(.L__assert_fail.private_seg_size)
	.set _Z39paged_attention_ll4mi_QKV_mfma16_kernelI14__hip_bfloat16hLN4vllm18Fp8KVCacheDataTypeE1EhLi32ELi128ELi256ELb1ELi3EEvPKT_PKT0_S8_ifPKiSA_SA_iPKfiiiPfSD_PS3_PT2_iSC_SC_.uses_vcc, or(1, .L__assert_fail.uses_vcc)
	.set _Z39paged_attention_ll4mi_QKV_mfma16_kernelI14__hip_bfloat16hLN4vllm18Fp8KVCacheDataTypeE1EhLi32ELi128ELi256ELb1ELi3EEvPKT_PKT0_S8_ifPKiSA_SA_iPKfiiiPfSD_PS3_PT2_iSC_SC_.uses_flat_scratch, or(0, .L__assert_fail.uses_flat_scratch)
	.set _Z39paged_attention_ll4mi_QKV_mfma16_kernelI14__hip_bfloat16hLN4vllm18Fp8KVCacheDataTypeE1EhLi32ELi128ELi256ELb1ELi3EEvPKT_PKT0_S8_ifPKiSA_SA_iPKfiiiPfSD_PS3_PT2_iSC_SC_.has_dyn_sized_stack, or(0, .L__assert_fail.has_dyn_sized_stack)
	.set _Z39paged_attention_ll4mi_QKV_mfma16_kernelI14__hip_bfloat16hLN4vllm18Fp8KVCacheDataTypeE1EhLi32ELi128ELi256ELb1ELi3EEvPKT_PKT0_S8_ifPKiSA_SA_iPKfiiiPfSD_PS3_PT2_iSC_SC_.has_recursion, or(0, .L__assert_fail.has_recursion)
	.set _Z39paged_attention_ll4mi_QKV_mfma16_kernelI14__hip_bfloat16hLN4vllm18Fp8KVCacheDataTypeE1EhLi32ELi128ELi256ELb1ELi3EEvPKT_PKT0_S8_ifPKiSA_SA_iPKfiiiPfSD_PS3_PT2_iSC_SC_.has_indirect_call, or(0, .L__assert_fail.has_indirect_call)
	.section	.AMDGPU.csdata,"",@progbits
; Kernel info:
; codeLenInByte = 68
; TotalNumSgprs: 36
; NumVgprs: 51
; ScratchSize: 64
; MemoryBound: 0
; FloatMode: 240
; IeeeMode: 1
; LDSByteSize: 0 bytes/workgroup (compile time only)
; SGPRBlocks: 0
; VGPRBlocks: 3
; NumSGPRsForWavesPerEU: 36
; NumVGPRsForWavesPerEU: 51
; NamedBarCnt: 0
; Occupancy: 16
; WaveLimiterHint : 1
; COMPUTE_PGM_RSRC2:SCRATCH_EN: 1
; COMPUTE_PGM_RSRC2:USER_SGPR: 2
; COMPUTE_PGM_RSRC2:TRAP_HANDLER: 0
; COMPUTE_PGM_RSRC2:TGID_X_EN: 1
; COMPUTE_PGM_RSRC2:TGID_Y_EN: 0
; COMPUTE_PGM_RSRC2:TGID_Z_EN: 0
; COMPUTE_PGM_RSRC2:TIDIG_COMP_CNT: 0
	.section	.text._Z39paged_attention_ll4mi_QKV_mfma16_kernelI14__hip_bfloat16hLN4vllm18Fp8KVCacheDataTypeE1EhLi32ELi128ELi256ELb1ELi4EEvPKT_PKT0_S8_ifPKiSA_SA_iPKfiiiPfSD_PS3_PT2_iSC_SC_,"axG",@progbits,_Z39paged_attention_ll4mi_QKV_mfma16_kernelI14__hip_bfloat16hLN4vllm18Fp8KVCacheDataTypeE1EhLi32ELi128ELi256ELb1ELi4EEvPKT_PKT0_S8_ifPKiSA_SA_iPKfiiiPfSD_PS3_PT2_iSC_SC_,comdat
	.protected	_Z39paged_attention_ll4mi_QKV_mfma16_kernelI14__hip_bfloat16hLN4vllm18Fp8KVCacheDataTypeE1EhLi32ELi128ELi256ELb1ELi4EEvPKT_PKT0_S8_ifPKiSA_SA_iPKfiiiPfSD_PS3_PT2_iSC_SC_ ; -- Begin function _Z39paged_attention_ll4mi_QKV_mfma16_kernelI14__hip_bfloat16hLN4vllm18Fp8KVCacheDataTypeE1EhLi32ELi128ELi256ELb1ELi4EEvPKT_PKT0_S8_ifPKiSA_SA_iPKfiiiPfSD_PS3_PT2_iSC_SC_
	.globl	_Z39paged_attention_ll4mi_QKV_mfma16_kernelI14__hip_bfloat16hLN4vllm18Fp8KVCacheDataTypeE1EhLi32ELi128ELi256ELb1ELi4EEvPKT_PKT0_S8_ifPKiSA_SA_iPKfiiiPfSD_PS3_PT2_iSC_SC_
	.p2align	8
	.type	_Z39paged_attention_ll4mi_QKV_mfma16_kernelI14__hip_bfloat16hLN4vllm18Fp8KVCacheDataTypeE1EhLi32ELi128ELi256ELb1ELi4EEvPKT_PKT0_S8_ifPKiSA_SA_iPKfiiiPfSD_PS3_PT2_iSC_SC_,@function
_Z39paged_attention_ll4mi_QKV_mfma16_kernelI14__hip_bfloat16hLN4vllm18Fp8KVCacheDataTypeE1EhLi32ELi128ELi256ELb1ELi4EEvPKT_PKT0_S8_ifPKiSA_SA_iPKfiiiPfSD_PS3_PT2_iSC_SC_: ; @_Z39paged_attention_ll4mi_QKV_mfma16_kernelI14__hip_bfloat16hLN4vllm18Fp8KVCacheDataTypeE1EhLi32ELi128ELi256ELb1ELi4EEvPKT_PKT0_S8_ifPKiSA_SA_iPKfiiiPfSD_PS3_PT2_iSC_SC_
; %bb.0:
	s_get_pc_i64 s[2:3]
	s_add_nc_u64 s[2:3], s[2:3], __PRETTY_FUNCTION__._Z39paged_attention_ll4mi_QKV_mfma16_kernelI14__hip_bfloat16hLN4vllm18Fp8KVCacheDataTypeE1EhLi32ELi128ELi256ELb1ELi4EEvPKT_PKT0_S8_ifPKiSA_SA_iPKfiiiPfSD_PS3_PT2_iSC_SC_@rel64+4
	s_delay_alu instid0(SALU_CYCLE_1)
	v_dual_mov_b32 v0, 0xbb3 :: v_dual_mov_b32 v1, s2
	v_mov_b32_e32 v2, s3
	s_add_nc_u64 s[8:9], s[0:1], 0x90
	s_get_pc_i64 s[0:1]
	s_add_nc_u64 s[0:1], s[0:1], __assert_fail@rel64+4
	s_mov_b32 s32, 0
	s_swap_pc_i64 s[30:31], s[0:1]
	.section	.rodata,"a",@progbits
	.p2align	6, 0x0
	.amdhsa_kernel _Z39paged_attention_ll4mi_QKV_mfma16_kernelI14__hip_bfloat16hLN4vllm18Fp8KVCacheDataTypeE1EhLi32ELi128ELi256ELb1ELi4EEvPKT_PKT0_S8_ifPKiSA_SA_iPKfiiiPfSD_PS3_PT2_iSC_SC_
		.amdhsa_group_segment_fixed_size 0
		.amdhsa_private_segment_fixed_size 64
		.amdhsa_kernarg_size 400
		.amdhsa_user_sgpr_count 2
		.amdhsa_user_sgpr_dispatch_ptr 0
		.amdhsa_user_sgpr_queue_ptr 0
		.amdhsa_user_sgpr_kernarg_segment_ptr 1
		.amdhsa_user_sgpr_dispatch_id 0
		.amdhsa_user_sgpr_kernarg_preload_length 0
		.amdhsa_user_sgpr_kernarg_preload_offset 0
		.amdhsa_user_sgpr_private_segment_size 0
		.amdhsa_wavefront_size32 1
		.amdhsa_uses_dynamic_stack 0
		.amdhsa_enable_private_segment 1
		.amdhsa_system_sgpr_workgroup_id_x 1
		.amdhsa_system_sgpr_workgroup_id_y 0
		.amdhsa_system_sgpr_workgroup_id_z 0
		.amdhsa_system_sgpr_workgroup_info 0
		.amdhsa_system_vgpr_workitem_id 0
		.amdhsa_next_free_vgpr 51
		.amdhsa_next_free_sgpr 34
		.amdhsa_named_barrier_count 0
		.amdhsa_reserve_vcc 1
		.amdhsa_float_round_mode_32 0
		.amdhsa_float_round_mode_16_64 0
		.amdhsa_float_denorm_mode_32 3
		.amdhsa_float_denorm_mode_16_64 3
		.amdhsa_fp16_overflow 0
		.amdhsa_memory_ordered 1
		.amdhsa_forward_progress 1
		.amdhsa_inst_pref_size 1
		.amdhsa_round_robin_scheduling 0
		.amdhsa_exception_fp_ieee_invalid_op 0
		.amdhsa_exception_fp_denorm_src 0
		.amdhsa_exception_fp_ieee_div_zero 0
		.amdhsa_exception_fp_ieee_overflow 0
		.amdhsa_exception_fp_ieee_underflow 0
		.amdhsa_exception_fp_ieee_inexact 0
		.amdhsa_exception_int_div_zero 0
	.end_amdhsa_kernel
	.section	.text._Z39paged_attention_ll4mi_QKV_mfma16_kernelI14__hip_bfloat16hLN4vllm18Fp8KVCacheDataTypeE1EhLi32ELi128ELi256ELb1ELi4EEvPKT_PKT0_S8_ifPKiSA_SA_iPKfiiiPfSD_PS3_PT2_iSC_SC_,"axG",@progbits,_Z39paged_attention_ll4mi_QKV_mfma16_kernelI14__hip_bfloat16hLN4vllm18Fp8KVCacheDataTypeE1EhLi32ELi128ELi256ELb1ELi4EEvPKT_PKT0_S8_ifPKiSA_SA_iPKfiiiPfSD_PS3_PT2_iSC_SC_,comdat
.Lfunc_end1349:
	.size	_Z39paged_attention_ll4mi_QKV_mfma16_kernelI14__hip_bfloat16hLN4vllm18Fp8KVCacheDataTypeE1EhLi32ELi128ELi256ELb1ELi4EEvPKT_PKT0_S8_ifPKiSA_SA_iPKfiiiPfSD_PS3_PT2_iSC_SC_, .Lfunc_end1349-_Z39paged_attention_ll4mi_QKV_mfma16_kernelI14__hip_bfloat16hLN4vllm18Fp8KVCacheDataTypeE1EhLi32ELi128ELi256ELb1ELi4EEvPKT_PKT0_S8_ifPKiSA_SA_iPKfiiiPfSD_PS3_PT2_iSC_SC_
                                        ; -- End function
	.set _Z39paged_attention_ll4mi_QKV_mfma16_kernelI14__hip_bfloat16hLN4vllm18Fp8KVCacheDataTypeE1EhLi32ELi128ELi256ELb1ELi4EEvPKT_PKT0_S8_ifPKiSA_SA_iPKfiiiPfSD_PS3_PT2_iSC_SC_.num_vgpr, max(3, .L__assert_fail.num_vgpr)
	.set _Z39paged_attention_ll4mi_QKV_mfma16_kernelI14__hip_bfloat16hLN4vllm18Fp8KVCacheDataTypeE1EhLi32ELi128ELi256ELb1ELi4EEvPKT_PKT0_S8_ifPKiSA_SA_iPKfiiiPfSD_PS3_PT2_iSC_SC_.num_agpr, max(0, .L__assert_fail.num_agpr)
	.set _Z39paged_attention_ll4mi_QKV_mfma16_kernelI14__hip_bfloat16hLN4vllm18Fp8KVCacheDataTypeE1EhLi32ELi128ELi256ELb1ELi4EEvPKT_PKT0_S8_ifPKiSA_SA_iPKfiiiPfSD_PS3_PT2_iSC_SC_.numbered_sgpr, max(33, .L__assert_fail.numbered_sgpr)
	.set _Z39paged_attention_ll4mi_QKV_mfma16_kernelI14__hip_bfloat16hLN4vllm18Fp8KVCacheDataTypeE1EhLi32ELi128ELi256ELb1ELi4EEvPKT_PKT0_S8_ifPKiSA_SA_iPKfiiiPfSD_PS3_PT2_iSC_SC_.num_named_barrier, max(0, .L__assert_fail.num_named_barrier)
	.set _Z39paged_attention_ll4mi_QKV_mfma16_kernelI14__hip_bfloat16hLN4vllm18Fp8KVCacheDataTypeE1EhLi32ELi128ELi256ELb1ELi4EEvPKT_PKT0_S8_ifPKiSA_SA_iPKfiiiPfSD_PS3_PT2_iSC_SC_.private_seg_size, 0+max(.L__assert_fail.private_seg_size)
	.set _Z39paged_attention_ll4mi_QKV_mfma16_kernelI14__hip_bfloat16hLN4vllm18Fp8KVCacheDataTypeE1EhLi32ELi128ELi256ELb1ELi4EEvPKT_PKT0_S8_ifPKiSA_SA_iPKfiiiPfSD_PS3_PT2_iSC_SC_.uses_vcc, or(1, .L__assert_fail.uses_vcc)
	.set _Z39paged_attention_ll4mi_QKV_mfma16_kernelI14__hip_bfloat16hLN4vllm18Fp8KVCacheDataTypeE1EhLi32ELi128ELi256ELb1ELi4EEvPKT_PKT0_S8_ifPKiSA_SA_iPKfiiiPfSD_PS3_PT2_iSC_SC_.uses_flat_scratch, or(0, .L__assert_fail.uses_flat_scratch)
	.set _Z39paged_attention_ll4mi_QKV_mfma16_kernelI14__hip_bfloat16hLN4vllm18Fp8KVCacheDataTypeE1EhLi32ELi128ELi256ELb1ELi4EEvPKT_PKT0_S8_ifPKiSA_SA_iPKfiiiPfSD_PS3_PT2_iSC_SC_.has_dyn_sized_stack, or(0, .L__assert_fail.has_dyn_sized_stack)
	.set _Z39paged_attention_ll4mi_QKV_mfma16_kernelI14__hip_bfloat16hLN4vllm18Fp8KVCacheDataTypeE1EhLi32ELi128ELi256ELb1ELi4EEvPKT_PKT0_S8_ifPKiSA_SA_iPKfiiiPfSD_PS3_PT2_iSC_SC_.has_recursion, or(0, .L__assert_fail.has_recursion)
	.set _Z39paged_attention_ll4mi_QKV_mfma16_kernelI14__hip_bfloat16hLN4vllm18Fp8KVCacheDataTypeE1EhLi32ELi128ELi256ELb1ELi4EEvPKT_PKT0_S8_ifPKiSA_SA_iPKfiiiPfSD_PS3_PT2_iSC_SC_.has_indirect_call, or(0, .L__assert_fail.has_indirect_call)
	.section	.AMDGPU.csdata,"",@progbits
; Kernel info:
; codeLenInByte = 68
; TotalNumSgprs: 36
; NumVgprs: 51
; ScratchSize: 64
; MemoryBound: 0
; FloatMode: 240
; IeeeMode: 1
; LDSByteSize: 0 bytes/workgroup (compile time only)
; SGPRBlocks: 0
; VGPRBlocks: 3
; NumSGPRsForWavesPerEU: 36
; NumVGPRsForWavesPerEU: 51
; NamedBarCnt: 0
; Occupancy: 16
; WaveLimiterHint : 1
; COMPUTE_PGM_RSRC2:SCRATCH_EN: 1
; COMPUTE_PGM_RSRC2:USER_SGPR: 2
; COMPUTE_PGM_RSRC2:TRAP_HANDLER: 0
; COMPUTE_PGM_RSRC2:TGID_X_EN: 1
; COMPUTE_PGM_RSRC2:TGID_Y_EN: 0
; COMPUTE_PGM_RSRC2:TGID_Z_EN: 0
; COMPUTE_PGM_RSRC2:TIDIG_COMP_CNT: 0
	.section	.text._Z38paged_attention_ll4mi_QKV_mfma4_kernelI14__hip_bfloat16hLN4vllm18Fp8KVCacheDataTypeE1EhLi32ELi128ELi256ELb0ELi1EEvPKT_PKT0_S8_ifPKiSA_SA_iPKfiiiPfSD_PS3_PT2_iSC_SC_,"axG",@progbits,_Z38paged_attention_ll4mi_QKV_mfma4_kernelI14__hip_bfloat16hLN4vllm18Fp8KVCacheDataTypeE1EhLi32ELi128ELi256ELb0ELi1EEvPKT_PKT0_S8_ifPKiSA_SA_iPKfiiiPfSD_PS3_PT2_iSC_SC_,comdat
	.protected	_Z38paged_attention_ll4mi_QKV_mfma4_kernelI14__hip_bfloat16hLN4vllm18Fp8KVCacheDataTypeE1EhLi32ELi128ELi256ELb0ELi1EEvPKT_PKT0_S8_ifPKiSA_SA_iPKfiiiPfSD_PS3_PT2_iSC_SC_ ; -- Begin function _Z38paged_attention_ll4mi_QKV_mfma4_kernelI14__hip_bfloat16hLN4vllm18Fp8KVCacheDataTypeE1EhLi32ELi128ELi256ELb0ELi1EEvPKT_PKT0_S8_ifPKiSA_SA_iPKfiiiPfSD_PS3_PT2_iSC_SC_
	.globl	_Z38paged_attention_ll4mi_QKV_mfma4_kernelI14__hip_bfloat16hLN4vllm18Fp8KVCacheDataTypeE1EhLi32ELi128ELi256ELb0ELi1EEvPKT_PKT0_S8_ifPKiSA_SA_iPKfiiiPfSD_PS3_PT2_iSC_SC_
	.p2align	8
	.type	_Z38paged_attention_ll4mi_QKV_mfma4_kernelI14__hip_bfloat16hLN4vllm18Fp8KVCacheDataTypeE1EhLi32ELi128ELi256ELb0ELi1EEvPKT_PKT0_S8_ifPKiSA_SA_iPKfiiiPfSD_PS3_PT2_iSC_SC_,@function
_Z38paged_attention_ll4mi_QKV_mfma4_kernelI14__hip_bfloat16hLN4vllm18Fp8KVCacheDataTypeE1EhLi32ELi128ELi256ELb0ELi1EEvPKT_PKT0_S8_ifPKiSA_SA_iPKfiiiPfSD_PS3_PT2_iSC_SC_: ; @_Z38paged_attention_ll4mi_QKV_mfma4_kernelI14__hip_bfloat16hLN4vllm18Fp8KVCacheDataTypeE1EhLi32ELi128ELi256ELb0ELi1EEvPKT_PKT0_S8_ifPKiSA_SA_iPKfiiiPfSD_PS3_PT2_iSC_SC_
; %bb.0:
	s_get_pc_i64 s[2:3]
	s_add_nc_u64 s[2:3], s[2:3], __PRETTY_FUNCTION__._Z38paged_attention_ll4mi_QKV_mfma4_kernelI14__hip_bfloat16hLN4vllm18Fp8KVCacheDataTypeE1EhLi32ELi128ELi256ELb0ELi1EEvPKT_PKT0_S8_ifPKiSA_SA_iPKfiiiPfSD_PS3_PT2_iSC_SC_@rel64+4
	s_delay_alu instid0(SALU_CYCLE_1)
	v_dual_mov_b32 v0, 0xbce :: v_dual_mov_b32 v1, s2
	v_mov_b32_e32 v2, s3
	s_add_nc_u64 s[8:9], s[0:1], 0x90
	s_get_pc_i64 s[0:1]
	s_add_nc_u64 s[0:1], s[0:1], __assert_fail@rel64+4
	s_mov_b32 s32, 0
	s_swap_pc_i64 s[30:31], s[0:1]
	.section	.rodata,"a",@progbits
	.p2align	6, 0x0
	.amdhsa_kernel _Z38paged_attention_ll4mi_QKV_mfma4_kernelI14__hip_bfloat16hLN4vllm18Fp8KVCacheDataTypeE1EhLi32ELi128ELi256ELb0ELi1EEvPKT_PKT0_S8_ifPKiSA_SA_iPKfiiiPfSD_PS3_PT2_iSC_SC_
		.amdhsa_group_segment_fixed_size 0
		.amdhsa_private_segment_fixed_size 64
		.amdhsa_kernarg_size 400
		.amdhsa_user_sgpr_count 2
		.amdhsa_user_sgpr_dispatch_ptr 0
		.amdhsa_user_sgpr_queue_ptr 0
		.amdhsa_user_sgpr_kernarg_segment_ptr 1
		.amdhsa_user_sgpr_dispatch_id 0
		.amdhsa_user_sgpr_kernarg_preload_length 0
		.amdhsa_user_sgpr_kernarg_preload_offset 0
		.amdhsa_user_sgpr_private_segment_size 0
		.amdhsa_wavefront_size32 1
		.amdhsa_uses_dynamic_stack 0
		.amdhsa_enable_private_segment 1
		.amdhsa_system_sgpr_workgroup_id_x 1
		.amdhsa_system_sgpr_workgroup_id_y 0
		.amdhsa_system_sgpr_workgroup_id_z 0
		.amdhsa_system_sgpr_workgroup_info 0
		.amdhsa_system_vgpr_workitem_id 0
		.amdhsa_next_free_vgpr 51
		.amdhsa_next_free_sgpr 34
		.amdhsa_named_barrier_count 0
		.amdhsa_reserve_vcc 1
		.amdhsa_float_round_mode_32 0
		.amdhsa_float_round_mode_16_64 0
		.amdhsa_float_denorm_mode_32 3
		.amdhsa_float_denorm_mode_16_64 3
		.amdhsa_fp16_overflow 0
		.amdhsa_memory_ordered 1
		.amdhsa_forward_progress 1
		.amdhsa_inst_pref_size 1
		.amdhsa_round_robin_scheduling 0
		.amdhsa_exception_fp_ieee_invalid_op 0
		.amdhsa_exception_fp_denorm_src 0
		.amdhsa_exception_fp_ieee_div_zero 0
		.amdhsa_exception_fp_ieee_overflow 0
		.amdhsa_exception_fp_ieee_underflow 0
		.amdhsa_exception_fp_ieee_inexact 0
		.amdhsa_exception_int_div_zero 0
	.end_amdhsa_kernel
	.section	.text._Z38paged_attention_ll4mi_QKV_mfma4_kernelI14__hip_bfloat16hLN4vllm18Fp8KVCacheDataTypeE1EhLi32ELi128ELi256ELb0ELi1EEvPKT_PKT0_S8_ifPKiSA_SA_iPKfiiiPfSD_PS3_PT2_iSC_SC_,"axG",@progbits,_Z38paged_attention_ll4mi_QKV_mfma4_kernelI14__hip_bfloat16hLN4vllm18Fp8KVCacheDataTypeE1EhLi32ELi128ELi256ELb0ELi1EEvPKT_PKT0_S8_ifPKiSA_SA_iPKfiiiPfSD_PS3_PT2_iSC_SC_,comdat
.Lfunc_end1350:
	.size	_Z38paged_attention_ll4mi_QKV_mfma4_kernelI14__hip_bfloat16hLN4vllm18Fp8KVCacheDataTypeE1EhLi32ELi128ELi256ELb0ELi1EEvPKT_PKT0_S8_ifPKiSA_SA_iPKfiiiPfSD_PS3_PT2_iSC_SC_, .Lfunc_end1350-_Z38paged_attention_ll4mi_QKV_mfma4_kernelI14__hip_bfloat16hLN4vllm18Fp8KVCacheDataTypeE1EhLi32ELi128ELi256ELb0ELi1EEvPKT_PKT0_S8_ifPKiSA_SA_iPKfiiiPfSD_PS3_PT2_iSC_SC_
                                        ; -- End function
	.set _Z38paged_attention_ll4mi_QKV_mfma4_kernelI14__hip_bfloat16hLN4vllm18Fp8KVCacheDataTypeE1EhLi32ELi128ELi256ELb0ELi1EEvPKT_PKT0_S8_ifPKiSA_SA_iPKfiiiPfSD_PS3_PT2_iSC_SC_.num_vgpr, max(3, .L__assert_fail.num_vgpr)
	.set _Z38paged_attention_ll4mi_QKV_mfma4_kernelI14__hip_bfloat16hLN4vllm18Fp8KVCacheDataTypeE1EhLi32ELi128ELi256ELb0ELi1EEvPKT_PKT0_S8_ifPKiSA_SA_iPKfiiiPfSD_PS3_PT2_iSC_SC_.num_agpr, max(0, .L__assert_fail.num_agpr)
	.set _Z38paged_attention_ll4mi_QKV_mfma4_kernelI14__hip_bfloat16hLN4vllm18Fp8KVCacheDataTypeE1EhLi32ELi128ELi256ELb0ELi1EEvPKT_PKT0_S8_ifPKiSA_SA_iPKfiiiPfSD_PS3_PT2_iSC_SC_.numbered_sgpr, max(33, .L__assert_fail.numbered_sgpr)
	.set _Z38paged_attention_ll4mi_QKV_mfma4_kernelI14__hip_bfloat16hLN4vllm18Fp8KVCacheDataTypeE1EhLi32ELi128ELi256ELb0ELi1EEvPKT_PKT0_S8_ifPKiSA_SA_iPKfiiiPfSD_PS3_PT2_iSC_SC_.num_named_barrier, max(0, .L__assert_fail.num_named_barrier)
	.set _Z38paged_attention_ll4mi_QKV_mfma4_kernelI14__hip_bfloat16hLN4vllm18Fp8KVCacheDataTypeE1EhLi32ELi128ELi256ELb0ELi1EEvPKT_PKT0_S8_ifPKiSA_SA_iPKfiiiPfSD_PS3_PT2_iSC_SC_.private_seg_size, 0+max(.L__assert_fail.private_seg_size)
	.set _Z38paged_attention_ll4mi_QKV_mfma4_kernelI14__hip_bfloat16hLN4vllm18Fp8KVCacheDataTypeE1EhLi32ELi128ELi256ELb0ELi1EEvPKT_PKT0_S8_ifPKiSA_SA_iPKfiiiPfSD_PS3_PT2_iSC_SC_.uses_vcc, or(1, .L__assert_fail.uses_vcc)
	.set _Z38paged_attention_ll4mi_QKV_mfma4_kernelI14__hip_bfloat16hLN4vllm18Fp8KVCacheDataTypeE1EhLi32ELi128ELi256ELb0ELi1EEvPKT_PKT0_S8_ifPKiSA_SA_iPKfiiiPfSD_PS3_PT2_iSC_SC_.uses_flat_scratch, or(0, .L__assert_fail.uses_flat_scratch)
	.set _Z38paged_attention_ll4mi_QKV_mfma4_kernelI14__hip_bfloat16hLN4vllm18Fp8KVCacheDataTypeE1EhLi32ELi128ELi256ELb0ELi1EEvPKT_PKT0_S8_ifPKiSA_SA_iPKfiiiPfSD_PS3_PT2_iSC_SC_.has_dyn_sized_stack, or(0, .L__assert_fail.has_dyn_sized_stack)
	.set _Z38paged_attention_ll4mi_QKV_mfma4_kernelI14__hip_bfloat16hLN4vllm18Fp8KVCacheDataTypeE1EhLi32ELi128ELi256ELb0ELi1EEvPKT_PKT0_S8_ifPKiSA_SA_iPKfiiiPfSD_PS3_PT2_iSC_SC_.has_recursion, or(0, .L__assert_fail.has_recursion)
	.set _Z38paged_attention_ll4mi_QKV_mfma4_kernelI14__hip_bfloat16hLN4vllm18Fp8KVCacheDataTypeE1EhLi32ELi128ELi256ELb0ELi1EEvPKT_PKT0_S8_ifPKiSA_SA_iPKfiiiPfSD_PS3_PT2_iSC_SC_.has_indirect_call, or(0, .L__assert_fail.has_indirect_call)
	.section	.AMDGPU.csdata,"",@progbits
; Kernel info:
; codeLenInByte = 68
; TotalNumSgprs: 36
; NumVgprs: 51
; ScratchSize: 64
; MemoryBound: 0
; FloatMode: 240
; IeeeMode: 1
; LDSByteSize: 0 bytes/workgroup (compile time only)
; SGPRBlocks: 0
; VGPRBlocks: 3
; NumSGPRsForWavesPerEU: 36
; NumVGPRsForWavesPerEU: 51
; NamedBarCnt: 0
; Occupancy: 16
; WaveLimiterHint : 1
; COMPUTE_PGM_RSRC2:SCRATCH_EN: 1
; COMPUTE_PGM_RSRC2:USER_SGPR: 2
; COMPUTE_PGM_RSRC2:TRAP_HANDLER: 0
; COMPUTE_PGM_RSRC2:TGID_X_EN: 1
; COMPUTE_PGM_RSRC2:TGID_Y_EN: 0
; COMPUTE_PGM_RSRC2:TGID_Z_EN: 0
; COMPUTE_PGM_RSRC2:TIDIG_COMP_CNT: 0
	.section	.text._Z38paged_attention_ll4mi_QKV_mfma4_kernelI14__hip_bfloat16hLN4vllm18Fp8KVCacheDataTypeE1EhLi32ELi128ELi256ELb0ELi2EEvPKT_PKT0_S8_ifPKiSA_SA_iPKfiiiPfSD_PS3_PT2_iSC_SC_,"axG",@progbits,_Z38paged_attention_ll4mi_QKV_mfma4_kernelI14__hip_bfloat16hLN4vllm18Fp8KVCacheDataTypeE1EhLi32ELi128ELi256ELb0ELi2EEvPKT_PKT0_S8_ifPKiSA_SA_iPKfiiiPfSD_PS3_PT2_iSC_SC_,comdat
	.protected	_Z38paged_attention_ll4mi_QKV_mfma4_kernelI14__hip_bfloat16hLN4vllm18Fp8KVCacheDataTypeE1EhLi32ELi128ELi256ELb0ELi2EEvPKT_PKT0_S8_ifPKiSA_SA_iPKfiiiPfSD_PS3_PT2_iSC_SC_ ; -- Begin function _Z38paged_attention_ll4mi_QKV_mfma4_kernelI14__hip_bfloat16hLN4vllm18Fp8KVCacheDataTypeE1EhLi32ELi128ELi256ELb0ELi2EEvPKT_PKT0_S8_ifPKiSA_SA_iPKfiiiPfSD_PS3_PT2_iSC_SC_
	.globl	_Z38paged_attention_ll4mi_QKV_mfma4_kernelI14__hip_bfloat16hLN4vllm18Fp8KVCacheDataTypeE1EhLi32ELi128ELi256ELb0ELi2EEvPKT_PKT0_S8_ifPKiSA_SA_iPKfiiiPfSD_PS3_PT2_iSC_SC_
	.p2align	8
	.type	_Z38paged_attention_ll4mi_QKV_mfma4_kernelI14__hip_bfloat16hLN4vllm18Fp8KVCacheDataTypeE1EhLi32ELi128ELi256ELb0ELi2EEvPKT_PKT0_S8_ifPKiSA_SA_iPKfiiiPfSD_PS3_PT2_iSC_SC_,@function
_Z38paged_attention_ll4mi_QKV_mfma4_kernelI14__hip_bfloat16hLN4vllm18Fp8KVCacheDataTypeE1EhLi32ELi128ELi256ELb0ELi2EEvPKT_PKT0_S8_ifPKiSA_SA_iPKfiiiPfSD_PS3_PT2_iSC_SC_: ; @_Z38paged_attention_ll4mi_QKV_mfma4_kernelI14__hip_bfloat16hLN4vllm18Fp8KVCacheDataTypeE1EhLi32ELi128ELi256ELb0ELi2EEvPKT_PKT0_S8_ifPKiSA_SA_iPKfiiiPfSD_PS3_PT2_iSC_SC_
; %bb.0:
	s_get_pc_i64 s[2:3]
	s_add_nc_u64 s[2:3], s[2:3], __PRETTY_FUNCTION__._Z38paged_attention_ll4mi_QKV_mfma4_kernelI14__hip_bfloat16hLN4vllm18Fp8KVCacheDataTypeE1EhLi32ELi128ELi256ELb0ELi2EEvPKT_PKT0_S8_ifPKiSA_SA_iPKfiiiPfSD_PS3_PT2_iSC_SC_@rel64+4
	s_delay_alu instid0(SALU_CYCLE_1)
	v_dual_mov_b32 v0, 0xbce :: v_dual_mov_b32 v1, s2
	v_mov_b32_e32 v2, s3
	s_add_nc_u64 s[8:9], s[0:1], 0x90
	s_get_pc_i64 s[0:1]
	s_add_nc_u64 s[0:1], s[0:1], __assert_fail@rel64+4
	s_mov_b32 s32, 0
	s_swap_pc_i64 s[30:31], s[0:1]
	.section	.rodata,"a",@progbits
	.p2align	6, 0x0
	.amdhsa_kernel _Z38paged_attention_ll4mi_QKV_mfma4_kernelI14__hip_bfloat16hLN4vllm18Fp8KVCacheDataTypeE1EhLi32ELi128ELi256ELb0ELi2EEvPKT_PKT0_S8_ifPKiSA_SA_iPKfiiiPfSD_PS3_PT2_iSC_SC_
		.amdhsa_group_segment_fixed_size 0
		.amdhsa_private_segment_fixed_size 64
		.amdhsa_kernarg_size 400
		.amdhsa_user_sgpr_count 2
		.amdhsa_user_sgpr_dispatch_ptr 0
		.amdhsa_user_sgpr_queue_ptr 0
		.amdhsa_user_sgpr_kernarg_segment_ptr 1
		.amdhsa_user_sgpr_dispatch_id 0
		.amdhsa_user_sgpr_kernarg_preload_length 0
		.amdhsa_user_sgpr_kernarg_preload_offset 0
		.amdhsa_user_sgpr_private_segment_size 0
		.amdhsa_wavefront_size32 1
		.amdhsa_uses_dynamic_stack 0
		.amdhsa_enable_private_segment 1
		.amdhsa_system_sgpr_workgroup_id_x 1
		.amdhsa_system_sgpr_workgroup_id_y 0
		.amdhsa_system_sgpr_workgroup_id_z 0
		.amdhsa_system_sgpr_workgroup_info 0
		.amdhsa_system_vgpr_workitem_id 0
		.amdhsa_next_free_vgpr 51
		.amdhsa_next_free_sgpr 34
		.amdhsa_named_barrier_count 0
		.amdhsa_reserve_vcc 1
		.amdhsa_float_round_mode_32 0
		.amdhsa_float_round_mode_16_64 0
		.amdhsa_float_denorm_mode_32 3
		.amdhsa_float_denorm_mode_16_64 3
		.amdhsa_fp16_overflow 0
		.amdhsa_memory_ordered 1
		.amdhsa_forward_progress 1
		.amdhsa_inst_pref_size 1
		.amdhsa_round_robin_scheduling 0
		.amdhsa_exception_fp_ieee_invalid_op 0
		.amdhsa_exception_fp_denorm_src 0
		.amdhsa_exception_fp_ieee_div_zero 0
		.amdhsa_exception_fp_ieee_overflow 0
		.amdhsa_exception_fp_ieee_underflow 0
		.amdhsa_exception_fp_ieee_inexact 0
		.amdhsa_exception_int_div_zero 0
	.end_amdhsa_kernel
	.section	.text._Z38paged_attention_ll4mi_QKV_mfma4_kernelI14__hip_bfloat16hLN4vllm18Fp8KVCacheDataTypeE1EhLi32ELi128ELi256ELb0ELi2EEvPKT_PKT0_S8_ifPKiSA_SA_iPKfiiiPfSD_PS3_PT2_iSC_SC_,"axG",@progbits,_Z38paged_attention_ll4mi_QKV_mfma4_kernelI14__hip_bfloat16hLN4vllm18Fp8KVCacheDataTypeE1EhLi32ELi128ELi256ELb0ELi2EEvPKT_PKT0_S8_ifPKiSA_SA_iPKfiiiPfSD_PS3_PT2_iSC_SC_,comdat
.Lfunc_end1351:
	.size	_Z38paged_attention_ll4mi_QKV_mfma4_kernelI14__hip_bfloat16hLN4vllm18Fp8KVCacheDataTypeE1EhLi32ELi128ELi256ELb0ELi2EEvPKT_PKT0_S8_ifPKiSA_SA_iPKfiiiPfSD_PS3_PT2_iSC_SC_, .Lfunc_end1351-_Z38paged_attention_ll4mi_QKV_mfma4_kernelI14__hip_bfloat16hLN4vllm18Fp8KVCacheDataTypeE1EhLi32ELi128ELi256ELb0ELi2EEvPKT_PKT0_S8_ifPKiSA_SA_iPKfiiiPfSD_PS3_PT2_iSC_SC_
                                        ; -- End function
	.set _Z38paged_attention_ll4mi_QKV_mfma4_kernelI14__hip_bfloat16hLN4vllm18Fp8KVCacheDataTypeE1EhLi32ELi128ELi256ELb0ELi2EEvPKT_PKT0_S8_ifPKiSA_SA_iPKfiiiPfSD_PS3_PT2_iSC_SC_.num_vgpr, max(3, .L__assert_fail.num_vgpr)
	.set _Z38paged_attention_ll4mi_QKV_mfma4_kernelI14__hip_bfloat16hLN4vllm18Fp8KVCacheDataTypeE1EhLi32ELi128ELi256ELb0ELi2EEvPKT_PKT0_S8_ifPKiSA_SA_iPKfiiiPfSD_PS3_PT2_iSC_SC_.num_agpr, max(0, .L__assert_fail.num_agpr)
	.set _Z38paged_attention_ll4mi_QKV_mfma4_kernelI14__hip_bfloat16hLN4vllm18Fp8KVCacheDataTypeE1EhLi32ELi128ELi256ELb0ELi2EEvPKT_PKT0_S8_ifPKiSA_SA_iPKfiiiPfSD_PS3_PT2_iSC_SC_.numbered_sgpr, max(33, .L__assert_fail.numbered_sgpr)
	.set _Z38paged_attention_ll4mi_QKV_mfma4_kernelI14__hip_bfloat16hLN4vllm18Fp8KVCacheDataTypeE1EhLi32ELi128ELi256ELb0ELi2EEvPKT_PKT0_S8_ifPKiSA_SA_iPKfiiiPfSD_PS3_PT2_iSC_SC_.num_named_barrier, max(0, .L__assert_fail.num_named_barrier)
	.set _Z38paged_attention_ll4mi_QKV_mfma4_kernelI14__hip_bfloat16hLN4vllm18Fp8KVCacheDataTypeE1EhLi32ELi128ELi256ELb0ELi2EEvPKT_PKT0_S8_ifPKiSA_SA_iPKfiiiPfSD_PS3_PT2_iSC_SC_.private_seg_size, 0+max(.L__assert_fail.private_seg_size)
	.set _Z38paged_attention_ll4mi_QKV_mfma4_kernelI14__hip_bfloat16hLN4vllm18Fp8KVCacheDataTypeE1EhLi32ELi128ELi256ELb0ELi2EEvPKT_PKT0_S8_ifPKiSA_SA_iPKfiiiPfSD_PS3_PT2_iSC_SC_.uses_vcc, or(1, .L__assert_fail.uses_vcc)
	.set _Z38paged_attention_ll4mi_QKV_mfma4_kernelI14__hip_bfloat16hLN4vllm18Fp8KVCacheDataTypeE1EhLi32ELi128ELi256ELb0ELi2EEvPKT_PKT0_S8_ifPKiSA_SA_iPKfiiiPfSD_PS3_PT2_iSC_SC_.uses_flat_scratch, or(0, .L__assert_fail.uses_flat_scratch)
	.set _Z38paged_attention_ll4mi_QKV_mfma4_kernelI14__hip_bfloat16hLN4vllm18Fp8KVCacheDataTypeE1EhLi32ELi128ELi256ELb0ELi2EEvPKT_PKT0_S8_ifPKiSA_SA_iPKfiiiPfSD_PS3_PT2_iSC_SC_.has_dyn_sized_stack, or(0, .L__assert_fail.has_dyn_sized_stack)
	.set _Z38paged_attention_ll4mi_QKV_mfma4_kernelI14__hip_bfloat16hLN4vllm18Fp8KVCacheDataTypeE1EhLi32ELi128ELi256ELb0ELi2EEvPKT_PKT0_S8_ifPKiSA_SA_iPKfiiiPfSD_PS3_PT2_iSC_SC_.has_recursion, or(0, .L__assert_fail.has_recursion)
	.set _Z38paged_attention_ll4mi_QKV_mfma4_kernelI14__hip_bfloat16hLN4vllm18Fp8KVCacheDataTypeE1EhLi32ELi128ELi256ELb0ELi2EEvPKT_PKT0_S8_ifPKiSA_SA_iPKfiiiPfSD_PS3_PT2_iSC_SC_.has_indirect_call, or(0, .L__assert_fail.has_indirect_call)
	.section	.AMDGPU.csdata,"",@progbits
; Kernel info:
; codeLenInByte = 68
; TotalNumSgprs: 36
; NumVgprs: 51
; ScratchSize: 64
; MemoryBound: 0
; FloatMode: 240
; IeeeMode: 1
; LDSByteSize: 0 bytes/workgroup (compile time only)
; SGPRBlocks: 0
; VGPRBlocks: 3
; NumSGPRsForWavesPerEU: 36
; NumVGPRsForWavesPerEU: 51
; NamedBarCnt: 0
; Occupancy: 16
; WaveLimiterHint : 1
; COMPUTE_PGM_RSRC2:SCRATCH_EN: 1
; COMPUTE_PGM_RSRC2:USER_SGPR: 2
; COMPUTE_PGM_RSRC2:TRAP_HANDLER: 0
; COMPUTE_PGM_RSRC2:TGID_X_EN: 1
; COMPUTE_PGM_RSRC2:TGID_Y_EN: 0
; COMPUTE_PGM_RSRC2:TGID_Z_EN: 0
; COMPUTE_PGM_RSRC2:TIDIG_COMP_CNT: 0
	.section	.text._Z38paged_attention_ll4mi_QKV_mfma4_kernelI14__hip_bfloat16hLN4vllm18Fp8KVCacheDataTypeE1EhLi32ELi128ELi256ELb0ELi3EEvPKT_PKT0_S8_ifPKiSA_SA_iPKfiiiPfSD_PS3_PT2_iSC_SC_,"axG",@progbits,_Z38paged_attention_ll4mi_QKV_mfma4_kernelI14__hip_bfloat16hLN4vllm18Fp8KVCacheDataTypeE1EhLi32ELi128ELi256ELb0ELi3EEvPKT_PKT0_S8_ifPKiSA_SA_iPKfiiiPfSD_PS3_PT2_iSC_SC_,comdat
	.protected	_Z38paged_attention_ll4mi_QKV_mfma4_kernelI14__hip_bfloat16hLN4vllm18Fp8KVCacheDataTypeE1EhLi32ELi128ELi256ELb0ELi3EEvPKT_PKT0_S8_ifPKiSA_SA_iPKfiiiPfSD_PS3_PT2_iSC_SC_ ; -- Begin function _Z38paged_attention_ll4mi_QKV_mfma4_kernelI14__hip_bfloat16hLN4vllm18Fp8KVCacheDataTypeE1EhLi32ELi128ELi256ELb0ELi3EEvPKT_PKT0_S8_ifPKiSA_SA_iPKfiiiPfSD_PS3_PT2_iSC_SC_
	.globl	_Z38paged_attention_ll4mi_QKV_mfma4_kernelI14__hip_bfloat16hLN4vllm18Fp8KVCacheDataTypeE1EhLi32ELi128ELi256ELb0ELi3EEvPKT_PKT0_S8_ifPKiSA_SA_iPKfiiiPfSD_PS3_PT2_iSC_SC_
	.p2align	8
	.type	_Z38paged_attention_ll4mi_QKV_mfma4_kernelI14__hip_bfloat16hLN4vllm18Fp8KVCacheDataTypeE1EhLi32ELi128ELi256ELb0ELi3EEvPKT_PKT0_S8_ifPKiSA_SA_iPKfiiiPfSD_PS3_PT2_iSC_SC_,@function
_Z38paged_attention_ll4mi_QKV_mfma4_kernelI14__hip_bfloat16hLN4vllm18Fp8KVCacheDataTypeE1EhLi32ELi128ELi256ELb0ELi3EEvPKT_PKT0_S8_ifPKiSA_SA_iPKfiiiPfSD_PS3_PT2_iSC_SC_: ; @_Z38paged_attention_ll4mi_QKV_mfma4_kernelI14__hip_bfloat16hLN4vllm18Fp8KVCacheDataTypeE1EhLi32ELi128ELi256ELb0ELi3EEvPKT_PKT0_S8_ifPKiSA_SA_iPKfiiiPfSD_PS3_PT2_iSC_SC_
; %bb.0:
	s_get_pc_i64 s[2:3]
	s_add_nc_u64 s[2:3], s[2:3], __PRETTY_FUNCTION__._Z38paged_attention_ll4mi_QKV_mfma4_kernelI14__hip_bfloat16hLN4vllm18Fp8KVCacheDataTypeE1EhLi32ELi128ELi256ELb0ELi3EEvPKT_PKT0_S8_ifPKiSA_SA_iPKfiiiPfSD_PS3_PT2_iSC_SC_@rel64+4
	s_delay_alu instid0(SALU_CYCLE_1)
	v_dual_mov_b32 v0, 0xbce :: v_dual_mov_b32 v1, s2
	v_mov_b32_e32 v2, s3
	s_add_nc_u64 s[8:9], s[0:1], 0x90
	s_get_pc_i64 s[0:1]
	s_add_nc_u64 s[0:1], s[0:1], __assert_fail@rel64+4
	s_mov_b32 s32, 0
	s_swap_pc_i64 s[30:31], s[0:1]
	.section	.rodata,"a",@progbits
	.p2align	6, 0x0
	.amdhsa_kernel _Z38paged_attention_ll4mi_QKV_mfma4_kernelI14__hip_bfloat16hLN4vllm18Fp8KVCacheDataTypeE1EhLi32ELi128ELi256ELb0ELi3EEvPKT_PKT0_S8_ifPKiSA_SA_iPKfiiiPfSD_PS3_PT2_iSC_SC_
		.amdhsa_group_segment_fixed_size 0
		.amdhsa_private_segment_fixed_size 64
		.amdhsa_kernarg_size 400
		.amdhsa_user_sgpr_count 2
		.amdhsa_user_sgpr_dispatch_ptr 0
		.amdhsa_user_sgpr_queue_ptr 0
		.amdhsa_user_sgpr_kernarg_segment_ptr 1
		.amdhsa_user_sgpr_dispatch_id 0
		.amdhsa_user_sgpr_kernarg_preload_length 0
		.amdhsa_user_sgpr_kernarg_preload_offset 0
		.amdhsa_user_sgpr_private_segment_size 0
		.amdhsa_wavefront_size32 1
		.amdhsa_uses_dynamic_stack 0
		.amdhsa_enable_private_segment 1
		.amdhsa_system_sgpr_workgroup_id_x 1
		.amdhsa_system_sgpr_workgroup_id_y 0
		.amdhsa_system_sgpr_workgroup_id_z 0
		.amdhsa_system_sgpr_workgroup_info 0
		.amdhsa_system_vgpr_workitem_id 0
		.amdhsa_next_free_vgpr 51
		.amdhsa_next_free_sgpr 34
		.amdhsa_named_barrier_count 0
		.amdhsa_reserve_vcc 1
		.amdhsa_float_round_mode_32 0
		.amdhsa_float_round_mode_16_64 0
		.amdhsa_float_denorm_mode_32 3
		.amdhsa_float_denorm_mode_16_64 3
		.amdhsa_fp16_overflow 0
		.amdhsa_memory_ordered 1
		.amdhsa_forward_progress 1
		.amdhsa_inst_pref_size 1
		.amdhsa_round_robin_scheduling 0
		.amdhsa_exception_fp_ieee_invalid_op 0
		.amdhsa_exception_fp_denorm_src 0
		.amdhsa_exception_fp_ieee_div_zero 0
		.amdhsa_exception_fp_ieee_overflow 0
		.amdhsa_exception_fp_ieee_underflow 0
		.amdhsa_exception_fp_ieee_inexact 0
		.amdhsa_exception_int_div_zero 0
	.end_amdhsa_kernel
	.section	.text._Z38paged_attention_ll4mi_QKV_mfma4_kernelI14__hip_bfloat16hLN4vllm18Fp8KVCacheDataTypeE1EhLi32ELi128ELi256ELb0ELi3EEvPKT_PKT0_S8_ifPKiSA_SA_iPKfiiiPfSD_PS3_PT2_iSC_SC_,"axG",@progbits,_Z38paged_attention_ll4mi_QKV_mfma4_kernelI14__hip_bfloat16hLN4vllm18Fp8KVCacheDataTypeE1EhLi32ELi128ELi256ELb0ELi3EEvPKT_PKT0_S8_ifPKiSA_SA_iPKfiiiPfSD_PS3_PT2_iSC_SC_,comdat
.Lfunc_end1352:
	.size	_Z38paged_attention_ll4mi_QKV_mfma4_kernelI14__hip_bfloat16hLN4vllm18Fp8KVCacheDataTypeE1EhLi32ELi128ELi256ELb0ELi3EEvPKT_PKT0_S8_ifPKiSA_SA_iPKfiiiPfSD_PS3_PT2_iSC_SC_, .Lfunc_end1352-_Z38paged_attention_ll4mi_QKV_mfma4_kernelI14__hip_bfloat16hLN4vllm18Fp8KVCacheDataTypeE1EhLi32ELi128ELi256ELb0ELi3EEvPKT_PKT0_S8_ifPKiSA_SA_iPKfiiiPfSD_PS3_PT2_iSC_SC_
                                        ; -- End function
	.set _Z38paged_attention_ll4mi_QKV_mfma4_kernelI14__hip_bfloat16hLN4vllm18Fp8KVCacheDataTypeE1EhLi32ELi128ELi256ELb0ELi3EEvPKT_PKT0_S8_ifPKiSA_SA_iPKfiiiPfSD_PS3_PT2_iSC_SC_.num_vgpr, max(3, .L__assert_fail.num_vgpr)
	.set _Z38paged_attention_ll4mi_QKV_mfma4_kernelI14__hip_bfloat16hLN4vllm18Fp8KVCacheDataTypeE1EhLi32ELi128ELi256ELb0ELi3EEvPKT_PKT0_S8_ifPKiSA_SA_iPKfiiiPfSD_PS3_PT2_iSC_SC_.num_agpr, max(0, .L__assert_fail.num_agpr)
	.set _Z38paged_attention_ll4mi_QKV_mfma4_kernelI14__hip_bfloat16hLN4vllm18Fp8KVCacheDataTypeE1EhLi32ELi128ELi256ELb0ELi3EEvPKT_PKT0_S8_ifPKiSA_SA_iPKfiiiPfSD_PS3_PT2_iSC_SC_.numbered_sgpr, max(33, .L__assert_fail.numbered_sgpr)
	.set _Z38paged_attention_ll4mi_QKV_mfma4_kernelI14__hip_bfloat16hLN4vllm18Fp8KVCacheDataTypeE1EhLi32ELi128ELi256ELb0ELi3EEvPKT_PKT0_S8_ifPKiSA_SA_iPKfiiiPfSD_PS3_PT2_iSC_SC_.num_named_barrier, max(0, .L__assert_fail.num_named_barrier)
	.set _Z38paged_attention_ll4mi_QKV_mfma4_kernelI14__hip_bfloat16hLN4vllm18Fp8KVCacheDataTypeE1EhLi32ELi128ELi256ELb0ELi3EEvPKT_PKT0_S8_ifPKiSA_SA_iPKfiiiPfSD_PS3_PT2_iSC_SC_.private_seg_size, 0+max(.L__assert_fail.private_seg_size)
	.set _Z38paged_attention_ll4mi_QKV_mfma4_kernelI14__hip_bfloat16hLN4vllm18Fp8KVCacheDataTypeE1EhLi32ELi128ELi256ELb0ELi3EEvPKT_PKT0_S8_ifPKiSA_SA_iPKfiiiPfSD_PS3_PT2_iSC_SC_.uses_vcc, or(1, .L__assert_fail.uses_vcc)
	.set _Z38paged_attention_ll4mi_QKV_mfma4_kernelI14__hip_bfloat16hLN4vllm18Fp8KVCacheDataTypeE1EhLi32ELi128ELi256ELb0ELi3EEvPKT_PKT0_S8_ifPKiSA_SA_iPKfiiiPfSD_PS3_PT2_iSC_SC_.uses_flat_scratch, or(0, .L__assert_fail.uses_flat_scratch)
	.set _Z38paged_attention_ll4mi_QKV_mfma4_kernelI14__hip_bfloat16hLN4vllm18Fp8KVCacheDataTypeE1EhLi32ELi128ELi256ELb0ELi3EEvPKT_PKT0_S8_ifPKiSA_SA_iPKfiiiPfSD_PS3_PT2_iSC_SC_.has_dyn_sized_stack, or(0, .L__assert_fail.has_dyn_sized_stack)
	.set _Z38paged_attention_ll4mi_QKV_mfma4_kernelI14__hip_bfloat16hLN4vllm18Fp8KVCacheDataTypeE1EhLi32ELi128ELi256ELb0ELi3EEvPKT_PKT0_S8_ifPKiSA_SA_iPKfiiiPfSD_PS3_PT2_iSC_SC_.has_recursion, or(0, .L__assert_fail.has_recursion)
	.set _Z38paged_attention_ll4mi_QKV_mfma4_kernelI14__hip_bfloat16hLN4vllm18Fp8KVCacheDataTypeE1EhLi32ELi128ELi256ELb0ELi3EEvPKT_PKT0_S8_ifPKiSA_SA_iPKfiiiPfSD_PS3_PT2_iSC_SC_.has_indirect_call, or(0, .L__assert_fail.has_indirect_call)
	.section	.AMDGPU.csdata,"",@progbits
; Kernel info:
; codeLenInByte = 68
; TotalNumSgprs: 36
; NumVgprs: 51
; ScratchSize: 64
; MemoryBound: 0
; FloatMode: 240
; IeeeMode: 1
; LDSByteSize: 0 bytes/workgroup (compile time only)
; SGPRBlocks: 0
; VGPRBlocks: 3
; NumSGPRsForWavesPerEU: 36
; NumVGPRsForWavesPerEU: 51
; NamedBarCnt: 0
; Occupancy: 16
; WaveLimiterHint : 1
; COMPUTE_PGM_RSRC2:SCRATCH_EN: 1
; COMPUTE_PGM_RSRC2:USER_SGPR: 2
; COMPUTE_PGM_RSRC2:TRAP_HANDLER: 0
; COMPUTE_PGM_RSRC2:TGID_X_EN: 1
; COMPUTE_PGM_RSRC2:TGID_Y_EN: 0
; COMPUTE_PGM_RSRC2:TGID_Z_EN: 0
; COMPUTE_PGM_RSRC2:TIDIG_COMP_CNT: 0
	.section	.text._Z38paged_attention_ll4mi_QKV_mfma4_kernelI14__hip_bfloat16hLN4vllm18Fp8KVCacheDataTypeE1EhLi32ELi128ELi256ELb0ELi4EEvPKT_PKT0_S8_ifPKiSA_SA_iPKfiiiPfSD_PS3_PT2_iSC_SC_,"axG",@progbits,_Z38paged_attention_ll4mi_QKV_mfma4_kernelI14__hip_bfloat16hLN4vllm18Fp8KVCacheDataTypeE1EhLi32ELi128ELi256ELb0ELi4EEvPKT_PKT0_S8_ifPKiSA_SA_iPKfiiiPfSD_PS3_PT2_iSC_SC_,comdat
	.protected	_Z38paged_attention_ll4mi_QKV_mfma4_kernelI14__hip_bfloat16hLN4vllm18Fp8KVCacheDataTypeE1EhLi32ELi128ELi256ELb0ELi4EEvPKT_PKT0_S8_ifPKiSA_SA_iPKfiiiPfSD_PS3_PT2_iSC_SC_ ; -- Begin function _Z38paged_attention_ll4mi_QKV_mfma4_kernelI14__hip_bfloat16hLN4vllm18Fp8KVCacheDataTypeE1EhLi32ELi128ELi256ELb0ELi4EEvPKT_PKT0_S8_ifPKiSA_SA_iPKfiiiPfSD_PS3_PT2_iSC_SC_
	.globl	_Z38paged_attention_ll4mi_QKV_mfma4_kernelI14__hip_bfloat16hLN4vllm18Fp8KVCacheDataTypeE1EhLi32ELi128ELi256ELb0ELi4EEvPKT_PKT0_S8_ifPKiSA_SA_iPKfiiiPfSD_PS3_PT2_iSC_SC_
	.p2align	8
	.type	_Z38paged_attention_ll4mi_QKV_mfma4_kernelI14__hip_bfloat16hLN4vllm18Fp8KVCacheDataTypeE1EhLi32ELi128ELi256ELb0ELi4EEvPKT_PKT0_S8_ifPKiSA_SA_iPKfiiiPfSD_PS3_PT2_iSC_SC_,@function
_Z38paged_attention_ll4mi_QKV_mfma4_kernelI14__hip_bfloat16hLN4vllm18Fp8KVCacheDataTypeE1EhLi32ELi128ELi256ELb0ELi4EEvPKT_PKT0_S8_ifPKiSA_SA_iPKfiiiPfSD_PS3_PT2_iSC_SC_: ; @_Z38paged_attention_ll4mi_QKV_mfma4_kernelI14__hip_bfloat16hLN4vllm18Fp8KVCacheDataTypeE1EhLi32ELi128ELi256ELb0ELi4EEvPKT_PKT0_S8_ifPKiSA_SA_iPKfiiiPfSD_PS3_PT2_iSC_SC_
; %bb.0:
	s_get_pc_i64 s[2:3]
	s_add_nc_u64 s[2:3], s[2:3], __PRETTY_FUNCTION__._Z38paged_attention_ll4mi_QKV_mfma4_kernelI14__hip_bfloat16hLN4vllm18Fp8KVCacheDataTypeE1EhLi32ELi128ELi256ELb0ELi4EEvPKT_PKT0_S8_ifPKiSA_SA_iPKfiiiPfSD_PS3_PT2_iSC_SC_@rel64+4
	s_delay_alu instid0(SALU_CYCLE_1)
	v_dual_mov_b32 v0, 0xbce :: v_dual_mov_b32 v1, s2
	v_mov_b32_e32 v2, s3
	s_add_nc_u64 s[8:9], s[0:1], 0x90
	s_get_pc_i64 s[0:1]
	s_add_nc_u64 s[0:1], s[0:1], __assert_fail@rel64+4
	s_mov_b32 s32, 0
	s_swap_pc_i64 s[30:31], s[0:1]
	.section	.rodata,"a",@progbits
	.p2align	6, 0x0
	.amdhsa_kernel _Z38paged_attention_ll4mi_QKV_mfma4_kernelI14__hip_bfloat16hLN4vllm18Fp8KVCacheDataTypeE1EhLi32ELi128ELi256ELb0ELi4EEvPKT_PKT0_S8_ifPKiSA_SA_iPKfiiiPfSD_PS3_PT2_iSC_SC_
		.amdhsa_group_segment_fixed_size 0
		.amdhsa_private_segment_fixed_size 64
		.amdhsa_kernarg_size 400
		.amdhsa_user_sgpr_count 2
		.amdhsa_user_sgpr_dispatch_ptr 0
		.amdhsa_user_sgpr_queue_ptr 0
		.amdhsa_user_sgpr_kernarg_segment_ptr 1
		.amdhsa_user_sgpr_dispatch_id 0
		.amdhsa_user_sgpr_kernarg_preload_length 0
		.amdhsa_user_sgpr_kernarg_preload_offset 0
		.amdhsa_user_sgpr_private_segment_size 0
		.amdhsa_wavefront_size32 1
		.amdhsa_uses_dynamic_stack 0
		.amdhsa_enable_private_segment 1
		.amdhsa_system_sgpr_workgroup_id_x 1
		.amdhsa_system_sgpr_workgroup_id_y 0
		.amdhsa_system_sgpr_workgroup_id_z 0
		.amdhsa_system_sgpr_workgroup_info 0
		.amdhsa_system_vgpr_workitem_id 0
		.amdhsa_next_free_vgpr 51
		.amdhsa_next_free_sgpr 34
		.amdhsa_named_barrier_count 0
		.amdhsa_reserve_vcc 1
		.amdhsa_float_round_mode_32 0
		.amdhsa_float_round_mode_16_64 0
		.amdhsa_float_denorm_mode_32 3
		.amdhsa_float_denorm_mode_16_64 3
		.amdhsa_fp16_overflow 0
		.amdhsa_memory_ordered 1
		.amdhsa_forward_progress 1
		.amdhsa_inst_pref_size 1
		.amdhsa_round_robin_scheduling 0
		.amdhsa_exception_fp_ieee_invalid_op 0
		.amdhsa_exception_fp_denorm_src 0
		.amdhsa_exception_fp_ieee_div_zero 0
		.amdhsa_exception_fp_ieee_overflow 0
		.amdhsa_exception_fp_ieee_underflow 0
		.amdhsa_exception_fp_ieee_inexact 0
		.amdhsa_exception_int_div_zero 0
	.end_amdhsa_kernel
	.section	.text._Z38paged_attention_ll4mi_QKV_mfma4_kernelI14__hip_bfloat16hLN4vllm18Fp8KVCacheDataTypeE1EhLi32ELi128ELi256ELb0ELi4EEvPKT_PKT0_S8_ifPKiSA_SA_iPKfiiiPfSD_PS3_PT2_iSC_SC_,"axG",@progbits,_Z38paged_attention_ll4mi_QKV_mfma4_kernelI14__hip_bfloat16hLN4vllm18Fp8KVCacheDataTypeE1EhLi32ELi128ELi256ELb0ELi4EEvPKT_PKT0_S8_ifPKiSA_SA_iPKfiiiPfSD_PS3_PT2_iSC_SC_,comdat
.Lfunc_end1353:
	.size	_Z38paged_attention_ll4mi_QKV_mfma4_kernelI14__hip_bfloat16hLN4vllm18Fp8KVCacheDataTypeE1EhLi32ELi128ELi256ELb0ELi4EEvPKT_PKT0_S8_ifPKiSA_SA_iPKfiiiPfSD_PS3_PT2_iSC_SC_, .Lfunc_end1353-_Z38paged_attention_ll4mi_QKV_mfma4_kernelI14__hip_bfloat16hLN4vllm18Fp8KVCacheDataTypeE1EhLi32ELi128ELi256ELb0ELi4EEvPKT_PKT0_S8_ifPKiSA_SA_iPKfiiiPfSD_PS3_PT2_iSC_SC_
                                        ; -- End function
	.set _Z38paged_attention_ll4mi_QKV_mfma4_kernelI14__hip_bfloat16hLN4vllm18Fp8KVCacheDataTypeE1EhLi32ELi128ELi256ELb0ELi4EEvPKT_PKT0_S8_ifPKiSA_SA_iPKfiiiPfSD_PS3_PT2_iSC_SC_.num_vgpr, max(3, .L__assert_fail.num_vgpr)
	.set _Z38paged_attention_ll4mi_QKV_mfma4_kernelI14__hip_bfloat16hLN4vllm18Fp8KVCacheDataTypeE1EhLi32ELi128ELi256ELb0ELi4EEvPKT_PKT0_S8_ifPKiSA_SA_iPKfiiiPfSD_PS3_PT2_iSC_SC_.num_agpr, max(0, .L__assert_fail.num_agpr)
	.set _Z38paged_attention_ll4mi_QKV_mfma4_kernelI14__hip_bfloat16hLN4vllm18Fp8KVCacheDataTypeE1EhLi32ELi128ELi256ELb0ELi4EEvPKT_PKT0_S8_ifPKiSA_SA_iPKfiiiPfSD_PS3_PT2_iSC_SC_.numbered_sgpr, max(33, .L__assert_fail.numbered_sgpr)
	.set _Z38paged_attention_ll4mi_QKV_mfma4_kernelI14__hip_bfloat16hLN4vllm18Fp8KVCacheDataTypeE1EhLi32ELi128ELi256ELb0ELi4EEvPKT_PKT0_S8_ifPKiSA_SA_iPKfiiiPfSD_PS3_PT2_iSC_SC_.num_named_barrier, max(0, .L__assert_fail.num_named_barrier)
	.set _Z38paged_attention_ll4mi_QKV_mfma4_kernelI14__hip_bfloat16hLN4vllm18Fp8KVCacheDataTypeE1EhLi32ELi128ELi256ELb0ELi4EEvPKT_PKT0_S8_ifPKiSA_SA_iPKfiiiPfSD_PS3_PT2_iSC_SC_.private_seg_size, 0+max(.L__assert_fail.private_seg_size)
	.set _Z38paged_attention_ll4mi_QKV_mfma4_kernelI14__hip_bfloat16hLN4vllm18Fp8KVCacheDataTypeE1EhLi32ELi128ELi256ELb0ELi4EEvPKT_PKT0_S8_ifPKiSA_SA_iPKfiiiPfSD_PS3_PT2_iSC_SC_.uses_vcc, or(1, .L__assert_fail.uses_vcc)
	.set _Z38paged_attention_ll4mi_QKV_mfma4_kernelI14__hip_bfloat16hLN4vllm18Fp8KVCacheDataTypeE1EhLi32ELi128ELi256ELb0ELi4EEvPKT_PKT0_S8_ifPKiSA_SA_iPKfiiiPfSD_PS3_PT2_iSC_SC_.uses_flat_scratch, or(0, .L__assert_fail.uses_flat_scratch)
	.set _Z38paged_attention_ll4mi_QKV_mfma4_kernelI14__hip_bfloat16hLN4vllm18Fp8KVCacheDataTypeE1EhLi32ELi128ELi256ELb0ELi4EEvPKT_PKT0_S8_ifPKiSA_SA_iPKfiiiPfSD_PS3_PT2_iSC_SC_.has_dyn_sized_stack, or(0, .L__assert_fail.has_dyn_sized_stack)
	.set _Z38paged_attention_ll4mi_QKV_mfma4_kernelI14__hip_bfloat16hLN4vllm18Fp8KVCacheDataTypeE1EhLi32ELi128ELi256ELb0ELi4EEvPKT_PKT0_S8_ifPKiSA_SA_iPKfiiiPfSD_PS3_PT2_iSC_SC_.has_recursion, or(0, .L__assert_fail.has_recursion)
	.set _Z38paged_attention_ll4mi_QKV_mfma4_kernelI14__hip_bfloat16hLN4vllm18Fp8KVCacheDataTypeE1EhLi32ELi128ELi256ELb0ELi4EEvPKT_PKT0_S8_ifPKiSA_SA_iPKfiiiPfSD_PS3_PT2_iSC_SC_.has_indirect_call, or(0, .L__assert_fail.has_indirect_call)
	.section	.AMDGPU.csdata,"",@progbits
; Kernel info:
; codeLenInByte = 68
; TotalNumSgprs: 36
; NumVgprs: 51
; ScratchSize: 64
; MemoryBound: 0
; FloatMode: 240
; IeeeMode: 1
; LDSByteSize: 0 bytes/workgroup (compile time only)
; SGPRBlocks: 0
; VGPRBlocks: 3
; NumSGPRsForWavesPerEU: 36
; NumVGPRsForWavesPerEU: 51
; NamedBarCnt: 0
; Occupancy: 16
; WaveLimiterHint : 1
; COMPUTE_PGM_RSRC2:SCRATCH_EN: 1
; COMPUTE_PGM_RSRC2:USER_SGPR: 2
; COMPUTE_PGM_RSRC2:TRAP_HANDLER: 0
; COMPUTE_PGM_RSRC2:TGID_X_EN: 1
; COMPUTE_PGM_RSRC2:TGID_Y_EN: 0
; COMPUTE_PGM_RSRC2:TGID_Z_EN: 0
; COMPUTE_PGM_RSRC2:TIDIG_COMP_CNT: 0
	.section	.text._Z39paged_attention_ll4mi_QKV_mfma16_kernelI14__hip_bfloat16hLN4vllm18Fp8KVCacheDataTypeE1EhLi32ELi128ELi256ELb0ELi5EEvPKT_PKT0_S8_ifPKiSA_SA_iPKfiiiPfSD_PS3_PT2_iSC_SC_,"axG",@progbits,_Z39paged_attention_ll4mi_QKV_mfma16_kernelI14__hip_bfloat16hLN4vllm18Fp8KVCacheDataTypeE1EhLi32ELi128ELi256ELb0ELi5EEvPKT_PKT0_S8_ifPKiSA_SA_iPKfiiiPfSD_PS3_PT2_iSC_SC_,comdat
	.protected	_Z39paged_attention_ll4mi_QKV_mfma16_kernelI14__hip_bfloat16hLN4vllm18Fp8KVCacheDataTypeE1EhLi32ELi128ELi256ELb0ELi5EEvPKT_PKT0_S8_ifPKiSA_SA_iPKfiiiPfSD_PS3_PT2_iSC_SC_ ; -- Begin function _Z39paged_attention_ll4mi_QKV_mfma16_kernelI14__hip_bfloat16hLN4vllm18Fp8KVCacheDataTypeE1EhLi32ELi128ELi256ELb0ELi5EEvPKT_PKT0_S8_ifPKiSA_SA_iPKfiiiPfSD_PS3_PT2_iSC_SC_
	.globl	_Z39paged_attention_ll4mi_QKV_mfma16_kernelI14__hip_bfloat16hLN4vllm18Fp8KVCacheDataTypeE1EhLi32ELi128ELi256ELb0ELi5EEvPKT_PKT0_S8_ifPKiSA_SA_iPKfiiiPfSD_PS3_PT2_iSC_SC_
	.p2align	8
	.type	_Z39paged_attention_ll4mi_QKV_mfma16_kernelI14__hip_bfloat16hLN4vllm18Fp8KVCacheDataTypeE1EhLi32ELi128ELi256ELb0ELi5EEvPKT_PKT0_S8_ifPKiSA_SA_iPKfiiiPfSD_PS3_PT2_iSC_SC_,@function
_Z39paged_attention_ll4mi_QKV_mfma16_kernelI14__hip_bfloat16hLN4vllm18Fp8KVCacheDataTypeE1EhLi32ELi128ELi256ELb0ELi5EEvPKT_PKT0_S8_ifPKiSA_SA_iPKfiiiPfSD_PS3_PT2_iSC_SC_: ; @_Z39paged_attention_ll4mi_QKV_mfma16_kernelI14__hip_bfloat16hLN4vllm18Fp8KVCacheDataTypeE1EhLi32ELi128ELi256ELb0ELi5EEvPKT_PKT0_S8_ifPKiSA_SA_iPKfiiiPfSD_PS3_PT2_iSC_SC_
; %bb.0:
	s_get_pc_i64 s[2:3]
	s_add_nc_u64 s[2:3], s[2:3], __PRETTY_FUNCTION__._Z39paged_attention_ll4mi_QKV_mfma16_kernelI14__hip_bfloat16hLN4vllm18Fp8KVCacheDataTypeE1EhLi32ELi128ELi256ELb0ELi5EEvPKT_PKT0_S8_ifPKiSA_SA_iPKfiiiPfSD_PS3_PT2_iSC_SC_@rel64+4
	s_delay_alu instid0(SALU_CYCLE_1)
	v_dual_mov_b32 v0, 0xbb3 :: v_dual_mov_b32 v1, s2
	v_mov_b32_e32 v2, s3
	s_add_nc_u64 s[8:9], s[0:1], 0x90
	s_get_pc_i64 s[0:1]
	s_add_nc_u64 s[0:1], s[0:1], __assert_fail@rel64+4
	s_mov_b32 s32, 0
	s_swap_pc_i64 s[30:31], s[0:1]
	.section	.rodata,"a",@progbits
	.p2align	6, 0x0
	.amdhsa_kernel _Z39paged_attention_ll4mi_QKV_mfma16_kernelI14__hip_bfloat16hLN4vllm18Fp8KVCacheDataTypeE1EhLi32ELi128ELi256ELb0ELi5EEvPKT_PKT0_S8_ifPKiSA_SA_iPKfiiiPfSD_PS3_PT2_iSC_SC_
		.amdhsa_group_segment_fixed_size 0
		.amdhsa_private_segment_fixed_size 64
		.amdhsa_kernarg_size 400
		.amdhsa_user_sgpr_count 2
		.amdhsa_user_sgpr_dispatch_ptr 0
		.amdhsa_user_sgpr_queue_ptr 0
		.amdhsa_user_sgpr_kernarg_segment_ptr 1
		.amdhsa_user_sgpr_dispatch_id 0
		.amdhsa_user_sgpr_kernarg_preload_length 0
		.amdhsa_user_sgpr_kernarg_preload_offset 0
		.amdhsa_user_sgpr_private_segment_size 0
		.amdhsa_wavefront_size32 1
		.amdhsa_uses_dynamic_stack 0
		.amdhsa_enable_private_segment 1
		.amdhsa_system_sgpr_workgroup_id_x 1
		.amdhsa_system_sgpr_workgroup_id_y 0
		.amdhsa_system_sgpr_workgroup_id_z 0
		.amdhsa_system_sgpr_workgroup_info 0
		.amdhsa_system_vgpr_workitem_id 0
		.amdhsa_next_free_vgpr 51
		.amdhsa_next_free_sgpr 34
		.amdhsa_named_barrier_count 0
		.amdhsa_reserve_vcc 1
		.amdhsa_float_round_mode_32 0
		.amdhsa_float_round_mode_16_64 0
		.amdhsa_float_denorm_mode_32 3
		.amdhsa_float_denorm_mode_16_64 3
		.amdhsa_fp16_overflow 0
		.amdhsa_memory_ordered 1
		.amdhsa_forward_progress 1
		.amdhsa_inst_pref_size 1
		.amdhsa_round_robin_scheduling 0
		.amdhsa_exception_fp_ieee_invalid_op 0
		.amdhsa_exception_fp_denorm_src 0
		.amdhsa_exception_fp_ieee_div_zero 0
		.amdhsa_exception_fp_ieee_overflow 0
		.amdhsa_exception_fp_ieee_underflow 0
		.amdhsa_exception_fp_ieee_inexact 0
		.amdhsa_exception_int_div_zero 0
	.end_amdhsa_kernel
	.section	.text._Z39paged_attention_ll4mi_QKV_mfma16_kernelI14__hip_bfloat16hLN4vllm18Fp8KVCacheDataTypeE1EhLi32ELi128ELi256ELb0ELi5EEvPKT_PKT0_S8_ifPKiSA_SA_iPKfiiiPfSD_PS3_PT2_iSC_SC_,"axG",@progbits,_Z39paged_attention_ll4mi_QKV_mfma16_kernelI14__hip_bfloat16hLN4vllm18Fp8KVCacheDataTypeE1EhLi32ELi128ELi256ELb0ELi5EEvPKT_PKT0_S8_ifPKiSA_SA_iPKfiiiPfSD_PS3_PT2_iSC_SC_,comdat
.Lfunc_end1354:
	.size	_Z39paged_attention_ll4mi_QKV_mfma16_kernelI14__hip_bfloat16hLN4vllm18Fp8KVCacheDataTypeE1EhLi32ELi128ELi256ELb0ELi5EEvPKT_PKT0_S8_ifPKiSA_SA_iPKfiiiPfSD_PS3_PT2_iSC_SC_, .Lfunc_end1354-_Z39paged_attention_ll4mi_QKV_mfma16_kernelI14__hip_bfloat16hLN4vllm18Fp8KVCacheDataTypeE1EhLi32ELi128ELi256ELb0ELi5EEvPKT_PKT0_S8_ifPKiSA_SA_iPKfiiiPfSD_PS3_PT2_iSC_SC_
                                        ; -- End function
	.set _Z39paged_attention_ll4mi_QKV_mfma16_kernelI14__hip_bfloat16hLN4vllm18Fp8KVCacheDataTypeE1EhLi32ELi128ELi256ELb0ELi5EEvPKT_PKT0_S8_ifPKiSA_SA_iPKfiiiPfSD_PS3_PT2_iSC_SC_.num_vgpr, max(3, .L__assert_fail.num_vgpr)
	.set _Z39paged_attention_ll4mi_QKV_mfma16_kernelI14__hip_bfloat16hLN4vllm18Fp8KVCacheDataTypeE1EhLi32ELi128ELi256ELb0ELi5EEvPKT_PKT0_S8_ifPKiSA_SA_iPKfiiiPfSD_PS3_PT2_iSC_SC_.num_agpr, max(0, .L__assert_fail.num_agpr)
	.set _Z39paged_attention_ll4mi_QKV_mfma16_kernelI14__hip_bfloat16hLN4vllm18Fp8KVCacheDataTypeE1EhLi32ELi128ELi256ELb0ELi5EEvPKT_PKT0_S8_ifPKiSA_SA_iPKfiiiPfSD_PS3_PT2_iSC_SC_.numbered_sgpr, max(33, .L__assert_fail.numbered_sgpr)
	.set _Z39paged_attention_ll4mi_QKV_mfma16_kernelI14__hip_bfloat16hLN4vllm18Fp8KVCacheDataTypeE1EhLi32ELi128ELi256ELb0ELi5EEvPKT_PKT0_S8_ifPKiSA_SA_iPKfiiiPfSD_PS3_PT2_iSC_SC_.num_named_barrier, max(0, .L__assert_fail.num_named_barrier)
	.set _Z39paged_attention_ll4mi_QKV_mfma16_kernelI14__hip_bfloat16hLN4vllm18Fp8KVCacheDataTypeE1EhLi32ELi128ELi256ELb0ELi5EEvPKT_PKT0_S8_ifPKiSA_SA_iPKfiiiPfSD_PS3_PT2_iSC_SC_.private_seg_size, 0+max(.L__assert_fail.private_seg_size)
	.set _Z39paged_attention_ll4mi_QKV_mfma16_kernelI14__hip_bfloat16hLN4vllm18Fp8KVCacheDataTypeE1EhLi32ELi128ELi256ELb0ELi5EEvPKT_PKT0_S8_ifPKiSA_SA_iPKfiiiPfSD_PS3_PT2_iSC_SC_.uses_vcc, or(1, .L__assert_fail.uses_vcc)
	.set _Z39paged_attention_ll4mi_QKV_mfma16_kernelI14__hip_bfloat16hLN4vllm18Fp8KVCacheDataTypeE1EhLi32ELi128ELi256ELb0ELi5EEvPKT_PKT0_S8_ifPKiSA_SA_iPKfiiiPfSD_PS3_PT2_iSC_SC_.uses_flat_scratch, or(0, .L__assert_fail.uses_flat_scratch)
	.set _Z39paged_attention_ll4mi_QKV_mfma16_kernelI14__hip_bfloat16hLN4vllm18Fp8KVCacheDataTypeE1EhLi32ELi128ELi256ELb0ELi5EEvPKT_PKT0_S8_ifPKiSA_SA_iPKfiiiPfSD_PS3_PT2_iSC_SC_.has_dyn_sized_stack, or(0, .L__assert_fail.has_dyn_sized_stack)
	.set _Z39paged_attention_ll4mi_QKV_mfma16_kernelI14__hip_bfloat16hLN4vllm18Fp8KVCacheDataTypeE1EhLi32ELi128ELi256ELb0ELi5EEvPKT_PKT0_S8_ifPKiSA_SA_iPKfiiiPfSD_PS3_PT2_iSC_SC_.has_recursion, or(0, .L__assert_fail.has_recursion)
	.set _Z39paged_attention_ll4mi_QKV_mfma16_kernelI14__hip_bfloat16hLN4vllm18Fp8KVCacheDataTypeE1EhLi32ELi128ELi256ELb0ELi5EEvPKT_PKT0_S8_ifPKiSA_SA_iPKfiiiPfSD_PS3_PT2_iSC_SC_.has_indirect_call, or(0, .L__assert_fail.has_indirect_call)
	.section	.AMDGPU.csdata,"",@progbits
; Kernel info:
; codeLenInByte = 68
; TotalNumSgprs: 36
; NumVgprs: 51
; ScratchSize: 64
; MemoryBound: 0
; FloatMode: 240
; IeeeMode: 1
; LDSByteSize: 0 bytes/workgroup (compile time only)
; SGPRBlocks: 0
; VGPRBlocks: 3
; NumSGPRsForWavesPerEU: 36
; NumVGPRsForWavesPerEU: 51
; NamedBarCnt: 0
; Occupancy: 16
; WaveLimiterHint : 1
; COMPUTE_PGM_RSRC2:SCRATCH_EN: 1
; COMPUTE_PGM_RSRC2:USER_SGPR: 2
; COMPUTE_PGM_RSRC2:TRAP_HANDLER: 0
; COMPUTE_PGM_RSRC2:TGID_X_EN: 1
; COMPUTE_PGM_RSRC2:TGID_Y_EN: 0
; COMPUTE_PGM_RSRC2:TGID_Z_EN: 0
; COMPUTE_PGM_RSRC2:TIDIG_COMP_CNT: 0
	.section	.text._Z39paged_attention_ll4mi_QKV_mfma16_kernelI14__hip_bfloat16hLN4vllm18Fp8KVCacheDataTypeE1EhLi32ELi128ELi256ELb0ELi6EEvPKT_PKT0_S8_ifPKiSA_SA_iPKfiiiPfSD_PS3_PT2_iSC_SC_,"axG",@progbits,_Z39paged_attention_ll4mi_QKV_mfma16_kernelI14__hip_bfloat16hLN4vllm18Fp8KVCacheDataTypeE1EhLi32ELi128ELi256ELb0ELi6EEvPKT_PKT0_S8_ifPKiSA_SA_iPKfiiiPfSD_PS3_PT2_iSC_SC_,comdat
	.protected	_Z39paged_attention_ll4mi_QKV_mfma16_kernelI14__hip_bfloat16hLN4vllm18Fp8KVCacheDataTypeE1EhLi32ELi128ELi256ELb0ELi6EEvPKT_PKT0_S8_ifPKiSA_SA_iPKfiiiPfSD_PS3_PT2_iSC_SC_ ; -- Begin function _Z39paged_attention_ll4mi_QKV_mfma16_kernelI14__hip_bfloat16hLN4vllm18Fp8KVCacheDataTypeE1EhLi32ELi128ELi256ELb0ELi6EEvPKT_PKT0_S8_ifPKiSA_SA_iPKfiiiPfSD_PS3_PT2_iSC_SC_
	.globl	_Z39paged_attention_ll4mi_QKV_mfma16_kernelI14__hip_bfloat16hLN4vllm18Fp8KVCacheDataTypeE1EhLi32ELi128ELi256ELb0ELi6EEvPKT_PKT0_S8_ifPKiSA_SA_iPKfiiiPfSD_PS3_PT2_iSC_SC_
	.p2align	8
	.type	_Z39paged_attention_ll4mi_QKV_mfma16_kernelI14__hip_bfloat16hLN4vllm18Fp8KVCacheDataTypeE1EhLi32ELi128ELi256ELb0ELi6EEvPKT_PKT0_S8_ifPKiSA_SA_iPKfiiiPfSD_PS3_PT2_iSC_SC_,@function
_Z39paged_attention_ll4mi_QKV_mfma16_kernelI14__hip_bfloat16hLN4vllm18Fp8KVCacheDataTypeE1EhLi32ELi128ELi256ELb0ELi6EEvPKT_PKT0_S8_ifPKiSA_SA_iPKfiiiPfSD_PS3_PT2_iSC_SC_: ; @_Z39paged_attention_ll4mi_QKV_mfma16_kernelI14__hip_bfloat16hLN4vllm18Fp8KVCacheDataTypeE1EhLi32ELi128ELi256ELb0ELi6EEvPKT_PKT0_S8_ifPKiSA_SA_iPKfiiiPfSD_PS3_PT2_iSC_SC_
; %bb.0:
	s_get_pc_i64 s[2:3]
	s_add_nc_u64 s[2:3], s[2:3], __PRETTY_FUNCTION__._Z39paged_attention_ll4mi_QKV_mfma16_kernelI14__hip_bfloat16hLN4vllm18Fp8KVCacheDataTypeE1EhLi32ELi128ELi256ELb0ELi6EEvPKT_PKT0_S8_ifPKiSA_SA_iPKfiiiPfSD_PS3_PT2_iSC_SC_@rel64+4
	s_delay_alu instid0(SALU_CYCLE_1)
	v_dual_mov_b32 v0, 0xbb3 :: v_dual_mov_b32 v1, s2
	v_mov_b32_e32 v2, s3
	s_add_nc_u64 s[8:9], s[0:1], 0x90
	s_get_pc_i64 s[0:1]
	s_add_nc_u64 s[0:1], s[0:1], __assert_fail@rel64+4
	s_mov_b32 s32, 0
	s_swap_pc_i64 s[30:31], s[0:1]
	.section	.rodata,"a",@progbits
	.p2align	6, 0x0
	.amdhsa_kernel _Z39paged_attention_ll4mi_QKV_mfma16_kernelI14__hip_bfloat16hLN4vllm18Fp8KVCacheDataTypeE1EhLi32ELi128ELi256ELb0ELi6EEvPKT_PKT0_S8_ifPKiSA_SA_iPKfiiiPfSD_PS3_PT2_iSC_SC_
		.amdhsa_group_segment_fixed_size 0
		.amdhsa_private_segment_fixed_size 64
		.amdhsa_kernarg_size 400
		.amdhsa_user_sgpr_count 2
		.amdhsa_user_sgpr_dispatch_ptr 0
		.amdhsa_user_sgpr_queue_ptr 0
		.amdhsa_user_sgpr_kernarg_segment_ptr 1
		.amdhsa_user_sgpr_dispatch_id 0
		.amdhsa_user_sgpr_kernarg_preload_length 0
		.amdhsa_user_sgpr_kernarg_preload_offset 0
		.amdhsa_user_sgpr_private_segment_size 0
		.amdhsa_wavefront_size32 1
		.amdhsa_uses_dynamic_stack 0
		.amdhsa_enable_private_segment 1
		.amdhsa_system_sgpr_workgroup_id_x 1
		.amdhsa_system_sgpr_workgroup_id_y 0
		.amdhsa_system_sgpr_workgroup_id_z 0
		.amdhsa_system_sgpr_workgroup_info 0
		.amdhsa_system_vgpr_workitem_id 0
		.amdhsa_next_free_vgpr 51
		.amdhsa_next_free_sgpr 34
		.amdhsa_named_barrier_count 0
		.amdhsa_reserve_vcc 1
		.amdhsa_float_round_mode_32 0
		.amdhsa_float_round_mode_16_64 0
		.amdhsa_float_denorm_mode_32 3
		.amdhsa_float_denorm_mode_16_64 3
		.amdhsa_fp16_overflow 0
		.amdhsa_memory_ordered 1
		.amdhsa_forward_progress 1
		.amdhsa_inst_pref_size 1
		.amdhsa_round_robin_scheduling 0
		.amdhsa_exception_fp_ieee_invalid_op 0
		.amdhsa_exception_fp_denorm_src 0
		.amdhsa_exception_fp_ieee_div_zero 0
		.amdhsa_exception_fp_ieee_overflow 0
		.amdhsa_exception_fp_ieee_underflow 0
		.amdhsa_exception_fp_ieee_inexact 0
		.amdhsa_exception_int_div_zero 0
	.end_amdhsa_kernel
	.section	.text._Z39paged_attention_ll4mi_QKV_mfma16_kernelI14__hip_bfloat16hLN4vllm18Fp8KVCacheDataTypeE1EhLi32ELi128ELi256ELb0ELi6EEvPKT_PKT0_S8_ifPKiSA_SA_iPKfiiiPfSD_PS3_PT2_iSC_SC_,"axG",@progbits,_Z39paged_attention_ll4mi_QKV_mfma16_kernelI14__hip_bfloat16hLN4vllm18Fp8KVCacheDataTypeE1EhLi32ELi128ELi256ELb0ELi6EEvPKT_PKT0_S8_ifPKiSA_SA_iPKfiiiPfSD_PS3_PT2_iSC_SC_,comdat
.Lfunc_end1355:
	.size	_Z39paged_attention_ll4mi_QKV_mfma16_kernelI14__hip_bfloat16hLN4vllm18Fp8KVCacheDataTypeE1EhLi32ELi128ELi256ELb0ELi6EEvPKT_PKT0_S8_ifPKiSA_SA_iPKfiiiPfSD_PS3_PT2_iSC_SC_, .Lfunc_end1355-_Z39paged_attention_ll4mi_QKV_mfma16_kernelI14__hip_bfloat16hLN4vllm18Fp8KVCacheDataTypeE1EhLi32ELi128ELi256ELb0ELi6EEvPKT_PKT0_S8_ifPKiSA_SA_iPKfiiiPfSD_PS3_PT2_iSC_SC_
                                        ; -- End function
	.set _Z39paged_attention_ll4mi_QKV_mfma16_kernelI14__hip_bfloat16hLN4vllm18Fp8KVCacheDataTypeE1EhLi32ELi128ELi256ELb0ELi6EEvPKT_PKT0_S8_ifPKiSA_SA_iPKfiiiPfSD_PS3_PT2_iSC_SC_.num_vgpr, max(3, .L__assert_fail.num_vgpr)
	.set _Z39paged_attention_ll4mi_QKV_mfma16_kernelI14__hip_bfloat16hLN4vllm18Fp8KVCacheDataTypeE1EhLi32ELi128ELi256ELb0ELi6EEvPKT_PKT0_S8_ifPKiSA_SA_iPKfiiiPfSD_PS3_PT2_iSC_SC_.num_agpr, max(0, .L__assert_fail.num_agpr)
	.set _Z39paged_attention_ll4mi_QKV_mfma16_kernelI14__hip_bfloat16hLN4vllm18Fp8KVCacheDataTypeE1EhLi32ELi128ELi256ELb0ELi6EEvPKT_PKT0_S8_ifPKiSA_SA_iPKfiiiPfSD_PS3_PT2_iSC_SC_.numbered_sgpr, max(33, .L__assert_fail.numbered_sgpr)
	.set _Z39paged_attention_ll4mi_QKV_mfma16_kernelI14__hip_bfloat16hLN4vllm18Fp8KVCacheDataTypeE1EhLi32ELi128ELi256ELb0ELi6EEvPKT_PKT0_S8_ifPKiSA_SA_iPKfiiiPfSD_PS3_PT2_iSC_SC_.num_named_barrier, max(0, .L__assert_fail.num_named_barrier)
	.set _Z39paged_attention_ll4mi_QKV_mfma16_kernelI14__hip_bfloat16hLN4vllm18Fp8KVCacheDataTypeE1EhLi32ELi128ELi256ELb0ELi6EEvPKT_PKT0_S8_ifPKiSA_SA_iPKfiiiPfSD_PS3_PT2_iSC_SC_.private_seg_size, 0+max(.L__assert_fail.private_seg_size)
	.set _Z39paged_attention_ll4mi_QKV_mfma16_kernelI14__hip_bfloat16hLN4vllm18Fp8KVCacheDataTypeE1EhLi32ELi128ELi256ELb0ELi6EEvPKT_PKT0_S8_ifPKiSA_SA_iPKfiiiPfSD_PS3_PT2_iSC_SC_.uses_vcc, or(1, .L__assert_fail.uses_vcc)
	.set _Z39paged_attention_ll4mi_QKV_mfma16_kernelI14__hip_bfloat16hLN4vllm18Fp8KVCacheDataTypeE1EhLi32ELi128ELi256ELb0ELi6EEvPKT_PKT0_S8_ifPKiSA_SA_iPKfiiiPfSD_PS3_PT2_iSC_SC_.uses_flat_scratch, or(0, .L__assert_fail.uses_flat_scratch)
	.set _Z39paged_attention_ll4mi_QKV_mfma16_kernelI14__hip_bfloat16hLN4vllm18Fp8KVCacheDataTypeE1EhLi32ELi128ELi256ELb0ELi6EEvPKT_PKT0_S8_ifPKiSA_SA_iPKfiiiPfSD_PS3_PT2_iSC_SC_.has_dyn_sized_stack, or(0, .L__assert_fail.has_dyn_sized_stack)
	.set _Z39paged_attention_ll4mi_QKV_mfma16_kernelI14__hip_bfloat16hLN4vllm18Fp8KVCacheDataTypeE1EhLi32ELi128ELi256ELb0ELi6EEvPKT_PKT0_S8_ifPKiSA_SA_iPKfiiiPfSD_PS3_PT2_iSC_SC_.has_recursion, or(0, .L__assert_fail.has_recursion)
	.set _Z39paged_attention_ll4mi_QKV_mfma16_kernelI14__hip_bfloat16hLN4vllm18Fp8KVCacheDataTypeE1EhLi32ELi128ELi256ELb0ELi6EEvPKT_PKT0_S8_ifPKiSA_SA_iPKfiiiPfSD_PS3_PT2_iSC_SC_.has_indirect_call, or(0, .L__assert_fail.has_indirect_call)
	.section	.AMDGPU.csdata,"",@progbits
; Kernel info:
; codeLenInByte = 68
; TotalNumSgprs: 36
; NumVgprs: 51
; ScratchSize: 64
; MemoryBound: 0
; FloatMode: 240
; IeeeMode: 1
; LDSByteSize: 0 bytes/workgroup (compile time only)
; SGPRBlocks: 0
; VGPRBlocks: 3
; NumSGPRsForWavesPerEU: 36
; NumVGPRsForWavesPerEU: 51
; NamedBarCnt: 0
; Occupancy: 16
; WaveLimiterHint : 1
; COMPUTE_PGM_RSRC2:SCRATCH_EN: 1
; COMPUTE_PGM_RSRC2:USER_SGPR: 2
; COMPUTE_PGM_RSRC2:TRAP_HANDLER: 0
; COMPUTE_PGM_RSRC2:TGID_X_EN: 1
; COMPUTE_PGM_RSRC2:TGID_Y_EN: 0
; COMPUTE_PGM_RSRC2:TGID_Z_EN: 0
; COMPUTE_PGM_RSRC2:TIDIG_COMP_CNT: 0
	.section	.text._Z39paged_attention_ll4mi_QKV_mfma16_kernelI14__hip_bfloat16hLN4vllm18Fp8KVCacheDataTypeE1EhLi32ELi128ELi256ELb0ELi7EEvPKT_PKT0_S8_ifPKiSA_SA_iPKfiiiPfSD_PS3_PT2_iSC_SC_,"axG",@progbits,_Z39paged_attention_ll4mi_QKV_mfma16_kernelI14__hip_bfloat16hLN4vllm18Fp8KVCacheDataTypeE1EhLi32ELi128ELi256ELb0ELi7EEvPKT_PKT0_S8_ifPKiSA_SA_iPKfiiiPfSD_PS3_PT2_iSC_SC_,comdat
	.protected	_Z39paged_attention_ll4mi_QKV_mfma16_kernelI14__hip_bfloat16hLN4vllm18Fp8KVCacheDataTypeE1EhLi32ELi128ELi256ELb0ELi7EEvPKT_PKT0_S8_ifPKiSA_SA_iPKfiiiPfSD_PS3_PT2_iSC_SC_ ; -- Begin function _Z39paged_attention_ll4mi_QKV_mfma16_kernelI14__hip_bfloat16hLN4vllm18Fp8KVCacheDataTypeE1EhLi32ELi128ELi256ELb0ELi7EEvPKT_PKT0_S8_ifPKiSA_SA_iPKfiiiPfSD_PS3_PT2_iSC_SC_
	.globl	_Z39paged_attention_ll4mi_QKV_mfma16_kernelI14__hip_bfloat16hLN4vllm18Fp8KVCacheDataTypeE1EhLi32ELi128ELi256ELb0ELi7EEvPKT_PKT0_S8_ifPKiSA_SA_iPKfiiiPfSD_PS3_PT2_iSC_SC_
	.p2align	8
	.type	_Z39paged_attention_ll4mi_QKV_mfma16_kernelI14__hip_bfloat16hLN4vllm18Fp8KVCacheDataTypeE1EhLi32ELi128ELi256ELb0ELi7EEvPKT_PKT0_S8_ifPKiSA_SA_iPKfiiiPfSD_PS3_PT2_iSC_SC_,@function
_Z39paged_attention_ll4mi_QKV_mfma16_kernelI14__hip_bfloat16hLN4vllm18Fp8KVCacheDataTypeE1EhLi32ELi128ELi256ELb0ELi7EEvPKT_PKT0_S8_ifPKiSA_SA_iPKfiiiPfSD_PS3_PT2_iSC_SC_: ; @_Z39paged_attention_ll4mi_QKV_mfma16_kernelI14__hip_bfloat16hLN4vllm18Fp8KVCacheDataTypeE1EhLi32ELi128ELi256ELb0ELi7EEvPKT_PKT0_S8_ifPKiSA_SA_iPKfiiiPfSD_PS3_PT2_iSC_SC_
; %bb.0:
	s_get_pc_i64 s[2:3]
	s_add_nc_u64 s[2:3], s[2:3], __PRETTY_FUNCTION__._Z39paged_attention_ll4mi_QKV_mfma16_kernelI14__hip_bfloat16hLN4vllm18Fp8KVCacheDataTypeE1EhLi32ELi128ELi256ELb0ELi7EEvPKT_PKT0_S8_ifPKiSA_SA_iPKfiiiPfSD_PS3_PT2_iSC_SC_@rel64+4
	s_delay_alu instid0(SALU_CYCLE_1)
	v_dual_mov_b32 v0, 0xbb3 :: v_dual_mov_b32 v1, s2
	v_mov_b32_e32 v2, s3
	s_add_nc_u64 s[8:9], s[0:1], 0x90
	s_get_pc_i64 s[0:1]
	s_add_nc_u64 s[0:1], s[0:1], __assert_fail@rel64+4
	s_mov_b32 s32, 0
	s_swap_pc_i64 s[30:31], s[0:1]
	.section	.rodata,"a",@progbits
	.p2align	6, 0x0
	.amdhsa_kernel _Z39paged_attention_ll4mi_QKV_mfma16_kernelI14__hip_bfloat16hLN4vllm18Fp8KVCacheDataTypeE1EhLi32ELi128ELi256ELb0ELi7EEvPKT_PKT0_S8_ifPKiSA_SA_iPKfiiiPfSD_PS3_PT2_iSC_SC_
		.amdhsa_group_segment_fixed_size 0
		.amdhsa_private_segment_fixed_size 64
		.amdhsa_kernarg_size 400
		.amdhsa_user_sgpr_count 2
		.amdhsa_user_sgpr_dispatch_ptr 0
		.amdhsa_user_sgpr_queue_ptr 0
		.amdhsa_user_sgpr_kernarg_segment_ptr 1
		.amdhsa_user_sgpr_dispatch_id 0
		.amdhsa_user_sgpr_kernarg_preload_length 0
		.amdhsa_user_sgpr_kernarg_preload_offset 0
		.amdhsa_user_sgpr_private_segment_size 0
		.amdhsa_wavefront_size32 1
		.amdhsa_uses_dynamic_stack 0
		.amdhsa_enable_private_segment 1
		.amdhsa_system_sgpr_workgroup_id_x 1
		.amdhsa_system_sgpr_workgroup_id_y 0
		.amdhsa_system_sgpr_workgroup_id_z 0
		.amdhsa_system_sgpr_workgroup_info 0
		.amdhsa_system_vgpr_workitem_id 0
		.amdhsa_next_free_vgpr 51
		.amdhsa_next_free_sgpr 34
		.amdhsa_named_barrier_count 0
		.amdhsa_reserve_vcc 1
		.amdhsa_float_round_mode_32 0
		.amdhsa_float_round_mode_16_64 0
		.amdhsa_float_denorm_mode_32 3
		.amdhsa_float_denorm_mode_16_64 3
		.amdhsa_fp16_overflow 0
		.amdhsa_memory_ordered 1
		.amdhsa_forward_progress 1
		.amdhsa_inst_pref_size 1
		.amdhsa_round_robin_scheduling 0
		.amdhsa_exception_fp_ieee_invalid_op 0
		.amdhsa_exception_fp_denorm_src 0
		.amdhsa_exception_fp_ieee_div_zero 0
		.amdhsa_exception_fp_ieee_overflow 0
		.amdhsa_exception_fp_ieee_underflow 0
		.amdhsa_exception_fp_ieee_inexact 0
		.amdhsa_exception_int_div_zero 0
	.end_amdhsa_kernel
	.section	.text._Z39paged_attention_ll4mi_QKV_mfma16_kernelI14__hip_bfloat16hLN4vllm18Fp8KVCacheDataTypeE1EhLi32ELi128ELi256ELb0ELi7EEvPKT_PKT0_S8_ifPKiSA_SA_iPKfiiiPfSD_PS3_PT2_iSC_SC_,"axG",@progbits,_Z39paged_attention_ll4mi_QKV_mfma16_kernelI14__hip_bfloat16hLN4vllm18Fp8KVCacheDataTypeE1EhLi32ELi128ELi256ELb0ELi7EEvPKT_PKT0_S8_ifPKiSA_SA_iPKfiiiPfSD_PS3_PT2_iSC_SC_,comdat
.Lfunc_end1356:
	.size	_Z39paged_attention_ll4mi_QKV_mfma16_kernelI14__hip_bfloat16hLN4vllm18Fp8KVCacheDataTypeE1EhLi32ELi128ELi256ELb0ELi7EEvPKT_PKT0_S8_ifPKiSA_SA_iPKfiiiPfSD_PS3_PT2_iSC_SC_, .Lfunc_end1356-_Z39paged_attention_ll4mi_QKV_mfma16_kernelI14__hip_bfloat16hLN4vllm18Fp8KVCacheDataTypeE1EhLi32ELi128ELi256ELb0ELi7EEvPKT_PKT0_S8_ifPKiSA_SA_iPKfiiiPfSD_PS3_PT2_iSC_SC_
                                        ; -- End function
	.set _Z39paged_attention_ll4mi_QKV_mfma16_kernelI14__hip_bfloat16hLN4vllm18Fp8KVCacheDataTypeE1EhLi32ELi128ELi256ELb0ELi7EEvPKT_PKT0_S8_ifPKiSA_SA_iPKfiiiPfSD_PS3_PT2_iSC_SC_.num_vgpr, max(3, .L__assert_fail.num_vgpr)
	.set _Z39paged_attention_ll4mi_QKV_mfma16_kernelI14__hip_bfloat16hLN4vllm18Fp8KVCacheDataTypeE1EhLi32ELi128ELi256ELb0ELi7EEvPKT_PKT0_S8_ifPKiSA_SA_iPKfiiiPfSD_PS3_PT2_iSC_SC_.num_agpr, max(0, .L__assert_fail.num_agpr)
	.set _Z39paged_attention_ll4mi_QKV_mfma16_kernelI14__hip_bfloat16hLN4vllm18Fp8KVCacheDataTypeE1EhLi32ELi128ELi256ELb0ELi7EEvPKT_PKT0_S8_ifPKiSA_SA_iPKfiiiPfSD_PS3_PT2_iSC_SC_.numbered_sgpr, max(33, .L__assert_fail.numbered_sgpr)
	.set _Z39paged_attention_ll4mi_QKV_mfma16_kernelI14__hip_bfloat16hLN4vllm18Fp8KVCacheDataTypeE1EhLi32ELi128ELi256ELb0ELi7EEvPKT_PKT0_S8_ifPKiSA_SA_iPKfiiiPfSD_PS3_PT2_iSC_SC_.num_named_barrier, max(0, .L__assert_fail.num_named_barrier)
	.set _Z39paged_attention_ll4mi_QKV_mfma16_kernelI14__hip_bfloat16hLN4vllm18Fp8KVCacheDataTypeE1EhLi32ELi128ELi256ELb0ELi7EEvPKT_PKT0_S8_ifPKiSA_SA_iPKfiiiPfSD_PS3_PT2_iSC_SC_.private_seg_size, 0+max(.L__assert_fail.private_seg_size)
	.set _Z39paged_attention_ll4mi_QKV_mfma16_kernelI14__hip_bfloat16hLN4vllm18Fp8KVCacheDataTypeE1EhLi32ELi128ELi256ELb0ELi7EEvPKT_PKT0_S8_ifPKiSA_SA_iPKfiiiPfSD_PS3_PT2_iSC_SC_.uses_vcc, or(1, .L__assert_fail.uses_vcc)
	.set _Z39paged_attention_ll4mi_QKV_mfma16_kernelI14__hip_bfloat16hLN4vllm18Fp8KVCacheDataTypeE1EhLi32ELi128ELi256ELb0ELi7EEvPKT_PKT0_S8_ifPKiSA_SA_iPKfiiiPfSD_PS3_PT2_iSC_SC_.uses_flat_scratch, or(0, .L__assert_fail.uses_flat_scratch)
	.set _Z39paged_attention_ll4mi_QKV_mfma16_kernelI14__hip_bfloat16hLN4vllm18Fp8KVCacheDataTypeE1EhLi32ELi128ELi256ELb0ELi7EEvPKT_PKT0_S8_ifPKiSA_SA_iPKfiiiPfSD_PS3_PT2_iSC_SC_.has_dyn_sized_stack, or(0, .L__assert_fail.has_dyn_sized_stack)
	.set _Z39paged_attention_ll4mi_QKV_mfma16_kernelI14__hip_bfloat16hLN4vllm18Fp8KVCacheDataTypeE1EhLi32ELi128ELi256ELb0ELi7EEvPKT_PKT0_S8_ifPKiSA_SA_iPKfiiiPfSD_PS3_PT2_iSC_SC_.has_recursion, or(0, .L__assert_fail.has_recursion)
	.set _Z39paged_attention_ll4mi_QKV_mfma16_kernelI14__hip_bfloat16hLN4vllm18Fp8KVCacheDataTypeE1EhLi32ELi128ELi256ELb0ELi7EEvPKT_PKT0_S8_ifPKiSA_SA_iPKfiiiPfSD_PS3_PT2_iSC_SC_.has_indirect_call, or(0, .L__assert_fail.has_indirect_call)
	.section	.AMDGPU.csdata,"",@progbits
; Kernel info:
; codeLenInByte = 68
; TotalNumSgprs: 36
; NumVgprs: 51
; ScratchSize: 64
; MemoryBound: 0
; FloatMode: 240
; IeeeMode: 1
; LDSByteSize: 0 bytes/workgroup (compile time only)
; SGPRBlocks: 0
; VGPRBlocks: 3
; NumSGPRsForWavesPerEU: 36
; NumVGPRsForWavesPerEU: 51
; NamedBarCnt: 0
; Occupancy: 16
; WaveLimiterHint : 1
; COMPUTE_PGM_RSRC2:SCRATCH_EN: 1
; COMPUTE_PGM_RSRC2:USER_SGPR: 2
; COMPUTE_PGM_RSRC2:TRAP_HANDLER: 0
; COMPUTE_PGM_RSRC2:TGID_X_EN: 1
; COMPUTE_PGM_RSRC2:TGID_Y_EN: 0
; COMPUTE_PGM_RSRC2:TGID_Z_EN: 0
; COMPUTE_PGM_RSRC2:TIDIG_COMP_CNT: 0
	.section	.text._Z39paged_attention_ll4mi_QKV_mfma16_kernelI14__hip_bfloat16hLN4vllm18Fp8KVCacheDataTypeE1EhLi32ELi128ELi256ELb0ELi8EEvPKT_PKT0_S8_ifPKiSA_SA_iPKfiiiPfSD_PS3_PT2_iSC_SC_,"axG",@progbits,_Z39paged_attention_ll4mi_QKV_mfma16_kernelI14__hip_bfloat16hLN4vllm18Fp8KVCacheDataTypeE1EhLi32ELi128ELi256ELb0ELi8EEvPKT_PKT0_S8_ifPKiSA_SA_iPKfiiiPfSD_PS3_PT2_iSC_SC_,comdat
	.protected	_Z39paged_attention_ll4mi_QKV_mfma16_kernelI14__hip_bfloat16hLN4vllm18Fp8KVCacheDataTypeE1EhLi32ELi128ELi256ELb0ELi8EEvPKT_PKT0_S8_ifPKiSA_SA_iPKfiiiPfSD_PS3_PT2_iSC_SC_ ; -- Begin function _Z39paged_attention_ll4mi_QKV_mfma16_kernelI14__hip_bfloat16hLN4vllm18Fp8KVCacheDataTypeE1EhLi32ELi128ELi256ELb0ELi8EEvPKT_PKT0_S8_ifPKiSA_SA_iPKfiiiPfSD_PS3_PT2_iSC_SC_
	.globl	_Z39paged_attention_ll4mi_QKV_mfma16_kernelI14__hip_bfloat16hLN4vllm18Fp8KVCacheDataTypeE1EhLi32ELi128ELi256ELb0ELi8EEvPKT_PKT0_S8_ifPKiSA_SA_iPKfiiiPfSD_PS3_PT2_iSC_SC_
	.p2align	8
	.type	_Z39paged_attention_ll4mi_QKV_mfma16_kernelI14__hip_bfloat16hLN4vllm18Fp8KVCacheDataTypeE1EhLi32ELi128ELi256ELb0ELi8EEvPKT_PKT0_S8_ifPKiSA_SA_iPKfiiiPfSD_PS3_PT2_iSC_SC_,@function
_Z39paged_attention_ll4mi_QKV_mfma16_kernelI14__hip_bfloat16hLN4vllm18Fp8KVCacheDataTypeE1EhLi32ELi128ELi256ELb0ELi8EEvPKT_PKT0_S8_ifPKiSA_SA_iPKfiiiPfSD_PS3_PT2_iSC_SC_: ; @_Z39paged_attention_ll4mi_QKV_mfma16_kernelI14__hip_bfloat16hLN4vllm18Fp8KVCacheDataTypeE1EhLi32ELi128ELi256ELb0ELi8EEvPKT_PKT0_S8_ifPKiSA_SA_iPKfiiiPfSD_PS3_PT2_iSC_SC_
; %bb.0:
	s_get_pc_i64 s[2:3]
	s_add_nc_u64 s[2:3], s[2:3], __PRETTY_FUNCTION__._Z39paged_attention_ll4mi_QKV_mfma16_kernelI14__hip_bfloat16hLN4vllm18Fp8KVCacheDataTypeE1EhLi32ELi128ELi256ELb0ELi8EEvPKT_PKT0_S8_ifPKiSA_SA_iPKfiiiPfSD_PS3_PT2_iSC_SC_@rel64+4
	s_delay_alu instid0(SALU_CYCLE_1)
	v_dual_mov_b32 v0, 0xbb3 :: v_dual_mov_b32 v1, s2
	v_mov_b32_e32 v2, s3
	s_add_nc_u64 s[8:9], s[0:1], 0x90
	s_get_pc_i64 s[0:1]
	s_add_nc_u64 s[0:1], s[0:1], __assert_fail@rel64+4
	s_mov_b32 s32, 0
	s_swap_pc_i64 s[30:31], s[0:1]
	.section	.rodata,"a",@progbits
	.p2align	6, 0x0
	.amdhsa_kernel _Z39paged_attention_ll4mi_QKV_mfma16_kernelI14__hip_bfloat16hLN4vllm18Fp8KVCacheDataTypeE1EhLi32ELi128ELi256ELb0ELi8EEvPKT_PKT0_S8_ifPKiSA_SA_iPKfiiiPfSD_PS3_PT2_iSC_SC_
		.amdhsa_group_segment_fixed_size 0
		.amdhsa_private_segment_fixed_size 64
		.amdhsa_kernarg_size 400
		.amdhsa_user_sgpr_count 2
		.amdhsa_user_sgpr_dispatch_ptr 0
		.amdhsa_user_sgpr_queue_ptr 0
		.amdhsa_user_sgpr_kernarg_segment_ptr 1
		.amdhsa_user_sgpr_dispatch_id 0
		.amdhsa_user_sgpr_kernarg_preload_length 0
		.amdhsa_user_sgpr_kernarg_preload_offset 0
		.amdhsa_user_sgpr_private_segment_size 0
		.amdhsa_wavefront_size32 1
		.amdhsa_uses_dynamic_stack 0
		.amdhsa_enable_private_segment 1
		.amdhsa_system_sgpr_workgroup_id_x 1
		.amdhsa_system_sgpr_workgroup_id_y 0
		.amdhsa_system_sgpr_workgroup_id_z 0
		.amdhsa_system_sgpr_workgroup_info 0
		.amdhsa_system_vgpr_workitem_id 0
		.amdhsa_next_free_vgpr 51
		.amdhsa_next_free_sgpr 34
		.amdhsa_named_barrier_count 0
		.amdhsa_reserve_vcc 1
		.amdhsa_float_round_mode_32 0
		.amdhsa_float_round_mode_16_64 0
		.amdhsa_float_denorm_mode_32 3
		.amdhsa_float_denorm_mode_16_64 3
		.amdhsa_fp16_overflow 0
		.amdhsa_memory_ordered 1
		.amdhsa_forward_progress 1
		.amdhsa_inst_pref_size 1
		.amdhsa_round_robin_scheduling 0
		.amdhsa_exception_fp_ieee_invalid_op 0
		.amdhsa_exception_fp_denorm_src 0
		.amdhsa_exception_fp_ieee_div_zero 0
		.amdhsa_exception_fp_ieee_overflow 0
		.amdhsa_exception_fp_ieee_underflow 0
		.amdhsa_exception_fp_ieee_inexact 0
		.amdhsa_exception_int_div_zero 0
	.end_amdhsa_kernel
	.section	.text._Z39paged_attention_ll4mi_QKV_mfma16_kernelI14__hip_bfloat16hLN4vllm18Fp8KVCacheDataTypeE1EhLi32ELi128ELi256ELb0ELi8EEvPKT_PKT0_S8_ifPKiSA_SA_iPKfiiiPfSD_PS3_PT2_iSC_SC_,"axG",@progbits,_Z39paged_attention_ll4mi_QKV_mfma16_kernelI14__hip_bfloat16hLN4vllm18Fp8KVCacheDataTypeE1EhLi32ELi128ELi256ELb0ELi8EEvPKT_PKT0_S8_ifPKiSA_SA_iPKfiiiPfSD_PS3_PT2_iSC_SC_,comdat
.Lfunc_end1357:
	.size	_Z39paged_attention_ll4mi_QKV_mfma16_kernelI14__hip_bfloat16hLN4vllm18Fp8KVCacheDataTypeE1EhLi32ELi128ELi256ELb0ELi8EEvPKT_PKT0_S8_ifPKiSA_SA_iPKfiiiPfSD_PS3_PT2_iSC_SC_, .Lfunc_end1357-_Z39paged_attention_ll4mi_QKV_mfma16_kernelI14__hip_bfloat16hLN4vllm18Fp8KVCacheDataTypeE1EhLi32ELi128ELi256ELb0ELi8EEvPKT_PKT0_S8_ifPKiSA_SA_iPKfiiiPfSD_PS3_PT2_iSC_SC_
                                        ; -- End function
	.set _Z39paged_attention_ll4mi_QKV_mfma16_kernelI14__hip_bfloat16hLN4vllm18Fp8KVCacheDataTypeE1EhLi32ELi128ELi256ELb0ELi8EEvPKT_PKT0_S8_ifPKiSA_SA_iPKfiiiPfSD_PS3_PT2_iSC_SC_.num_vgpr, max(3, .L__assert_fail.num_vgpr)
	.set _Z39paged_attention_ll4mi_QKV_mfma16_kernelI14__hip_bfloat16hLN4vllm18Fp8KVCacheDataTypeE1EhLi32ELi128ELi256ELb0ELi8EEvPKT_PKT0_S8_ifPKiSA_SA_iPKfiiiPfSD_PS3_PT2_iSC_SC_.num_agpr, max(0, .L__assert_fail.num_agpr)
	.set _Z39paged_attention_ll4mi_QKV_mfma16_kernelI14__hip_bfloat16hLN4vllm18Fp8KVCacheDataTypeE1EhLi32ELi128ELi256ELb0ELi8EEvPKT_PKT0_S8_ifPKiSA_SA_iPKfiiiPfSD_PS3_PT2_iSC_SC_.numbered_sgpr, max(33, .L__assert_fail.numbered_sgpr)
	.set _Z39paged_attention_ll4mi_QKV_mfma16_kernelI14__hip_bfloat16hLN4vllm18Fp8KVCacheDataTypeE1EhLi32ELi128ELi256ELb0ELi8EEvPKT_PKT0_S8_ifPKiSA_SA_iPKfiiiPfSD_PS3_PT2_iSC_SC_.num_named_barrier, max(0, .L__assert_fail.num_named_barrier)
	.set _Z39paged_attention_ll4mi_QKV_mfma16_kernelI14__hip_bfloat16hLN4vllm18Fp8KVCacheDataTypeE1EhLi32ELi128ELi256ELb0ELi8EEvPKT_PKT0_S8_ifPKiSA_SA_iPKfiiiPfSD_PS3_PT2_iSC_SC_.private_seg_size, 0+max(.L__assert_fail.private_seg_size)
	.set _Z39paged_attention_ll4mi_QKV_mfma16_kernelI14__hip_bfloat16hLN4vllm18Fp8KVCacheDataTypeE1EhLi32ELi128ELi256ELb0ELi8EEvPKT_PKT0_S8_ifPKiSA_SA_iPKfiiiPfSD_PS3_PT2_iSC_SC_.uses_vcc, or(1, .L__assert_fail.uses_vcc)
	.set _Z39paged_attention_ll4mi_QKV_mfma16_kernelI14__hip_bfloat16hLN4vllm18Fp8KVCacheDataTypeE1EhLi32ELi128ELi256ELb0ELi8EEvPKT_PKT0_S8_ifPKiSA_SA_iPKfiiiPfSD_PS3_PT2_iSC_SC_.uses_flat_scratch, or(0, .L__assert_fail.uses_flat_scratch)
	.set _Z39paged_attention_ll4mi_QKV_mfma16_kernelI14__hip_bfloat16hLN4vllm18Fp8KVCacheDataTypeE1EhLi32ELi128ELi256ELb0ELi8EEvPKT_PKT0_S8_ifPKiSA_SA_iPKfiiiPfSD_PS3_PT2_iSC_SC_.has_dyn_sized_stack, or(0, .L__assert_fail.has_dyn_sized_stack)
	.set _Z39paged_attention_ll4mi_QKV_mfma16_kernelI14__hip_bfloat16hLN4vllm18Fp8KVCacheDataTypeE1EhLi32ELi128ELi256ELb0ELi8EEvPKT_PKT0_S8_ifPKiSA_SA_iPKfiiiPfSD_PS3_PT2_iSC_SC_.has_recursion, or(0, .L__assert_fail.has_recursion)
	.set _Z39paged_attention_ll4mi_QKV_mfma16_kernelI14__hip_bfloat16hLN4vllm18Fp8KVCacheDataTypeE1EhLi32ELi128ELi256ELb0ELi8EEvPKT_PKT0_S8_ifPKiSA_SA_iPKfiiiPfSD_PS3_PT2_iSC_SC_.has_indirect_call, or(0, .L__assert_fail.has_indirect_call)
	.section	.AMDGPU.csdata,"",@progbits
; Kernel info:
; codeLenInByte = 68
; TotalNumSgprs: 36
; NumVgprs: 51
; ScratchSize: 64
; MemoryBound: 0
; FloatMode: 240
; IeeeMode: 1
; LDSByteSize: 0 bytes/workgroup (compile time only)
; SGPRBlocks: 0
; VGPRBlocks: 3
; NumSGPRsForWavesPerEU: 36
; NumVGPRsForWavesPerEU: 51
; NamedBarCnt: 0
; Occupancy: 16
; WaveLimiterHint : 1
; COMPUTE_PGM_RSRC2:SCRATCH_EN: 1
; COMPUTE_PGM_RSRC2:USER_SGPR: 2
; COMPUTE_PGM_RSRC2:TRAP_HANDLER: 0
; COMPUTE_PGM_RSRC2:TGID_X_EN: 1
; COMPUTE_PGM_RSRC2:TGID_Y_EN: 0
; COMPUTE_PGM_RSRC2:TGID_Z_EN: 0
; COMPUTE_PGM_RSRC2:TIDIG_COMP_CNT: 0
	.section	.text._Z39paged_attention_ll4mi_QKV_mfma16_kernelI14__hip_bfloat16hLN4vllm18Fp8KVCacheDataTypeE1EhLi32ELi128ELi256ELb0ELi9EEvPKT_PKT0_S8_ifPKiSA_SA_iPKfiiiPfSD_PS3_PT2_iSC_SC_,"axG",@progbits,_Z39paged_attention_ll4mi_QKV_mfma16_kernelI14__hip_bfloat16hLN4vllm18Fp8KVCacheDataTypeE1EhLi32ELi128ELi256ELb0ELi9EEvPKT_PKT0_S8_ifPKiSA_SA_iPKfiiiPfSD_PS3_PT2_iSC_SC_,comdat
	.protected	_Z39paged_attention_ll4mi_QKV_mfma16_kernelI14__hip_bfloat16hLN4vllm18Fp8KVCacheDataTypeE1EhLi32ELi128ELi256ELb0ELi9EEvPKT_PKT0_S8_ifPKiSA_SA_iPKfiiiPfSD_PS3_PT2_iSC_SC_ ; -- Begin function _Z39paged_attention_ll4mi_QKV_mfma16_kernelI14__hip_bfloat16hLN4vllm18Fp8KVCacheDataTypeE1EhLi32ELi128ELi256ELb0ELi9EEvPKT_PKT0_S8_ifPKiSA_SA_iPKfiiiPfSD_PS3_PT2_iSC_SC_
	.globl	_Z39paged_attention_ll4mi_QKV_mfma16_kernelI14__hip_bfloat16hLN4vllm18Fp8KVCacheDataTypeE1EhLi32ELi128ELi256ELb0ELi9EEvPKT_PKT0_S8_ifPKiSA_SA_iPKfiiiPfSD_PS3_PT2_iSC_SC_
	.p2align	8
	.type	_Z39paged_attention_ll4mi_QKV_mfma16_kernelI14__hip_bfloat16hLN4vllm18Fp8KVCacheDataTypeE1EhLi32ELi128ELi256ELb0ELi9EEvPKT_PKT0_S8_ifPKiSA_SA_iPKfiiiPfSD_PS3_PT2_iSC_SC_,@function
_Z39paged_attention_ll4mi_QKV_mfma16_kernelI14__hip_bfloat16hLN4vllm18Fp8KVCacheDataTypeE1EhLi32ELi128ELi256ELb0ELi9EEvPKT_PKT0_S8_ifPKiSA_SA_iPKfiiiPfSD_PS3_PT2_iSC_SC_: ; @_Z39paged_attention_ll4mi_QKV_mfma16_kernelI14__hip_bfloat16hLN4vllm18Fp8KVCacheDataTypeE1EhLi32ELi128ELi256ELb0ELi9EEvPKT_PKT0_S8_ifPKiSA_SA_iPKfiiiPfSD_PS3_PT2_iSC_SC_
; %bb.0:
	s_get_pc_i64 s[2:3]
	s_add_nc_u64 s[2:3], s[2:3], __PRETTY_FUNCTION__._Z39paged_attention_ll4mi_QKV_mfma16_kernelI14__hip_bfloat16hLN4vllm18Fp8KVCacheDataTypeE1EhLi32ELi128ELi256ELb0ELi9EEvPKT_PKT0_S8_ifPKiSA_SA_iPKfiiiPfSD_PS3_PT2_iSC_SC_@rel64+4
	s_delay_alu instid0(SALU_CYCLE_1)
	v_dual_mov_b32 v0, 0xbb3 :: v_dual_mov_b32 v1, s2
	v_mov_b32_e32 v2, s3
	s_add_nc_u64 s[8:9], s[0:1], 0x90
	s_get_pc_i64 s[0:1]
	s_add_nc_u64 s[0:1], s[0:1], __assert_fail@rel64+4
	s_mov_b32 s32, 0
	s_swap_pc_i64 s[30:31], s[0:1]
	.section	.rodata,"a",@progbits
	.p2align	6, 0x0
	.amdhsa_kernel _Z39paged_attention_ll4mi_QKV_mfma16_kernelI14__hip_bfloat16hLN4vllm18Fp8KVCacheDataTypeE1EhLi32ELi128ELi256ELb0ELi9EEvPKT_PKT0_S8_ifPKiSA_SA_iPKfiiiPfSD_PS3_PT2_iSC_SC_
		.amdhsa_group_segment_fixed_size 0
		.amdhsa_private_segment_fixed_size 64
		.amdhsa_kernarg_size 400
		.amdhsa_user_sgpr_count 2
		.amdhsa_user_sgpr_dispatch_ptr 0
		.amdhsa_user_sgpr_queue_ptr 0
		.amdhsa_user_sgpr_kernarg_segment_ptr 1
		.amdhsa_user_sgpr_dispatch_id 0
		.amdhsa_user_sgpr_kernarg_preload_length 0
		.amdhsa_user_sgpr_kernarg_preload_offset 0
		.amdhsa_user_sgpr_private_segment_size 0
		.amdhsa_wavefront_size32 1
		.amdhsa_uses_dynamic_stack 0
		.amdhsa_enable_private_segment 1
		.amdhsa_system_sgpr_workgroup_id_x 1
		.amdhsa_system_sgpr_workgroup_id_y 0
		.amdhsa_system_sgpr_workgroup_id_z 0
		.amdhsa_system_sgpr_workgroup_info 0
		.amdhsa_system_vgpr_workitem_id 0
		.amdhsa_next_free_vgpr 51
		.amdhsa_next_free_sgpr 34
		.amdhsa_named_barrier_count 0
		.amdhsa_reserve_vcc 1
		.amdhsa_float_round_mode_32 0
		.amdhsa_float_round_mode_16_64 0
		.amdhsa_float_denorm_mode_32 3
		.amdhsa_float_denorm_mode_16_64 3
		.amdhsa_fp16_overflow 0
		.amdhsa_memory_ordered 1
		.amdhsa_forward_progress 1
		.amdhsa_inst_pref_size 1
		.amdhsa_round_robin_scheduling 0
		.amdhsa_exception_fp_ieee_invalid_op 0
		.amdhsa_exception_fp_denorm_src 0
		.amdhsa_exception_fp_ieee_div_zero 0
		.amdhsa_exception_fp_ieee_overflow 0
		.amdhsa_exception_fp_ieee_underflow 0
		.amdhsa_exception_fp_ieee_inexact 0
		.amdhsa_exception_int_div_zero 0
	.end_amdhsa_kernel
	.section	.text._Z39paged_attention_ll4mi_QKV_mfma16_kernelI14__hip_bfloat16hLN4vllm18Fp8KVCacheDataTypeE1EhLi32ELi128ELi256ELb0ELi9EEvPKT_PKT0_S8_ifPKiSA_SA_iPKfiiiPfSD_PS3_PT2_iSC_SC_,"axG",@progbits,_Z39paged_attention_ll4mi_QKV_mfma16_kernelI14__hip_bfloat16hLN4vllm18Fp8KVCacheDataTypeE1EhLi32ELi128ELi256ELb0ELi9EEvPKT_PKT0_S8_ifPKiSA_SA_iPKfiiiPfSD_PS3_PT2_iSC_SC_,comdat
.Lfunc_end1358:
	.size	_Z39paged_attention_ll4mi_QKV_mfma16_kernelI14__hip_bfloat16hLN4vllm18Fp8KVCacheDataTypeE1EhLi32ELi128ELi256ELb0ELi9EEvPKT_PKT0_S8_ifPKiSA_SA_iPKfiiiPfSD_PS3_PT2_iSC_SC_, .Lfunc_end1358-_Z39paged_attention_ll4mi_QKV_mfma16_kernelI14__hip_bfloat16hLN4vllm18Fp8KVCacheDataTypeE1EhLi32ELi128ELi256ELb0ELi9EEvPKT_PKT0_S8_ifPKiSA_SA_iPKfiiiPfSD_PS3_PT2_iSC_SC_
                                        ; -- End function
	.set _Z39paged_attention_ll4mi_QKV_mfma16_kernelI14__hip_bfloat16hLN4vllm18Fp8KVCacheDataTypeE1EhLi32ELi128ELi256ELb0ELi9EEvPKT_PKT0_S8_ifPKiSA_SA_iPKfiiiPfSD_PS3_PT2_iSC_SC_.num_vgpr, max(3, .L__assert_fail.num_vgpr)
	.set _Z39paged_attention_ll4mi_QKV_mfma16_kernelI14__hip_bfloat16hLN4vllm18Fp8KVCacheDataTypeE1EhLi32ELi128ELi256ELb0ELi9EEvPKT_PKT0_S8_ifPKiSA_SA_iPKfiiiPfSD_PS3_PT2_iSC_SC_.num_agpr, max(0, .L__assert_fail.num_agpr)
	.set _Z39paged_attention_ll4mi_QKV_mfma16_kernelI14__hip_bfloat16hLN4vllm18Fp8KVCacheDataTypeE1EhLi32ELi128ELi256ELb0ELi9EEvPKT_PKT0_S8_ifPKiSA_SA_iPKfiiiPfSD_PS3_PT2_iSC_SC_.numbered_sgpr, max(33, .L__assert_fail.numbered_sgpr)
	.set _Z39paged_attention_ll4mi_QKV_mfma16_kernelI14__hip_bfloat16hLN4vllm18Fp8KVCacheDataTypeE1EhLi32ELi128ELi256ELb0ELi9EEvPKT_PKT0_S8_ifPKiSA_SA_iPKfiiiPfSD_PS3_PT2_iSC_SC_.num_named_barrier, max(0, .L__assert_fail.num_named_barrier)
	.set _Z39paged_attention_ll4mi_QKV_mfma16_kernelI14__hip_bfloat16hLN4vllm18Fp8KVCacheDataTypeE1EhLi32ELi128ELi256ELb0ELi9EEvPKT_PKT0_S8_ifPKiSA_SA_iPKfiiiPfSD_PS3_PT2_iSC_SC_.private_seg_size, 0+max(.L__assert_fail.private_seg_size)
	.set _Z39paged_attention_ll4mi_QKV_mfma16_kernelI14__hip_bfloat16hLN4vllm18Fp8KVCacheDataTypeE1EhLi32ELi128ELi256ELb0ELi9EEvPKT_PKT0_S8_ifPKiSA_SA_iPKfiiiPfSD_PS3_PT2_iSC_SC_.uses_vcc, or(1, .L__assert_fail.uses_vcc)
	.set _Z39paged_attention_ll4mi_QKV_mfma16_kernelI14__hip_bfloat16hLN4vllm18Fp8KVCacheDataTypeE1EhLi32ELi128ELi256ELb0ELi9EEvPKT_PKT0_S8_ifPKiSA_SA_iPKfiiiPfSD_PS3_PT2_iSC_SC_.uses_flat_scratch, or(0, .L__assert_fail.uses_flat_scratch)
	.set _Z39paged_attention_ll4mi_QKV_mfma16_kernelI14__hip_bfloat16hLN4vllm18Fp8KVCacheDataTypeE1EhLi32ELi128ELi256ELb0ELi9EEvPKT_PKT0_S8_ifPKiSA_SA_iPKfiiiPfSD_PS3_PT2_iSC_SC_.has_dyn_sized_stack, or(0, .L__assert_fail.has_dyn_sized_stack)
	.set _Z39paged_attention_ll4mi_QKV_mfma16_kernelI14__hip_bfloat16hLN4vllm18Fp8KVCacheDataTypeE1EhLi32ELi128ELi256ELb0ELi9EEvPKT_PKT0_S8_ifPKiSA_SA_iPKfiiiPfSD_PS3_PT2_iSC_SC_.has_recursion, or(0, .L__assert_fail.has_recursion)
	.set _Z39paged_attention_ll4mi_QKV_mfma16_kernelI14__hip_bfloat16hLN4vllm18Fp8KVCacheDataTypeE1EhLi32ELi128ELi256ELb0ELi9EEvPKT_PKT0_S8_ifPKiSA_SA_iPKfiiiPfSD_PS3_PT2_iSC_SC_.has_indirect_call, or(0, .L__assert_fail.has_indirect_call)
	.section	.AMDGPU.csdata,"",@progbits
; Kernel info:
; codeLenInByte = 68
; TotalNumSgprs: 36
; NumVgprs: 51
; ScratchSize: 64
; MemoryBound: 0
; FloatMode: 240
; IeeeMode: 1
; LDSByteSize: 0 bytes/workgroup (compile time only)
; SGPRBlocks: 0
; VGPRBlocks: 3
; NumSGPRsForWavesPerEU: 36
; NumVGPRsForWavesPerEU: 51
; NamedBarCnt: 0
; Occupancy: 16
; WaveLimiterHint : 1
; COMPUTE_PGM_RSRC2:SCRATCH_EN: 1
; COMPUTE_PGM_RSRC2:USER_SGPR: 2
; COMPUTE_PGM_RSRC2:TRAP_HANDLER: 0
; COMPUTE_PGM_RSRC2:TGID_X_EN: 1
; COMPUTE_PGM_RSRC2:TGID_Y_EN: 0
; COMPUTE_PGM_RSRC2:TGID_Z_EN: 0
; COMPUTE_PGM_RSRC2:TIDIG_COMP_CNT: 0
	.section	.text._Z39paged_attention_ll4mi_QKV_mfma16_kernelI14__hip_bfloat16hLN4vllm18Fp8KVCacheDataTypeE1EhLi32ELi128ELi256ELb0ELi10EEvPKT_PKT0_S8_ifPKiSA_SA_iPKfiiiPfSD_PS3_PT2_iSC_SC_,"axG",@progbits,_Z39paged_attention_ll4mi_QKV_mfma16_kernelI14__hip_bfloat16hLN4vllm18Fp8KVCacheDataTypeE1EhLi32ELi128ELi256ELb0ELi10EEvPKT_PKT0_S8_ifPKiSA_SA_iPKfiiiPfSD_PS3_PT2_iSC_SC_,comdat
	.protected	_Z39paged_attention_ll4mi_QKV_mfma16_kernelI14__hip_bfloat16hLN4vllm18Fp8KVCacheDataTypeE1EhLi32ELi128ELi256ELb0ELi10EEvPKT_PKT0_S8_ifPKiSA_SA_iPKfiiiPfSD_PS3_PT2_iSC_SC_ ; -- Begin function _Z39paged_attention_ll4mi_QKV_mfma16_kernelI14__hip_bfloat16hLN4vllm18Fp8KVCacheDataTypeE1EhLi32ELi128ELi256ELb0ELi10EEvPKT_PKT0_S8_ifPKiSA_SA_iPKfiiiPfSD_PS3_PT2_iSC_SC_
	.globl	_Z39paged_attention_ll4mi_QKV_mfma16_kernelI14__hip_bfloat16hLN4vllm18Fp8KVCacheDataTypeE1EhLi32ELi128ELi256ELb0ELi10EEvPKT_PKT0_S8_ifPKiSA_SA_iPKfiiiPfSD_PS3_PT2_iSC_SC_
	.p2align	8
	.type	_Z39paged_attention_ll4mi_QKV_mfma16_kernelI14__hip_bfloat16hLN4vllm18Fp8KVCacheDataTypeE1EhLi32ELi128ELi256ELb0ELi10EEvPKT_PKT0_S8_ifPKiSA_SA_iPKfiiiPfSD_PS3_PT2_iSC_SC_,@function
_Z39paged_attention_ll4mi_QKV_mfma16_kernelI14__hip_bfloat16hLN4vllm18Fp8KVCacheDataTypeE1EhLi32ELi128ELi256ELb0ELi10EEvPKT_PKT0_S8_ifPKiSA_SA_iPKfiiiPfSD_PS3_PT2_iSC_SC_: ; @_Z39paged_attention_ll4mi_QKV_mfma16_kernelI14__hip_bfloat16hLN4vllm18Fp8KVCacheDataTypeE1EhLi32ELi128ELi256ELb0ELi10EEvPKT_PKT0_S8_ifPKiSA_SA_iPKfiiiPfSD_PS3_PT2_iSC_SC_
; %bb.0:
	s_get_pc_i64 s[2:3]
	s_add_nc_u64 s[2:3], s[2:3], __PRETTY_FUNCTION__._Z39paged_attention_ll4mi_QKV_mfma16_kernelI14__hip_bfloat16hLN4vllm18Fp8KVCacheDataTypeE1EhLi32ELi128ELi256ELb0ELi10EEvPKT_PKT0_S8_ifPKiSA_SA_iPKfiiiPfSD_PS3_PT2_iSC_SC_@rel64+4
	s_delay_alu instid0(SALU_CYCLE_1)
	v_dual_mov_b32 v0, 0xbb3 :: v_dual_mov_b32 v1, s2
	v_mov_b32_e32 v2, s3
	s_add_nc_u64 s[8:9], s[0:1], 0x90
	s_get_pc_i64 s[0:1]
	s_add_nc_u64 s[0:1], s[0:1], __assert_fail@rel64+4
	s_mov_b32 s32, 0
	s_swap_pc_i64 s[30:31], s[0:1]
	.section	.rodata,"a",@progbits
	.p2align	6, 0x0
	.amdhsa_kernel _Z39paged_attention_ll4mi_QKV_mfma16_kernelI14__hip_bfloat16hLN4vllm18Fp8KVCacheDataTypeE1EhLi32ELi128ELi256ELb0ELi10EEvPKT_PKT0_S8_ifPKiSA_SA_iPKfiiiPfSD_PS3_PT2_iSC_SC_
		.amdhsa_group_segment_fixed_size 0
		.amdhsa_private_segment_fixed_size 64
		.amdhsa_kernarg_size 400
		.amdhsa_user_sgpr_count 2
		.amdhsa_user_sgpr_dispatch_ptr 0
		.amdhsa_user_sgpr_queue_ptr 0
		.amdhsa_user_sgpr_kernarg_segment_ptr 1
		.amdhsa_user_sgpr_dispatch_id 0
		.amdhsa_user_sgpr_kernarg_preload_length 0
		.amdhsa_user_sgpr_kernarg_preload_offset 0
		.amdhsa_user_sgpr_private_segment_size 0
		.amdhsa_wavefront_size32 1
		.amdhsa_uses_dynamic_stack 0
		.amdhsa_enable_private_segment 1
		.amdhsa_system_sgpr_workgroup_id_x 1
		.amdhsa_system_sgpr_workgroup_id_y 0
		.amdhsa_system_sgpr_workgroup_id_z 0
		.amdhsa_system_sgpr_workgroup_info 0
		.amdhsa_system_vgpr_workitem_id 0
		.amdhsa_next_free_vgpr 51
		.amdhsa_next_free_sgpr 34
		.amdhsa_named_barrier_count 0
		.amdhsa_reserve_vcc 1
		.amdhsa_float_round_mode_32 0
		.amdhsa_float_round_mode_16_64 0
		.amdhsa_float_denorm_mode_32 3
		.amdhsa_float_denorm_mode_16_64 3
		.amdhsa_fp16_overflow 0
		.amdhsa_memory_ordered 1
		.amdhsa_forward_progress 1
		.amdhsa_inst_pref_size 1
		.amdhsa_round_robin_scheduling 0
		.amdhsa_exception_fp_ieee_invalid_op 0
		.amdhsa_exception_fp_denorm_src 0
		.amdhsa_exception_fp_ieee_div_zero 0
		.amdhsa_exception_fp_ieee_overflow 0
		.amdhsa_exception_fp_ieee_underflow 0
		.amdhsa_exception_fp_ieee_inexact 0
		.amdhsa_exception_int_div_zero 0
	.end_amdhsa_kernel
	.section	.text._Z39paged_attention_ll4mi_QKV_mfma16_kernelI14__hip_bfloat16hLN4vllm18Fp8KVCacheDataTypeE1EhLi32ELi128ELi256ELb0ELi10EEvPKT_PKT0_S8_ifPKiSA_SA_iPKfiiiPfSD_PS3_PT2_iSC_SC_,"axG",@progbits,_Z39paged_attention_ll4mi_QKV_mfma16_kernelI14__hip_bfloat16hLN4vllm18Fp8KVCacheDataTypeE1EhLi32ELi128ELi256ELb0ELi10EEvPKT_PKT0_S8_ifPKiSA_SA_iPKfiiiPfSD_PS3_PT2_iSC_SC_,comdat
.Lfunc_end1359:
	.size	_Z39paged_attention_ll4mi_QKV_mfma16_kernelI14__hip_bfloat16hLN4vllm18Fp8KVCacheDataTypeE1EhLi32ELi128ELi256ELb0ELi10EEvPKT_PKT0_S8_ifPKiSA_SA_iPKfiiiPfSD_PS3_PT2_iSC_SC_, .Lfunc_end1359-_Z39paged_attention_ll4mi_QKV_mfma16_kernelI14__hip_bfloat16hLN4vllm18Fp8KVCacheDataTypeE1EhLi32ELi128ELi256ELb0ELi10EEvPKT_PKT0_S8_ifPKiSA_SA_iPKfiiiPfSD_PS3_PT2_iSC_SC_
                                        ; -- End function
	.set _Z39paged_attention_ll4mi_QKV_mfma16_kernelI14__hip_bfloat16hLN4vllm18Fp8KVCacheDataTypeE1EhLi32ELi128ELi256ELb0ELi10EEvPKT_PKT0_S8_ifPKiSA_SA_iPKfiiiPfSD_PS3_PT2_iSC_SC_.num_vgpr, max(3, .L__assert_fail.num_vgpr)
	.set _Z39paged_attention_ll4mi_QKV_mfma16_kernelI14__hip_bfloat16hLN4vllm18Fp8KVCacheDataTypeE1EhLi32ELi128ELi256ELb0ELi10EEvPKT_PKT0_S8_ifPKiSA_SA_iPKfiiiPfSD_PS3_PT2_iSC_SC_.num_agpr, max(0, .L__assert_fail.num_agpr)
	.set _Z39paged_attention_ll4mi_QKV_mfma16_kernelI14__hip_bfloat16hLN4vllm18Fp8KVCacheDataTypeE1EhLi32ELi128ELi256ELb0ELi10EEvPKT_PKT0_S8_ifPKiSA_SA_iPKfiiiPfSD_PS3_PT2_iSC_SC_.numbered_sgpr, max(33, .L__assert_fail.numbered_sgpr)
	.set _Z39paged_attention_ll4mi_QKV_mfma16_kernelI14__hip_bfloat16hLN4vllm18Fp8KVCacheDataTypeE1EhLi32ELi128ELi256ELb0ELi10EEvPKT_PKT0_S8_ifPKiSA_SA_iPKfiiiPfSD_PS3_PT2_iSC_SC_.num_named_barrier, max(0, .L__assert_fail.num_named_barrier)
	.set _Z39paged_attention_ll4mi_QKV_mfma16_kernelI14__hip_bfloat16hLN4vllm18Fp8KVCacheDataTypeE1EhLi32ELi128ELi256ELb0ELi10EEvPKT_PKT0_S8_ifPKiSA_SA_iPKfiiiPfSD_PS3_PT2_iSC_SC_.private_seg_size, 0+max(.L__assert_fail.private_seg_size)
	.set _Z39paged_attention_ll4mi_QKV_mfma16_kernelI14__hip_bfloat16hLN4vllm18Fp8KVCacheDataTypeE1EhLi32ELi128ELi256ELb0ELi10EEvPKT_PKT0_S8_ifPKiSA_SA_iPKfiiiPfSD_PS3_PT2_iSC_SC_.uses_vcc, or(1, .L__assert_fail.uses_vcc)
	.set _Z39paged_attention_ll4mi_QKV_mfma16_kernelI14__hip_bfloat16hLN4vllm18Fp8KVCacheDataTypeE1EhLi32ELi128ELi256ELb0ELi10EEvPKT_PKT0_S8_ifPKiSA_SA_iPKfiiiPfSD_PS3_PT2_iSC_SC_.uses_flat_scratch, or(0, .L__assert_fail.uses_flat_scratch)
	.set _Z39paged_attention_ll4mi_QKV_mfma16_kernelI14__hip_bfloat16hLN4vllm18Fp8KVCacheDataTypeE1EhLi32ELi128ELi256ELb0ELi10EEvPKT_PKT0_S8_ifPKiSA_SA_iPKfiiiPfSD_PS3_PT2_iSC_SC_.has_dyn_sized_stack, or(0, .L__assert_fail.has_dyn_sized_stack)
	.set _Z39paged_attention_ll4mi_QKV_mfma16_kernelI14__hip_bfloat16hLN4vllm18Fp8KVCacheDataTypeE1EhLi32ELi128ELi256ELb0ELi10EEvPKT_PKT0_S8_ifPKiSA_SA_iPKfiiiPfSD_PS3_PT2_iSC_SC_.has_recursion, or(0, .L__assert_fail.has_recursion)
	.set _Z39paged_attention_ll4mi_QKV_mfma16_kernelI14__hip_bfloat16hLN4vllm18Fp8KVCacheDataTypeE1EhLi32ELi128ELi256ELb0ELi10EEvPKT_PKT0_S8_ifPKiSA_SA_iPKfiiiPfSD_PS3_PT2_iSC_SC_.has_indirect_call, or(0, .L__assert_fail.has_indirect_call)
	.section	.AMDGPU.csdata,"",@progbits
; Kernel info:
; codeLenInByte = 68
; TotalNumSgprs: 36
; NumVgprs: 51
; ScratchSize: 64
; MemoryBound: 0
; FloatMode: 240
; IeeeMode: 1
; LDSByteSize: 0 bytes/workgroup (compile time only)
; SGPRBlocks: 0
; VGPRBlocks: 3
; NumSGPRsForWavesPerEU: 36
; NumVGPRsForWavesPerEU: 51
; NamedBarCnt: 0
; Occupancy: 16
; WaveLimiterHint : 1
; COMPUTE_PGM_RSRC2:SCRATCH_EN: 1
; COMPUTE_PGM_RSRC2:USER_SGPR: 2
; COMPUTE_PGM_RSRC2:TRAP_HANDLER: 0
; COMPUTE_PGM_RSRC2:TGID_X_EN: 1
; COMPUTE_PGM_RSRC2:TGID_Y_EN: 0
; COMPUTE_PGM_RSRC2:TGID_Z_EN: 0
; COMPUTE_PGM_RSRC2:TIDIG_COMP_CNT: 0
	.section	.text._Z39paged_attention_ll4mi_QKV_mfma16_kernelI14__hip_bfloat16hLN4vllm18Fp8KVCacheDataTypeE1EhLi32ELi128ELi256ELb0ELi11EEvPKT_PKT0_S8_ifPKiSA_SA_iPKfiiiPfSD_PS3_PT2_iSC_SC_,"axG",@progbits,_Z39paged_attention_ll4mi_QKV_mfma16_kernelI14__hip_bfloat16hLN4vllm18Fp8KVCacheDataTypeE1EhLi32ELi128ELi256ELb0ELi11EEvPKT_PKT0_S8_ifPKiSA_SA_iPKfiiiPfSD_PS3_PT2_iSC_SC_,comdat
	.protected	_Z39paged_attention_ll4mi_QKV_mfma16_kernelI14__hip_bfloat16hLN4vllm18Fp8KVCacheDataTypeE1EhLi32ELi128ELi256ELb0ELi11EEvPKT_PKT0_S8_ifPKiSA_SA_iPKfiiiPfSD_PS3_PT2_iSC_SC_ ; -- Begin function _Z39paged_attention_ll4mi_QKV_mfma16_kernelI14__hip_bfloat16hLN4vllm18Fp8KVCacheDataTypeE1EhLi32ELi128ELi256ELb0ELi11EEvPKT_PKT0_S8_ifPKiSA_SA_iPKfiiiPfSD_PS3_PT2_iSC_SC_
	.globl	_Z39paged_attention_ll4mi_QKV_mfma16_kernelI14__hip_bfloat16hLN4vllm18Fp8KVCacheDataTypeE1EhLi32ELi128ELi256ELb0ELi11EEvPKT_PKT0_S8_ifPKiSA_SA_iPKfiiiPfSD_PS3_PT2_iSC_SC_
	.p2align	8
	.type	_Z39paged_attention_ll4mi_QKV_mfma16_kernelI14__hip_bfloat16hLN4vllm18Fp8KVCacheDataTypeE1EhLi32ELi128ELi256ELb0ELi11EEvPKT_PKT0_S8_ifPKiSA_SA_iPKfiiiPfSD_PS3_PT2_iSC_SC_,@function
_Z39paged_attention_ll4mi_QKV_mfma16_kernelI14__hip_bfloat16hLN4vllm18Fp8KVCacheDataTypeE1EhLi32ELi128ELi256ELb0ELi11EEvPKT_PKT0_S8_ifPKiSA_SA_iPKfiiiPfSD_PS3_PT2_iSC_SC_: ; @_Z39paged_attention_ll4mi_QKV_mfma16_kernelI14__hip_bfloat16hLN4vllm18Fp8KVCacheDataTypeE1EhLi32ELi128ELi256ELb0ELi11EEvPKT_PKT0_S8_ifPKiSA_SA_iPKfiiiPfSD_PS3_PT2_iSC_SC_
; %bb.0:
	s_get_pc_i64 s[2:3]
	s_add_nc_u64 s[2:3], s[2:3], __PRETTY_FUNCTION__._Z39paged_attention_ll4mi_QKV_mfma16_kernelI14__hip_bfloat16hLN4vllm18Fp8KVCacheDataTypeE1EhLi32ELi128ELi256ELb0ELi11EEvPKT_PKT0_S8_ifPKiSA_SA_iPKfiiiPfSD_PS3_PT2_iSC_SC_@rel64+4
	s_delay_alu instid0(SALU_CYCLE_1)
	v_dual_mov_b32 v0, 0xbb3 :: v_dual_mov_b32 v1, s2
	v_mov_b32_e32 v2, s3
	s_add_nc_u64 s[8:9], s[0:1], 0x90
	s_get_pc_i64 s[0:1]
	s_add_nc_u64 s[0:1], s[0:1], __assert_fail@rel64+4
	s_mov_b32 s32, 0
	s_swap_pc_i64 s[30:31], s[0:1]
	.section	.rodata,"a",@progbits
	.p2align	6, 0x0
	.amdhsa_kernel _Z39paged_attention_ll4mi_QKV_mfma16_kernelI14__hip_bfloat16hLN4vllm18Fp8KVCacheDataTypeE1EhLi32ELi128ELi256ELb0ELi11EEvPKT_PKT0_S8_ifPKiSA_SA_iPKfiiiPfSD_PS3_PT2_iSC_SC_
		.amdhsa_group_segment_fixed_size 0
		.amdhsa_private_segment_fixed_size 64
		.amdhsa_kernarg_size 400
		.amdhsa_user_sgpr_count 2
		.amdhsa_user_sgpr_dispatch_ptr 0
		.amdhsa_user_sgpr_queue_ptr 0
		.amdhsa_user_sgpr_kernarg_segment_ptr 1
		.amdhsa_user_sgpr_dispatch_id 0
		.amdhsa_user_sgpr_kernarg_preload_length 0
		.amdhsa_user_sgpr_kernarg_preload_offset 0
		.amdhsa_user_sgpr_private_segment_size 0
		.amdhsa_wavefront_size32 1
		.amdhsa_uses_dynamic_stack 0
		.amdhsa_enable_private_segment 1
		.amdhsa_system_sgpr_workgroup_id_x 1
		.amdhsa_system_sgpr_workgroup_id_y 0
		.amdhsa_system_sgpr_workgroup_id_z 0
		.amdhsa_system_sgpr_workgroup_info 0
		.amdhsa_system_vgpr_workitem_id 0
		.amdhsa_next_free_vgpr 51
		.amdhsa_next_free_sgpr 34
		.amdhsa_named_barrier_count 0
		.amdhsa_reserve_vcc 1
		.amdhsa_float_round_mode_32 0
		.amdhsa_float_round_mode_16_64 0
		.amdhsa_float_denorm_mode_32 3
		.amdhsa_float_denorm_mode_16_64 3
		.amdhsa_fp16_overflow 0
		.amdhsa_memory_ordered 1
		.amdhsa_forward_progress 1
		.amdhsa_inst_pref_size 1
		.amdhsa_round_robin_scheduling 0
		.amdhsa_exception_fp_ieee_invalid_op 0
		.amdhsa_exception_fp_denorm_src 0
		.amdhsa_exception_fp_ieee_div_zero 0
		.amdhsa_exception_fp_ieee_overflow 0
		.amdhsa_exception_fp_ieee_underflow 0
		.amdhsa_exception_fp_ieee_inexact 0
		.amdhsa_exception_int_div_zero 0
	.end_amdhsa_kernel
	.section	.text._Z39paged_attention_ll4mi_QKV_mfma16_kernelI14__hip_bfloat16hLN4vllm18Fp8KVCacheDataTypeE1EhLi32ELi128ELi256ELb0ELi11EEvPKT_PKT0_S8_ifPKiSA_SA_iPKfiiiPfSD_PS3_PT2_iSC_SC_,"axG",@progbits,_Z39paged_attention_ll4mi_QKV_mfma16_kernelI14__hip_bfloat16hLN4vllm18Fp8KVCacheDataTypeE1EhLi32ELi128ELi256ELb0ELi11EEvPKT_PKT0_S8_ifPKiSA_SA_iPKfiiiPfSD_PS3_PT2_iSC_SC_,comdat
.Lfunc_end1360:
	.size	_Z39paged_attention_ll4mi_QKV_mfma16_kernelI14__hip_bfloat16hLN4vllm18Fp8KVCacheDataTypeE1EhLi32ELi128ELi256ELb0ELi11EEvPKT_PKT0_S8_ifPKiSA_SA_iPKfiiiPfSD_PS3_PT2_iSC_SC_, .Lfunc_end1360-_Z39paged_attention_ll4mi_QKV_mfma16_kernelI14__hip_bfloat16hLN4vllm18Fp8KVCacheDataTypeE1EhLi32ELi128ELi256ELb0ELi11EEvPKT_PKT0_S8_ifPKiSA_SA_iPKfiiiPfSD_PS3_PT2_iSC_SC_
                                        ; -- End function
	.set _Z39paged_attention_ll4mi_QKV_mfma16_kernelI14__hip_bfloat16hLN4vllm18Fp8KVCacheDataTypeE1EhLi32ELi128ELi256ELb0ELi11EEvPKT_PKT0_S8_ifPKiSA_SA_iPKfiiiPfSD_PS3_PT2_iSC_SC_.num_vgpr, max(3, .L__assert_fail.num_vgpr)
	.set _Z39paged_attention_ll4mi_QKV_mfma16_kernelI14__hip_bfloat16hLN4vllm18Fp8KVCacheDataTypeE1EhLi32ELi128ELi256ELb0ELi11EEvPKT_PKT0_S8_ifPKiSA_SA_iPKfiiiPfSD_PS3_PT2_iSC_SC_.num_agpr, max(0, .L__assert_fail.num_agpr)
	.set _Z39paged_attention_ll4mi_QKV_mfma16_kernelI14__hip_bfloat16hLN4vllm18Fp8KVCacheDataTypeE1EhLi32ELi128ELi256ELb0ELi11EEvPKT_PKT0_S8_ifPKiSA_SA_iPKfiiiPfSD_PS3_PT2_iSC_SC_.numbered_sgpr, max(33, .L__assert_fail.numbered_sgpr)
	.set _Z39paged_attention_ll4mi_QKV_mfma16_kernelI14__hip_bfloat16hLN4vllm18Fp8KVCacheDataTypeE1EhLi32ELi128ELi256ELb0ELi11EEvPKT_PKT0_S8_ifPKiSA_SA_iPKfiiiPfSD_PS3_PT2_iSC_SC_.num_named_barrier, max(0, .L__assert_fail.num_named_barrier)
	.set _Z39paged_attention_ll4mi_QKV_mfma16_kernelI14__hip_bfloat16hLN4vllm18Fp8KVCacheDataTypeE1EhLi32ELi128ELi256ELb0ELi11EEvPKT_PKT0_S8_ifPKiSA_SA_iPKfiiiPfSD_PS3_PT2_iSC_SC_.private_seg_size, 0+max(.L__assert_fail.private_seg_size)
	.set _Z39paged_attention_ll4mi_QKV_mfma16_kernelI14__hip_bfloat16hLN4vllm18Fp8KVCacheDataTypeE1EhLi32ELi128ELi256ELb0ELi11EEvPKT_PKT0_S8_ifPKiSA_SA_iPKfiiiPfSD_PS3_PT2_iSC_SC_.uses_vcc, or(1, .L__assert_fail.uses_vcc)
	.set _Z39paged_attention_ll4mi_QKV_mfma16_kernelI14__hip_bfloat16hLN4vllm18Fp8KVCacheDataTypeE1EhLi32ELi128ELi256ELb0ELi11EEvPKT_PKT0_S8_ifPKiSA_SA_iPKfiiiPfSD_PS3_PT2_iSC_SC_.uses_flat_scratch, or(0, .L__assert_fail.uses_flat_scratch)
	.set _Z39paged_attention_ll4mi_QKV_mfma16_kernelI14__hip_bfloat16hLN4vllm18Fp8KVCacheDataTypeE1EhLi32ELi128ELi256ELb0ELi11EEvPKT_PKT0_S8_ifPKiSA_SA_iPKfiiiPfSD_PS3_PT2_iSC_SC_.has_dyn_sized_stack, or(0, .L__assert_fail.has_dyn_sized_stack)
	.set _Z39paged_attention_ll4mi_QKV_mfma16_kernelI14__hip_bfloat16hLN4vllm18Fp8KVCacheDataTypeE1EhLi32ELi128ELi256ELb0ELi11EEvPKT_PKT0_S8_ifPKiSA_SA_iPKfiiiPfSD_PS3_PT2_iSC_SC_.has_recursion, or(0, .L__assert_fail.has_recursion)
	.set _Z39paged_attention_ll4mi_QKV_mfma16_kernelI14__hip_bfloat16hLN4vllm18Fp8KVCacheDataTypeE1EhLi32ELi128ELi256ELb0ELi11EEvPKT_PKT0_S8_ifPKiSA_SA_iPKfiiiPfSD_PS3_PT2_iSC_SC_.has_indirect_call, or(0, .L__assert_fail.has_indirect_call)
	.section	.AMDGPU.csdata,"",@progbits
; Kernel info:
; codeLenInByte = 68
; TotalNumSgprs: 36
; NumVgprs: 51
; ScratchSize: 64
; MemoryBound: 0
; FloatMode: 240
; IeeeMode: 1
; LDSByteSize: 0 bytes/workgroup (compile time only)
; SGPRBlocks: 0
; VGPRBlocks: 3
; NumSGPRsForWavesPerEU: 36
; NumVGPRsForWavesPerEU: 51
; NamedBarCnt: 0
; Occupancy: 16
; WaveLimiterHint : 1
; COMPUTE_PGM_RSRC2:SCRATCH_EN: 1
; COMPUTE_PGM_RSRC2:USER_SGPR: 2
; COMPUTE_PGM_RSRC2:TRAP_HANDLER: 0
; COMPUTE_PGM_RSRC2:TGID_X_EN: 1
; COMPUTE_PGM_RSRC2:TGID_Y_EN: 0
; COMPUTE_PGM_RSRC2:TGID_Z_EN: 0
; COMPUTE_PGM_RSRC2:TIDIG_COMP_CNT: 0
	.section	.text._Z39paged_attention_ll4mi_QKV_mfma16_kernelI14__hip_bfloat16hLN4vllm18Fp8KVCacheDataTypeE1EhLi32ELi128ELi256ELb0ELi12EEvPKT_PKT0_S8_ifPKiSA_SA_iPKfiiiPfSD_PS3_PT2_iSC_SC_,"axG",@progbits,_Z39paged_attention_ll4mi_QKV_mfma16_kernelI14__hip_bfloat16hLN4vllm18Fp8KVCacheDataTypeE1EhLi32ELi128ELi256ELb0ELi12EEvPKT_PKT0_S8_ifPKiSA_SA_iPKfiiiPfSD_PS3_PT2_iSC_SC_,comdat
	.protected	_Z39paged_attention_ll4mi_QKV_mfma16_kernelI14__hip_bfloat16hLN4vllm18Fp8KVCacheDataTypeE1EhLi32ELi128ELi256ELb0ELi12EEvPKT_PKT0_S8_ifPKiSA_SA_iPKfiiiPfSD_PS3_PT2_iSC_SC_ ; -- Begin function _Z39paged_attention_ll4mi_QKV_mfma16_kernelI14__hip_bfloat16hLN4vllm18Fp8KVCacheDataTypeE1EhLi32ELi128ELi256ELb0ELi12EEvPKT_PKT0_S8_ifPKiSA_SA_iPKfiiiPfSD_PS3_PT2_iSC_SC_
	.globl	_Z39paged_attention_ll4mi_QKV_mfma16_kernelI14__hip_bfloat16hLN4vllm18Fp8KVCacheDataTypeE1EhLi32ELi128ELi256ELb0ELi12EEvPKT_PKT0_S8_ifPKiSA_SA_iPKfiiiPfSD_PS3_PT2_iSC_SC_
	.p2align	8
	.type	_Z39paged_attention_ll4mi_QKV_mfma16_kernelI14__hip_bfloat16hLN4vllm18Fp8KVCacheDataTypeE1EhLi32ELi128ELi256ELb0ELi12EEvPKT_PKT0_S8_ifPKiSA_SA_iPKfiiiPfSD_PS3_PT2_iSC_SC_,@function
_Z39paged_attention_ll4mi_QKV_mfma16_kernelI14__hip_bfloat16hLN4vllm18Fp8KVCacheDataTypeE1EhLi32ELi128ELi256ELb0ELi12EEvPKT_PKT0_S8_ifPKiSA_SA_iPKfiiiPfSD_PS3_PT2_iSC_SC_: ; @_Z39paged_attention_ll4mi_QKV_mfma16_kernelI14__hip_bfloat16hLN4vllm18Fp8KVCacheDataTypeE1EhLi32ELi128ELi256ELb0ELi12EEvPKT_PKT0_S8_ifPKiSA_SA_iPKfiiiPfSD_PS3_PT2_iSC_SC_
; %bb.0:
	s_get_pc_i64 s[2:3]
	s_add_nc_u64 s[2:3], s[2:3], __PRETTY_FUNCTION__._Z39paged_attention_ll4mi_QKV_mfma16_kernelI14__hip_bfloat16hLN4vllm18Fp8KVCacheDataTypeE1EhLi32ELi128ELi256ELb0ELi12EEvPKT_PKT0_S8_ifPKiSA_SA_iPKfiiiPfSD_PS3_PT2_iSC_SC_@rel64+4
	s_delay_alu instid0(SALU_CYCLE_1)
	v_dual_mov_b32 v0, 0xbb3 :: v_dual_mov_b32 v1, s2
	v_mov_b32_e32 v2, s3
	s_add_nc_u64 s[8:9], s[0:1], 0x90
	s_get_pc_i64 s[0:1]
	s_add_nc_u64 s[0:1], s[0:1], __assert_fail@rel64+4
	s_mov_b32 s32, 0
	s_swap_pc_i64 s[30:31], s[0:1]
	.section	.rodata,"a",@progbits
	.p2align	6, 0x0
	.amdhsa_kernel _Z39paged_attention_ll4mi_QKV_mfma16_kernelI14__hip_bfloat16hLN4vllm18Fp8KVCacheDataTypeE1EhLi32ELi128ELi256ELb0ELi12EEvPKT_PKT0_S8_ifPKiSA_SA_iPKfiiiPfSD_PS3_PT2_iSC_SC_
		.amdhsa_group_segment_fixed_size 0
		.amdhsa_private_segment_fixed_size 64
		.amdhsa_kernarg_size 400
		.amdhsa_user_sgpr_count 2
		.amdhsa_user_sgpr_dispatch_ptr 0
		.amdhsa_user_sgpr_queue_ptr 0
		.amdhsa_user_sgpr_kernarg_segment_ptr 1
		.amdhsa_user_sgpr_dispatch_id 0
		.amdhsa_user_sgpr_kernarg_preload_length 0
		.amdhsa_user_sgpr_kernarg_preload_offset 0
		.amdhsa_user_sgpr_private_segment_size 0
		.amdhsa_wavefront_size32 1
		.amdhsa_uses_dynamic_stack 0
		.amdhsa_enable_private_segment 1
		.amdhsa_system_sgpr_workgroup_id_x 1
		.amdhsa_system_sgpr_workgroup_id_y 0
		.amdhsa_system_sgpr_workgroup_id_z 0
		.amdhsa_system_sgpr_workgroup_info 0
		.amdhsa_system_vgpr_workitem_id 0
		.amdhsa_next_free_vgpr 51
		.amdhsa_next_free_sgpr 34
		.amdhsa_named_barrier_count 0
		.amdhsa_reserve_vcc 1
		.amdhsa_float_round_mode_32 0
		.amdhsa_float_round_mode_16_64 0
		.amdhsa_float_denorm_mode_32 3
		.amdhsa_float_denorm_mode_16_64 3
		.amdhsa_fp16_overflow 0
		.amdhsa_memory_ordered 1
		.amdhsa_forward_progress 1
		.amdhsa_inst_pref_size 1
		.amdhsa_round_robin_scheduling 0
		.amdhsa_exception_fp_ieee_invalid_op 0
		.amdhsa_exception_fp_denorm_src 0
		.amdhsa_exception_fp_ieee_div_zero 0
		.amdhsa_exception_fp_ieee_overflow 0
		.amdhsa_exception_fp_ieee_underflow 0
		.amdhsa_exception_fp_ieee_inexact 0
		.amdhsa_exception_int_div_zero 0
	.end_amdhsa_kernel
	.section	.text._Z39paged_attention_ll4mi_QKV_mfma16_kernelI14__hip_bfloat16hLN4vllm18Fp8KVCacheDataTypeE1EhLi32ELi128ELi256ELb0ELi12EEvPKT_PKT0_S8_ifPKiSA_SA_iPKfiiiPfSD_PS3_PT2_iSC_SC_,"axG",@progbits,_Z39paged_attention_ll4mi_QKV_mfma16_kernelI14__hip_bfloat16hLN4vllm18Fp8KVCacheDataTypeE1EhLi32ELi128ELi256ELb0ELi12EEvPKT_PKT0_S8_ifPKiSA_SA_iPKfiiiPfSD_PS3_PT2_iSC_SC_,comdat
.Lfunc_end1361:
	.size	_Z39paged_attention_ll4mi_QKV_mfma16_kernelI14__hip_bfloat16hLN4vllm18Fp8KVCacheDataTypeE1EhLi32ELi128ELi256ELb0ELi12EEvPKT_PKT0_S8_ifPKiSA_SA_iPKfiiiPfSD_PS3_PT2_iSC_SC_, .Lfunc_end1361-_Z39paged_attention_ll4mi_QKV_mfma16_kernelI14__hip_bfloat16hLN4vllm18Fp8KVCacheDataTypeE1EhLi32ELi128ELi256ELb0ELi12EEvPKT_PKT0_S8_ifPKiSA_SA_iPKfiiiPfSD_PS3_PT2_iSC_SC_
                                        ; -- End function
	.set _Z39paged_attention_ll4mi_QKV_mfma16_kernelI14__hip_bfloat16hLN4vllm18Fp8KVCacheDataTypeE1EhLi32ELi128ELi256ELb0ELi12EEvPKT_PKT0_S8_ifPKiSA_SA_iPKfiiiPfSD_PS3_PT2_iSC_SC_.num_vgpr, max(3, .L__assert_fail.num_vgpr)
	.set _Z39paged_attention_ll4mi_QKV_mfma16_kernelI14__hip_bfloat16hLN4vllm18Fp8KVCacheDataTypeE1EhLi32ELi128ELi256ELb0ELi12EEvPKT_PKT0_S8_ifPKiSA_SA_iPKfiiiPfSD_PS3_PT2_iSC_SC_.num_agpr, max(0, .L__assert_fail.num_agpr)
	.set _Z39paged_attention_ll4mi_QKV_mfma16_kernelI14__hip_bfloat16hLN4vllm18Fp8KVCacheDataTypeE1EhLi32ELi128ELi256ELb0ELi12EEvPKT_PKT0_S8_ifPKiSA_SA_iPKfiiiPfSD_PS3_PT2_iSC_SC_.numbered_sgpr, max(33, .L__assert_fail.numbered_sgpr)
	.set _Z39paged_attention_ll4mi_QKV_mfma16_kernelI14__hip_bfloat16hLN4vllm18Fp8KVCacheDataTypeE1EhLi32ELi128ELi256ELb0ELi12EEvPKT_PKT0_S8_ifPKiSA_SA_iPKfiiiPfSD_PS3_PT2_iSC_SC_.num_named_barrier, max(0, .L__assert_fail.num_named_barrier)
	.set _Z39paged_attention_ll4mi_QKV_mfma16_kernelI14__hip_bfloat16hLN4vllm18Fp8KVCacheDataTypeE1EhLi32ELi128ELi256ELb0ELi12EEvPKT_PKT0_S8_ifPKiSA_SA_iPKfiiiPfSD_PS3_PT2_iSC_SC_.private_seg_size, 0+max(.L__assert_fail.private_seg_size)
	.set _Z39paged_attention_ll4mi_QKV_mfma16_kernelI14__hip_bfloat16hLN4vllm18Fp8KVCacheDataTypeE1EhLi32ELi128ELi256ELb0ELi12EEvPKT_PKT0_S8_ifPKiSA_SA_iPKfiiiPfSD_PS3_PT2_iSC_SC_.uses_vcc, or(1, .L__assert_fail.uses_vcc)
	.set _Z39paged_attention_ll4mi_QKV_mfma16_kernelI14__hip_bfloat16hLN4vllm18Fp8KVCacheDataTypeE1EhLi32ELi128ELi256ELb0ELi12EEvPKT_PKT0_S8_ifPKiSA_SA_iPKfiiiPfSD_PS3_PT2_iSC_SC_.uses_flat_scratch, or(0, .L__assert_fail.uses_flat_scratch)
	.set _Z39paged_attention_ll4mi_QKV_mfma16_kernelI14__hip_bfloat16hLN4vllm18Fp8KVCacheDataTypeE1EhLi32ELi128ELi256ELb0ELi12EEvPKT_PKT0_S8_ifPKiSA_SA_iPKfiiiPfSD_PS3_PT2_iSC_SC_.has_dyn_sized_stack, or(0, .L__assert_fail.has_dyn_sized_stack)
	.set _Z39paged_attention_ll4mi_QKV_mfma16_kernelI14__hip_bfloat16hLN4vllm18Fp8KVCacheDataTypeE1EhLi32ELi128ELi256ELb0ELi12EEvPKT_PKT0_S8_ifPKiSA_SA_iPKfiiiPfSD_PS3_PT2_iSC_SC_.has_recursion, or(0, .L__assert_fail.has_recursion)
	.set _Z39paged_attention_ll4mi_QKV_mfma16_kernelI14__hip_bfloat16hLN4vllm18Fp8KVCacheDataTypeE1EhLi32ELi128ELi256ELb0ELi12EEvPKT_PKT0_S8_ifPKiSA_SA_iPKfiiiPfSD_PS3_PT2_iSC_SC_.has_indirect_call, or(0, .L__assert_fail.has_indirect_call)
	.section	.AMDGPU.csdata,"",@progbits
; Kernel info:
; codeLenInByte = 68
; TotalNumSgprs: 36
; NumVgprs: 51
; ScratchSize: 64
; MemoryBound: 0
; FloatMode: 240
; IeeeMode: 1
; LDSByteSize: 0 bytes/workgroup (compile time only)
; SGPRBlocks: 0
; VGPRBlocks: 3
; NumSGPRsForWavesPerEU: 36
; NumVGPRsForWavesPerEU: 51
; NamedBarCnt: 0
; Occupancy: 16
; WaveLimiterHint : 1
; COMPUTE_PGM_RSRC2:SCRATCH_EN: 1
; COMPUTE_PGM_RSRC2:USER_SGPR: 2
; COMPUTE_PGM_RSRC2:TRAP_HANDLER: 0
; COMPUTE_PGM_RSRC2:TGID_X_EN: 1
; COMPUTE_PGM_RSRC2:TGID_Y_EN: 0
; COMPUTE_PGM_RSRC2:TGID_Z_EN: 0
; COMPUTE_PGM_RSRC2:TIDIG_COMP_CNT: 0
	.section	.text._Z39paged_attention_ll4mi_QKV_mfma16_kernelI14__hip_bfloat16hLN4vllm18Fp8KVCacheDataTypeE1EhLi32ELi128ELi256ELb0ELi13EEvPKT_PKT0_S8_ifPKiSA_SA_iPKfiiiPfSD_PS3_PT2_iSC_SC_,"axG",@progbits,_Z39paged_attention_ll4mi_QKV_mfma16_kernelI14__hip_bfloat16hLN4vllm18Fp8KVCacheDataTypeE1EhLi32ELi128ELi256ELb0ELi13EEvPKT_PKT0_S8_ifPKiSA_SA_iPKfiiiPfSD_PS3_PT2_iSC_SC_,comdat
	.protected	_Z39paged_attention_ll4mi_QKV_mfma16_kernelI14__hip_bfloat16hLN4vllm18Fp8KVCacheDataTypeE1EhLi32ELi128ELi256ELb0ELi13EEvPKT_PKT0_S8_ifPKiSA_SA_iPKfiiiPfSD_PS3_PT2_iSC_SC_ ; -- Begin function _Z39paged_attention_ll4mi_QKV_mfma16_kernelI14__hip_bfloat16hLN4vllm18Fp8KVCacheDataTypeE1EhLi32ELi128ELi256ELb0ELi13EEvPKT_PKT0_S8_ifPKiSA_SA_iPKfiiiPfSD_PS3_PT2_iSC_SC_
	.globl	_Z39paged_attention_ll4mi_QKV_mfma16_kernelI14__hip_bfloat16hLN4vllm18Fp8KVCacheDataTypeE1EhLi32ELi128ELi256ELb0ELi13EEvPKT_PKT0_S8_ifPKiSA_SA_iPKfiiiPfSD_PS3_PT2_iSC_SC_
	.p2align	8
	.type	_Z39paged_attention_ll4mi_QKV_mfma16_kernelI14__hip_bfloat16hLN4vllm18Fp8KVCacheDataTypeE1EhLi32ELi128ELi256ELb0ELi13EEvPKT_PKT0_S8_ifPKiSA_SA_iPKfiiiPfSD_PS3_PT2_iSC_SC_,@function
_Z39paged_attention_ll4mi_QKV_mfma16_kernelI14__hip_bfloat16hLN4vllm18Fp8KVCacheDataTypeE1EhLi32ELi128ELi256ELb0ELi13EEvPKT_PKT0_S8_ifPKiSA_SA_iPKfiiiPfSD_PS3_PT2_iSC_SC_: ; @_Z39paged_attention_ll4mi_QKV_mfma16_kernelI14__hip_bfloat16hLN4vllm18Fp8KVCacheDataTypeE1EhLi32ELi128ELi256ELb0ELi13EEvPKT_PKT0_S8_ifPKiSA_SA_iPKfiiiPfSD_PS3_PT2_iSC_SC_
; %bb.0:
	s_get_pc_i64 s[2:3]
	s_add_nc_u64 s[2:3], s[2:3], __PRETTY_FUNCTION__._Z39paged_attention_ll4mi_QKV_mfma16_kernelI14__hip_bfloat16hLN4vllm18Fp8KVCacheDataTypeE1EhLi32ELi128ELi256ELb0ELi13EEvPKT_PKT0_S8_ifPKiSA_SA_iPKfiiiPfSD_PS3_PT2_iSC_SC_@rel64+4
	s_delay_alu instid0(SALU_CYCLE_1)
	v_dual_mov_b32 v0, 0xbb3 :: v_dual_mov_b32 v1, s2
	v_mov_b32_e32 v2, s3
	s_add_nc_u64 s[8:9], s[0:1], 0x90
	s_get_pc_i64 s[0:1]
	s_add_nc_u64 s[0:1], s[0:1], __assert_fail@rel64+4
	s_mov_b32 s32, 0
	s_swap_pc_i64 s[30:31], s[0:1]
	.section	.rodata,"a",@progbits
	.p2align	6, 0x0
	.amdhsa_kernel _Z39paged_attention_ll4mi_QKV_mfma16_kernelI14__hip_bfloat16hLN4vllm18Fp8KVCacheDataTypeE1EhLi32ELi128ELi256ELb0ELi13EEvPKT_PKT0_S8_ifPKiSA_SA_iPKfiiiPfSD_PS3_PT2_iSC_SC_
		.amdhsa_group_segment_fixed_size 0
		.amdhsa_private_segment_fixed_size 64
		.amdhsa_kernarg_size 400
		.amdhsa_user_sgpr_count 2
		.amdhsa_user_sgpr_dispatch_ptr 0
		.amdhsa_user_sgpr_queue_ptr 0
		.amdhsa_user_sgpr_kernarg_segment_ptr 1
		.amdhsa_user_sgpr_dispatch_id 0
		.amdhsa_user_sgpr_kernarg_preload_length 0
		.amdhsa_user_sgpr_kernarg_preload_offset 0
		.amdhsa_user_sgpr_private_segment_size 0
		.amdhsa_wavefront_size32 1
		.amdhsa_uses_dynamic_stack 0
		.amdhsa_enable_private_segment 1
		.amdhsa_system_sgpr_workgroup_id_x 1
		.amdhsa_system_sgpr_workgroup_id_y 0
		.amdhsa_system_sgpr_workgroup_id_z 0
		.amdhsa_system_sgpr_workgroup_info 0
		.amdhsa_system_vgpr_workitem_id 0
		.amdhsa_next_free_vgpr 51
		.amdhsa_next_free_sgpr 34
		.amdhsa_named_barrier_count 0
		.amdhsa_reserve_vcc 1
		.amdhsa_float_round_mode_32 0
		.amdhsa_float_round_mode_16_64 0
		.amdhsa_float_denorm_mode_32 3
		.amdhsa_float_denorm_mode_16_64 3
		.amdhsa_fp16_overflow 0
		.amdhsa_memory_ordered 1
		.amdhsa_forward_progress 1
		.amdhsa_inst_pref_size 1
		.amdhsa_round_robin_scheduling 0
		.amdhsa_exception_fp_ieee_invalid_op 0
		.amdhsa_exception_fp_denorm_src 0
		.amdhsa_exception_fp_ieee_div_zero 0
		.amdhsa_exception_fp_ieee_overflow 0
		.amdhsa_exception_fp_ieee_underflow 0
		.amdhsa_exception_fp_ieee_inexact 0
		.amdhsa_exception_int_div_zero 0
	.end_amdhsa_kernel
	.section	.text._Z39paged_attention_ll4mi_QKV_mfma16_kernelI14__hip_bfloat16hLN4vllm18Fp8KVCacheDataTypeE1EhLi32ELi128ELi256ELb0ELi13EEvPKT_PKT0_S8_ifPKiSA_SA_iPKfiiiPfSD_PS3_PT2_iSC_SC_,"axG",@progbits,_Z39paged_attention_ll4mi_QKV_mfma16_kernelI14__hip_bfloat16hLN4vllm18Fp8KVCacheDataTypeE1EhLi32ELi128ELi256ELb0ELi13EEvPKT_PKT0_S8_ifPKiSA_SA_iPKfiiiPfSD_PS3_PT2_iSC_SC_,comdat
.Lfunc_end1362:
	.size	_Z39paged_attention_ll4mi_QKV_mfma16_kernelI14__hip_bfloat16hLN4vllm18Fp8KVCacheDataTypeE1EhLi32ELi128ELi256ELb0ELi13EEvPKT_PKT0_S8_ifPKiSA_SA_iPKfiiiPfSD_PS3_PT2_iSC_SC_, .Lfunc_end1362-_Z39paged_attention_ll4mi_QKV_mfma16_kernelI14__hip_bfloat16hLN4vllm18Fp8KVCacheDataTypeE1EhLi32ELi128ELi256ELb0ELi13EEvPKT_PKT0_S8_ifPKiSA_SA_iPKfiiiPfSD_PS3_PT2_iSC_SC_
                                        ; -- End function
	.set _Z39paged_attention_ll4mi_QKV_mfma16_kernelI14__hip_bfloat16hLN4vllm18Fp8KVCacheDataTypeE1EhLi32ELi128ELi256ELb0ELi13EEvPKT_PKT0_S8_ifPKiSA_SA_iPKfiiiPfSD_PS3_PT2_iSC_SC_.num_vgpr, max(3, .L__assert_fail.num_vgpr)
	.set _Z39paged_attention_ll4mi_QKV_mfma16_kernelI14__hip_bfloat16hLN4vllm18Fp8KVCacheDataTypeE1EhLi32ELi128ELi256ELb0ELi13EEvPKT_PKT0_S8_ifPKiSA_SA_iPKfiiiPfSD_PS3_PT2_iSC_SC_.num_agpr, max(0, .L__assert_fail.num_agpr)
	.set _Z39paged_attention_ll4mi_QKV_mfma16_kernelI14__hip_bfloat16hLN4vllm18Fp8KVCacheDataTypeE1EhLi32ELi128ELi256ELb0ELi13EEvPKT_PKT0_S8_ifPKiSA_SA_iPKfiiiPfSD_PS3_PT2_iSC_SC_.numbered_sgpr, max(33, .L__assert_fail.numbered_sgpr)
	.set _Z39paged_attention_ll4mi_QKV_mfma16_kernelI14__hip_bfloat16hLN4vllm18Fp8KVCacheDataTypeE1EhLi32ELi128ELi256ELb0ELi13EEvPKT_PKT0_S8_ifPKiSA_SA_iPKfiiiPfSD_PS3_PT2_iSC_SC_.num_named_barrier, max(0, .L__assert_fail.num_named_barrier)
	.set _Z39paged_attention_ll4mi_QKV_mfma16_kernelI14__hip_bfloat16hLN4vllm18Fp8KVCacheDataTypeE1EhLi32ELi128ELi256ELb0ELi13EEvPKT_PKT0_S8_ifPKiSA_SA_iPKfiiiPfSD_PS3_PT2_iSC_SC_.private_seg_size, 0+max(.L__assert_fail.private_seg_size)
	.set _Z39paged_attention_ll4mi_QKV_mfma16_kernelI14__hip_bfloat16hLN4vllm18Fp8KVCacheDataTypeE1EhLi32ELi128ELi256ELb0ELi13EEvPKT_PKT0_S8_ifPKiSA_SA_iPKfiiiPfSD_PS3_PT2_iSC_SC_.uses_vcc, or(1, .L__assert_fail.uses_vcc)
	.set _Z39paged_attention_ll4mi_QKV_mfma16_kernelI14__hip_bfloat16hLN4vllm18Fp8KVCacheDataTypeE1EhLi32ELi128ELi256ELb0ELi13EEvPKT_PKT0_S8_ifPKiSA_SA_iPKfiiiPfSD_PS3_PT2_iSC_SC_.uses_flat_scratch, or(0, .L__assert_fail.uses_flat_scratch)
	.set _Z39paged_attention_ll4mi_QKV_mfma16_kernelI14__hip_bfloat16hLN4vllm18Fp8KVCacheDataTypeE1EhLi32ELi128ELi256ELb0ELi13EEvPKT_PKT0_S8_ifPKiSA_SA_iPKfiiiPfSD_PS3_PT2_iSC_SC_.has_dyn_sized_stack, or(0, .L__assert_fail.has_dyn_sized_stack)
	.set _Z39paged_attention_ll4mi_QKV_mfma16_kernelI14__hip_bfloat16hLN4vllm18Fp8KVCacheDataTypeE1EhLi32ELi128ELi256ELb0ELi13EEvPKT_PKT0_S8_ifPKiSA_SA_iPKfiiiPfSD_PS3_PT2_iSC_SC_.has_recursion, or(0, .L__assert_fail.has_recursion)
	.set _Z39paged_attention_ll4mi_QKV_mfma16_kernelI14__hip_bfloat16hLN4vllm18Fp8KVCacheDataTypeE1EhLi32ELi128ELi256ELb0ELi13EEvPKT_PKT0_S8_ifPKiSA_SA_iPKfiiiPfSD_PS3_PT2_iSC_SC_.has_indirect_call, or(0, .L__assert_fail.has_indirect_call)
	.section	.AMDGPU.csdata,"",@progbits
; Kernel info:
; codeLenInByte = 68
; TotalNumSgprs: 36
; NumVgprs: 51
; ScratchSize: 64
; MemoryBound: 0
; FloatMode: 240
; IeeeMode: 1
; LDSByteSize: 0 bytes/workgroup (compile time only)
; SGPRBlocks: 0
; VGPRBlocks: 3
; NumSGPRsForWavesPerEU: 36
; NumVGPRsForWavesPerEU: 51
; NamedBarCnt: 0
; Occupancy: 16
; WaveLimiterHint : 1
; COMPUTE_PGM_RSRC2:SCRATCH_EN: 1
; COMPUTE_PGM_RSRC2:USER_SGPR: 2
; COMPUTE_PGM_RSRC2:TRAP_HANDLER: 0
; COMPUTE_PGM_RSRC2:TGID_X_EN: 1
; COMPUTE_PGM_RSRC2:TGID_Y_EN: 0
; COMPUTE_PGM_RSRC2:TGID_Z_EN: 0
; COMPUTE_PGM_RSRC2:TIDIG_COMP_CNT: 0
	.section	.text._Z39paged_attention_ll4mi_QKV_mfma16_kernelI14__hip_bfloat16hLN4vllm18Fp8KVCacheDataTypeE1EhLi32ELi128ELi256ELb0ELi14EEvPKT_PKT0_S8_ifPKiSA_SA_iPKfiiiPfSD_PS3_PT2_iSC_SC_,"axG",@progbits,_Z39paged_attention_ll4mi_QKV_mfma16_kernelI14__hip_bfloat16hLN4vllm18Fp8KVCacheDataTypeE1EhLi32ELi128ELi256ELb0ELi14EEvPKT_PKT0_S8_ifPKiSA_SA_iPKfiiiPfSD_PS3_PT2_iSC_SC_,comdat
	.protected	_Z39paged_attention_ll4mi_QKV_mfma16_kernelI14__hip_bfloat16hLN4vllm18Fp8KVCacheDataTypeE1EhLi32ELi128ELi256ELb0ELi14EEvPKT_PKT0_S8_ifPKiSA_SA_iPKfiiiPfSD_PS3_PT2_iSC_SC_ ; -- Begin function _Z39paged_attention_ll4mi_QKV_mfma16_kernelI14__hip_bfloat16hLN4vllm18Fp8KVCacheDataTypeE1EhLi32ELi128ELi256ELb0ELi14EEvPKT_PKT0_S8_ifPKiSA_SA_iPKfiiiPfSD_PS3_PT2_iSC_SC_
	.globl	_Z39paged_attention_ll4mi_QKV_mfma16_kernelI14__hip_bfloat16hLN4vllm18Fp8KVCacheDataTypeE1EhLi32ELi128ELi256ELb0ELi14EEvPKT_PKT0_S8_ifPKiSA_SA_iPKfiiiPfSD_PS3_PT2_iSC_SC_
	.p2align	8
	.type	_Z39paged_attention_ll4mi_QKV_mfma16_kernelI14__hip_bfloat16hLN4vllm18Fp8KVCacheDataTypeE1EhLi32ELi128ELi256ELb0ELi14EEvPKT_PKT0_S8_ifPKiSA_SA_iPKfiiiPfSD_PS3_PT2_iSC_SC_,@function
_Z39paged_attention_ll4mi_QKV_mfma16_kernelI14__hip_bfloat16hLN4vllm18Fp8KVCacheDataTypeE1EhLi32ELi128ELi256ELb0ELi14EEvPKT_PKT0_S8_ifPKiSA_SA_iPKfiiiPfSD_PS3_PT2_iSC_SC_: ; @_Z39paged_attention_ll4mi_QKV_mfma16_kernelI14__hip_bfloat16hLN4vllm18Fp8KVCacheDataTypeE1EhLi32ELi128ELi256ELb0ELi14EEvPKT_PKT0_S8_ifPKiSA_SA_iPKfiiiPfSD_PS3_PT2_iSC_SC_
; %bb.0:
	s_get_pc_i64 s[2:3]
	s_add_nc_u64 s[2:3], s[2:3], __PRETTY_FUNCTION__._Z39paged_attention_ll4mi_QKV_mfma16_kernelI14__hip_bfloat16hLN4vllm18Fp8KVCacheDataTypeE1EhLi32ELi128ELi256ELb0ELi14EEvPKT_PKT0_S8_ifPKiSA_SA_iPKfiiiPfSD_PS3_PT2_iSC_SC_@rel64+4
	s_delay_alu instid0(SALU_CYCLE_1)
	v_dual_mov_b32 v0, 0xbb3 :: v_dual_mov_b32 v1, s2
	v_mov_b32_e32 v2, s3
	s_add_nc_u64 s[8:9], s[0:1], 0x90
	s_get_pc_i64 s[0:1]
	s_add_nc_u64 s[0:1], s[0:1], __assert_fail@rel64+4
	s_mov_b32 s32, 0
	s_swap_pc_i64 s[30:31], s[0:1]
	.section	.rodata,"a",@progbits
	.p2align	6, 0x0
	.amdhsa_kernel _Z39paged_attention_ll4mi_QKV_mfma16_kernelI14__hip_bfloat16hLN4vllm18Fp8KVCacheDataTypeE1EhLi32ELi128ELi256ELb0ELi14EEvPKT_PKT0_S8_ifPKiSA_SA_iPKfiiiPfSD_PS3_PT2_iSC_SC_
		.amdhsa_group_segment_fixed_size 0
		.amdhsa_private_segment_fixed_size 64
		.amdhsa_kernarg_size 400
		.amdhsa_user_sgpr_count 2
		.amdhsa_user_sgpr_dispatch_ptr 0
		.amdhsa_user_sgpr_queue_ptr 0
		.amdhsa_user_sgpr_kernarg_segment_ptr 1
		.amdhsa_user_sgpr_dispatch_id 0
		.amdhsa_user_sgpr_kernarg_preload_length 0
		.amdhsa_user_sgpr_kernarg_preload_offset 0
		.amdhsa_user_sgpr_private_segment_size 0
		.amdhsa_wavefront_size32 1
		.amdhsa_uses_dynamic_stack 0
		.amdhsa_enable_private_segment 1
		.amdhsa_system_sgpr_workgroup_id_x 1
		.amdhsa_system_sgpr_workgroup_id_y 0
		.amdhsa_system_sgpr_workgroup_id_z 0
		.amdhsa_system_sgpr_workgroup_info 0
		.amdhsa_system_vgpr_workitem_id 0
		.amdhsa_next_free_vgpr 51
		.amdhsa_next_free_sgpr 34
		.amdhsa_named_barrier_count 0
		.amdhsa_reserve_vcc 1
		.amdhsa_float_round_mode_32 0
		.amdhsa_float_round_mode_16_64 0
		.amdhsa_float_denorm_mode_32 3
		.amdhsa_float_denorm_mode_16_64 3
		.amdhsa_fp16_overflow 0
		.amdhsa_memory_ordered 1
		.amdhsa_forward_progress 1
		.amdhsa_inst_pref_size 1
		.amdhsa_round_robin_scheduling 0
		.amdhsa_exception_fp_ieee_invalid_op 0
		.amdhsa_exception_fp_denorm_src 0
		.amdhsa_exception_fp_ieee_div_zero 0
		.amdhsa_exception_fp_ieee_overflow 0
		.amdhsa_exception_fp_ieee_underflow 0
		.amdhsa_exception_fp_ieee_inexact 0
		.amdhsa_exception_int_div_zero 0
	.end_amdhsa_kernel
	.section	.text._Z39paged_attention_ll4mi_QKV_mfma16_kernelI14__hip_bfloat16hLN4vllm18Fp8KVCacheDataTypeE1EhLi32ELi128ELi256ELb0ELi14EEvPKT_PKT0_S8_ifPKiSA_SA_iPKfiiiPfSD_PS3_PT2_iSC_SC_,"axG",@progbits,_Z39paged_attention_ll4mi_QKV_mfma16_kernelI14__hip_bfloat16hLN4vllm18Fp8KVCacheDataTypeE1EhLi32ELi128ELi256ELb0ELi14EEvPKT_PKT0_S8_ifPKiSA_SA_iPKfiiiPfSD_PS3_PT2_iSC_SC_,comdat
.Lfunc_end1363:
	.size	_Z39paged_attention_ll4mi_QKV_mfma16_kernelI14__hip_bfloat16hLN4vllm18Fp8KVCacheDataTypeE1EhLi32ELi128ELi256ELb0ELi14EEvPKT_PKT0_S8_ifPKiSA_SA_iPKfiiiPfSD_PS3_PT2_iSC_SC_, .Lfunc_end1363-_Z39paged_attention_ll4mi_QKV_mfma16_kernelI14__hip_bfloat16hLN4vllm18Fp8KVCacheDataTypeE1EhLi32ELi128ELi256ELb0ELi14EEvPKT_PKT0_S8_ifPKiSA_SA_iPKfiiiPfSD_PS3_PT2_iSC_SC_
                                        ; -- End function
	.set _Z39paged_attention_ll4mi_QKV_mfma16_kernelI14__hip_bfloat16hLN4vllm18Fp8KVCacheDataTypeE1EhLi32ELi128ELi256ELb0ELi14EEvPKT_PKT0_S8_ifPKiSA_SA_iPKfiiiPfSD_PS3_PT2_iSC_SC_.num_vgpr, max(3, .L__assert_fail.num_vgpr)
	.set _Z39paged_attention_ll4mi_QKV_mfma16_kernelI14__hip_bfloat16hLN4vllm18Fp8KVCacheDataTypeE1EhLi32ELi128ELi256ELb0ELi14EEvPKT_PKT0_S8_ifPKiSA_SA_iPKfiiiPfSD_PS3_PT2_iSC_SC_.num_agpr, max(0, .L__assert_fail.num_agpr)
	.set _Z39paged_attention_ll4mi_QKV_mfma16_kernelI14__hip_bfloat16hLN4vllm18Fp8KVCacheDataTypeE1EhLi32ELi128ELi256ELb0ELi14EEvPKT_PKT0_S8_ifPKiSA_SA_iPKfiiiPfSD_PS3_PT2_iSC_SC_.numbered_sgpr, max(33, .L__assert_fail.numbered_sgpr)
	.set _Z39paged_attention_ll4mi_QKV_mfma16_kernelI14__hip_bfloat16hLN4vllm18Fp8KVCacheDataTypeE1EhLi32ELi128ELi256ELb0ELi14EEvPKT_PKT0_S8_ifPKiSA_SA_iPKfiiiPfSD_PS3_PT2_iSC_SC_.num_named_barrier, max(0, .L__assert_fail.num_named_barrier)
	.set _Z39paged_attention_ll4mi_QKV_mfma16_kernelI14__hip_bfloat16hLN4vllm18Fp8KVCacheDataTypeE1EhLi32ELi128ELi256ELb0ELi14EEvPKT_PKT0_S8_ifPKiSA_SA_iPKfiiiPfSD_PS3_PT2_iSC_SC_.private_seg_size, 0+max(.L__assert_fail.private_seg_size)
	.set _Z39paged_attention_ll4mi_QKV_mfma16_kernelI14__hip_bfloat16hLN4vllm18Fp8KVCacheDataTypeE1EhLi32ELi128ELi256ELb0ELi14EEvPKT_PKT0_S8_ifPKiSA_SA_iPKfiiiPfSD_PS3_PT2_iSC_SC_.uses_vcc, or(1, .L__assert_fail.uses_vcc)
	.set _Z39paged_attention_ll4mi_QKV_mfma16_kernelI14__hip_bfloat16hLN4vllm18Fp8KVCacheDataTypeE1EhLi32ELi128ELi256ELb0ELi14EEvPKT_PKT0_S8_ifPKiSA_SA_iPKfiiiPfSD_PS3_PT2_iSC_SC_.uses_flat_scratch, or(0, .L__assert_fail.uses_flat_scratch)
	.set _Z39paged_attention_ll4mi_QKV_mfma16_kernelI14__hip_bfloat16hLN4vllm18Fp8KVCacheDataTypeE1EhLi32ELi128ELi256ELb0ELi14EEvPKT_PKT0_S8_ifPKiSA_SA_iPKfiiiPfSD_PS3_PT2_iSC_SC_.has_dyn_sized_stack, or(0, .L__assert_fail.has_dyn_sized_stack)
	.set _Z39paged_attention_ll4mi_QKV_mfma16_kernelI14__hip_bfloat16hLN4vllm18Fp8KVCacheDataTypeE1EhLi32ELi128ELi256ELb0ELi14EEvPKT_PKT0_S8_ifPKiSA_SA_iPKfiiiPfSD_PS3_PT2_iSC_SC_.has_recursion, or(0, .L__assert_fail.has_recursion)
	.set _Z39paged_attention_ll4mi_QKV_mfma16_kernelI14__hip_bfloat16hLN4vllm18Fp8KVCacheDataTypeE1EhLi32ELi128ELi256ELb0ELi14EEvPKT_PKT0_S8_ifPKiSA_SA_iPKfiiiPfSD_PS3_PT2_iSC_SC_.has_indirect_call, or(0, .L__assert_fail.has_indirect_call)
	.section	.AMDGPU.csdata,"",@progbits
; Kernel info:
; codeLenInByte = 68
; TotalNumSgprs: 36
; NumVgprs: 51
; ScratchSize: 64
; MemoryBound: 0
; FloatMode: 240
; IeeeMode: 1
; LDSByteSize: 0 bytes/workgroup (compile time only)
; SGPRBlocks: 0
; VGPRBlocks: 3
; NumSGPRsForWavesPerEU: 36
; NumVGPRsForWavesPerEU: 51
; NamedBarCnt: 0
; Occupancy: 16
; WaveLimiterHint : 1
; COMPUTE_PGM_RSRC2:SCRATCH_EN: 1
; COMPUTE_PGM_RSRC2:USER_SGPR: 2
; COMPUTE_PGM_RSRC2:TRAP_HANDLER: 0
; COMPUTE_PGM_RSRC2:TGID_X_EN: 1
; COMPUTE_PGM_RSRC2:TGID_Y_EN: 0
; COMPUTE_PGM_RSRC2:TGID_Z_EN: 0
; COMPUTE_PGM_RSRC2:TIDIG_COMP_CNT: 0
	.section	.text._Z39paged_attention_ll4mi_QKV_mfma16_kernelI14__hip_bfloat16hLN4vllm18Fp8KVCacheDataTypeE1EhLi32ELi128ELi256ELb0ELi15EEvPKT_PKT0_S8_ifPKiSA_SA_iPKfiiiPfSD_PS3_PT2_iSC_SC_,"axG",@progbits,_Z39paged_attention_ll4mi_QKV_mfma16_kernelI14__hip_bfloat16hLN4vllm18Fp8KVCacheDataTypeE1EhLi32ELi128ELi256ELb0ELi15EEvPKT_PKT0_S8_ifPKiSA_SA_iPKfiiiPfSD_PS3_PT2_iSC_SC_,comdat
	.protected	_Z39paged_attention_ll4mi_QKV_mfma16_kernelI14__hip_bfloat16hLN4vllm18Fp8KVCacheDataTypeE1EhLi32ELi128ELi256ELb0ELi15EEvPKT_PKT0_S8_ifPKiSA_SA_iPKfiiiPfSD_PS3_PT2_iSC_SC_ ; -- Begin function _Z39paged_attention_ll4mi_QKV_mfma16_kernelI14__hip_bfloat16hLN4vllm18Fp8KVCacheDataTypeE1EhLi32ELi128ELi256ELb0ELi15EEvPKT_PKT0_S8_ifPKiSA_SA_iPKfiiiPfSD_PS3_PT2_iSC_SC_
	.globl	_Z39paged_attention_ll4mi_QKV_mfma16_kernelI14__hip_bfloat16hLN4vllm18Fp8KVCacheDataTypeE1EhLi32ELi128ELi256ELb0ELi15EEvPKT_PKT0_S8_ifPKiSA_SA_iPKfiiiPfSD_PS3_PT2_iSC_SC_
	.p2align	8
	.type	_Z39paged_attention_ll4mi_QKV_mfma16_kernelI14__hip_bfloat16hLN4vllm18Fp8KVCacheDataTypeE1EhLi32ELi128ELi256ELb0ELi15EEvPKT_PKT0_S8_ifPKiSA_SA_iPKfiiiPfSD_PS3_PT2_iSC_SC_,@function
_Z39paged_attention_ll4mi_QKV_mfma16_kernelI14__hip_bfloat16hLN4vllm18Fp8KVCacheDataTypeE1EhLi32ELi128ELi256ELb0ELi15EEvPKT_PKT0_S8_ifPKiSA_SA_iPKfiiiPfSD_PS3_PT2_iSC_SC_: ; @_Z39paged_attention_ll4mi_QKV_mfma16_kernelI14__hip_bfloat16hLN4vllm18Fp8KVCacheDataTypeE1EhLi32ELi128ELi256ELb0ELi15EEvPKT_PKT0_S8_ifPKiSA_SA_iPKfiiiPfSD_PS3_PT2_iSC_SC_
; %bb.0:
	s_get_pc_i64 s[2:3]
	s_add_nc_u64 s[2:3], s[2:3], __PRETTY_FUNCTION__._Z39paged_attention_ll4mi_QKV_mfma16_kernelI14__hip_bfloat16hLN4vllm18Fp8KVCacheDataTypeE1EhLi32ELi128ELi256ELb0ELi15EEvPKT_PKT0_S8_ifPKiSA_SA_iPKfiiiPfSD_PS3_PT2_iSC_SC_@rel64+4
	s_delay_alu instid0(SALU_CYCLE_1)
	v_dual_mov_b32 v0, 0xbb3 :: v_dual_mov_b32 v1, s2
	v_mov_b32_e32 v2, s3
	s_add_nc_u64 s[8:9], s[0:1], 0x90
	s_get_pc_i64 s[0:1]
	s_add_nc_u64 s[0:1], s[0:1], __assert_fail@rel64+4
	s_mov_b32 s32, 0
	s_swap_pc_i64 s[30:31], s[0:1]
	.section	.rodata,"a",@progbits
	.p2align	6, 0x0
	.amdhsa_kernel _Z39paged_attention_ll4mi_QKV_mfma16_kernelI14__hip_bfloat16hLN4vllm18Fp8KVCacheDataTypeE1EhLi32ELi128ELi256ELb0ELi15EEvPKT_PKT0_S8_ifPKiSA_SA_iPKfiiiPfSD_PS3_PT2_iSC_SC_
		.amdhsa_group_segment_fixed_size 0
		.amdhsa_private_segment_fixed_size 64
		.amdhsa_kernarg_size 400
		.amdhsa_user_sgpr_count 2
		.amdhsa_user_sgpr_dispatch_ptr 0
		.amdhsa_user_sgpr_queue_ptr 0
		.amdhsa_user_sgpr_kernarg_segment_ptr 1
		.amdhsa_user_sgpr_dispatch_id 0
		.amdhsa_user_sgpr_kernarg_preload_length 0
		.amdhsa_user_sgpr_kernarg_preload_offset 0
		.amdhsa_user_sgpr_private_segment_size 0
		.amdhsa_wavefront_size32 1
		.amdhsa_uses_dynamic_stack 0
		.amdhsa_enable_private_segment 1
		.amdhsa_system_sgpr_workgroup_id_x 1
		.amdhsa_system_sgpr_workgroup_id_y 0
		.amdhsa_system_sgpr_workgroup_id_z 0
		.amdhsa_system_sgpr_workgroup_info 0
		.amdhsa_system_vgpr_workitem_id 0
		.amdhsa_next_free_vgpr 51
		.amdhsa_next_free_sgpr 34
		.amdhsa_named_barrier_count 0
		.amdhsa_reserve_vcc 1
		.amdhsa_float_round_mode_32 0
		.amdhsa_float_round_mode_16_64 0
		.amdhsa_float_denorm_mode_32 3
		.amdhsa_float_denorm_mode_16_64 3
		.amdhsa_fp16_overflow 0
		.amdhsa_memory_ordered 1
		.amdhsa_forward_progress 1
		.amdhsa_inst_pref_size 1
		.amdhsa_round_robin_scheduling 0
		.amdhsa_exception_fp_ieee_invalid_op 0
		.amdhsa_exception_fp_denorm_src 0
		.amdhsa_exception_fp_ieee_div_zero 0
		.amdhsa_exception_fp_ieee_overflow 0
		.amdhsa_exception_fp_ieee_underflow 0
		.amdhsa_exception_fp_ieee_inexact 0
		.amdhsa_exception_int_div_zero 0
	.end_amdhsa_kernel
	.section	.text._Z39paged_attention_ll4mi_QKV_mfma16_kernelI14__hip_bfloat16hLN4vllm18Fp8KVCacheDataTypeE1EhLi32ELi128ELi256ELb0ELi15EEvPKT_PKT0_S8_ifPKiSA_SA_iPKfiiiPfSD_PS3_PT2_iSC_SC_,"axG",@progbits,_Z39paged_attention_ll4mi_QKV_mfma16_kernelI14__hip_bfloat16hLN4vllm18Fp8KVCacheDataTypeE1EhLi32ELi128ELi256ELb0ELi15EEvPKT_PKT0_S8_ifPKiSA_SA_iPKfiiiPfSD_PS3_PT2_iSC_SC_,comdat
.Lfunc_end1364:
	.size	_Z39paged_attention_ll4mi_QKV_mfma16_kernelI14__hip_bfloat16hLN4vllm18Fp8KVCacheDataTypeE1EhLi32ELi128ELi256ELb0ELi15EEvPKT_PKT0_S8_ifPKiSA_SA_iPKfiiiPfSD_PS3_PT2_iSC_SC_, .Lfunc_end1364-_Z39paged_attention_ll4mi_QKV_mfma16_kernelI14__hip_bfloat16hLN4vllm18Fp8KVCacheDataTypeE1EhLi32ELi128ELi256ELb0ELi15EEvPKT_PKT0_S8_ifPKiSA_SA_iPKfiiiPfSD_PS3_PT2_iSC_SC_
                                        ; -- End function
	.set _Z39paged_attention_ll4mi_QKV_mfma16_kernelI14__hip_bfloat16hLN4vllm18Fp8KVCacheDataTypeE1EhLi32ELi128ELi256ELb0ELi15EEvPKT_PKT0_S8_ifPKiSA_SA_iPKfiiiPfSD_PS3_PT2_iSC_SC_.num_vgpr, max(3, .L__assert_fail.num_vgpr)
	.set _Z39paged_attention_ll4mi_QKV_mfma16_kernelI14__hip_bfloat16hLN4vllm18Fp8KVCacheDataTypeE1EhLi32ELi128ELi256ELb0ELi15EEvPKT_PKT0_S8_ifPKiSA_SA_iPKfiiiPfSD_PS3_PT2_iSC_SC_.num_agpr, max(0, .L__assert_fail.num_agpr)
	.set _Z39paged_attention_ll4mi_QKV_mfma16_kernelI14__hip_bfloat16hLN4vllm18Fp8KVCacheDataTypeE1EhLi32ELi128ELi256ELb0ELi15EEvPKT_PKT0_S8_ifPKiSA_SA_iPKfiiiPfSD_PS3_PT2_iSC_SC_.numbered_sgpr, max(33, .L__assert_fail.numbered_sgpr)
	.set _Z39paged_attention_ll4mi_QKV_mfma16_kernelI14__hip_bfloat16hLN4vllm18Fp8KVCacheDataTypeE1EhLi32ELi128ELi256ELb0ELi15EEvPKT_PKT0_S8_ifPKiSA_SA_iPKfiiiPfSD_PS3_PT2_iSC_SC_.num_named_barrier, max(0, .L__assert_fail.num_named_barrier)
	.set _Z39paged_attention_ll4mi_QKV_mfma16_kernelI14__hip_bfloat16hLN4vllm18Fp8KVCacheDataTypeE1EhLi32ELi128ELi256ELb0ELi15EEvPKT_PKT0_S8_ifPKiSA_SA_iPKfiiiPfSD_PS3_PT2_iSC_SC_.private_seg_size, 0+max(.L__assert_fail.private_seg_size)
	.set _Z39paged_attention_ll4mi_QKV_mfma16_kernelI14__hip_bfloat16hLN4vllm18Fp8KVCacheDataTypeE1EhLi32ELi128ELi256ELb0ELi15EEvPKT_PKT0_S8_ifPKiSA_SA_iPKfiiiPfSD_PS3_PT2_iSC_SC_.uses_vcc, or(1, .L__assert_fail.uses_vcc)
	.set _Z39paged_attention_ll4mi_QKV_mfma16_kernelI14__hip_bfloat16hLN4vllm18Fp8KVCacheDataTypeE1EhLi32ELi128ELi256ELb0ELi15EEvPKT_PKT0_S8_ifPKiSA_SA_iPKfiiiPfSD_PS3_PT2_iSC_SC_.uses_flat_scratch, or(0, .L__assert_fail.uses_flat_scratch)
	.set _Z39paged_attention_ll4mi_QKV_mfma16_kernelI14__hip_bfloat16hLN4vllm18Fp8KVCacheDataTypeE1EhLi32ELi128ELi256ELb0ELi15EEvPKT_PKT0_S8_ifPKiSA_SA_iPKfiiiPfSD_PS3_PT2_iSC_SC_.has_dyn_sized_stack, or(0, .L__assert_fail.has_dyn_sized_stack)
	.set _Z39paged_attention_ll4mi_QKV_mfma16_kernelI14__hip_bfloat16hLN4vllm18Fp8KVCacheDataTypeE1EhLi32ELi128ELi256ELb0ELi15EEvPKT_PKT0_S8_ifPKiSA_SA_iPKfiiiPfSD_PS3_PT2_iSC_SC_.has_recursion, or(0, .L__assert_fail.has_recursion)
	.set _Z39paged_attention_ll4mi_QKV_mfma16_kernelI14__hip_bfloat16hLN4vllm18Fp8KVCacheDataTypeE1EhLi32ELi128ELi256ELb0ELi15EEvPKT_PKT0_S8_ifPKiSA_SA_iPKfiiiPfSD_PS3_PT2_iSC_SC_.has_indirect_call, or(0, .L__assert_fail.has_indirect_call)
	.section	.AMDGPU.csdata,"",@progbits
; Kernel info:
; codeLenInByte = 68
; TotalNumSgprs: 36
; NumVgprs: 51
; ScratchSize: 64
; MemoryBound: 0
; FloatMode: 240
; IeeeMode: 1
; LDSByteSize: 0 bytes/workgroup (compile time only)
; SGPRBlocks: 0
; VGPRBlocks: 3
; NumSGPRsForWavesPerEU: 36
; NumVGPRsForWavesPerEU: 51
; NamedBarCnt: 0
; Occupancy: 16
; WaveLimiterHint : 1
; COMPUTE_PGM_RSRC2:SCRATCH_EN: 1
; COMPUTE_PGM_RSRC2:USER_SGPR: 2
; COMPUTE_PGM_RSRC2:TRAP_HANDLER: 0
; COMPUTE_PGM_RSRC2:TGID_X_EN: 1
; COMPUTE_PGM_RSRC2:TGID_Y_EN: 0
; COMPUTE_PGM_RSRC2:TGID_Z_EN: 0
; COMPUTE_PGM_RSRC2:TIDIG_COMP_CNT: 0
	.section	.text._Z39paged_attention_ll4mi_QKV_mfma16_kernelI14__hip_bfloat16hLN4vllm18Fp8KVCacheDataTypeE1EhLi32ELi128ELi256ELb0ELi16EEvPKT_PKT0_S8_ifPKiSA_SA_iPKfiiiPfSD_PS3_PT2_iSC_SC_,"axG",@progbits,_Z39paged_attention_ll4mi_QKV_mfma16_kernelI14__hip_bfloat16hLN4vllm18Fp8KVCacheDataTypeE1EhLi32ELi128ELi256ELb0ELi16EEvPKT_PKT0_S8_ifPKiSA_SA_iPKfiiiPfSD_PS3_PT2_iSC_SC_,comdat
	.protected	_Z39paged_attention_ll4mi_QKV_mfma16_kernelI14__hip_bfloat16hLN4vllm18Fp8KVCacheDataTypeE1EhLi32ELi128ELi256ELb0ELi16EEvPKT_PKT0_S8_ifPKiSA_SA_iPKfiiiPfSD_PS3_PT2_iSC_SC_ ; -- Begin function _Z39paged_attention_ll4mi_QKV_mfma16_kernelI14__hip_bfloat16hLN4vllm18Fp8KVCacheDataTypeE1EhLi32ELi128ELi256ELb0ELi16EEvPKT_PKT0_S8_ifPKiSA_SA_iPKfiiiPfSD_PS3_PT2_iSC_SC_
	.globl	_Z39paged_attention_ll4mi_QKV_mfma16_kernelI14__hip_bfloat16hLN4vllm18Fp8KVCacheDataTypeE1EhLi32ELi128ELi256ELb0ELi16EEvPKT_PKT0_S8_ifPKiSA_SA_iPKfiiiPfSD_PS3_PT2_iSC_SC_
	.p2align	8
	.type	_Z39paged_attention_ll4mi_QKV_mfma16_kernelI14__hip_bfloat16hLN4vllm18Fp8KVCacheDataTypeE1EhLi32ELi128ELi256ELb0ELi16EEvPKT_PKT0_S8_ifPKiSA_SA_iPKfiiiPfSD_PS3_PT2_iSC_SC_,@function
_Z39paged_attention_ll4mi_QKV_mfma16_kernelI14__hip_bfloat16hLN4vllm18Fp8KVCacheDataTypeE1EhLi32ELi128ELi256ELb0ELi16EEvPKT_PKT0_S8_ifPKiSA_SA_iPKfiiiPfSD_PS3_PT2_iSC_SC_: ; @_Z39paged_attention_ll4mi_QKV_mfma16_kernelI14__hip_bfloat16hLN4vllm18Fp8KVCacheDataTypeE1EhLi32ELi128ELi256ELb0ELi16EEvPKT_PKT0_S8_ifPKiSA_SA_iPKfiiiPfSD_PS3_PT2_iSC_SC_
; %bb.0:
	s_get_pc_i64 s[2:3]
	s_add_nc_u64 s[2:3], s[2:3], __PRETTY_FUNCTION__._Z39paged_attention_ll4mi_QKV_mfma16_kernelI14__hip_bfloat16hLN4vllm18Fp8KVCacheDataTypeE1EhLi32ELi128ELi256ELb0ELi16EEvPKT_PKT0_S8_ifPKiSA_SA_iPKfiiiPfSD_PS3_PT2_iSC_SC_@rel64+4
	s_delay_alu instid0(SALU_CYCLE_1)
	v_dual_mov_b32 v0, 0xbb3 :: v_dual_mov_b32 v1, s2
	v_mov_b32_e32 v2, s3
	s_add_nc_u64 s[8:9], s[0:1], 0x90
	s_get_pc_i64 s[0:1]
	s_add_nc_u64 s[0:1], s[0:1], __assert_fail@rel64+4
	s_mov_b32 s32, 0
	s_swap_pc_i64 s[30:31], s[0:1]
	.section	.rodata,"a",@progbits
	.p2align	6, 0x0
	.amdhsa_kernel _Z39paged_attention_ll4mi_QKV_mfma16_kernelI14__hip_bfloat16hLN4vllm18Fp8KVCacheDataTypeE1EhLi32ELi128ELi256ELb0ELi16EEvPKT_PKT0_S8_ifPKiSA_SA_iPKfiiiPfSD_PS3_PT2_iSC_SC_
		.amdhsa_group_segment_fixed_size 0
		.amdhsa_private_segment_fixed_size 64
		.amdhsa_kernarg_size 400
		.amdhsa_user_sgpr_count 2
		.amdhsa_user_sgpr_dispatch_ptr 0
		.amdhsa_user_sgpr_queue_ptr 0
		.amdhsa_user_sgpr_kernarg_segment_ptr 1
		.amdhsa_user_sgpr_dispatch_id 0
		.amdhsa_user_sgpr_kernarg_preload_length 0
		.amdhsa_user_sgpr_kernarg_preload_offset 0
		.amdhsa_user_sgpr_private_segment_size 0
		.amdhsa_wavefront_size32 1
		.amdhsa_uses_dynamic_stack 0
		.amdhsa_enable_private_segment 1
		.amdhsa_system_sgpr_workgroup_id_x 1
		.amdhsa_system_sgpr_workgroup_id_y 0
		.amdhsa_system_sgpr_workgroup_id_z 0
		.amdhsa_system_sgpr_workgroup_info 0
		.amdhsa_system_vgpr_workitem_id 0
		.amdhsa_next_free_vgpr 51
		.amdhsa_next_free_sgpr 34
		.amdhsa_named_barrier_count 0
		.amdhsa_reserve_vcc 1
		.amdhsa_float_round_mode_32 0
		.amdhsa_float_round_mode_16_64 0
		.amdhsa_float_denorm_mode_32 3
		.amdhsa_float_denorm_mode_16_64 3
		.amdhsa_fp16_overflow 0
		.amdhsa_memory_ordered 1
		.amdhsa_forward_progress 1
		.amdhsa_inst_pref_size 1
		.amdhsa_round_robin_scheduling 0
		.amdhsa_exception_fp_ieee_invalid_op 0
		.amdhsa_exception_fp_denorm_src 0
		.amdhsa_exception_fp_ieee_div_zero 0
		.amdhsa_exception_fp_ieee_overflow 0
		.amdhsa_exception_fp_ieee_underflow 0
		.amdhsa_exception_fp_ieee_inexact 0
		.amdhsa_exception_int_div_zero 0
	.end_amdhsa_kernel
	.section	.text._Z39paged_attention_ll4mi_QKV_mfma16_kernelI14__hip_bfloat16hLN4vllm18Fp8KVCacheDataTypeE1EhLi32ELi128ELi256ELb0ELi16EEvPKT_PKT0_S8_ifPKiSA_SA_iPKfiiiPfSD_PS3_PT2_iSC_SC_,"axG",@progbits,_Z39paged_attention_ll4mi_QKV_mfma16_kernelI14__hip_bfloat16hLN4vllm18Fp8KVCacheDataTypeE1EhLi32ELi128ELi256ELb0ELi16EEvPKT_PKT0_S8_ifPKiSA_SA_iPKfiiiPfSD_PS3_PT2_iSC_SC_,comdat
.Lfunc_end1365:
	.size	_Z39paged_attention_ll4mi_QKV_mfma16_kernelI14__hip_bfloat16hLN4vllm18Fp8KVCacheDataTypeE1EhLi32ELi128ELi256ELb0ELi16EEvPKT_PKT0_S8_ifPKiSA_SA_iPKfiiiPfSD_PS3_PT2_iSC_SC_, .Lfunc_end1365-_Z39paged_attention_ll4mi_QKV_mfma16_kernelI14__hip_bfloat16hLN4vllm18Fp8KVCacheDataTypeE1EhLi32ELi128ELi256ELb0ELi16EEvPKT_PKT0_S8_ifPKiSA_SA_iPKfiiiPfSD_PS3_PT2_iSC_SC_
                                        ; -- End function
	.set _Z39paged_attention_ll4mi_QKV_mfma16_kernelI14__hip_bfloat16hLN4vllm18Fp8KVCacheDataTypeE1EhLi32ELi128ELi256ELb0ELi16EEvPKT_PKT0_S8_ifPKiSA_SA_iPKfiiiPfSD_PS3_PT2_iSC_SC_.num_vgpr, max(3, .L__assert_fail.num_vgpr)
	.set _Z39paged_attention_ll4mi_QKV_mfma16_kernelI14__hip_bfloat16hLN4vllm18Fp8KVCacheDataTypeE1EhLi32ELi128ELi256ELb0ELi16EEvPKT_PKT0_S8_ifPKiSA_SA_iPKfiiiPfSD_PS3_PT2_iSC_SC_.num_agpr, max(0, .L__assert_fail.num_agpr)
	.set _Z39paged_attention_ll4mi_QKV_mfma16_kernelI14__hip_bfloat16hLN4vllm18Fp8KVCacheDataTypeE1EhLi32ELi128ELi256ELb0ELi16EEvPKT_PKT0_S8_ifPKiSA_SA_iPKfiiiPfSD_PS3_PT2_iSC_SC_.numbered_sgpr, max(33, .L__assert_fail.numbered_sgpr)
	.set _Z39paged_attention_ll4mi_QKV_mfma16_kernelI14__hip_bfloat16hLN4vllm18Fp8KVCacheDataTypeE1EhLi32ELi128ELi256ELb0ELi16EEvPKT_PKT0_S8_ifPKiSA_SA_iPKfiiiPfSD_PS3_PT2_iSC_SC_.num_named_barrier, max(0, .L__assert_fail.num_named_barrier)
	.set _Z39paged_attention_ll4mi_QKV_mfma16_kernelI14__hip_bfloat16hLN4vllm18Fp8KVCacheDataTypeE1EhLi32ELi128ELi256ELb0ELi16EEvPKT_PKT0_S8_ifPKiSA_SA_iPKfiiiPfSD_PS3_PT2_iSC_SC_.private_seg_size, 0+max(.L__assert_fail.private_seg_size)
	.set _Z39paged_attention_ll4mi_QKV_mfma16_kernelI14__hip_bfloat16hLN4vllm18Fp8KVCacheDataTypeE1EhLi32ELi128ELi256ELb0ELi16EEvPKT_PKT0_S8_ifPKiSA_SA_iPKfiiiPfSD_PS3_PT2_iSC_SC_.uses_vcc, or(1, .L__assert_fail.uses_vcc)
	.set _Z39paged_attention_ll4mi_QKV_mfma16_kernelI14__hip_bfloat16hLN4vllm18Fp8KVCacheDataTypeE1EhLi32ELi128ELi256ELb0ELi16EEvPKT_PKT0_S8_ifPKiSA_SA_iPKfiiiPfSD_PS3_PT2_iSC_SC_.uses_flat_scratch, or(0, .L__assert_fail.uses_flat_scratch)
	.set _Z39paged_attention_ll4mi_QKV_mfma16_kernelI14__hip_bfloat16hLN4vllm18Fp8KVCacheDataTypeE1EhLi32ELi128ELi256ELb0ELi16EEvPKT_PKT0_S8_ifPKiSA_SA_iPKfiiiPfSD_PS3_PT2_iSC_SC_.has_dyn_sized_stack, or(0, .L__assert_fail.has_dyn_sized_stack)
	.set _Z39paged_attention_ll4mi_QKV_mfma16_kernelI14__hip_bfloat16hLN4vllm18Fp8KVCacheDataTypeE1EhLi32ELi128ELi256ELb0ELi16EEvPKT_PKT0_S8_ifPKiSA_SA_iPKfiiiPfSD_PS3_PT2_iSC_SC_.has_recursion, or(0, .L__assert_fail.has_recursion)
	.set _Z39paged_attention_ll4mi_QKV_mfma16_kernelI14__hip_bfloat16hLN4vllm18Fp8KVCacheDataTypeE1EhLi32ELi128ELi256ELb0ELi16EEvPKT_PKT0_S8_ifPKiSA_SA_iPKfiiiPfSD_PS3_PT2_iSC_SC_.has_indirect_call, or(0, .L__assert_fail.has_indirect_call)
	.section	.AMDGPU.csdata,"",@progbits
; Kernel info:
; codeLenInByte = 68
; TotalNumSgprs: 36
; NumVgprs: 51
; ScratchSize: 64
; MemoryBound: 0
; FloatMode: 240
; IeeeMode: 1
; LDSByteSize: 0 bytes/workgroup (compile time only)
; SGPRBlocks: 0
; VGPRBlocks: 3
; NumSGPRsForWavesPerEU: 36
; NumVGPRsForWavesPerEU: 51
; NamedBarCnt: 0
; Occupancy: 16
; WaveLimiterHint : 1
; COMPUTE_PGM_RSRC2:SCRATCH_EN: 1
; COMPUTE_PGM_RSRC2:USER_SGPR: 2
; COMPUTE_PGM_RSRC2:TRAP_HANDLER: 0
; COMPUTE_PGM_RSRC2:TGID_X_EN: 1
; COMPUTE_PGM_RSRC2:TGID_Y_EN: 0
; COMPUTE_PGM_RSRC2:TGID_Z_EN: 0
; COMPUTE_PGM_RSRC2:TIDIG_COMP_CNT: 0
	.section	.text._Z39paged_attention_ll4mi_QKV_mfma16_kernelI14__hip_bfloat16hLN4vllm18Fp8KVCacheDataTypeE1EhLi32ELi128ELi256ELb0ELi1EEvPKT_PKT0_S8_ifPKiSA_SA_iPKfiiiPfSD_PS3_PT2_iSC_SC_,"axG",@progbits,_Z39paged_attention_ll4mi_QKV_mfma16_kernelI14__hip_bfloat16hLN4vllm18Fp8KVCacheDataTypeE1EhLi32ELi128ELi256ELb0ELi1EEvPKT_PKT0_S8_ifPKiSA_SA_iPKfiiiPfSD_PS3_PT2_iSC_SC_,comdat
	.protected	_Z39paged_attention_ll4mi_QKV_mfma16_kernelI14__hip_bfloat16hLN4vllm18Fp8KVCacheDataTypeE1EhLi32ELi128ELi256ELb0ELi1EEvPKT_PKT0_S8_ifPKiSA_SA_iPKfiiiPfSD_PS3_PT2_iSC_SC_ ; -- Begin function _Z39paged_attention_ll4mi_QKV_mfma16_kernelI14__hip_bfloat16hLN4vllm18Fp8KVCacheDataTypeE1EhLi32ELi128ELi256ELb0ELi1EEvPKT_PKT0_S8_ifPKiSA_SA_iPKfiiiPfSD_PS3_PT2_iSC_SC_
	.globl	_Z39paged_attention_ll4mi_QKV_mfma16_kernelI14__hip_bfloat16hLN4vllm18Fp8KVCacheDataTypeE1EhLi32ELi128ELi256ELb0ELi1EEvPKT_PKT0_S8_ifPKiSA_SA_iPKfiiiPfSD_PS3_PT2_iSC_SC_
	.p2align	8
	.type	_Z39paged_attention_ll4mi_QKV_mfma16_kernelI14__hip_bfloat16hLN4vllm18Fp8KVCacheDataTypeE1EhLi32ELi128ELi256ELb0ELi1EEvPKT_PKT0_S8_ifPKiSA_SA_iPKfiiiPfSD_PS3_PT2_iSC_SC_,@function
_Z39paged_attention_ll4mi_QKV_mfma16_kernelI14__hip_bfloat16hLN4vllm18Fp8KVCacheDataTypeE1EhLi32ELi128ELi256ELb0ELi1EEvPKT_PKT0_S8_ifPKiSA_SA_iPKfiiiPfSD_PS3_PT2_iSC_SC_: ; @_Z39paged_attention_ll4mi_QKV_mfma16_kernelI14__hip_bfloat16hLN4vllm18Fp8KVCacheDataTypeE1EhLi32ELi128ELi256ELb0ELi1EEvPKT_PKT0_S8_ifPKiSA_SA_iPKfiiiPfSD_PS3_PT2_iSC_SC_
; %bb.0:
	s_get_pc_i64 s[2:3]
	s_add_nc_u64 s[2:3], s[2:3], __PRETTY_FUNCTION__._Z39paged_attention_ll4mi_QKV_mfma16_kernelI14__hip_bfloat16hLN4vllm18Fp8KVCacheDataTypeE1EhLi32ELi128ELi256ELb0ELi1EEvPKT_PKT0_S8_ifPKiSA_SA_iPKfiiiPfSD_PS3_PT2_iSC_SC_@rel64+4
	s_delay_alu instid0(SALU_CYCLE_1)
	v_dual_mov_b32 v0, 0xbb3 :: v_dual_mov_b32 v1, s2
	v_mov_b32_e32 v2, s3
	s_add_nc_u64 s[8:9], s[0:1], 0x90
	s_get_pc_i64 s[0:1]
	s_add_nc_u64 s[0:1], s[0:1], __assert_fail@rel64+4
	s_mov_b32 s32, 0
	s_swap_pc_i64 s[30:31], s[0:1]
	.section	.rodata,"a",@progbits
	.p2align	6, 0x0
	.amdhsa_kernel _Z39paged_attention_ll4mi_QKV_mfma16_kernelI14__hip_bfloat16hLN4vllm18Fp8KVCacheDataTypeE1EhLi32ELi128ELi256ELb0ELi1EEvPKT_PKT0_S8_ifPKiSA_SA_iPKfiiiPfSD_PS3_PT2_iSC_SC_
		.amdhsa_group_segment_fixed_size 0
		.amdhsa_private_segment_fixed_size 64
		.amdhsa_kernarg_size 400
		.amdhsa_user_sgpr_count 2
		.amdhsa_user_sgpr_dispatch_ptr 0
		.amdhsa_user_sgpr_queue_ptr 0
		.amdhsa_user_sgpr_kernarg_segment_ptr 1
		.amdhsa_user_sgpr_dispatch_id 0
		.amdhsa_user_sgpr_kernarg_preload_length 0
		.amdhsa_user_sgpr_kernarg_preload_offset 0
		.amdhsa_user_sgpr_private_segment_size 0
		.amdhsa_wavefront_size32 1
		.amdhsa_uses_dynamic_stack 0
		.amdhsa_enable_private_segment 1
		.amdhsa_system_sgpr_workgroup_id_x 1
		.amdhsa_system_sgpr_workgroup_id_y 0
		.amdhsa_system_sgpr_workgroup_id_z 0
		.amdhsa_system_sgpr_workgroup_info 0
		.amdhsa_system_vgpr_workitem_id 0
		.amdhsa_next_free_vgpr 51
		.amdhsa_next_free_sgpr 34
		.amdhsa_named_barrier_count 0
		.amdhsa_reserve_vcc 1
		.amdhsa_float_round_mode_32 0
		.amdhsa_float_round_mode_16_64 0
		.amdhsa_float_denorm_mode_32 3
		.amdhsa_float_denorm_mode_16_64 3
		.amdhsa_fp16_overflow 0
		.amdhsa_memory_ordered 1
		.amdhsa_forward_progress 1
		.amdhsa_inst_pref_size 1
		.amdhsa_round_robin_scheduling 0
		.amdhsa_exception_fp_ieee_invalid_op 0
		.amdhsa_exception_fp_denorm_src 0
		.amdhsa_exception_fp_ieee_div_zero 0
		.amdhsa_exception_fp_ieee_overflow 0
		.amdhsa_exception_fp_ieee_underflow 0
		.amdhsa_exception_fp_ieee_inexact 0
		.amdhsa_exception_int_div_zero 0
	.end_amdhsa_kernel
	.section	.text._Z39paged_attention_ll4mi_QKV_mfma16_kernelI14__hip_bfloat16hLN4vllm18Fp8KVCacheDataTypeE1EhLi32ELi128ELi256ELb0ELi1EEvPKT_PKT0_S8_ifPKiSA_SA_iPKfiiiPfSD_PS3_PT2_iSC_SC_,"axG",@progbits,_Z39paged_attention_ll4mi_QKV_mfma16_kernelI14__hip_bfloat16hLN4vllm18Fp8KVCacheDataTypeE1EhLi32ELi128ELi256ELb0ELi1EEvPKT_PKT0_S8_ifPKiSA_SA_iPKfiiiPfSD_PS3_PT2_iSC_SC_,comdat
.Lfunc_end1366:
	.size	_Z39paged_attention_ll4mi_QKV_mfma16_kernelI14__hip_bfloat16hLN4vllm18Fp8KVCacheDataTypeE1EhLi32ELi128ELi256ELb0ELi1EEvPKT_PKT0_S8_ifPKiSA_SA_iPKfiiiPfSD_PS3_PT2_iSC_SC_, .Lfunc_end1366-_Z39paged_attention_ll4mi_QKV_mfma16_kernelI14__hip_bfloat16hLN4vllm18Fp8KVCacheDataTypeE1EhLi32ELi128ELi256ELb0ELi1EEvPKT_PKT0_S8_ifPKiSA_SA_iPKfiiiPfSD_PS3_PT2_iSC_SC_
                                        ; -- End function
	.set _Z39paged_attention_ll4mi_QKV_mfma16_kernelI14__hip_bfloat16hLN4vllm18Fp8KVCacheDataTypeE1EhLi32ELi128ELi256ELb0ELi1EEvPKT_PKT0_S8_ifPKiSA_SA_iPKfiiiPfSD_PS3_PT2_iSC_SC_.num_vgpr, max(3, .L__assert_fail.num_vgpr)
	.set _Z39paged_attention_ll4mi_QKV_mfma16_kernelI14__hip_bfloat16hLN4vllm18Fp8KVCacheDataTypeE1EhLi32ELi128ELi256ELb0ELi1EEvPKT_PKT0_S8_ifPKiSA_SA_iPKfiiiPfSD_PS3_PT2_iSC_SC_.num_agpr, max(0, .L__assert_fail.num_agpr)
	.set _Z39paged_attention_ll4mi_QKV_mfma16_kernelI14__hip_bfloat16hLN4vllm18Fp8KVCacheDataTypeE1EhLi32ELi128ELi256ELb0ELi1EEvPKT_PKT0_S8_ifPKiSA_SA_iPKfiiiPfSD_PS3_PT2_iSC_SC_.numbered_sgpr, max(33, .L__assert_fail.numbered_sgpr)
	.set _Z39paged_attention_ll4mi_QKV_mfma16_kernelI14__hip_bfloat16hLN4vllm18Fp8KVCacheDataTypeE1EhLi32ELi128ELi256ELb0ELi1EEvPKT_PKT0_S8_ifPKiSA_SA_iPKfiiiPfSD_PS3_PT2_iSC_SC_.num_named_barrier, max(0, .L__assert_fail.num_named_barrier)
	.set _Z39paged_attention_ll4mi_QKV_mfma16_kernelI14__hip_bfloat16hLN4vllm18Fp8KVCacheDataTypeE1EhLi32ELi128ELi256ELb0ELi1EEvPKT_PKT0_S8_ifPKiSA_SA_iPKfiiiPfSD_PS3_PT2_iSC_SC_.private_seg_size, 0+max(.L__assert_fail.private_seg_size)
	.set _Z39paged_attention_ll4mi_QKV_mfma16_kernelI14__hip_bfloat16hLN4vllm18Fp8KVCacheDataTypeE1EhLi32ELi128ELi256ELb0ELi1EEvPKT_PKT0_S8_ifPKiSA_SA_iPKfiiiPfSD_PS3_PT2_iSC_SC_.uses_vcc, or(1, .L__assert_fail.uses_vcc)
	.set _Z39paged_attention_ll4mi_QKV_mfma16_kernelI14__hip_bfloat16hLN4vllm18Fp8KVCacheDataTypeE1EhLi32ELi128ELi256ELb0ELi1EEvPKT_PKT0_S8_ifPKiSA_SA_iPKfiiiPfSD_PS3_PT2_iSC_SC_.uses_flat_scratch, or(0, .L__assert_fail.uses_flat_scratch)
	.set _Z39paged_attention_ll4mi_QKV_mfma16_kernelI14__hip_bfloat16hLN4vllm18Fp8KVCacheDataTypeE1EhLi32ELi128ELi256ELb0ELi1EEvPKT_PKT0_S8_ifPKiSA_SA_iPKfiiiPfSD_PS3_PT2_iSC_SC_.has_dyn_sized_stack, or(0, .L__assert_fail.has_dyn_sized_stack)
	.set _Z39paged_attention_ll4mi_QKV_mfma16_kernelI14__hip_bfloat16hLN4vllm18Fp8KVCacheDataTypeE1EhLi32ELi128ELi256ELb0ELi1EEvPKT_PKT0_S8_ifPKiSA_SA_iPKfiiiPfSD_PS3_PT2_iSC_SC_.has_recursion, or(0, .L__assert_fail.has_recursion)
	.set _Z39paged_attention_ll4mi_QKV_mfma16_kernelI14__hip_bfloat16hLN4vllm18Fp8KVCacheDataTypeE1EhLi32ELi128ELi256ELb0ELi1EEvPKT_PKT0_S8_ifPKiSA_SA_iPKfiiiPfSD_PS3_PT2_iSC_SC_.has_indirect_call, or(0, .L__assert_fail.has_indirect_call)
	.section	.AMDGPU.csdata,"",@progbits
; Kernel info:
; codeLenInByte = 68
; TotalNumSgprs: 36
; NumVgprs: 51
; ScratchSize: 64
; MemoryBound: 0
; FloatMode: 240
; IeeeMode: 1
; LDSByteSize: 0 bytes/workgroup (compile time only)
; SGPRBlocks: 0
; VGPRBlocks: 3
; NumSGPRsForWavesPerEU: 36
; NumVGPRsForWavesPerEU: 51
; NamedBarCnt: 0
; Occupancy: 16
; WaveLimiterHint : 1
; COMPUTE_PGM_RSRC2:SCRATCH_EN: 1
; COMPUTE_PGM_RSRC2:USER_SGPR: 2
; COMPUTE_PGM_RSRC2:TRAP_HANDLER: 0
; COMPUTE_PGM_RSRC2:TGID_X_EN: 1
; COMPUTE_PGM_RSRC2:TGID_Y_EN: 0
; COMPUTE_PGM_RSRC2:TGID_Z_EN: 0
; COMPUTE_PGM_RSRC2:TIDIG_COMP_CNT: 0
	.section	.text._Z39paged_attention_ll4mi_QKV_mfma16_kernelI14__hip_bfloat16hLN4vllm18Fp8KVCacheDataTypeE1EhLi32ELi128ELi256ELb0ELi2EEvPKT_PKT0_S8_ifPKiSA_SA_iPKfiiiPfSD_PS3_PT2_iSC_SC_,"axG",@progbits,_Z39paged_attention_ll4mi_QKV_mfma16_kernelI14__hip_bfloat16hLN4vllm18Fp8KVCacheDataTypeE1EhLi32ELi128ELi256ELb0ELi2EEvPKT_PKT0_S8_ifPKiSA_SA_iPKfiiiPfSD_PS3_PT2_iSC_SC_,comdat
	.protected	_Z39paged_attention_ll4mi_QKV_mfma16_kernelI14__hip_bfloat16hLN4vllm18Fp8KVCacheDataTypeE1EhLi32ELi128ELi256ELb0ELi2EEvPKT_PKT0_S8_ifPKiSA_SA_iPKfiiiPfSD_PS3_PT2_iSC_SC_ ; -- Begin function _Z39paged_attention_ll4mi_QKV_mfma16_kernelI14__hip_bfloat16hLN4vllm18Fp8KVCacheDataTypeE1EhLi32ELi128ELi256ELb0ELi2EEvPKT_PKT0_S8_ifPKiSA_SA_iPKfiiiPfSD_PS3_PT2_iSC_SC_
	.globl	_Z39paged_attention_ll4mi_QKV_mfma16_kernelI14__hip_bfloat16hLN4vllm18Fp8KVCacheDataTypeE1EhLi32ELi128ELi256ELb0ELi2EEvPKT_PKT0_S8_ifPKiSA_SA_iPKfiiiPfSD_PS3_PT2_iSC_SC_
	.p2align	8
	.type	_Z39paged_attention_ll4mi_QKV_mfma16_kernelI14__hip_bfloat16hLN4vllm18Fp8KVCacheDataTypeE1EhLi32ELi128ELi256ELb0ELi2EEvPKT_PKT0_S8_ifPKiSA_SA_iPKfiiiPfSD_PS3_PT2_iSC_SC_,@function
_Z39paged_attention_ll4mi_QKV_mfma16_kernelI14__hip_bfloat16hLN4vllm18Fp8KVCacheDataTypeE1EhLi32ELi128ELi256ELb0ELi2EEvPKT_PKT0_S8_ifPKiSA_SA_iPKfiiiPfSD_PS3_PT2_iSC_SC_: ; @_Z39paged_attention_ll4mi_QKV_mfma16_kernelI14__hip_bfloat16hLN4vllm18Fp8KVCacheDataTypeE1EhLi32ELi128ELi256ELb0ELi2EEvPKT_PKT0_S8_ifPKiSA_SA_iPKfiiiPfSD_PS3_PT2_iSC_SC_
; %bb.0:
	s_get_pc_i64 s[2:3]
	s_add_nc_u64 s[2:3], s[2:3], __PRETTY_FUNCTION__._Z39paged_attention_ll4mi_QKV_mfma16_kernelI14__hip_bfloat16hLN4vllm18Fp8KVCacheDataTypeE1EhLi32ELi128ELi256ELb0ELi2EEvPKT_PKT0_S8_ifPKiSA_SA_iPKfiiiPfSD_PS3_PT2_iSC_SC_@rel64+4
	s_delay_alu instid0(SALU_CYCLE_1)
	v_dual_mov_b32 v0, 0xbb3 :: v_dual_mov_b32 v1, s2
	v_mov_b32_e32 v2, s3
	s_add_nc_u64 s[8:9], s[0:1], 0x90
	s_get_pc_i64 s[0:1]
	s_add_nc_u64 s[0:1], s[0:1], __assert_fail@rel64+4
	s_mov_b32 s32, 0
	s_swap_pc_i64 s[30:31], s[0:1]
	.section	.rodata,"a",@progbits
	.p2align	6, 0x0
	.amdhsa_kernel _Z39paged_attention_ll4mi_QKV_mfma16_kernelI14__hip_bfloat16hLN4vllm18Fp8KVCacheDataTypeE1EhLi32ELi128ELi256ELb0ELi2EEvPKT_PKT0_S8_ifPKiSA_SA_iPKfiiiPfSD_PS3_PT2_iSC_SC_
		.amdhsa_group_segment_fixed_size 0
		.amdhsa_private_segment_fixed_size 64
		.amdhsa_kernarg_size 400
		.amdhsa_user_sgpr_count 2
		.amdhsa_user_sgpr_dispatch_ptr 0
		.amdhsa_user_sgpr_queue_ptr 0
		.amdhsa_user_sgpr_kernarg_segment_ptr 1
		.amdhsa_user_sgpr_dispatch_id 0
		.amdhsa_user_sgpr_kernarg_preload_length 0
		.amdhsa_user_sgpr_kernarg_preload_offset 0
		.amdhsa_user_sgpr_private_segment_size 0
		.amdhsa_wavefront_size32 1
		.amdhsa_uses_dynamic_stack 0
		.amdhsa_enable_private_segment 1
		.amdhsa_system_sgpr_workgroup_id_x 1
		.amdhsa_system_sgpr_workgroup_id_y 0
		.amdhsa_system_sgpr_workgroup_id_z 0
		.amdhsa_system_sgpr_workgroup_info 0
		.amdhsa_system_vgpr_workitem_id 0
		.amdhsa_next_free_vgpr 51
		.amdhsa_next_free_sgpr 34
		.amdhsa_named_barrier_count 0
		.amdhsa_reserve_vcc 1
		.amdhsa_float_round_mode_32 0
		.amdhsa_float_round_mode_16_64 0
		.amdhsa_float_denorm_mode_32 3
		.amdhsa_float_denorm_mode_16_64 3
		.amdhsa_fp16_overflow 0
		.amdhsa_memory_ordered 1
		.amdhsa_forward_progress 1
		.amdhsa_inst_pref_size 1
		.amdhsa_round_robin_scheduling 0
		.amdhsa_exception_fp_ieee_invalid_op 0
		.amdhsa_exception_fp_denorm_src 0
		.amdhsa_exception_fp_ieee_div_zero 0
		.amdhsa_exception_fp_ieee_overflow 0
		.amdhsa_exception_fp_ieee_underflow 0
		.amdhsa_exception_fp_ieee_inexact 0
		.amdhsa_exception_int_div_zero 0
	.end_amdhsa_kernel
	.section	.text._Z39paged_attention_ll4mi_QKV_mfma16_kernelI14__hip_bfloat16hLN4vllm18Fp8KVCacheDataTypeE1EhLi32ELi128ELi256ELb0ELi2EEvPKT_PKT0_S8_ifPKiSA_SA_iPKfiiiPfSD_PS3_PT2_iSC_SC_,"axG",@progbits,_Z39paged_attention_ll4mi_QKV_mfma16_kernelI14__hip_bfloat16hLN4vllm18Fp8KVCacheDataTypeE1EhLi32ELi128ELi256ELb0ELi2EEvPKT_PKT0_S8_ifPKiSA_SA_iPKfiiiPfSD_PS3_PT2_iSC_SC_,comdat
.Lfunc_end1367:
	.size	_Z39paged_attention_ll4mi_QKV_mfma16_kernelI14__hip_bfloat16hLN4vllm18Fp8KVCacheDataTypeE1EhLi32ELi128ELi256ELb0ELi2EEvPKT_PKT0_S8_ifPKiSA_SA_iPKfiiiPfSD_PS3_PT2_iSC_SC_, .Lfunc_end1367-_Z39paged_attention_ll4mi_QKV_mfma16_kernelI14__hip_bfloat16hLN4vllm18Fp8KVCacheDataTypeE1EhLi32ELi128ELi256ELb0ELi2EEvPKT_PKT0_S8_ifPKiSA_SA_iPKfiiiPfSD_PS3_PT2_iSC_SC_
                                        ; -- End function
	.set _Z39paged_attention_ll4mi_QKV_mfma16_kernelI14__hip_bfloat16hLN4vllm18Fp8KVCacheDataTypeE1EhLi32ELi128ELi256ELb0ELi2EEvPKT_PKT0_S8_ifPKiSA_SA_iPKfiiiPfSD_PS3_PT2_iSC_SC_.num_vgpr, max(3, .L__assert_fail.num_vgpr)
	.set _Z39paged_attention_ll4mi_QKV_mfma16_kernelI14__hip_bfloat16hLN4vllm18Fp8KVCacheDataTypeE1EhLi32ELi128ELi256ELb0ELi2EEvPKT_PKT0_S8_ifPKiSA_SA_iPKfiiiPfSD_PS3_PT2_iSC_SC_.num_agpr, max(0, .L__assert_fail.num_agpr)
	.set _Z39paged_attention_ll4mi_QKV_mfma16_kernelI14__hip_bfloat16hLN4vllm18Fp8KVCacheDataTypeE1EhLi32ELi128ELi256ELb0ELi2EEvPKT_PKT0_S8_ifPKiSA_SA_iPKfiiiPfSD_PS3_PT2_iSC_SC_.numbered_sgpr, max(33, .L__assert_fail.numbered_sgpr)
	.set _Z39paged_attention_ll4mi_QKV_mfma16_kernelI14__hip_bfloat16hLN4vllm18Fp8KVCacheDataTypeE1EhLi32ELi128ELi256ELb0ELi2EEvPKT_PKT0_S8_ifPKiSA_SA_iPKfiiiPfSD_PS3_PT2_iSC_SC_.num_named_barrier, max(0, .L__assert_fail.num_named_barrier)
	.set _Z39paged_attention_ll4mi_QKV_mfma16_kernelI14__hip_bfloat16hLN4vllm18Fp8KVCacheDataTypeE1EhLi32ELi128ELi256ELb0ELi2EEvPKT_PKT0_S8_ifPKiSA_SA_iPKfiiiPfSD_PS3_PT2_iSC_SC_.private_seg_size, 0+max(.L__assert_fail.private_seg_size)
	.set _Z39paged_attention_ll4mi_QKV_mfma16_kernelI14__hip_bfloat16hLN4vllm18Fp8KVCacheDataTypeE1EhLi32ELi128ELi256ELb0ELi2EEvPKT_PKT0_S8_ifPKiSA_SA_iPKfiiiPfSD_PS3_PT2_iSC_SC_.uses_vcc, or(1, .L__assert_fail.uses_vcc)
	.set _Z39paged_attention_ll4mi_QKV_mfma16_kernelI14__hip_bfloat16hLN4vllm18Fp8KVCacheDataTypeE1EhLi32ELi128ELi256ELb0ELi2EEvPKT_PKT0_S8_ifPKiSA_SA_iPKfiiiPfSD_PS3_PT2_iSC_SC_.uses_flat_scratch, or(0, .L__assert_fail.uses_flat_scratch)
	.set _Z39paged_attention_ll4mi_QKV_mfma16_kernelI14__hip_bfloat16hLN4vllm18Fp8KVCacheDataTypeE1EhLi32ELi128ELi256ELb0ELi2EEvPKT_PKT0_S8_ifPKiSA_SA_iPKfiiiPfSD_PS3_PT2_iSC_SC_.has_dyn_sized_stack, or(0, .L__assert_fail.has_dyn_sized_stack)
	.set _Z39paged_attention_ll4mi_QKV_mfma16_kernelI14__hip_bfloat16hLN4vllm18Fp8KVCacheDataTypeE1EhLi32ELi128ELi256ELb0ELi2EEvPKT_PKT0_S8_ifPKiSA_SA_iPKfiiiPfSD_PS3_PT2_iSC_SC_.has_recursion, or(0, .L__assert_fail.has_recursion)
	.set _Z39paged_attention_ll4mi_QKV_mfma16_kernelI14__hip_bfloat16hLN4vllm18Fp8KVCacheDataTypeE1EhLi32ELi128ELi256ELb0ELi2EEvPKT_PKT0_S8_ifPKiSA_SA_iPKfiiiPfSD_PS3_PT2_iSC_SC_.has_indirect_call, or(0, .L__assert_fail.has_indirect_call)
	.section	.AMDGPU.csdata,"",@progbits
; Kernel info:
; codeLenInByte = 68
; TotalNumSgprs: 36
; NumVgprs: 51
; ScratchSize: 64
; MemoryBound: 0
; FloatMode: 240
; IeeeMode: 1
; LDSByteSize: 0 bytes/workgroup (compile time only)
; SGPRBlocks: 0
; VGPRBlocks: 3
; NumSGPRsForWavesPerEU: 36
; NumVGPRsForWavesPerEU: 51
; NamedBarCnt: 0
; Occupancy: 16
; WaveLimiterHint : 1
; COMPUTE_PGM_RSRC2:SCRATCH_EN: 1
; COMPUTE_PGM_RSRC2:USER_SGPR: 2
; COMPUTE_PGM_RSRC2:TRAP_HANDLER: 0
; COMPUTE_PGM_RSRC2:TGID_X_EN: 1
; COMPUTE_PGM_RSRC2:TGID_Y_EN: 0
; COMPUTE_PGM_RSRC2:TGID_Z_EN: 0
; COMPUTE_PGM_RSRC2:TIDIG_COMP_CNT: 0
	.section	.text._Z39paged_attention_ll4mi_QKV_mfma16_kernelI14__hip_bfloat16hLN4vllm18Fp8KVCacheDataTypeE1EhLi32ELi128ELi256ELb0ELi3EEvPKT_PKT0_S8_ifPKiSA_SA_iPKfiiiPfSD_PS3_PT2_iSC_SC_,"axG",@progbits,_Z39paged_attention_ll4mi_QKV_mfma16_kernelI14__hip_bfloat16hLN4vllm18Fp8KVCacheDataTypeE1EhLi32ELi128ELi256ELb0ELi3EEvPKT_PKT0_S8_ifPKiSA_SA_iPKfiiiPfSD_PS3_PT2_iSC_SC_,comdat
	.protected	_Z39paged_attention_ll4mi_QKV_mfma16_kernelI14__hip_bfloat16hLN4vllm18Fp8KVCacheDataTypeE1EhLi32ELi128ELi256ELb0ELi3EEvPKT_PKT0_S8_ifPKiSA_SA_iPKfiiiPfSD_PS3_PT2_iSC_SC_ ; -- Begin function _Z39paged_attention_ll4mi_QKV_mfma16_kernelI14__hip_bfloat16hLN4vllm18Fp8KVCacheDataTypeE1EhLi32ELi128ELi256ELb0ELi3EEvPKT_PKT0_S8_ifPKiSA_SA_iPKfiiiPfSD_PS3_PT2_iSC_SC_
	.globl	_Z39paged_attention_ll4mi_QKV_mfma16_kernelI14__hip_bfloat16hLN4vllm18Fp8KVCacheDataTypeE1EhLi32ELi128ELi256ELb0ELi3EEvPKT_PKT0_S8_ifPKiSA_SA_iPKfiiiPfSD_PS3_PT2_iSC_SC_
	.p2align	8
	.type	_Z39paged_attention_ll4mi_QKV_mfma16_kernelI14__hip_bfloat16hLN4vllm18Fp8KVCacheDataTypeE1EhLi32ELi128ELi256ELb0ELi3EEvPKT_PKT0_S8_ifPKiSA_SA_iPKfiiiPfSD_PS3_PT2_iSC_SC_,@function
_Z39paged_attention_ll4mi_QKV_mfma16_kernelI14__hip_bfloat16hLN4vllm18Fp8KVCacheDataTypeE1EhLi32ELi128ELi256ELb0ELi3EEvPKT_PKT0_S8_ifPKiSA_SA_iPKfiiiPfSD_PS3_PT2_iSC_SC_: ; @_Z39paged_attention_ll4mi_QKV_mfma16_kernelI14__hip_bfloat16hLN4vllm18Fp8KVCacheDataTypeE1EhLi32ELi128ELi256ELb0ELi3EEvPKT_PKT0_S8_ifPKiSA_SA_iPKfiiiPfSD_PS3_PT2_iSC_SC_
; %bb.0:
	s_get_pc_i64 s[2:3]
	s_add_nc_u64 s[2:3], s[2:3], __PRETTY_FUNCTION__._Z39paged_attention_ll4mi_QKV_mfma16_kernelI14__hip_bfloat16hLN4vllm18Fp8KVCacheDataTypeE1EhLi32ELi128ELi256ELb0ELi3EEvPKT_PKT0_S8_ifPKiSA_SA_iPKfiiiPfSD_PS3_PT2_iSC_SC_@rel64+4
	s_delay_alu instid0(SALU_CYCLE_1)
	v_dual_mov_b32 v0, 0xbb3 :: v_dual_mov_b32 v1, s2
	v_mov_b32_e32 v2, s3
	s_add_nc_u64 s[8:9], s[0:1], 0x90
	s_get_pc_i64 s[0:1]
	s_add_nc_u64 s[0:1], s[0:1], __assert_fail@rel64+4
	s_mov_b32 s32, 0
	s_swap_pc_i64 s[30:31], s[0:1]
	.section	.rodata,"a",@progbits
	.p2align	6, 0x0
	.amdhsa_kernel _Z39paged_attention_ll4mi_QKV_mfma16_kernelI14__hip_bfloat16hLN4vllm18Fp8KVCacheDataTypeE1EhLi32ELi128ELi256ELb0ELi3EEvPKT_PKT0_S8_ifPKiSA_SA_iPKfiiiPfSD_PS3_PT2_iSC_SC_
		.amdhsa_group_segment_fixed_size 0
		.amdhsa_private_segment_fixed_size 64
		.amdhsa_kernarg_size 400
		.amdhsa_user_sgpr_count 2
		.amdhsa_user_sgpr_dispatch_ptr 0
		.amdhsa_user_sgpr_queue_ptr 0
		.amdhsa_user_sgpr_kernarg_segment_ptr 1
		.amdhsa_user_sgpr_dispatch_id 0
		.amdhsa_user_sgpr_kernarg_preload_length 0
		.amdhsa_user_sgpr_kernarg_preload_offset 0
		.amdhsa_user_sgpr_private_segment_size 0
		.amdhsa_wavefront_size32 1
		.amdhsa_uses_dynamic_stack 0
		.amdhsa_enable_private_segment 1
		.amdhsa_system_sgpr_workgroup_id_x 1
		.amdhsa_system_sgpr_workgroup_id_y 0
		.amdhsa_system_sgpr_workgroup_id_z 0
		.amdhsa_system_sgpr_workgroup_info 0
		.amdhsa_system_vgpr_workitem_id 0
		.amdhsa_next_free_vgpr 51
		.amdhsa_next_free_sgpr 34
		.amdhsa_named_barrier_count 0
		.amdhsa_reserve_vcc 1
		.amdhsa_float_round_mode_32 0
		.amdhsa_float_round_mode_16_64 0
		.amdhsa_float_denorm_mode_32 3
		.amdhsa_float_denorm_mode_16_64 3
		.amdhsa_fp16_overflow 0
		.amdhsa_memory_ordered 1
		.amdhsa_forward_progress 1
		.amdhsa_inst_pref_size 1
		.amdhsa_round_robin_scheduling 0
		.amdhsa_exception_fp_ieee_invalid_op 0
		.amdhsa_exception_fp_denorm_src 0
		.amdhsa_exception_fp_ieee_div_zero 0
		.amdhsa_exception_fp_ieee_overflow 0
		.amdhsa_exception_fp_ieee_underflow 0
		.amdhsa_exception_fp_ieee_inexact 0
		.amdhsa_exception_int_div_zero 0
	.end_amdhsa_kernel
	.section	.text._Z39paged_attention_ll4mi_QKV_mfma16_kernelI14__hip_bfloat16hLN4vllm18Fp8KVCacheDataTypeE1EhLi32ELi128ELi256ELb0ELi3EEvPKT_PKT0_S8_ifPKiSA_SA_iPKfiiiPfSD_PS3_PT2_iSC_SC_,"axG",@progbits,_Z39paged_attention_ll4mi_QKV_mfma16_kernelI14__hip_bfloat16hLN4vllm18Fp8KVCacheDataTypeE1EhLi32ELi128ELi256ELb0ELi3EEvPKT_PKT0_S8_ifPKiSA_SA_iPKfiiiPfSD_PS3_PT2_iSC_SC_,comdat
.Lfunc_end1368:
	.size	_Z39paged_attention_ll4mi_QKV_mfma16_kernelI14__hip_bfloat16hLN4vllm18Fp8KVCacheDataTypeE1EhLi32ELi128ELi256ELb0ELi3EEvPKT_PKT0_S8_ifPKiSA_SA_iPKfiiiPfSD_PS3_PT2_iSC_SC_, .Lfunc_end1368-_Z39paged_attention_ll4mi_QKV_mfma16_kernelI14__hip_bfloat16hLN4vllm18Fp8KVCacheDataTypeE1EhLi32ELi128ELi256ELb0ELi3EEvPKT_PKT0_S8_ifPKiSA_SA_iPKfiiiPfSD_PS3_PT2_iSC_SC_
                                        ; -- End function
	.set _Z39paged_attention_ll4mi_QKV_mfma16_kernelI14__hip_bfloat16hLN4vllm18Fp8KVCacheDataTypeE1EhLi32ELi128ELi256ELb0ELi3EEvPKT_PKT0_S8_ifPKiSA_SA_iPKfiiiPfSD_PS3_PT2_iSC_SC_.num_vgpr, max(3, .L__assert_fail.num_vgpr)
	.set _Z39paged_attention_ll4mi_QKV_mfma16_kernelI14__hip_bfloat16hLN4vllm18Fp8KVCacheDataTypeE1EhLi32ELi128ELi256ELb0ELi3EEvPKT_PKT0_S8_ifPKiSA_SA_iPKfiiiPfSD_PS3_PT2_iSC_SC_.num_agpr, max(0, .L__assert_fail.num_agpr)
	.set _Z39paged_attention_ll4mi_QKV_mfma16_kernelI14__hip_bfloat16hLN4vllm18Fp8KVCacheDataTypeE1EhLi32ELi128ELi256ELb0ELi3EEvPKT_PKT0_S8_ifPKiSA_SA_iPKfiiiPfSD_PS3_PT2_iSC_SC_.numbered_sgpr, max(33, .L__assert_fail.numbered_sgpr)
	.set _Z39paged_attention_ll4mi_QKV_mfma16_kernelI14__hip_bfloat16hLN4vllm18Fp8KVCacheDataTypeE1EhLi32ELi128ELi256ELb0ELi3EEvPKT_PKT0_S8_ifPKiSA_SA_iPKfiiiPfSD_PS3_PT2_iSC_SC_.num_named_barrier, max(0, .L__assert_fail.num_named_barrier)
	.set _Z39paged_attention_ll4mi_QKV_mfma16_kernelI14__hip_bfloat16hLN4vllm18Fp8KVCacheDataTypeE1EhLi32ELi128ELi256ELb0ELi3EEvPKT_PKT0_S8_ifPKiSA_SA_iPKfiiiPfSD_PS3_PT2_iSC_SC_.private_seg_size, 0+max(.L__assert_fail.private_seg_size)
	.set _Z39paged_attention_ll4mi_QKV_mfma16_kernelI14__hip_bfloat16hLN4vllm18Fp8KVCacheDataTypeE1EhLi32ELi128ELi256ELb0ELi3EEvPKT_PKT0_S8_ifPKiSA_SA_iPKfiiiPfSD_PS3_PT2_iSC_SC_.uses_vcc, or(1, .L__assert_fail.uses_vcc)
	.set _Z39paged_attention_ll4mi_QKV_mfma16_kernelI14__hip_bfloat16hLN4vllm18Fp8KVCacheDataTypeE1EhLi32ELi128ELi256ELb0ELi3EEvPKT_PKT0_S8_ifPKiSA_SA_iPKfiiiPfSD_PS3_PT2_iSC_SC_.uses_flat_scratch, or(0, .L__assert_fail.uses_flat_scratch)
	.set _Z39paged_attention_ll4mi_QKV_mfma16_kernelI14__hip_bfloat16hLN4vllm18Fp8KVCacheDataTypeE1EhLi32ELi128ELi256ELb0ELi3EEvPKT_PKT0_S8_ifPKiSA_SA_iPKfiiiPfSD_PS3_PT2_iSC_SC_.has_dyn_sized_stack, or(0, .L__assert_fail.has_dyn_sized_stack)
	.set _Z39paged_attention_ll4mi_QKV_mfma16_kernelI14__hip_bfloat16hLN4vllm18Fp8KVCacheDataTypeE1EhLi32ELi128ELi256ELb0ELi3EEvPKT_PKT0_S8_ifPKiSA_SA_iPKfiiiPfSD_PS3_PT2_iSC_SC_.has_recursion, or(0, .L__assert_fail.has_recursion)
	.set _Z39paged_attention_ll4mi_QKV_mfma16_kernelI14__hip_bfloat16hLN4vllm18Fp8KVCacheDataTypeE1EhLi32ELi128ELi256ELb0ELi3EEvPKT_PKT0_S8_ifPKiSA_SA_iPKfiiiPfSD_PS3_PT2_iSC_SC_.has_indirect_call, or(0, .L__assert_fail.has_indirect_call)
	.section	.AMDGPU.csdata,"",@progbits
; Kernel info:
; codeLenInByte = 68
; TotalNumSgprs: 36
; NumVgprs: 51
; ScratchSize: 64
; MemoryBound: 0
; FloatMode: 240
; IeeeMode: 1
; LDSByteSize: 0 bytes/workgroup (compile time only)
; SGPRBlocks: 0
; VGPRBlocks: 3
; NumSGPRsForWavesPerEU: 36
; NumVGPRsForWavesPerEU: 51
; NamedBarCnt: 0
; Occupancy: 16
; WaveLimiterHint : 1
; COMPUTE_PGM_RSRC2:SCRATCH_EN: 1
; COMPUTE_PGM_RSRC2:USER_SGPR: 2
; COMPUTE_PGM_RSRC2:TRAP_HANDLER: 0
; COMPUTE_PGM_RSRC2:TGID_X_EN: 1
; COMPUTE_PGM_RSRC2:TGID_Y_EN: 0
; COMPUTE_PGM_RSRC2:TGID_Z_EN: 0
; COMPUTE_PGM_RSRC2:TIDIG_COMP_CNT: 0
	.section	.text._Z39paged_attention_ll4mi_QKV_mfma16_kernelI14__hip_bfloat16hLN4vllm18Fp8KVCacheDataTypeE1EhLi32ELi128ELi256ELb0ELi4EEvPKT_PKT0_S8_ifPKiSA_SA_iPKfiiiPfSD_PS3_PT2_iSC_SC_,"axG",@progbits,_Z39paged_attention_ll4mi_QKV_mfma16_kernelI14__hip_bfloat16hLN4vllm18Fp8KVCacheDataTypeE1EhLi32ELi128ELi256ELb0ELi4EEvPKT_PKT0_S8_ifPKiSA_SA_iPKfiiiPfSD_PS3_PT2_iSC_SC_,comdat
	.protected	_Z39paged_attention_ll4mi_QKV_mfma16_kernelI14__hip_bfloat16hLN4vllm18Fp8KVCacheDataTypeE1EhLi32ELi128ELi256ELb0ELi4EEvPKT_PKT0_S8_ifPKiSA_SA_iPKfiiiPfSD_PS3_PT2_iSC_SC_ ; -- Begin function _Z39paged_attention_ll4mi_QKV_mfma16_kernelI14__hip_bfloat16hLN4vllm18Fp8KVCacheDataTypeE1EhLi32ELi128ELi256ELb0ELi4EEvPKT_PKT0_S8_ifPKiSA_SA_iPKfiiiPfSD_PS3_PT2_iSC_SC_
	.globl	_Z39paged_attention_ll4mi_QKV_mfma16_kernelI14__hip_bfloat16hLN4vllm18Fp8KVCacheDataTypeE1EhLi32ELi128ELi256ELb0ELi4EEvPKT_PKT0_S8_ifPKiSA_SA_iPKfiiiPfSD_PS3_PT2_iSC_SC_
	.p2align	8
	.type	_Z39paged_attention_ll4mi_QKV_mfma16_kernelI14__hip_bfloat16hLN4vllm18Fp8KVCacheDataTypeE1EhLi32ELi128ELi256ELb0ELi4EEvPKT_PKT0_S8_ifPKiSA_SA_iPKfiiiPfSD_PS3_PT2_iSC_SC_,@function
_Z39paged_attention_ll4mi_QKV_mfma16_kernelI14__hip_bfloat16hLN4vllm18Fp8KVCacheDataTypeE1EhLi32ELi128ELi256ELb0ELi4EEvPKT_PKT0_S8_ifPKiSA_SA_iPKfiiiPfSD_PS3_PT2_iSC_SC_: ; @_Z39paged_attention_ll4mi_QKV_mfma16_kernelI14__hip_bfloat16hLN4vllm18Fp8KVCacheDataTypeE1EhLi32ELi128ELi256ELb0ELi4EEvPKT_PKT0_S8_ifPKiSA_SA_iPKfiiiPfSD_PS3_PT2_iSC_SC_
; %bb.0:
	s_get_pc_i64 s[2:3]
	s_add_nc_u64 s[2:3], s[2:3], __PRETTY_FUNCTION__._Z39paged_attention_ll4mi_QKV_mfma16_kernelI14__hip_bfloat16hLN4vllm18Fp8KVCacheDataTypeE1EhLi32ELi128ELi256ELb0ELi4EEvPKT_PKT0_S8_ifPKiSA_SA_iPKfiiiPfSD_PS3_PT2_iSC_SC_@rel64+4
	s_delay_alu instid0(SALU_CYCLE_1)
	v_dual_mov_b32 v0, 0xbb3 :: v_dual_mov_b32 v1, s2
	v_mov_b32_e32 v2, s3
	s_add_nc_u64 s[8:9], s[0:1], 0x90
	s_get_pc_i64 s[0:1]
	s_add_nc_u64 s[0:1], s[0:1], __assert_fail@rel64+4
	s_mov_b32 s32, 0
	s_swap_pc_i64 s[30:31], s[0:1]
	.section	.rodata,"a",@progbits
	.p2align	6, 0x0
	.amdhsa_kernel _Z39paged_attention_ll4mi_QKV_mfma16_kernelI14__hip_bfloat16hLN4vllm18Fp8KVCacheDataTypeE1EhLi32ELi128ELi256ELb0ELi4EEvPKT_PKT0_S8_ifPKiSA_SA_iPKfiiiPfSD_PS3_PT2_iSC_SC_
		.amdhsa_group_segment_fixed_size 0
		.amdhsa_private_segment_fixed_size 64
		.amdhsa_kernarg_size 400
		.amdhsa_user_sgpr_count 2
		.amdhsa_user_sgpr_dispatch_ptr 0
		.amdhsa_user_sgpr_queue_ptr 0
		.amdhsa_user_sgpr_kernarg_segment_ptr 1
		.amdhsa_user_sgpr_dispatch_id 0
		.amdhsa_user_sgpr_kernarg_preload_length 0
		.amdhsa_user_sgpr_kernarg_preload_offset 0
		.amdhsa_user_sgpr_private_segment_size 0
		.amdhsa_wavefront_size32 1
		.amdhsa_uses_dynamic_stack 0
		.amdhsa_enable_private_segment 1
		.amdhsa_system_sgpr_workgroup_id_x 1
		.amdhsa_system_sgpr_workgroup_id_y 0
		.amdhsa_system_sgpr_workgroup_id_z 0
		.amdhsa_system_sgpr_workgroup_info 0
		.amdhsa_system_vgpr_workitem_id 0
		.amdhsa_next_free_vgpr 51
		.amdhsa_next_free_sgpr 34
		.amdhsa_named_barrier_count 0
		.amdhsa_reserve_vcc 1
		.amdhsa_float_round_mode_32 0
		.amdhsa_float_round_mode_16_64 0
		.amdhsa_float_denorm_mode_32 3
		.amdhsa_float_denorm_mode_16_64 3
		.amdhsa_fp16_overflow 0
		.amdhsa_memory_ordered 1
		.amdhsa_forward_progress 1
		.amdhsa_inst_pref_size 1
		.amdhsa_round_robin_scheduling 0
		.amdhsa_exception_fp_ieee_invalid_op 0
		.amdhsa_exception_fp_denorm_src 0
		.amdhsa_exception_fp_ieee_div_zero 0
		.amdhsa_exception_fp_ieee_overflow 0
		.amdhsa_exception_fp_ieee_underflow 0
		.amdhsa_exception_fp_ieee_inexact 0
		.amdhsa_exception_int_div_zero 0
	.end_amdhsa_kernel
	.section	.text._Z39paged_attention_ll4mi_QKV_mfma16_kernelI14__hip_bfloat16hLN4vllm18Fp8KVCacheDataTypeE1EhLi32ELi128ELi256ELb0ELi4EEvPKT_PKT0_S8_ifPKiSA_SA_iPKfiiiPfSD_PS3_PT2_iSC_SC_,"axG",@progbits,_Z39paged_attention_ll4mi_QKV_mfma16_kernelI14__hip_bfloat16hLN4vllm18Fp8KVCacheDataTypeE1EhLi32ELi128ELi256ELb0ELi4EEvPKT_PKT0_S8_ifPKiSA_SA_iPKfiiiPfSD_PS3_PT2_iSC_SC_,comdat
.Lfunc_end1369:
	.size	_Z39paged_attention_ll4mi_QKV_mfma16_kernelI14__hip_bfloat16hLN4vllm18Fp8KVCacheDataTypeE1EhLi32ELi128ELi256ELb0ELi4EEvPKT_PKT0_S8_ifPKiSA_SA_iPKfiiiPfSD_PS3_PT2_iSC_SC_, .Lfunc_end1369-_Z39paged_attention_ll4mi_QKV_mfma16_kernelI14__hip_bfloat16hLN4vllm18Fp8KVCacheDataTypeE1EhLi32ELi128ELi256ELb0ELi4EEvPKT_PKT0_S8_ifPKiSA_SA_iPKfiiiPfSD_PS3_PT2_iSC_SC_
                                        ; -- End function
	.set _Z39paged_attention_ll4mi_QKV_mfma16_kernelI14__hip_bfloat16hLN4vllm18Fp8KVCacheDataTypeE1EhLi32ELi128ELi256ELb0ELi4EEvPKT_PKT0_S8_ifPKiSA_SA_iPKfiiiPfSD_PS3_PT2_iSC_SC_.num_vgpr, max(3, .L__assert_fail.num_vgpr)
	.set _Z39paged_attention_ll4mi_QKV_mfma16_kernelI14__hip_bfloat16hLN4vllm18Fp8KVCacheDataTypeE1EhLi32ELi128ELi256ELb0ELi4EEvPKT_PKT0_S8_ifPKiSA_SA_iPKfiiiPfSD_PS3_PT2_iSC_SC_.num_agpr, max(0, .L__assert_fail.num_agpr)
	.set _Z39paged_attention_ll4mi_QKV_mfma16_kernelI14__hip_bfloat16hLN4vllm18Fp8KVCacheDataTypeE1EhLi32ELi128ELi256ELb0ELi4EEvPKT_PKT0_S8_ifPKiSA_SA_iPKfiiiPfSD_PS3_PT2_iSC_SC_.numbered_sgpr, max(33, .L__assert_fail.numbered_sgpr)
	.set _Z39paged_attention_ll4mi_QKV_mfma16_kernelI14__hip_bfloat16hLN4vllm18Fp8KVCacheDataTypeE1EhLi32ELi128ELi256ELb0ELi4EEvPKT_PKT0_S8_ifPKiSA_SA_iPKfiiiPfSD_PS3_PT2_iSC_SC_.num_named_barrier, max(0, .L__assert_fail.num_named_barrier)
	.set _Z39paged_attention_ll4mi_QKV_mfma16_kernelI14__hip_bfloat16hLN4vllm18Fp8KVCacheDataTypeE1EhLi32ELi128ELi256ELb0ELi4EEvPKT_PKT0_S8_ifPKiSA_SA_iPKfiiiPfSD_PS3_PT2_iSC_SC_.private_seg_size, 0+max(.L__assert_fail.private_seg_size)
	.set _Z39paged_attention_ll4mi_QKV_mfma16_kernelI14__hip_bfloat16hLN4vllm18Fp8KVCacheDataTypeE1EhLi32ELi128ELi256ELb0ELi4EEvPKT_PKT0_S8_ifPKiSA_SA_iPKfiiiPfSD_PS3_PT2_iSC_SC_.uses_vcc, or(1, .L__assert_fail.uses_vcc)
	.set _Z39paged_attention_ll4mi_QKV_mfma16_kernelI14__hip_bfloat16hLN4vllm18Fp8KVCacheDataTypeE1EhLi32ELi128ELi256ELb0ELi4EEvPKT_PKT0_S8_ifPKiSA_SA_iPKfiiiPfSD_PS3_PT2_iSC_SC_.uses_flat_scratch, or(0, .L__assert_fail.uses_flat_scratch)
	.set _Z39paged_attention_ll4mi_QKV_mfma16_kernelI14__hip_bfloat16hLN4vllm18Fp8KVCacheDataTypeE1EhLi32ELi128ELi256ELb0ELi4EEvPKT_PKT0_S8_ifPKiSA_SA_iPKfiiiPfSD_PS3_PT2_iSC_SC_.has_dyn_sized_stack, or(0, .L__assert_fail.has_dyn_sized_stack)
	.set _Z39paged_attention_ll4mi_QKV_mfma16_kernelI14__hip_bfloat16hLN4vllm18Fp8KVCacheDataTypeE1EhLi32ELi128ELi256ELb0ELi4EEvPKT_PKT0_S8_ifPKiSA_SA_iPKfiiiPfSD_PS3_PT2_iSC_SC_.has_recursion, or(0, .L__assert_fail.has_recursion)
	.set _Z39paged_attention_ll4mi_QKV_mfma16_kernelI14__hip_bfloat16hLN4vllm18Fp8KVCacheDataTypeE1EhLi32ELi128ELi256ELb0ELi4EEvPKT_PKT0_S8_ifPKiSA_SA_iPKfiiiPfSD_PS3_PT2_iSC_SC_.has_indirect_call, or(0, .L__assert_fail.has_indirect_call)
	.section	.AMDGPU.csdata,"",@progbits
; Kernel info:
; codeLenInByte = 68
; TotalNumSgprs: 36
; NumVgprs: 51
; ScratchSize: 64
; MemoryBound: 0
; FloatMode: 240
; IeeeMode: 1
; LDSByteSize: 0 bytes/workgroup (compile time only)
; SGPRBlocks: 0
; VGPRBlocks: 3
; NumSGPRsForWavesPerEU: 36
; NumVGPRsForWavesPerEU: 51
; NamedBarCnt: 0
; Occupancy: 16
; WaveLimiterHint : 1
; COMPUTE_PGM_RSRC2:SCRATCH_EN: 1
; COMPUTE_PGM_RSRC2:USER_SGPR: 2
; COMPUTE_PGM_RSRC2:TRAP_HANDLER: 0
; COMPUTE_PGM_RSRC2:TGID_X_EN: 1
; COMPUTE_PGM_RSRC2:TGID_Y_EN: 0
; COMPUTE_PGM_RSRC2:TGID_Z_EN: 0
; COMPUTE_PGM_RSRC2:TIDIG_COMP_CNT: 0
	.section	.text._Z38paged_attention_ll4mi_QKV_mfma4_kernelI14__hip_bfloat16hLN4vllm18Fp8KVCacheDataTypeE1ES0_Li32ELi128ELi256ELb1ELi1EEvPKT_PKT0_S8_ifPKiSA_SA_iPKfiiiPfSD_PS3_PT2_iSC_SC_,"axG",@progbits,_Z38paged_attention_ll4mi_QKV_mfma4_kernelI14__hip_bfloat16hLN4vllm18Fp8KVCacheDataTypeE1ES0_Li32ELi128ELi256ELb1ELi1EEvPKT_PKT0_S8_ifPKiSA_SA_iPKfiiiPfSD_PS3_PT2_iSC_SC_,comdat
	.protected	_Z38paged_attention_ll4mi_QKV_mfma4_kernelI14__hip_bfloat16hLN4vllm18Fp8KVCacheDataTypeE1ES0_Li32ELi128ELi256ELb1ELi1EEvPKT_PKT0_S8_ifPKiSA_SA_iPKfiiiPfSD_PS3_PT2_iSC_SC_ ; -- Begin function _Z38paged_attention_ll4mi_QKV_mfma4_kernelI14__hip_bfloat16hLN4vllm18Fp8KVCacheDataTypeE1ES0_Li32ELi128ELi256ELb1ELi1EEvPKT_PKT0_S8_ifPKiSA_SA_iPKfiiiPfSD_PS3_PT2_iSC_SC_
	.globl	_Z38paged_attention_ll4mi_QKV_mfma4_kernelI14__hip_bfloat16hLN4vllm18Fp8KVCacheDataTypeE1ES0_Li32ELi128ELi256ELb1ELi1EEvPKT_PKT0_S8_ifPKiSA_SA_iPKfiiiPfSD_PS3_PT2_iSC_SC_
	.p2align	8
	.type	_Z38paged_attention_ll4mi_QKV_mfma4_kernelI14__hip_bfloat16hLN4vllm18Fp8KVCacheDataTypeE1ES0_Li32ELi128ELi256ELb1ELi1EEvPKT_PKT0_S8_ifPKiSA_SA_iPKfiiiPfSD_PS3_PT2_iSC_SC_,@function
_Z38paged_attention_ll4mi_QKV_mfma4_kernelI14__hip_bfloat16hLN4vllm18Fp8KVCacheDataTypeE1ES0_Li32ELi128ELi256ELb1ELi1EEvPKT_PKT0_S8_ifPKiSA_SA_iPKfiiiPfSD_PS3_PT2_iSC_SC_: ; @_Z38paged_attention_ll4mi_QKV_mfma4_kernelI14__hip_bfloat16hLN4vllm18Fp8KVCacheDataTypeE1ES0_Li32ELi128ELi256ELb1ELi1EEvPKT_PKT0_S8_ifPKiSA_SA_iPKfiiiPfSD_PS3_PT2_iSC_SC_
; %bb.0:
	s_get_pc_i64 s[2:3]
	s_add_nc_u64 s[2:3], s[2:3], __PRETTY_FUNCTION__._Z38paged_attention_ll4mi_QKV_mfma4_kernelI14__hip_bfloat16hLN4vllm18Fp8KVCacheDataTypeE1ES0_Li32ELi128ELi256ELb1ELi1EEvPKT_PKT0_S8_ifPKiSA_SA_iPKfiiiPfSD_PS3_PT2_iSC_SC_@rel64+4
	s_delay_alu instid0(SALU_CYCLE_1)
	v_dual_mov_b32 v0, 0xbce :: v_dual_mov_b32 v1, s2
	v_mov_b32_e32 v2, s3
	s_add_nc_u64 s[8:9], s[0:1], 0x90
	s_get_pc_i64 s[0:1]
	s_add_nc_u64 s[0:1], s[0:1], __assert_fail@rel64+4
	s_mov_b32 s32, 0
	s_swap_pc_i64 s[30:31], s[0:1]
	.section	.rodata,"a",@progbits
	.p2align	6, 0x0
	.amdhsa_kernel _Z38paged_attention_ll4mi_QKV_mfma4_kernelI14__hip_bfloat16hLN4vllm18Fp8KVCacheDataTypeE1ES0_Li32ELi128ELi256ELb1ELi1EEvPKT_PKT0_S8_ifPKiSA_SA_iPKfiiiPfSD_PS3_PT2_iSC_SC_
		.amdhsa_group_segment_fixed_size 0
		.amdhsa_private_segment_fixed_size 64
		.amdhsa_kernarg_size 400
		.amdhsa_user_sgpr_count 2
		.amdhsa_user_sgpr_dispatch_ptr 0
		.amdhsa_user_sgpr_queue_ptr 0
		.amdhsa_user_sgpr_kernarg_segment_ptr 1
		.amdhsa_user_sgpr_dispatch_id 0
		.amdhsa_user_sgpr_kernarg_preload_length 0
		.amdhsa_user_sgpr_kernarg_preload_offset 0
		.amdhsa_user_sgpr_private_segment_size 0
		.amdhsa_wavefront_size32 1
		.amdhsa_uses_dynamic_stack 0
		.amdhsa_enable_private_segment 1
		.amdhsa_system_sgpr_workgroup_id_x 1
		.amdhsa_system_sgpr_workgroup_id_y 0
		.amdhsa_system_sgpr_workgroup_id_z 0
		.amdhsa_system_sgpr_workgroup_info 0
		.amdhsa_system_vgpr_workitem_id 0
		.amdhsa_next_free_vgpr 51
		.amdhsa_next_free_sgpr 34
		.amdhsa_named_barrier_count 0
		.amdhsa_reserve_vcc 1
		.amdhsa_float_round_mode_32 0
		.amdhsa_float_round_mode_16_64 0
		.amdhsa_float_denorm_mode_32 3
		.amdhsa_float_denorm_mode_16_64 3
		.amdhsa_fp16_overflow 0
		.amdhsa_memory_ordered 1
		.amdhsa_forward_progress 1
		.amdhsa_inst_pref_size 1
		.amdhsa_round_robin_scheduling 0
		.amdhsa_exception_fp_ieee_invalid_op 0
		.amdhsa_exception_fp_denorm_src 0
		.amdhsa_exception_fp_ieee_div_zero 0
		.amdhsa_exception_fp_ieee_overflow 0
		.amdhsa_exception_fp_ieee_underflow 0
		.amdhsa_exception_fp_ieee_inexact 0
		.amdhsa_exception_int_div_zero 0
	.end_amdhsa_kernel
	.section	.text._Z38paged_attention_ll4mi_QKV_mfma4_kernelI14__hip_bfloat16hLN4vllm18Fp8KVCacheDataTypeE1ES0_Li32ELi128ELi256ELb1ELi1EEvPKT_PKT0_S8_ifPKiSA_SA_iPKfiiiPfSD_PS3_PT2_iSC_SC_,"axG",@progbits,_Z38paged_attention_ll4mi_QKV_mfma4_kernelI14__hip_bfloat16hLN4vllm18Fp8KVCacheDataTypeE1ES0_Li32ELi128ELi256ELb1ELi1EEvPKT_PKT0_S8_ifPKiSA_SA_iPKfiiiPfSD_PS3_PT2_iSC_SC_,comdat
.Lfunc_end1370:
	.size	_Z38paged_attention_ll4mi_QKV_mfma4_kernelI14__hip_bfloat16hLN4vllm18Fp8KVCacheDataTypeE1ES0_Li32ELi128ELi256ELb1ELi1EEvPKT_PKT0_S8_ifPKiSA_SA_iPKfiiiPfSD_PS3_PT2_iSC_SC_, .Lfunc_end1370-_Z38paged_attention_ll4mi_QKV_mfma4_kernelI14__hip_bfloat16hLN4vllm18Fp8KVCacheDataTypeE1ES0_Li32ELi128ELi256ELb1ELi1EEvPKT_PKT0_S8_ifPKiSA_SA_iPKfiiiPfSD_PS3_PT2_iSC_SC_
                                        ; -- End function
	.set _Z38paged_attention_ll4mi_QKV_mfma4_kernelI14__hip_bfloat16hLN4vllm18Fp8KVCacheDataTypeE1ES0_Li32ELi128ELi256ELb1ELi1EEvPKT_PKT0_S8_ifPKiSA_SA_iPKfiiiPfSD_PS3_PT2_iSC_SC_.num_vgpr, max(3, .L__assert_fail.num_vgpr)
	.set _Z38paged_attention_ll4mi_QKV_mfma4_kernelI14__hip_bfloat16hLN4vllm18Fp8KVCacheDataTypeE1ES0_Li32ELi128ELi256ELb1ELi1EEvPKT_PKT0_S8_ifPKiSA_SA_iPKfiiiPfSD_PS3_PT2_iSC_SC_.num_agpr, max(0, .L__assert_fail.num_agpr)
	.set _Z38paged_attention_ll4mi_QKV_mfma4_kernelI14__hip_bfloat16hLN4vllm18Fp8KVCacheDataTypeE1ES0_Li32ELi128ELi256ELb1ELi1EEvPKT_PKT0_S8_ifPKiSA_SA_iPKfiiiPfSD_PS3_PT2_iSC_SC_.numbered_sgpr, max(33, .L__assert_fail.numbered_sgpr)
	.set _Z38paged_attention_ll4mi_QKV_mfma4_kernelI14__hip_bfloat16hLN4vllm18Fp8KVCacheDataTypeE1ES0_Li32ELi128ELi256ELb1ELi1EEvPKT_PKT0_S8_ifPKiSA_SA_iPKfiiiPfSD_PS3_PT2_iSC_SC_.num_named_barrier, max(0, .L__assert_fail.num_named_barrier)
	.set _Z38paged_attention_ll4mi_QKV_mfma4_kernelI14__hip_bfloat16hLN4vllm18Fp8KVCacheDataTypeE1ES0_Li32ELi128ELi256ELb1ELi1EEvPKT_PKT0_S8_ifPKiSA_SA_iPKfiiiPfSD_PS3_PT2_iSC_SC_.private_seg_size, 0+max(.L__assert_fail.private_seg_size)
	.set _Z38paged_attention_ll4mi_QKV_mfma4_kernelI14__hip_bfloat16hLN4vllm18Fp8KVCacheDataTypeE1ES0_Li32ELi128ELi256ELb1ELi1EEvPKT_PKT0_S8_ifPKiSA_SA_iPKfiiiPfSD_PS3_PT2_iSC_SC_.uses_vcc, or(1, .L__assert_fail.uses_vcc)
	.set _Z38paged_attention_ll4mi_QKV_mfma4_kernelI14__hip_bfloat16hLN4vllm18Fp8KVCacheDataTypeE1ES0_Li32ELi128ELi256ELb1ELi1EEvPKT_PKT0_S8_ifPKiSA_SA_iPKfiiiPfSD_PS3_PT2_iSC_SC_.uses_flat_scratch, or(0, .L__assert_fail.uses_flat_scratch)
	.set _Z38paged_attention_ll4mi_QKV_mfma4_kernelI14__hip_bfloat16hLN4vllm18Fp8KVCacheDataTypeE1ES0_Li32ELi128ELi256ELb1ELi1EEvPKT_PKT0_S8_ifPKiSA_SA_iPKfiiiPfSD_PS3_PT2_iSC_SC_.has_dyn_sized_stack, or(0, .L__assert_fail.has_dyn_sized_stack)
	.set _Z38paged_attention_ll4mi_QKV_mfma4_kernelI14__hip_bfloat16hLN4vllm18Fp8KVCacheDataTypeE1ES0_Li32ELi128ELi256ELb1ELi1EEvPKT_PKT0_S8_ifPKiSA_SA_iPKfiiiPfSD_PS3_PT2_iSC_SC_.has_recursion, or(0, .L__assert_fail.has_recursion)
	.set _Z38paged_attention_ll4mi_QKV_mfma4_kernelI14__hip_bfloat16hLN4vllm18Fp8KVCacheDataTypeE1ES0_Li32ELi128ELi256ELb1ELi1EEvPKT_PKT0_S8_ifPKiSA_SA_iPKfiiiPfSD_PS3_PT2_iSC_SC_.has_indirect_call, or(0, .L__assert_fail.has_indirect_call)
	.section	.AMDGPU.csdata,"",@progbits
; Kernel info:
; codeLenInByte = 68
; TotalNumSgprs: 36
; NumVgprs: 51
; ScratchSize: 64
; MemoryBound: 0
; FloatMode: 240
; IeeeMode: 1
; LDSByteSize: 0 bytes/workgroup (compile time only)
; SGPRBlocks: 0
; VGPRBlocks: 3
; NumSGPRsForWavesPerEU: 36
; NumVGPRsForWavesPerEU: 51
; NamedBarCnt: 0
; Occupancy: 16
; WaveLimiterHint : 1
; COMPUTE_PGM_RSRC2:SCRATCH_EN: 1
; COMPUTE_PGM_RSRC2:USER_SGPR: 2
; COMPUTE_PGM_RSRC2:TRAP_HANDLER: 0
; COMPUTE_PGM_RSRC2:TGID_X_EN: 1
; COMPUTE_PGM_RSRC2:TGID_Y_EN: 0
; COMPUTE_PGM_RSRC2:TGID_Z_EN: 0
; COMPUTE_PGM_RSRC2:TIDIG_COMP_CNT: 0
	.section	.text._Z38paged_attention_ll4mi_QKV_mfma4_kernelI14__hip_bfloat16hLN4vllm18Fp8KVCacheDataTypeE1ES0_Li32ELi128ELi256ELb1ELi2EEvPKT_PKT0_S8_ifPKiSA_SA_iPKfiiiPfSD_PS3_PT2_iSC_SC_,"axG",@progbits,_Z38paged_attention_ll4mi_QKV_mfma4_kernelI14__hip_bfloat16hLN4vllm18Fp8KVCacheDataTypeE1ES0_Li32ELi128ELi256ELb1ELi2EEvPKT_PKT0_S8_ifPKiSA_SA_iPKfiiiPfSD_PS3_PT2_iSC_SC_,comdat
	.protected	_Z38paged_attention_ll4mi_QKV_mfma4_kernelI14__hip_bfloat16hLN4vllm18Fp8KVCacheDataTypeE1ES0_Li32ELi128ELi256ELb1ELi2EEvPKT_PKT0_S8_ifPKiSA_SA_iPKfiiiPfSD_PS3_PT2_iSC_SC_ ; -- Begin function _Z38paged_attention_ll4mi_QKV_mfma4_kernelI14__hip_bfloat16hLN4vllm18Fp8KVCacheDataTypeE1ES0_Li32ELi128ELi256ELb1ELi2EEvPKT_PKT0_S8_ifPKiSA_SA_iPKfiiiPfSD_PS3_PT2_iSC_SC_
	.globl	_Z38paged_attention_ll4mi_QKV_mfma4_kernelI14__hip_bfloat16hLN4vllm18Fp8KVCacheDataTypeE1ES0_Li32ELi128ELi256ELb1ELi2EEvPKT_PKT0_S8_ifPKiSA_SA_iPKfiiiPfSD_PS3_PT2_iSC_SC_
	.p2align	8
	.type	_Z38paged_attention_ll4mi_QKV_mfma4_kernelI14__hip_bfloat16hLN4vllm18Fp8KVCacheDataTypeE1ES0_Li32ELi128ELi256ELb1ELi2EEvPKT_PKT0_S8_ifPKiSA_SA_iPKfiiiPfSD_PS3_PT2_iSC_SC_,@function
_Z38paged_attention_ll4mi_QKV_mfma4_kernelI14__hip_bfloat16hLN4vllm18Fp8KVCacheDataTypeE1ES0_Li32ELi128ELi256ELb1ELi2EEvPKT_PKT0_S8_ifPKiSA_SA_iPKfiiiPfSD_PS3_PT2_iSC_SC_: ; @_Z38paged_attention_ll4mi_QKV_mfma4_kernelI14__hip_bfloat16hLN4vllm18Fp8KVCacheDataTypeE1ES0_Li32ELi128ELi256ELb1ELi2EEvPKT_PKT0_S8_ifPKiSA_SA_iPKfiiiPfSD_PS3_PT2_iSC_SC_
; %bb.0:
	s_get_pc_i64 s[2:3]
	s_add_nc_u64 s[2:3], s[2:3], __PRETTY_FUNCTION__._Z38paged_attention_ll4mi_QKV_mfma4_kernelI14__hip_bfloat16hLN4vllm18Fp8KVCacheDataTypeE1ES0_Li32ELi128ELi256ELb1ELi2EEvPKT_PKT0_S8_ifPKiSA_SA_iPKfiiiPfSD_PS3_PT2_iSC_SC_@rel64+4
	s_delay_alu instid0(SALU_CYCLE_1)
	v_dual_mov_b32 v0, 0xbce :: v_dual_mov_b32 v1, s2
	v_mov_b32_e32 v2, s3
	s_add_nc_u64 s[8:9], s[0:1], 0x90
	s_get_pc_i64 s[0:1]
	s_add_nc_u64 s[0:1], s[0:1], __assert_fail@rel64+4
	s_mov_b32 s32, 0
	s_swap_pc_i64 s[30:31], s[0:1]
	.section	.rodata,"a",@progbits
	.p2align	6, 0x0
	.amdhsa_kernel _Z38paged_attention_ll4mi_QKV_mfma4_kernelI14__hip_bfloat16hLN4vllm18Fp8KVCacheDataTypeE1ES0_Li32ELi128ELi256ELb1ELi2EEvPKT_PKT0_S8_ifPKiSA_SA_iPKfiiiPfSD_PS3_PT2_iSC_SC_
		.amdhsa_group_segment_fixed_size 0
		.amdhsa_private_segment_fixed_size 64
		.amdhsa_kernarg_size 400
		.amdhsa_user_sgpr_count 2
		.amdhsa_user_sgpr_dispatch_ptr 0
		.amdhsa_user_sgpr_queue_ptr 0
		.amdhsa_user_sgpr_kernarg_segment_ptr 1
		.amdhsa_user_sgpr_dispatch_id 0
		.amdhsa_user_sgpr_kernarg_preload_length 0
		.amdhsa_user_sgpr_kernarg_preload_offset 0
		.amdhsa_user_sgpr_private_segment_size 0
		.amdhsa_wavefront_size32 1
		.amdhsa_uses_dynamic_stack 0
		.amdhsa_enable_private_segment 1
		.amdhsa_system_sgpr_workgroup_id_x 1
		.amdhsa_system_sgpr_workgroup_id_y 0
		.amdhsa_system_sgpr_workgroup_id_z 0
		.amdhsa_system_sgpr_workgroup_info 0
		.amdhsa_system_vgpr_workitem_id 0
		.amdhsa_next_free_vgpr 51
		.amdhsa_next_free_sgpr 34
		.amdhsa_named_barrier_count 0
		.amdhsa_reserve_vcc 1
		.amdhsa_float_round_mode_32 0
		.amdhsa_float_round_mode_16_64 0
		.amdhsa_float_denorm_mode_32 3
		.amdhsa_float_denorm_mode_16_64 3
		.amdhsa_fp16_overflow 0
		.amdhsa_memory_ordered 1
		.amdhsa_forward_progress 1
		.amdhsa_inst_pref_size 1
		.amdhsa_round_robin_scheduling 0
		.amdhsa_exception_fp_ieee_invalid_op 0
		.amdhsa_exception_fp_denorm_src 0
		.amdhsa_exception_fp_ieee_div_zero 0
		.amdhsa_exception_fp_ieee_overflow 0
		.amdhsa_exception_fp_ieee_underflow 0
		.amdhsa_exception_fp_ieee_inexact 0
		.amdhsa_exception_int_div_zero 0
	.end_amdhsa_kernel
	.section	.text._Z38paged_attention_ll4mi_QKV_mfma4_kernelI14__hip_bfloat16hLN4vllm18Fp8KVCacheDataTypeE1ES0_Li32ELi128ELi256ELb1ELi2EEvPKT_PKT0_S8_ifPKiSA_SA_iPKfiiiPfSD_PS3_PT2_iSC_SC_,"axG",@progbits,_Z38paged_attention_ll4mi_QKV_mfma4_kernelI14__hip_bfloat16hLN4vllm18Fp8KVCacheDataTypeE1ES0_Li32ELi128ELi256ELb1ELi2EEvPKT_PKT0_S8_ifPKiSA_SA_iPKfiiiPfSD_PS3_PT2_iSC_SC_,comdat
.Lfunc_end1371:
	.size	_Z38paged_attention_ll4mi_QKV_mfma4_kernelI14__hip_bfloat16hLN4vllm18Fp8KVCacheDataTypeE1ES0_Li32ELi128ELi256ELb1ELi2EEvPKT_PKT0_S8_ifPKiSA_SA_iPKfiiiPfSD_PS3_PT2_iSC_SC_, .Lfunc_end1371-_Z38paged_attention_ll4mi_QKV_mfma4_kernelI14__hip_bfloat16hLN4vllm18Fp8KVCacheDataTypeE1ES0_Li32ELi128ELi256ELb1ELi2EEvPKT_PKT0_S8_ifPKiSA_SA_iPKfiiiPfSD_PS3_PT2_iSC_SC_
                                        ; -- End function
	.set _Z38paged_attention_ll4mi_QKV_mfma4_kernelI14__hip_bfloat16hLN4vllm18Fp8KVCacheDataTypeE1ES0_Li32ELi128ELi256ELb1ELi2EEvPKT_PKT0_S8_ifPKiSA_SA_iPKfiiiPfSD_PS3_PT2_iSC_SC_.num_vgpr, max(3, .L__assert_fail.num_vgpr)
	.set _Z38paged_attention_ll4mi_QKV_mfma4_kernelI14__hip_bfloat16hLN4vllm18Fp8KVCacheDataTypeE1ES0_Li32ELi128ELi256ELb1ELi2EEvPKT_PKT0_S8_ifPKiSA_SA_iPKfiiiPfSD_PS3_PT2_iSC_SC_.num_agpr, max(0, .L__assert_fail.num_agpr)
	.set _Z38paged_attention_ll4mi_QKV_mfma4_kernelI14__hip_bfloat16hLN4vllm18Fp8KVCacheDataTypeE1ES0_Li32ELi128ELi256ELb1ELi2EEvPKT_PKT0_S8_ifPKiSA_SA_iPKfiiiPfSD_PS3_PT2_iSC_SC_.numbered_sgpr, max(33, .L__assert_fail.numbered_sgpr)
	.set _Z38paged_attention_ll4mi_QKV_mfma4_kernelI14__hip_bfloat16hLN4vllm18Fp8KVCacheDataTypeE1ES0_Li32ELi128ELi256ELb1ELi2EEvPKT_PKT0_S8_ifPKiSA_SA_iPKfiiiPfSD_PS3_PT2_iSC_SC_.num_named_barrier, max(0, .L__assert_fail.num_named_barrier)
	.set _Z38paged_attention_ll4mi_QKV_mfma4_kernelI14__hip_bfloat16hLN4vllm18Fp8KVCacheDataTypeE1ES0_Li32ELi128ELi256ELb1ELi2EEvPKT_PKT0_S8_ifPKiSA_SA_iPKfiiiPfSD_PS3_PT2_iSC_SC_.private_seg_size, 0+max(.L__assert_fail.private_seg_size)
	.set _Z38paged_attention_ll4mi_QKV_mfma4_kernelI14__hip_bfloat16hLN4vllm18Fp8KVCacheDataTypeE1ES0_Li32ELi128ELi256ELb1ELi2EEvPKT_PKT0_S8_ifPKiSA_SA_iPKfiiiPfSD_PS3_PT2_iSC_SC_.uses_vcc, or(1, .L__assert_fail.uses_vcc)
	.set _Z38paged_attention_ll4mi_QKV_mfma4_kernelI14__hip_bfloat16hLN4vllm18Fp8KVCacheDataTypeE1ES0_Li32ELi128ELi256ELb1ELi2EEvPKT_PKT0_S8_ifPKiSA_SA_iPKfiiiPfSD_PS3_PT2_iSC_SC_.uses_flat_scratch, or(0, .L__assert_fail.uses_flat_scratch)
	.set _Z38paged_attention_ll4mi_QKV_mfma4_kernelI14__hip_bfloat16hLN4vllm18Fp8KVCacheDataTypeE1ES0_Li32ELi128ELi256ELb1ELi2EEvPKT_PKT0_S8_ifPKiSA_SA_iPKfiiiPfSD_PS3_PT2_iSC_SC_.has_dyn_sized_stack, or(0, .L__assert_fail.has_dyn_sized_stack)
	.set _Z38paged_attention_ll4mi_QKV_mfma4_kernelI14__hip_bfloat16hLN4vllm18Fp8KVCacheDataTypeE1ES0_Li32ELi128ELi256ELb1ELi2EEvPKT_PKT0_S8_ifPKiSA_SA_iPKfiiiPfSD_PS3_PT2_iSC_SC_.has_recursion, or(0, .L__assert_fail.has_recursion)
	.set _Z38paged_attention_ll4mi_QKV_mfma4_kernelI14__hip_bfloat16hLN4vllm18Fp8KVCacheDataTypeE1ES0_Li32ELi128ELi256ELb1ELi2EEvPKT_PKT0_S8_ifPKiSA_SA_iPKfiiiPfSD_PS3_PT2_iSC_SC_.has_indirect_call, or(0, .L__assert_fail.has_indirect_call)
	.section	.AMDGPU.csdata,"",@progbits
; Kernel info:
; codeLenInByte = 68
; TotalNumSgprs: 36
; NumVgprs: 51
; ScratchSize: 64
; MemoryBound: 0
; FloatMode: 240
; IeeeMode: 1
; LDSByteSize: 0 bytes/workgroup (compile time only)
; SGPRBlocks: 0
; VGPRBlocks: 3
; NumSGPRsForWavesPerEU: 36
; NumVGPRsForWavesPerEU: 51
; NamedBarCnt: 0
; Occupancy: 16
; WaveLimiterHint : 1
; COMPUTE_PGM_RSRC2:SCRATCH_EN: 1
; COMPUTE_PGM_RSRC2:USER_SGPR: 2
; COMPUTE_PGM_RSRC2:TRAP_HANDLER: 0
; COMPUTE_PGM_RSRC2:TGID_X_EN: 1
; COMPUTE_PGM_RSRC2:TGID_Y_EN: 0
; COMPUTE_PGM_RSRC2:TGID_Z_EN: 0
; COMPUTE_PGM_RSRC2:TIDIG_COMP_CNT: 0
	.section	.text._Z38paged_attention_ll4mi_QKV_mfma4_kernelI14__hip_bfloat16hLN4vllm18Fp8KVCacheDataTypeE1ES0_Li32ELi128ELi256ELb1ELi3EEvPKT_PKT0_S8_ifPKiSA_SA_iPKfiiiPfSD_PS3_PT2_iSC_SC_,"axG",@progbits,_Z38paged_attention_ll4mi_QKV_mfma4_kernelI14__hip_bfloat16hLN4vllm18Fp8KVCacheDataTypeE1ES0_Li32ELi128ELi256ELb1ELi3EEvPKT_PKT0_S8_ifPKiSA_SA_iPKfiiiPfSD_PS3_PT2_iSC_SC_,comdat
	.protected	_Z38paged_attention_ll4mi_QKV_mfma4_kernelI14__hip_bfloat16hLN4vllm18Fp8KVCacheDataTypeE1ES0_Li32ELi128ELi256ELb1ELi3EEvPKT_PKT0_S8_ifPKiSA_SA_iPKfiiiPfSD_PS3_PT2_iSC_SC_ ; -- Begin function _Z38paged_attention_ll4mi_QKV_mfma4_kernelI14__hip_bfloat16hLN4vllm18Fp8KVCacheDataTypeE1ES0_Li32ELi128ELi256ELb1ELi3EEvPKT_PKT0_S8_ifPKiSA_SA_iPKfiiiPfSD_PS3_PT2_iSC_SC_
	.globl	_Z38paged_attention_ll4mi_QKV_mfma4_kernelI14__hip_bfloat16hLN4vllm18Fp8KVCacheDataTypeE1ES0_Li32ELi128ELi256ELb1ELi3EEvPKT_PKT0_S8_ifPKiSA_SA_iPKfiiiPfSD_PS3_PT2_iSC_SC_
	.p2align	8
	.type	_Z38paged_attention_ll4mi_QKV_mfma4_kernelI14__hip_bfloat16hLN4vllm18Fp8KVCacheDataTypeE1ES0_Li32ELi128ELi256ELb1ELi3EEvPKT_PKT0_S8_ifPKiSA_SA_iPKfiiiPfSD_PS3_PT2_iSC_SC_,@function
_Z38paged_attention_ll4mi_QKV_mfma4_kernelI14__hip_bfloat16hLN4vllm18Fp8KVCacheDataTypeE1ES0_Li32ELi128ELi256ELb1ELi3EEvPKT_PKT0_S8_ifPKiSA_SA_iPKfiiiPfSD_PS3_PT2_iSC_SC_: ; @_Z38paged_attention_ll4mi_QKV_mfma4_kernelI14__hip_bfloat16hLN4vllm18Fp8KVCacheDataTypeE1ES0_Li32ELi128ELi256ELb1ELi3EEvPKT_PKT0_S8_ifPKiSA_SA_iPKfiiiPfSD_PS3_PT2_iSC_SC_
; %bb.0:
	s_get_pc_i64 s[2:3]
	s_add_nc_u64 s[2:3], s[2:3], __PRETTY_FUNCTION__._Z38paged_attention_ll4mi_QKV_mfma4_kernelI14__hip_bfloat16hLN4vllm18Fp8KVCacheDataTypeE1ES0_Li32ELi128ELi256ELb1ELi3EEvPKT_PKT0_S8_ifPKiSA_SA_iPKfiiiPfSD_PS3_PT2_iSC_SC_@rel64+4
	s_delay_alu instid0(SALU_CYCLE_1)
	v_dual_mov_b32 v0, 0xbce :: v_dual_mov_b32 v1, s2
	v_mov_b32_e32 v2, s3
	s_add_nc_u64 s[8:9], s[0:1], 0x90
	s_get_pc_i64 s[0:1]
	s_add_nc_u64 s[0:1], s[0:1], __assert_fail@rel64+4
	s_mov_b32 s32, 0
	s_swap_pc_i64 s[30:31], s[0:1]
	.section	.rodata,"a",@progbits
	.p2align	6, 0x0
	.amdhsa_kernel _Z38paged_attention_ll4mi_QKV_mfma4_kernelI14__hip_bfloat16hLN4vllm18Fp8KVCacheDataTypeE1ES0_Li32ELi128ELi256ELb1ELi3EEvPKT_PKT0_S8_ifPKiSA_SA_iPKfiiiPfSD_PS3_PT2_iSC_SC_
		.amdhsa_group_segment_fixed_size 0
		.amdhsa_private_segment_fixed_size 64
		.amdhsa_kernarg_size 400
		.amdhsa_user_sgpr_count 2
		.amdhsa_user_sgpr_dispatch_ptr 0
		.amdhsa_user_sgpr_queue_ptr 0
		.amdhsa_user_sgpr_kernarg_segment_ptr 1
		.amdhsa_user_sgpr_dispatch_id 0
		.amdhsa_user_sgpr_kernarg_preload_length 0
		.amdhsa_user_sgpr_kernarg_preload_offset 0
		.amdhsa_user_sgpr_private_segment_size 0
		.amdhsa_wavefront_size32 1
		.amdhsa_uses_dynamic_stack 0
		.amdhsa_enable_private_segment 1
		.amdhsa_system_sgpr_workgroup_id_x 1
		.amdhsa_system_sgpr_workgroup_id_y 0
		.amdhsa_system_sgpr_workgroup_id_z 0
		.amdhsa_system_sgpr_workgroup_info 0
		.amdhsa_system_vgpr_workitem_id 0
		.amdhsa_next_free_vgpr 51
		.amdhsa_next_free_sgpr 34
		.amdhsa_named_barrier_count 0
		.amdhsa_reserve_vcc 1
		.amdhsa_float_round_mode_32 0
		.amdhsa_float_round_mode_16_64 0
		.amdhsa_float_denorm_mode_32 3
		.amdhsa_float_denorm_mode_16_64 3
		.amdhsa_fp16_overflow 0
		.amdhsa_memory_ordered 1
		.amdhsa_forward_progress 1
		.amdhsa_inst_pref_size 1
		.amdhsa_round_robin_scheduling 0
		.amdhsa_exception_fp_ieee_invalid_op 0
		.amdhsa_exception_fp_denorm_src 0
		.amdhsa_exception_fp_ieee_div_zero 0
		.amdhsa_exception_fp_ieee_overflow 0
		.amdhsa_exception_fp_ieee_underflow 0
		.amdhsa_exception_fp_ieee_inexact 0
		.amdhsa_exception_int_div_zero 0
	.end_amdhsa_kernel
	.section	.text._Z38paged_attention_ll4mi_QKV_mfma4_kernelI14__hip_bfloat16hLN4vllm18Fp8KVCacheDataTypeE1ES0_Li32ELi128ELi256ELb1ELi3EEvPKT_PKT0_S8_ifPKiSA_SA_iPKfiiiPfSD_PS3_PT2_iSC_SC_,"axG",@progbits,_Z38paged_attention_ll4mi_QKV_mfma4_kernelI14__hip_bfloat16hLN4vllm18Fp8KVCacheDataTypeE1ES0_Li32ELi128ELi256ELb1ELi3EEvPKT_PKT0_S8_ifPKiSA_SA_iPKfiiiPfSD_PS3_PT2_iSC_SC_,comdat
.Lfunc_end1372:
	.size	_Z38paged_attention_ll4mi_QKV_mfma4_kernelI14__hip_bfloat16hLN4vllm18Fp8KVCacheDataTypeE1ES0_Li32ELi128ELi256ELb1ELi3EEvPKT_PKT0_S8_ifPKiSA_SA_iPKfiiiPfSD_PS3_PT2_iSC_SC_, .Lfunc_end1372-_Z38paged_attention_ll4mi_QKV_mfma4_kernelI14__hip_bfloat16hLN4vllm18Fp8KVCacheDataTypeE1ES0_Li32ELi128ELi256ELb1ELi3EEvPKT_PKT0_S8_ifPKiSA_SA_iPKfiiiPfSD_PS3_PT2_iSC_SC_
                                        ; -- End function
	.set _Z38paged_attention_ll4mi_QKV_mfma4_kernelI14__hip_bfloat16hLN4vllm18Fp8KVCacheDataTypeE1ES0_Li32ELi128ELi256ELb1ELi3EEvPKT_PKT0_S8_ifPKiSA_SA_iPKfiiiPfSD_PS3_PT2_iSC_SC_.num_vgpr, max(3, .L__assert_fail.num_vgpr)
	.set _Z38paged_attention_ll4mi_QKV_mfma4_kernelI14__hip_bfloat16hLN4vllm18Fp8KVCacheDataTypeE1ES0_Li32ELi128ELi256ELb1ELi3EEvPKT_PKT0_S8_ifPKiSA_SA_iPKfiiiPfSD_PS3_PT2_iSC_SC_.num_agpr, max(0, .L__assert_fail.num_agpr)
	.set _Z38paged_attention_ll4mi_QKV_mfma4_kernelI14__hip_bfloat16hLN4vllm18Fp8KVCacheDataTypeE1ES0_Li32ELi128ELi256ELb1ELi3EEvPKT_PKT0_S8_ifPKiSA_SA_iPKfiiiPfSD_PS3_PT2_iSC_SC_.numbered_sgpr, max(33, .L__assert_fail.numbered_sgpr)
	.set _Z38paged_attention_ll4mi_QKV_mfma4_kernelI14__hip_bfloat16hLN4vllm18Fp8KVCacheDataTypeE1ES0_Li32ELi128ELi256ELb1ELi3EEvPKT_PKT0_S8_ifPKiSA_SA_iPKfiiiPfSD_PS3_PT2_iSC_SC_.num_named_barrier, max(0, .L__assert_fail.num_named_barrier)
	.set _Z38paged_attention_ll4mi_QKV_mfma4_kernelI14__hip_bfloat16hLN4vllm18Fp8KVCacheDataTypeE1ES0_Li32ELi128ELi256ELb1ELi3EEvPKT_PKT0_S8_ifPKiSA_SA_iPKfiiiPfSD_PS3_PT2_iSC_SC_.private_seg_size, 0+max(.L__assert_fail.private_seg_size)
	.set _Z38paged_attention_ll4mi_QKV_mfma4_kernelI14__hip_bfloat16hLN4vllm18Fp8KVCacheDataTypeE1ES0_Li32ELi128ELi256ELb1ELi3EEvPKT_PKT0_S8_ifPKiSA_SA_iPKfiiiPfSD_PS3_PT2_iSC_SC_.uses_vcc, or(1, .L__assert_fail.uses_vcc)
	.set _Z38paged_attention_ll4mi_QKV_mfma4_kernelI14__hip_bfloat16hLN4vllm18Fp8KVCacheDataTypeE1ES0_Li32ELi128ELi256ELb1ELi3EEvPKT_PKT0_S8_ifPKiSA_SA_iPKfiiiPfSD_PS3_PT2_iSC_SC_.uses_flat_scratch, or(0, .L__assert_fail.uses_flat_scratch)
	.set _Z38paged_attention_ll4mi_QKV_mfma4_kernelI14__hip_bfloat16hLN4vllm18Fp8KVCacheDataTypeE1ES0_Li32ELi128ELi256ELb1ELi3EEvPKT_PKT0_S8_ifPKiSA_SA_iPKfiiiPfSD_PS3_PT2_iSC_SC_.has_dyn_sized_stack, or(0, .L__assert_fail.has_dyn_sized_stack)
	.set _Z38paged_attention_ll4mi_QKV_mfma4_kernelI14__hip_bfloat16hLN4vllm18Fp8KVCacheDataTypeE1ES0_Li32ELi128ELi256ELb1ELi3EEvPKT_PKT0_S8_ifPKiSA_SA_iPKfiiiPfSD_PS3_PT2_iSC_SC_.has_recursion, or(0, .L__assert_fail.has_recursion)
	.set _Z38paged_attention_ll4mi_QKV_mfma4_kernelI14__hip_bfloat16hLN4vllm18Fp8KVCacheDataTypeE1ES0_Li32ELi128ELi256ELb1ELi3EEvPKT_PKT0_S8_ifPKiSA_SA_iPKfiiiPfSD_PS3_PT2_iSC_SC_.has_indirect_call, or(0, .L__assert_fail.has_indirect_call)
	.section	.AMDGPU.csdata,"",@progbits
; Kernel info:
; codeLenInByte = 68
; TotalNumSgprs: 36
; NumVgprs: 51
; ScratchSize: 64
; MemoryBound: 0
; FloatMode: 240
; IeeeMode: 1
; LDSByteSize: 0 bytes/workgroup (compile time only)
; SGPRBlocks: 0
; VGPRBlocks: 3
; NumSGPRsForWavesPerEU: 36
; NumVGPRsForWavesPerEU: 51
; NamedBarCnt: 0
; Occupancy: 16
; WaveLimiterHint : 1
; COMPUTE_PGM_RSRC2:SCRATCH_EN: 1
; COMPUTE_PGM_RSRC2:USER_SGPR: 2
; COMPUTE_PGM_RSRC2:TRAP_HANDLER: 0
; COMPUTE_PGM_RSRC2:TGID_X_EN: 1
; COMPUTE_PGM_RSRC2:TGID_Y_EN: 0
; COMPUTE_PGM_RSRC2:TGID_Z_EN: 0
; COMPUTE_PGM_RSRC2:TIDIG_COMP_CNT: 0
	.section	.text._Z38paged_attention_ll4mi_QKV_mfma4_kernelI14__hip_bfloat16hLN4vllm18Fp8KVCacheDataTypeE1ES0_Li32ELi128ELi256ELb1ELi4EEvPKT_PKT0_S8_ifPKiSA_SA_iPKfiiiPfSD_PS3_PT2_iSC_SC_,"axG",@progbits,_Z38paged_attention_ll4mi_QKV_mfma4_kernelI14__hip_bfloat16hLN4vllm18Fp8KVCacheDataTypeE1ES0_Li32ELi128ELi256ELb1ELi4EEvPKT_PKT0_S8_ifPKiSA_SA_iPKfiiiPfSD_PS3_PT2_iSC_SC_,comdat
	.protected	_Z38paged_attention_ll4mi_QKV_mfma4_kernelI14__hip_bfloat16hLN4vllm18Fp8KVCacheDataTypeE1ES0_Li32ELi128ELi256ELb1ELi4EEvPKT_PKT0_S8_ifPKiSA_SA_iPKfiiiPfSD_PS3_PT2_iSC_SC_ ; -- Begin function _Z38paged_attention_ll4mi_QKV_mfma4_kernelI14__hip_bfloat16hLN4vllm18Fp8KVCacheDataTypeE1ES0_Li32ELi128ELi256ELb1ELi4EEvPKT_PKT0_S8_ifPKiSA_SA_iPKfiiiPfSD_PS3_PT2_iSC_SC_
	.globl	_Z38paged_attention_ll4mi_QKV_mfma4_kernelI14__hip_bfloat16hLN4vllm18Fp8KVCacheDataTypeE1ES0_Li32ELi128ELi256ELb1ELi4EEvPKT_PKT0_S8_ifPKiSA_SA_iPKfiiiPfSD_PS3_PT2_iSC_SC_
	.p2align	8
	.type	_Z38paged_attention_ll4mi_QKV_mfma4_kernelI14__hip_bfloat16hLN4vllm18Fp8KVCacheDataTypeE1ES0_Li32ELi128ELi256ELb1ELi4EEvPKT_PKT0_S8_ifPKiSA_SA_iPKfiiiPfSD_PS3_PT2_iSC_SC_,@function
_Z38paged_attention_ll4mi_QKV_mfma4_kernelI14__hip_bfloat16hLN4vllm18Fp8KVCacheDataTypeE1ES0_Li32ELi128ELi256ELb1ELi4EEvPKT_PKT0_S8_ifPKiSA_SA_iPKfiiiPfSD_PS3_PT2_iSC_SC_: ; @_Z38paged_attention_ll4mi_QKV_mfma4_kernelI14__hip_bfloat16hLN4vllm18Fp8KVCacheDataTypeE1ES0_Li32ELi128ELi256ELb1ELi4EEvPKT_PKT0_S8_ifPKiSA_SA_iPKfiiiPfSD_PS3_PT2_iSC_SC_
; %bb.0:
	s_get_pc_i64 s[2:3]
	s_add_nc_u64 s[2:3], s[2:3], __PRETTY_FUNCTION__._Z38paged_attention_ll4mi_QKV_mfma4_kernelI14__hip_bfloat16hLN4vllm18Fp8KVCacheDataTypeE1ES0_Li32ELi128ELi256ELb1ELi4EEvPKT_PKT0_S8_ifPKiSA_SA_iPKfiiiPfSD_PS3_PT2_iSC_SC_@rel64+4
	s_delay_alu instid0(SALU_CYCLE_1)
	v_dual_mov_b32 v0, 0xbce :: v_dual_mov_b32 v1, s2
	v_mov_b32_e32 v2, s3
	s_add_nc_u64 s[8:9], s[0:1], 0x90
	s_get_pc_i64 s[0:1]
	s_add_nc_u64 s[0:1], s[0:1], __assert_fail@rel64+4
	s_mov_b32 s32, 0
	s_swap_pc_i64 s[30:31], s[0:1]
	.section	.rodata,"a",@progbits
	.p2align	6, 0x0
	.amdhsa_kernel _Z38paged_attention_ll4mi_QKV_mfma4_kernelI14__hip_bfloat16hLN4vllm18Fp8KVCacheDataTypeE1ES0_Li32ELi128ELi256ELb1ELi4EEvPKT_PKT0_S8_ifPKiSA_SA_iPKfiiiPfSD_PS3_PT2_iSC_SC_
		.amdhsa_group_segment_fixed_size 0
		.amdhsa_private_segment_fixed_size 64
		.amdhsa_kernarg_size 400
		.amdhsa_user_sgpr_count 2
		.amdhsa_user_sgpr_dispatch_ptr 0
		.amdhsa_user_sgpr_queue_ptr 0
		.amdhsa_user_sgpr_kernarg_segment_ptr 1
		.amdhsa_user_sgpr_dispatch_id 0
		.amdhsa_user_sgpr_kernarg_preload_length 0
		.amdhsa_user_sgpr_kernarg_preload_offset 0
		.amdhsa_user_sgpr_private_segment_size 0
		.amdhsa_wavefront_size32 1
		.amdhsa_uses_dynamic_stack 0
		.amdhsa_enable_private_segment 1
		.amdhsa_system_sgpr_workgroup_id_x 1
		.amdhsa_system_sgpr_workgroup_id_y 0
		.amdhsa_system_sgpr_workgroup_id_z 0
		.amdhsa_system_sgpr_workgroup_info 0
		.amdhsa_system_vgpr_workitem_id 0
		.amdhsa_next_free_vgpr 51
		.amdhsa_next_free_sgpr 34
		.amdhsa_named_barrier_count 0
		.amdhsa_reserve_vcc 1
		.amdhsa_float_round_mode_32 0
		.amdhsa_float_round_mode_16_64 0
		.amdhsa_float_denorm_mode_32 3
		.amdhsa_float_denorm_mode_16_64 3
		.amdhsa_fp16_overflow 0
		.amdhsa_memory_ordered 1
		.amdhsa_forward_progress 1
		.amdhsa_inst_pref_size 1
		.amdhsa_round_robin_scheduling 0
		.amdhsa_exception_fp_ieee_invalid_op 0
		.amdhsa_exception_fp_denorm_src 0
		.amdhsa_exception_fp_ieee_div_zero 0
		.amdhsa_exception_fp_ieee_overflow 0
		.amdhsa_exception_fp_ieee_underflow 0
		.amdhsa_exception_fp_ieee_inexact 0
		.amdhsa_exception_int_div_zero 0
	.end_amdhsa_kernel
	.section	.text._Z38paged_attention_ll4mi_QKV_mfma4_kernelI14__hip_bfloat16hLN4vllm18Fp8KVCacheDataTypeE1ES0_Li32ELi128ELi256ELb1ELi4EEvPKT_PKT0_S8_ifPKiSA_SA_iPKfiiiPfSD_PS3_PT2_iSC_SC_,"axG",@progbits,_Z38paged_attention_ll4mi_QKV_mfma4_kernelI14__hip_bfloat16hLN4vllm18Fp8KVCacheDataTypeE1ES0_Li32ELi128ELi256ELb1ELi4EEvPKT_PKT0_S8_ifPKiSA_SA_iPKfiiiPfSD_PS3_PT2_iSC_SC_,comdat
.Lfunc_end1373:
	.size	_Z38paged_attention_ll4mi_QKV_mfma4_kernelI14__hip_bfloat16hLN4vllm18Fp8KVCacheDataTypeE1ES0_Li32ELi128ELi256ELb1ELi4EEvPKT_PKT0_S8_ifPKiSA_SA_iPKfiiiPfSD_PS3_PT2_iSC_SC_, .Lfunc_end1373-_Z38paged_attention_ll4mi_QKV_mfma4_kernelI14__hip_bfloat16hLN4vllm18Fp8KVCacheDataTypeE1ES0_Li32ELi128ELi256ELb1ELi4EEvPKT_PKT0_S8_ifPKiSA_SA_iPKfiiiPfSD_PS3_PT2_iSC_SC_
                                        ; -- End function
	.set _Z38paged_attention_ll4mi_QKV_mfma4_kernelI14__hip_bfloat16hLN4vllm18Fp8KVCacheDataTypeE1ES0_Li32ELi128ELi256ELb1ELi4EEvPKT_PKT0_S8_ifPKiSA_SA_iPKfiiiPfSD_PS3_PT2_iSC_SC_.num_vgpr, max(3, .L__assert_fail.num_vgpr)
	.set _Z38paged_attention_ll4mi_QKV_mfma4_kernelI14__hip_bfloat16hLN4vllm18Fp8KVCacheDataTypeE1ES0_Li32ELi128ELi256ELb1ELi4EEvPKT_PKT0_S8_ifPKiSA_SA_iPKfiiiPfSD_PS3_PT2_iSC_SC_.num_agpr, max(0, .L__assert_fail.num_agpr)
	.set _Z38paged_attention_ll4mi_QKV_mfma4_kernelI14__hip_bfloat16hLN4vllm18Fp8KVCacheDataTypeE1ES0_Li32ELi128ELi256ELb1ELi4EEvPKT_PKT0_S8_ifPKiSA_SA_iPKfiiiPfSD_PS3_PT2_iSC_SC_.numbered_sgpr, max(33, .L__assert_fail.numbered_sgpr)
	.set _Z38paged_attention_ll4mi_QKV_mfma4_kernelI14__hip_bfloat16hLN4vllm18Fp8KVCacheDataTypeE1ES0_Li32ELi128ELi256ELb1ELi4EEvPKT_PKT0_S8_ifPKiSA_SA_iPKfiiiPfSD_PS3_PT2_iSC_SC_.num_named_barrier, max(0, .L__assert_fail.num_named_barrier)
	.set _Z38paged_attention_ll4mi_QKV_mfma4_kernelI14__hip_bfloat16hLN4vllm18Fp8KVCacheDataTypeE1ES0_Li32ELi128ELi256ELb1ELi4EEvPKT_PKT0_S8_ifPKiSA_SA_iPKfiiiPfSD_PS3_PT2_iSC_SC_.private_seg_size, 0+max(.L__assert_fail.private_seg_size)
	.set _Z38paged_attention_ll4mi_QKV_mfma4_kernelI14__hip_bfloat16hLN4vllm18Fp8KVCacheDataTypeE1ES0_Li32ELi128ELi256ELb1ELi4EEvPKT_PKT0_S8_ifPKiSA_SA_iPKfiiiPfSD_PS3_PT2_iSC_SC_.uses_vcc, or(1, .L__assert_fail.uses_vcc)
	.set _Z38paged_attention_ll4mi_QKV_mfma4_kernelI14__hip_bfloat16hLN4vllm18Fp8KVCacheDataTypeE1ES0_Li32ELi128ELi256ELb1ELi4EEvPKT_PKT0_S8_ifPKiSA_SA_iPKfiiiPfSD_PS3_PT2_iSC_SC_.uses_flat_scratch, or(0, .L__assert_fail.uses_flat_scratch)
	.set _Z38paged_attention_ll4mi_QKV_mfma4_kernelI14__hip_bfloat16hLN4vllm18Fp8KVCacheDataTypeE1ES0_Li32ELi128ELi256ELb1ELi4EEvPKT_PKT0_S8_ifPKiSA_SA_iPKfiiiPfSD_PS3_PT2_iSC_SC_.has_dyn_sized_stack, or(0, .L__assert_fail.has_dyn_sized_stack)
	.set _Z38paged_attention_ll4mi_QKV_mfma4_kernelI14__hip_bfloat16hLN4vllm18Fp8KVCacheDataTypeE1ES0_Li32ELi128ELi256ELb1ELi4EEvPKT_PKT0_S8_ifPKiSA_SA_iPKfiiiPfSD_PS3_PT2_iSC_SC_.has_recursion, or(0, .L__assert_fail.has_recursion)
	.set _Z38paged_attention_ll4mi_QKV_mfma4_kernelI14__hip_bfloat16hLN4vllm18Fp8KVCacheDataTypeE1ES0_Li32ELi128ELi256ELb1ELi4EEvPKT_PKT0_S8_ifPKiSA_SA_iPKfiiiPfSD_PS3_PT2_iSC_SC_.has_indirect_call, or(0, .L__assert_fail.has_indirect_call)
	.section	.AMDGPU.csdata,"",@progbits
; Kernel info:
; codeLenInByte = 68
; TotalNumSgprs: 36
; NumVgprs: 51
; ScratchSize: 64
; MemoryBound: 0
; FloatMode: 240
; IeeeMode: 1
; LDSByteSize: 0 bytes/workgroup (compile time only)
; SGPRBlocks: 0
; VGPRBlocks: 3
; NumSGPRsForWavesPerEU: 36
; NumVGPRsForWavesPerEU: 51
; NamedBarCnt: 0
; Occupancy: 16
; WaveLimiterHint : 1
; COMPUTE_PGM_RSRC2:SCRATCH_EN: 1
; COMPUTE_PGM_RSRC2:USER_SGPR: 2
; COMPUTE_PGM_RSRC2:TRAP_HANDLER: 0
; COMPUTE_PGM_RSRC2:TGID_X_EN: 1
; COMPUTE_PGM_RSRC2:TGID_Y_EN: 0
; COMPUTE_PGM_RSRC2:TGID_Z_EN: 0
; COMPUTE_PGM_RSRC2:TIDIG_COMP_CNT: 0
	.section	.text._Z39paged_attention_ll4mi_QKV_mfma16_kernelI14__hip_bfloat16hLN4vllm18Fp8KVCacheDataTypeE1ES0_Li32ELi128ELi256ELb1ELi5EEvPKT_PKT0_S8_ifPKiSA_SA_iPKfiiiPfSD_PS3_PT2_iSC_SC_,"axG",@progbits,_Z39paged_attention_ll4mi_QKV_mfma16_kernelI14__hip_bfloat16hLN4vllm18Fp8KVCacheDataTypeE1ES0_Li32ELi128ELi256ELb1ELi5EEvPKT_PKT0_S8_ifPKiSA_SA_iPKfiiiPfSD_PS3_PT2_iSC_SC_,comdat
	.protected	_Z39paged_attention_ll4mi_QKV_mfma16_kernelI14__hip_bfloat16hLN4vllm18Fp8KVCacheDataTypeE1ES0_Li32ELi128ELi256ELb1ELi5EEvPKT_PKT0_S8_ifPKiSA_SA_iPKfiiiPfSD_PS3_PT2_iSC_SC_ ; -- Begin function _Z39paged_attention_ll4mi_QKV_mfma16_kernelI14__hip_bfloat16hLN4vllm18Fp8KVCacheDataTypeE1ES0_Li32ELi128ELi256ELb1ELi5EEvPKT_PKT0_S8_ifPKiSA_SA_iPKfiiiPfSD_PS3_PT2_iSC_SC_
	.globl	_Z39paged_attention_ll4mi_QKV_mfma16_kernelI14__hip_bfloat16hLN4vllm18Fp8KVCacheDataTypeE1ES0_Li32ELi128ELi256ELb1ELi5EEvPKT_PKT0_S8_ifPKiSA_SA_iPKfiiiPfSD_PS3_PT2_iSC_SC_
	.p2align	8
	.type	_Z39paged_attention_ll4mi_QKV_mfma16_kernelI14__hip_bfloat16hLN4vllm18Fp8KVCacheDataTypeE1ES0_Li32ELi128ELi256ELb1ELi5EEvPKT_PKT0_S8_ifPKiSA_SA_iPKfiiiPfSD_PS3_PT2_iSC_SC_,@function
_Z39paged_attention_ll4mi_QKV_mfma16_kernelI14__hip_bfloat16hLN4vllm18Fp8KVCacheDataTypeE1ES0_Li32ELi128ELi256ELb1ELi5EEvPKT_PKT0_S8_ifPKiSA_SA_iPKfiiiPfSD_PS3_PT2_iSC_SC_: ; @_Z39paged_attention_ll4mi_QKV_mfma16_kernelI14__hip_bfloat16hLN4vllm18Fp8KVCacheDataTypeE1ES0_Li32ELi128ELi256ELb1ELi5EEvPKT_PKT0_S8_ifPKiSA_SA_iPKfiiiPfSD_PS3_PT2_iSC_SC_
; %bb.0:
	s_get_pc_i64 s[2:3]
	s_add_nc_u64 s[2:3], s[2:3], __PRETTY_FUNCTION__._Z39paged_attention_ll4mi_QKV_mfma16_kernelI14__hip_bfloat16hLN4vllm18Fp8KVCacheDataTypeE1ES0_Li32ELi128ELi256ELb1ELi5EEvPKT_PKT0_S8_ifPKiSA_SA_iPKfiiiPfSD_PS3_PT2_iSC_SC_@rel64+4
	s_delay_alu instid0(SALU_CYCLE_1)
	v_dual_mov_b32 v0, 0xbb3 :: v_dual_mov_b32 v1, s2
	v_mov_b32_e32 v2, s3
	s_add_nc_u64 s[8:9], s[0:1], 0x90
	s_get_pc_i64 s[0:1]
	s_add_nc_u64 s[0:1], s[0:1], __assert_fail@rel64+4
	s_mov_b32 s32, 0
	s_swap_pc_i64 s[30:31], s[0:1]
	.section	.rodata,"a",@progbits
	.p2align	6, 0x0
	.amdhsa_kernel _Z39paged_attention_ll4mi_QKV_mfma16_kernelI14__hip_bfloat16hLN4vllm18Fp8KVCacheDataTypeE1ES0_Li32ELi128ELi256ELb1ELi5EEvPKT_PKT0_S8_ifPKiSA_SA_iPKfiiiPfSD_PS3_PT2_iSC_SC_
		.amdhsa_group_segment_fixed_size 0
		.amdhsa_private_segment_fixed_size 64
		.amdhsa_kernarg_size 400
		.amdhsa_user_sgpr_count 2
		.amdhsa_user_sgpr_dispatch_ptr 0
		.amdhsa_user_sgpr_queue_ptr 0
		.amdhsa_user_sgpr_kernarg_segment_ptr 1
		.amdhsa_user_sgpr_dispatch_id 0
		.amdhsa_user_sgpr_kernarg_preload_length 0
		.amdhsa_user_sgpr_kernarg_preload_offset 0
		.amdhsa_user_sgpr_private_segment_size 0
		.amdhsa_wavefront_size32 1
		.amdhsa_uses_dynamic_stack 0
		.amdhsa_enable_private_segment 1
		.amdhsa_system_sgpr_workgroup_id_x 1
		.amdhsa_system_sgpr_workgroup_id_y 0
		.amdhsa_system_sgpr_workgroup_id_z 0
		.amdhsa_system_sgpr_workgroup_info 0
		.amdhsa_system_vgpr_workitem_id 0
		.amdhsa_next_free_vgpr 51
		.amdhsa_next_free_sgpr 34
		.amdhsa_named_barrier_count 0
		.amdhsa_reserve_vcc 1
		.amdhsa_float_round_mode_32 0
		.amdhsa_float_round_mode_16_64 0
		.amdhsa_float_denorm_mode_32 3
		.amdhsa_float_denorm_mode_16_64 3
		.amdhsa_fp16_overflow 0
		.amdhsa_memory_ordered 1
		.amdhsa_forward_progress 1
		.amdhsa_inst_pref_size 1
		.amdhsa_round_robin_scheduling 0
		.amdhsa_exception_fp_ieee_invalid_op 0
		.amdhsa_exception_fp_denorm_src 0
		.amdhsa_exception_fp_ieee_div_zero 0
		.amdhsa_exception_fp_ieee_overflow 0
		.amdhsa_exception_fp_ieee_underflow 0
		.amdhsa_exception_fp_ieee_inexact 0
		.amdhsa_exception_int_div_zero 0
	.end_amdhsa_kernel
	.section	.text._Z39paged_attention_ll4mi_QKV_mfma16_kernelI14__hip_bfloat16hLN4vllm18Fp8KVCacheDataTypeE1ES0_Li32ELi128ELi256ELb1ELi5EEvPKT_PKT0_S8_ifPKiSA_SA_iPKfiiiPfSD_PS3_PT2_iSC_SC_,"axG",@progbits,_Z39paged_attention_ll4mi_QKV_mfma16_kernelI14__hip_bfloat16hLN4vllm18Fp8KVCacheDataTypeE1ES0_Li32ELi128ELi256ELb1ELi5EEvPKT_PKT0_S8_ifPKiSA_SA_iPKfiiiPfSD_PS3_PT2_iSC_SC_,comdat
.Lfunc_end1374:
	.size	_Z39paged_attention_ll4mi_QKV_mfma16_kernelI14__hip_bfloat16hLN4vllm18Fp8KVCacheDataTypeE1ES0_Li32ELi128ELi256ELb1ELi5EEvPKT_PKT0_S8_ifPKiSA_SA_iPKfiiiPfSD_PS3_PT2_iSC_SC_, .Lfunc_end1374-_Z39paged_attention_ll4mi_QKV_mfma16_kernelI14__hip_bfloat16hLN4vllm18Fp8KVCacheDataTypeE1ES0_Li32ELi128ELi256ELb1ELi5EEvPKT_PKT0_S8_ifPKiSA_SA_iPKfiiiPfSD_PS3_PT2_iSC_SC_
                                        ; -- End function
	.set _Z39paged_attention_ll4mi_QKV_mfma16_kernelI14__hip_bfloat16hLN4vllm18Fp8KVCacheDataTypeE1ES0_Li32ELi128ELi256ELb1ELi5EEvPKT_PKT0_S8_ifPKiSA_SA_iPKfiiiPfSD_PS3_PT2_iSC_SC_.num_vgpr, max(3, .L__assert_fail.num_vgpr)
	.set _Z39paged_attention_ll4mi_QKV_mfma16_kernelI14__hip_bfloat16hLN4vllm18Fp8KVCacheDataTypeE1ES0_Li32ELi128ELi256ELb1ELi5EEvPKT_PKT0_S8_ifPKiSA_SA_iPKfiiiPfSD_PS3_PT2_iSC_SC_.num_agpr, max(0, .L__assert_fail.num_agpr)
	.set _Z39paged_attention_ll4mi_QKV_mfma16_kernelI14__hip_bfloat16hLN4vllm18Fp8KVCacheDataTypeE1ES0_Li32ELi128ELi256ELb1ELi5EEvPKT_PKT0_S8_ifPKiSA_SA_iPKfiiiPfSD_PS3_PT2_iSC_SC_.numbered_sgpr, max(33, .L__assert_fail.numbered_sgpr)
	.set _Z39paged_attention_ll4mi_QKV_mfma16_kernelI14__hip_bfloat16hLN4vllm18Fp8KVCacheDataTypeE1ES0_Li32ELi128ELi256ELb1ELi5EEvPKT_PKT0_S8_ifPKiSA_SA_iPKfiiiPfSD_PS3_PT2_iSC_SC_.num_named_barrier, max(0, .L__assert_fail.num_named_barrier)
	.set _Z39paged_attention_ll4mi_QKV_mfma16_kernelI14__hip_bfloat16hLN4vllm18Fp8KVCacheDataTypeE1ES0_Li32ELi128ELi256ELb1ELi5EEvPKT_PKT0_S8_ifPKiSA_SA_iPKfiiiPfSD_PS3_PT2_iSC_SC_.private_seg_size, 0+max(.L__assert_fail.private_seg_size)
	.set _Z39paged_attention_ll4mi_QKV_mfma16_kernelI14__hip_bfloat16hLN4vllm18Fp8KVCacheDataTypeE1ES0_Li32ELi128ELi256ELb1ELi5EEvPKT_PKT0_S8_ifPKiSA_SA_iPKfiiiPfSD_PS3_PT2_iSC_SC_.uses_vcc, or(1, .L__assert_fail.uses_vcc)
	.set _Z39paged_attention_ll4mi_QKV_mfma16_kernelI14__hip_bfloat16hLN4vllm18Fp8KVCacheDataTypeE1ES0_Li32ELi128ELi256ELb1ELi5EEvPKT_PKT0_S8_ifPKiSA_SA_iPKfiiiPfSD_PS3_PT2_iSC_SC_.uses_flat_scratch, or(0, .L__assert_fail.uses_flat_scratch)
	.set _Z39paged_attention_ll4mi_QKV_mfma16_kernelI14__hip_bfloat16hLN4vllm18Fp8KVCacheDataTypeE1ES0_Li32ELi128ELi256ELb1ELi5EEvPKT_PKT0_S8_ifPKiSA_SA_iPKfiiiPfSD_PS3_PT2_iSC_SC_.has_dyn_sized_stack, or(0, .L__assert_fail.has_dyn_sized_stack)
	.set _Z39paged_attention_ll4mi_QKV_mfma16_kernelI14__hip_bfloat16hLN4vllm18Fp8KVCacheDataTypeE1ES0_Li32ELi128ELi256ELb1ELi5EEvPKT_PKT0_S8_ifPKiSA_SA_iPKfiiiPfSD_PS3_PT2_iSC_SC_.has_recursion, or(0, .L__assert_fail.has_recursion)
	.set _Z39paged_attention_ll4mi_QKV_mfma16_kernelI14__hip_bfloat16hLN4vllm18Fp8KVCacheDataTypeE1ES0_Li32ELi128ELi256ELb1ELi5EEvPKT_PKT0_S8_ifPKiSA_SA_iPKfiiiPfSD_PS3_PT2_iSC_SC_.has_indirect_call, or(0, .L__assert_fail.has_indirect_call)
	.section	.AMDGPU.csdata,"",@progbits
; Kernel info:
; codeLenInByte = 68
; TotalNumSgprs: 36
; NumVgprs: 51
; ScratchSize: 64
; MemoryBound: 0
; FloatMode: 240
; IeeeMode: 1
; LDSByteSize: 0 bytes/workgroup (compile time only)
; SGPRBlocks: 0
; VGPRBlocks: 3
; NumSGPRsForWavesPerEU: 36
; NumVGPRsForWavesPerEU: 51
; NamedBarCnt: 0
; Occupancy: 16
; WaveLimiterHint : 1
; COMPUTE_PGM_RSRC2:SCRATCH_EN: 1
; COMPUTE_PGM_RSRC2:USER_SGPR: 2
; COMPUTE_PGM_RSRC2:TRAP_HANDLER: 0
; COMPUTE_PGM_RSRC2:TGID_X_EN: 1
; COMPUTE_PGM_RSRC2:TGID_Y_EN: 0
; COMPUTE_PGM_RSRC2:TGID_Z_EN: 0
; COMPUTE_PGM_RSRC2:TIDIG_COMP_CNT: 0
	.section	.text._Z39paged_attention_ll4mi_QKV_mfma16_kernelI14__hip_bfloat16hLN4vllm18Fp8KVCacheDataTypeE1ES0_Li32ELi128ELi256ELb1ELi6EEvPKT_PKT0_S8_ifPKiSA_SA_iPKfiiiPfSD_PS3_PT2_iSC_SC_,"axG",@progbits,_Z39paged_attention_ll4mi_QKV_mfma16_kernelI14__hip_bfloat16hLN4vllm18Fp8KVCacheDataTypeE1ES0_Li32ELi128ELi256ELb1ELi6EEvPKT_PKT0_S8_ifPKiSA_SA_iPKfiiiPfSD_PS3_PT2_iSC_SC_,comdat
	.protected	_Z39paged_attention_ll4mi_QKV_mfma16_kernelI14__hip_bfloat16hLN4vllm18Fp8KVCacheDataTypeE1ES0_Li32ELi128ELi256ELb1ELi6EEvPKT_PKT0_S8_ifPKiSA_SA_iPKfiiiPfSD_PS3_PT2_iSC_SC_ ; -- Begin function _Z39paged_attention_ll4mi_QKV_mfma16_kernelI14__hip_bfloat16hLN4vllm18Fp8KVCacheDataTypeE1ES0_Li32ELi128ELi256ELb1ELi6EEvPKT_PKT0_S8_ifPKiSA_SA_iPKfiiiPfSD_PS3_PT2_iSC_SC_
	.globl	_Z39paged_attention_ll4mi_QKV_mfma16_kernelI14__hip_bfloat16hLN4vllm18Fp8KVCacheDataTypeE1ES0_Li32ELi128ELi256ELb1ELi6EEvPKT_PKT0_S8_ifPKiSA_SA_iPKfiiiPfSD_PS3_PT2_iSC_SC_
	.p2align	8
	.type	_Z39paged_attention_ll4mi_QKV_mfma16_kernelI14__hip_bfloat16hLN4vllm18Fp8KVCacheDataTypeE1ES0_Li32ELi128ELi256ELb1ELi6EEvPKT_PKT0_S8_ifPKiSA_SA_iPKfiiiPfSD_PS3_PT2_iSC_SC_,@function
_Z39paged_attention_ll4mi_QKV_mfma16_kernelI14__hip_bfloat16hLN4vllm18Fp8KVCacheDataTypeE1ES0_Li32ELi128ELi256ELb1ELi6EEvPKT_PKT0_S8_ifPKiSA_SA_iPKfiiiPfSD_PS3_PT2_iSC_SC_: ; @_Z39paged_attention_ll4mi_QKV_mfma16_kernelI14__hip_bfloat16hLN4vllm18Fp8KVCacheDataTypeE1ES0_Li32ELi128ELi256ELb1ELi6EEvPKT_PKT0_S8_ifPKiSA_SA_iPKfiiiPfSD_PS3_PT2_iSC_SC_
; %bb.0:
	s_get_pc_i64 s[2:3]
	s_add_nc_u64 s[2:3], s[2:3], __PRETTY_FUNCTION__._Z39paged_attention_ll4mi_QKV_mfma16_kernelI14__hip_bfloat16hLN4vllm18Fp8KVCacheDataTypeE1ES0_Li32ELi128ELi256ELb1ELi6EEvPKT_PKT0_S8_ifPKiSA_SA_iPKfiiiPfSD_PS3_PT2_iSC_SC_@rel64+4
	s_delay_alu instid0(SALU_CYCLE_1)
	v_dual_mov_b32 v0, 0xbb3 :: v_dual_mov_b32 v1, s2
	v_mov_b32_e32 v2, s3
	s_add_nc_u64 s[8:9], s[0:1], 0x90
	s_get_pc_i64 s[0:1]
	s_add_nc_u64 s[0:1], s[0:1], __assert_fail@rel64+4
	s_mov_b32 s32, 0
	s_swap_pc_i64 s[30:31], s[0:1]
	.section	.rodata,"a",@progbits
	.p2align	6, 0x0
	.amdhsa_kernel _Z39paged_attention_ll4mi_QKV_mfma16_kernelI14__hip_bfloat16hLN4vllm18Fp8KVCacheDataTypeE1ES0_Li32ELi128ELi256ELb1ELi6EEvPKT_PKT0_S8_ifPKiSA_SA_iPKfiiiPfSD_PS3_PT2_iSC_SC_
		.amdhsa_group_segment_fixed_size 0
		.amdhsa_private_segment_fixed_size 64
		.amdhsa_kernarg_size 400
		.amdhsa_user_sgpr_count 2
		.amdhsa_user_sgpr_dispatch_ptr 0
		.amdhsa_user_sgpr_queue_ptr 0
		.amdhsa_user_sgpr_kernarg_segment_ptr 1
		.amdhsa_user_sgpr_dispatch_id 0
		.amdhsa_user_sgpr_kernarg_preload_length 0
		.amdhsa_user_sgpr_kernarg_preload_offset 0
		.amdhsa_user_sgpr_private_segment_size 0
		.amdhsa_wavefront_size32 1
		.amdhsa_uses_dynamic_stack 0
		.amdhsa_enable_private_segment 1
		.amdhsa_system_sgpr_workgroup_id_x 1
		.amdhsa_system_sgpr_workgroup_id_y 0
		.amdhsa_system_sgpr_workgroup_id_z 0
		.amdhsa_system_sgpr_workgroup_info 0
		.amdhsa_system_vgpr_workitem_id 0
		.amdhsa_next_free_vgpr 51
		.amdhsa_next_free_sgpr 34
		.amdhsa_named_barrier_count 0
		.amdhsa_reserve_vcc 1
		.amdhsa_float_round_mode_32 0
		.amdhsa_float_round_mode_16_64 0
		.amdhsa_float_denorm_mode_32 3
		.amdhsa_float_denorm_mode_16_64 3
		.amdhsa_fp16_overflow 0
		.amdhsa_memory_ordered 1
		.amdhsa_forward_progress 1
		.amdhsa_inst_pref_size 1
		.amdhsa_round_robin_scheduling 0
		.amdhsa_exception_fp_ieee_invalid_op 0
		.amdhsa_exception_fp_denorm_src 0
		.amdhsa_exception_fp_ieee_div_zero 0
		.amdhsa_exception_fp_ieee_overflow 0
		.amdhsa_exception_fp_ieee_underflow 0
		.amdhsa_exception_fp_ieee_inexact 0
		.amdhsa_exception_int_div_zero 0
	.end_amdhsa_kernel
	.section	.text._Z39paged_attention_ll4mi_QKV_mfma16_kernelI14__hip_bfloat16hLN4vllm18Fp8KVCacheDataTypeE1ES0_Li32ELi128ELi256ELb1ELi6EEvPKT_PKT0_S8_ifPKiSA_SA_iPKfiiiPfSD_PS3_PT2_iSC_SC_,"axG",@progbits,_Z39paged_attention_ll4mi_QKV_mfma16_kernelI14__hip_bfloat16hLN4vllm18Fp8KVCacheDataTypeE1ES0_Li32ELi128ELi256ELb1ELi6EEvPKT_PKT0_S8_ifPKiSA_SA_iPKfiiiPfSD_PS3_PT2_iSC_SC_,comdat
.Lfunc_end1375:
	.size	_Z39paged_attention_ll4mi_QKV_mfma16_kernelI14__hip_bfloat16hLN4vllm18Fp8KVCacheDataTypeE1ES0_Li32ELi128ELi256ELb1ELi6EEvPKT_PKT0_S8_ifPKiSA_SA_iPKfiiiPfSD_PS3_PT2_iSC_SC_, .Lfunc_end1375-_Z39paged_attention_ll4mi_QKV_mfma16_kernelI14__hip_bfloat16hLN4vllm18Fp8KVCacheDataTypeE1ES0_Li32ELi128ELi256ELb1ELi6EEvPKT_PKT0_S8_ifPKiSA_SA_iPKfiiiPfSD_PS3_PT2_iSC_SC_
                                        ; -- End function
	.set _Z39paged_attention_ll4mi_QKV_mfma16_kernelI14__hip_bfloat16hLN4vllm18Fp8KVCacheDataTypeE1ES0_Li32ELi128ELi256ELb1ELi6EEvPKT_PKT0_S8_ifPKiSA_SA_iPKfiiiPfSD_PS3_PT2_iSC_SC_.num_vgpr, max(3, .L__assert_fail.num_vgpr)
	.set _Z39paged_attention_ll4mi_QKV_mfma16_kernelI14__hip_bfloat16hLN4vllm18Fp8KVCacheDataTypeE1ES0_Li32ELi128ELi256ELb1ELi6EEvPKT_PKT0_S8_ifPKiSA_SA_iPKfiiiPfSD_PS3_PT2_iSC_SC_.num_agpr, max(0, .L__assert_fail.num_agpr)
	.set _Z39paged_attention_ll4mi_QKV_mfma16_kernelI14__hip_bfloat16hLN4vllm18Fp8KVCacheDataTypeE1ES0_Li32ELi128ELi256ELb1ELi6EEvPKT_PKT0_S8_ifPKiSA_SA_iPKfiiiPfSD_PS3_PT2_iSC_SC_.numbered_sgpr, max(33, .L__assert_fail.numbered_sgpr)
	.set _Z39paged_attention_ll4mi_QKV_mfma16_kernelI14__hip_bfloat16hLN4vllm18Fp8KVCacheDataTypeE1ES0_Li32ELi128ELi256ELb1ELi6EEvPKT_PKT0_S8_ifPKiSA_SA_iPKfiiiPfSD_PS3_PT2_iSC_SC_.num_named_barrier, max(0, .L__assert_fail.num_named_barrier)
	.set _Z39paged_attention_ll4mi_QKV_mfma16_kernelI14__hip_bfloat16hLN4vllm18Fp8KVCacheDataTypeE1ES0_Li32ELi128ELi256ELb1ELi6EEvPKT_PKT0_S8_ifPKiSA_SA_iPKfiiiPfSD_PS3_PT2_iSC_SC_.private_seg_size, 0+max(.L__assert_fail.private_seg_size)
	.set _Z39paged_attention_ll4mi_QKV_mfma16_kernelI14__hip_bfloat16hLN4vllm18Fp8KVCacheDataTypeE1ES0_Li32ELi128ELi256ELb1ELi6EEvPKT_PKT0_S8_ifPKiSA_SA_iPKfiiiPfSD_PS3_PT2_iSC_SC_.uses_vcc, or(1, .L__assert_fail.uses_vcc)
	.set _Z39paged_attention_ll4mi_QKV_mfma16_kernelI14__hip_bfloat16hLN4vllm18Fp8KVCacheDataTypeE1ES0_Li32ELi128ELi256ELb1ELi6EEvPKT_PKT0_S8_ifPKiSA_SA_iPKfiiiPfSD_PS3_PT2_iSC_SC_.uses_flat_scratch, or(0, .L__assert_fail.uses_flat_scratch)
	.set _Z39paged_attention_ll4mi_QKV_mfma16_kernelI14__hip_bfloat16hLN4vllm18Fp8KVCacheDataTypeE1ES0_Li32ELi128ELi256ELb1ELi6EEvPKT_PKT0_S8_ifPKiSA_SA_iPKfiiiPfSD_PS3_PT2_iSC_SC_.has_dyn_sized_stack, or(0, .L__assert_fail.has_dyn_sized_stack)
	.set _Z39paged_attention_ll4mi_QKV_mfma16_kernelI14__hip_bfloat16hLN4vllm18Fp8KVCacheDataTypeE1ES0_Li32ELi128ELi256ELb1ELi6EEvPKT_PKT0_S8_ifPKiSA_SA_iPKfiiiPfSD_PS3_PT2_iSC_SC_.has_recursion, or(0, .L__assert_fail.has_recursion)
	.set _Z39paged_attention_ll4mi_QKV_mfma16_kernelI14__hip_bfloat16hLN4vllm18Fp8KVCacheDataTypeE1ES0_Li32ELi128ELi256ELb1ELi6EEvPKT_PKT0_S8_ifPKiSA_SA_iPKfiiiPfSD_PS3_PT2_iSC_SC_.has_indirect_call, or(0, .L__assert_fail.has_indirect_call)
	.section	.AMDGPU.csdata,"",@progbits
; Kernel info:
; codeLenInByte = 68
; TotalNumSgprs: 36
; NumVgprs: 51
; ScratchSize: 64
; MemoryBound: 0
; FloatMode: 240
; IeeeMode: 1
; LDSByteSize: 0 bytes/workgroup (compile time only)
; SGPRBlocks: 0
; VGPRBlocks: 3
; NumSGPRsForWavesPerEU: 36
; NumVGPRsForWavesPerEU: 51
; NamedBarCnt: 0
; Occupancy: 16
; WaveLimiterHint : 1
; COMPUTE_PGM_RSRC2:SCRATCH_EN: 1
; COMPUTE_PGM_RSRC2:USER_SGPR: 2
; COMPUTE_PGM_RSRC2:TRAP_HANDLER: 0
; COMPUTE_PGM_RSRC2:TGID_X_EN: 1
; COMPUTE_PGM_RSRC2:TGID_Y_EN: 0
; COMPUTE_PGM_RSRC2:TGID_Z_EN: 0
; COMPUTE_PGM_RSRC2:TIDIG_COMP_CNT: 0
	.section	.text._Z39paged_attention_ll4mi_QKV_mfma16_kernelI14__hip_bfloat16hLN4vllm18Fp8KVCacheDataTypeE1ES0_Li32ELi128ELi256ELb1ELi7EEvPKT_PKT0_S8_ifPKiSA_SA_iPKfiiiPfSD_PS3_PT2_iSC_SC_,"axG",@progbits,_Z39paged_attention_ll4mi_QKV_mfma16_kernelI14__hip_bfloat16hLN4vllm18Fp8KVCacheDataTypeE1ES0_Li32ELi128ELi256ELb1ELi7EEvPKT_PKT0_S8_ifPKiSA_SA_iPKfiiiPfSD_PS3_PT2_iSC_SC_,comdat
	.protected	_Z39paged_attention_ll4mi_QKV_mfma16_kernelI14__hip_bfloat16hLN4vllm18Fp8KVCacheDataTypeE1ES0_Li32ELi128ELi256ELb1ELi7EEvPKT_PKT0_S8_ifPKiSA_SA_iPKfiiiPfSD_PS3_PT2_iSC_SC_ ; -- Begin function _Z39paged_attention_ll4mi_QKV_mfma16_kernelI14__hip_bfloat16hLN4vllm18Fp8KVCacheDataTypeE1ES0_Li32ELi128ELi256ELb1ELi7EEvPKT_PKT0_S8_ifPKiSA_SA_iPKfiiiPfSD_PS3_PT2_iSC_SC_
	.globl	_Z39paged_attention_ll4mi_QKV_mfma16_kernelI14__hip_bfloat16hLN4vllm18Fp8KVCacheDataTypeE1ES0_Li32ELi128ELi256ELb1ELi7EEvPKT_PKT0_S8_ifPKiSA_SA_iPKfiiiPfSD_PS3_PT2_iSC_SC_
	.p2align	8
	.type	_Z39paged_attention_ll4mi_QKV_mfma16_kernelI14__hip_bfloat16hLN4vllm18Fp8KVCacheDataTypeE1ES0_Li32ELi128ELi256ELb1ELi7EEvPKT_PKT0_S8_ifPKiSA_SA_iPKfiiiPfSD_PS3_PT2_iSC_SC_,@function
_Z39paged_attention_ll4mi_QKV_mfma16_kernelI14__hip_bfloat16hLN4vllm18Fp8KVCacheDataTypeE1ES0_Li32ELi128ELi256ELb1ELi7EEvPKT_PKT0_S8_ifPKiSA_SA_iPKfiiiPfSD_PS3_PT2_iSC_SC_: ; @_Z39paged_attention_ll4mi_QKV_mfma16_kernelI14__hip_bfloat16hLN4vllm18Fp8KVCacheDataTypeE1ES0_Li32ELi128ELi256ELb1ELi7EEvPKT_PKT0_S8_ifPKiSA_SA_iPKfiiiPfSD_PS3_PT2_iSC_SC_
; %bb.0:
	s_get_pc_i64 s[2:3]
	s_add_nc_u64 s[2:3], s[2:3], __PRETTY_FUNCTION__._Z39paged_attention_ll4mi_QKV_mfma16_kernelI14__hip_bfloat16hLN4vllm18Fp8KVCacheDataTypeE1ES0_Li32ELi128ELi256ELb1ELi7EEvPKT_PKT0_S8_ifPKiSA_SA_iPKfiiiPfSD_PS3_PT2_iSC_SC_@rel64+4
	s_delay_alu instid0(SALU_CYCLE_1)
	v_dual_mov_b32 v0, 0xbb3 :: v_dual_mov_b32 v1, s2
	v_mov_b32_e32 v2, s3
	s_add_nc_u64 s[8:9], s[0:1], 0x90
	s_get_pc_i64 s[0:1]
	s_add_nc_u64 s[0:1], s[0:1], __assert_fail@rel64+4
	s_mov_b32 s32, 0
	s_swap_pc_i64 s[30:31], s[0:1]
	.section	.rodata,"a",@progbits
	.p2align	6, 0x0
	.amdhsa_kernel _Z39paged_attention_ll4mi_QKV_mfma16_kernelI14__hip_bfloat16hLN4vllm18Fp8KVCacheDataTypeE1ES0_Li32ELi128ELi256ELb1ELi7EEvPKT_PKT0_S8_ifPKiSA_SA_iPKfiiiPfSD_PS3_PT2_iSC_SC_
		.amdhsa_group_segment_fixed_size 0
		.amdhsa_private_segment_fixed_size 64
		.amdhsa_kernarg_size 400
		.amdhsa_user_sgpr_count 2
		.amdhsa_user_sgpr_dispatch_ptr 0
		.amdhsa_user_sgpr_queue_ptr 0
		.amdhsa_user_sgpr_kernarg_segment_ptr 1
		.amdhsa_user_sgpr_dispatch_id 0
		.amdhsa_user_sgpr_kernarg_preload_length 0
		.amdhsa_user_sgpr_kernarg_preload_offset 0
		.amdhsa_user_sgpr_private_segment_size 0
		.amdhsa_wavefront_size32 1
		.amdhsa_uses_dynamic_stack 0
		.amdhsa_enable_private_segment 1
		.amdhsa_system_sgpr_workgroup_id_x 1
		.amdhsa_system_sgpr_workgroup_id_y 0
		.amdhsa_system_sgpr_workgroup_id_z 0
		.amdhsa_system_sgpr_workgroup_info 0
		.amdhsa_system_vgpr_workitem_id 0
		.amdhsa_next_free_vgpr 51
		.amdhsa_next_free_sgpr 34
		.amdhsa_named_barrier_count 0
		.amdhsa_reserve_vcc 1
		.amdhsa_float_round_mode_32 0
		.amdhsa_float_round_mode_16_64 0
		.amdhsa_float_denorm_mode_32 3
		.amdhsa_float_denorm_mode_16_64 3
		.amdhsa_fp16_overflow 0
		.amdhsa_memory_ordered 1
		.amdhsa_forward_progress 1
		.amdhsa_inst_pref_size 1
		.amdhsa_round_robin_scheduling 0
		.amdhsa_exception_fp_ieee_invalid_op 0
		.amdhsa_exception_fp_denorm_src 0
		.amdhsa_exception_fp_ieee_div_zero 0
		.amdhsa_exception_fp_ieee_overflow 0
		.amdhsa_exception_fp_ieee_underflow 0
		.amdhsa_exception_fp_ieee_inexact 0
		.amdhsa_exception_int_div_zero 0
	.end_amdhsa_kernel
	.section	.text._Z39paged_attention_ll4mi_QKV_mfma16_kernelI14__hip_bfloat16hLN4vllm18Fp8KVCacheDataTypeE1ES0_Li32ELi128ELi256ELb1ELi7EEvPKT_PKT0_S8_ifPKiSA_SA_iPKfiiiPfSD_PS3_PT2_iSC_SC_,"axG",@progbits,_Z39paged_attention_ll4mi_QKV_mfma16_kernelI14__hip_bfloat16hLN4vllm18Fp8KVCacheDataTypeE1ES0_Li32ELi128ELi256ELb1ELi7EEvPKT_PKT0_S8_ifPKiSA_SA_iPKfiiiPfSD_PS3_PT2_iSC_SC_,comdat
.Lfunc_end1376:
	.size	_Z39paged_attention_ll4mi_QKV_mfma16_kernelI14__hip_bfloat16hLN4vllm18Fp8KVCacheDataTypeE1ES0_Li32ELi128ELi256ELb1ELi7EEvPKT_PKT0_S8_ifPKiSA_SA_iPKfiiiPfSD_PS3_PT2_iSC_SC_, .Lfunc_end1376-_Z39paged_attention_ll4mi_QKV_mfma16_kernelI14__hip_bfloat16hLN4vllm18Fp8KVCacheDataTypeE1ES0_Li32ELi128ELi256ELb1ELi7EEvPKT_PKT0_S8_ifPKiSA_SA_iPKfiiiPfSD_PS3_PT2_iSC_SC_
                                        ; -- End function
	.set _Z39paged_attention_ll4mi_QKV_mfma16_kernelI14__hip_bfloat16hLN4vllm18Fp8KVCacheDataTypeE1ES0_Li32ELi128ELi256ELb1ELi7EEvPKT_PKT0_S8_ifPKiSA_SA_iPKfiiiPfSD_PS3_PT2_iSC_SC_.num_vgpr, max(3, .L__assert_fail.num_vgpr)
	.set _Z39paged_attention_ll4mi_QKV_mfma16_kernelI14__hip_bfloat16hLN4vllm18Fp8KVCacheDataTypeE1ES0_Li32ELi128ELi256ELb1ELi7EEvPKT_PKT0_S8_ifPKiSA_SA_iPKfiiiPfSD_PS3_PT2_iSC_SC_.num_agpr, max(0, .L__assert_fail.num_agpr)
	.set _Z39paged_attention_ll4mi_QKV_mfma16_kernelI14__hip_bfloat16hLN4vllm18Fp8KVCacheDataTypeE1ES0_Li32ELi128ELi256ELb1ELi7EEvPKT_PKT0_S8_ifPKiSA_SA_iPKfiiiPfSD_PS3_PT2_iSC_SC_.numbered_sgpr, max(33, .L__assert_fail.numbered_sgpr)
	.set _Z39paged_attention_ll4mi_QKV_mfma16_kernelI14__hip_bfloat16hLN4vllm18Fp8KVCacheDataTypeE1ES0_Li32ELi128ELi256ELb1ELi7EEvPKT_PKT0_S8_ifPKiSA_SA_iPKfiiiPfSD_PS3_PT2_iSC_SC_.num_named_barrier, max(0, .L__assert_fail.num_named_barrier)
	.set _Z39paged_attention_ll4mi_QKV_mfma16_kernelI14__hip_bfloat16hLN4vllm18Fp8KVCacheDataTypeE1ES0_Li32ELi128ELi256ELb1ELi7EEvPKT_PKT0_S8_ifPKiSA_SA_iPKfiiiPfSD_PS3_PT2_iSC_SC_.private_seg_size, 0+max(.L__assert_fail.private_seg_size)
	.set _Z39paged_attention_ll4mi_QKV_mfma16_kernelI14__hip_bfloat16hLN4vllm18Fp8KVCacheDataTypeE1ES0_Li32ELi128ELi256ELb1ELi7EEvPKT_PKT0_S8_ifPKiSA_SA_iPKfiiiPfSD_PS3_PT2_iSC_SC_.uses_vcc, or(1, .L__assert_fail.uses_vcc)
	.set _Z39paged_attention_ll4mi_QKV_mfma16_kernelI14__hip_bfloat16hLN4vllm18Fp8KVCacheDataTypeE1ES0_Li32ELi128ELi256ELb1ELi7EEvPKT_PKT0_S8_ifPKiSA_SA_iPKfiiiPfSD_PS3_PT2_iSC_SC_.uses_flat_scratch, or(0, .L__assert_fail.uses_flat_scratch)
	.set _Z39paged_attention_ll4mi_QKV_mfma16_kernelI14__hip_bfloat16hLN4vllm18Fp8KVCacheDataTypeE1ES0_Li32ELi128ELi256ELb1ELi7EEvPKT_PKT0_S8_ifPKiSA_SA_iPKfiiiPfSD_PS3_PT2_iSC_SC_.has_dyn_sized_stack, or(0, .L__assert_fail.has_dyn_sized_stack)
	.set _Z39paged_attention_ll4mi_QKV_mfma16_kernelI14__hip_bfloat16hLN4vllm18Fp8KVCacheDataTypeE1ES0_Li32ELi128ELi256ELb1ELi7EEvPKT_PKT0_S8_ifPKiSA_SA_iPKfiiiPfSD_PS3_PT2_iSC_SC_.has_recursion, or(0, .L__assert_fail.has_recursion)
	.set _Z39paged_attention_ll4mi_QKV_mfma16_kernelI14__hip_bfloat16hLN4vllm18Fp8KVCacheDataTypeE1ES0_Li32ELi128ELi256ELb1ELi7EEvPKT_PKT0_S8_ifPKiSA_SA_iPKfiiiPfSD_PS3_PT2_iSC_SC_.has_indirect_call, or(0, .L__assert_fail.has_indirect_call)
	.section	.AMDGPU.csdata,"",@progbits
; Kernel info:
; codeLenInByte = 68
; TotalNumSgprs: 36
; NumVgprs: 51
; ScratchSize: 64
; MemoryBound: 0
; FloatMode: 240
; IeeeMode: 1
; LDSByteSize: 0 bytes/workgroup (compile time only)
; SGPRBlocks: 0
; VGPRBlocks: 3
; NumSGPRsForWavesPerEU: 36
; NumVGPRsForWavesPerEU: 51
; NamedBarCnt: 0
; Occupancy: 16
; WaveLimiterHint : 1
; COMPUTE_PGM_RSRC2:SCRATCH_EN: 1
; COMPUTE_PGM_RSRC2:USER_SGPR: 2
; COMPUTE_PGM_RSRC2:TRAP_HANDLER: 0
; COMPUTE_PGM_RSRC2:TGID_X_EN: 1
; COMPUTE_PGM_RSRC2:TGID_Y_EN: 0
; COMPUTE_PGM_RSRC2:TGID_Z_EN: 0
; COMPUTE_PGM_RSRC2:TIDIG_COMP_CNT: 0
	.section	.text._Z39paged_attention_ll4mi_QKV_mfma16_kernelI14__hip_bfloat16hLN4vllm18Fp8KVCacheDataTypeE1ES0_Li32ELi128ELi256ELb1ELi8EEvPKT_PKT0_S8_ifPKiSA_SA_iPKfiiiPfSD_PS3_PT2_iSC_SC_,"axG",@progbits,_Z39paged_attention_ll4mi_QKV_mfma16_kernelI14__hip_bfloat16hLN4vllm18Fp8KVCacheDataTypeE1ES0_Li32ELi128ELi256ELb1ELi8EEvPKT_PKT0_S8_ifPKiSA_SA_iPKfiiiPfSD_PS3_PT2_iSC_SC_,comdat
	.protected	_Z39paged_attention_ll4mi_QKV_mfma16_kernelI14__hip_bfloat16hLN4vllm18Fp8KVCacheDataTypeE1ES0_Li32ELi128ELi256ELb1ELi8EEvPKT_PKT0_S8_ifPKiSA_SA_iPKfiiiPfSD_PS3_PT2_iSC_SC_ ; -- Begin function _Z39paged_attention_ll4mi_QKV_mfma16_kernelI14__hip_bfloat16hLN4vllm18Fp8KVCacheDataTypeE1ES0_Li32ELi128ELi256ELb1ELi8EEvPKT_PKT0_S8_ifPKiSA_SA_iPKfiiiPfSD_PS3_PT2_iSC_SC_
	.globl	_Z39paged_attention_ll4mi_QKV_mfma16_kernelI14__hip_bfloat16hLN4vllm18Fp8KVCacheDataTypeE1ES0_Li32ELi128ELi256ELb1ELi8EEvPKT_PKT0_S8_ifPKiSA_SA_iPKfiiiPfSD_PS3_PT2_iSC_SC_
	.p2align	8
	.type	_Z39paged_attention_ll4mi_QKV_mfma16_kernelI14__hip_bfloat16hLN4vllm18Fp8KVCacheDataTypeE1ES0_Li32ELi128ELi256ELb1ELi8EEvPKT_PKT0_S8_ifPKiSA_SA_iPKfiiiPfSD_PS3_PT2_iSC_SC_,@function
_Z39paged_attention_ll4mi_QKV_mfma16_kernelI14__hip_bfloat16hLN4vllm18Fp8KVCacheDataTypeE1ES0_Li32ELi128ELi256ELb1ELi8EEvPKT_PKT0_S8_ifPKiSA_SA_iPKfiiiPfSD_PS3_PT2_iSC_SC_: ; @_Z39paged_attention_ll4mi_QKV_mfma16_kernelI14__hip_bfloat16hLN4vllm18Fp8KVCacheDataTypeE1ES0_Li32ELi128ELi256ELb1ELi8EEvPKT_PKT0_S8_ifPKiSA_SA_iPKfiiiPfSD_PS3_PT2_iSC_SC_
; %bb.0:
	s_get_pc_i64 s[2:3]
	s_add_nc_u64 s[2:3], s[2:3], __PRETTY_FUNCTION__._Z39paged_attention_ll4mi_QKV_mfma16_kernelI14__hip_bfloat16hLN4vllm18Fp8KVCacheDataTypeE1ES0_Li32ELi128ELi256ELb1ELi8EEvPKT_PKT0_S8_ifPKiSA_SA_iPKfiiiPfSD_PS3_PT2_iSC_SC_@rel64+4
	s_delay_alu instid0(SALU_CYCLE_1)
	v_dual_mov_b32 v0, 0xbb3 :: v_dual_mov_b32 v1, s2
	v_mov_b32_e32 v2, s3
	s_add_nc_u64 s[8:9], s[0:1], 0x90
	s_get_pc_i64 s[0:1]
	s_add_nc_u64 s[0:1], s[0:1], __assert_fail@rel64+4
	s_mov_b32 s32, 0
	s_swap_pc_i64 s[30:31], s[0:1]
	.section	.rodata,"a",@progbits
	.p2align	6, 0x0
	.amdhsa_kernel _Z39paged_attention_ll4mi_QKV_mfma16_kernelI14__hip_bfloat16hLN4vllm18Fp8KVCacheDataTypeE1ES0_Li32ELi128ELi256ELb1ELi8EEvPKT_PKT0_S8_ifPKiSA_SA_iPKfiiiPfSD_PS3_PT2_iSC_SC_
		.amdhsa_group_segment_fixed_size 0
		.amdhsa_private_segment_fixed_size 64
		.amdhsa_kernarg_size 400
		.amdhsa_user_sgpr_count 2
		.amdhsa_user_sgpr_dispatch_ptr 0
		.amdhsa_user_sgpr_queue_ptr 0
		.amdhsa_user_sgpr_kernarg_segment_ptr 1
		.amdhsa_user_sgpr_dispatch_id 0
		.amdhsa_user_sgpr_kernarg_preload_length 0
		.amdhsa_user_sgpr_kernarg_preload_offset 0
		.amdhsa_user_sgpr_private_segment_size 0
		.amdhsa_wavefront_size32 1
		.amdhsa_uses_dynamic_stack 0
		.amdhsa_enable_private_segment 1
		.amdhsa_system_sgpr_workgroup_id_x 1
		.amdhsa_system_sgpr_workgroup_id_y 0
		.amdhsa_system_sgpr_workgroup_id_z 0
		.amdhsa_system_sgpr_workgroup_info 0
		.amdhsa_system_vgpr_workitem_id 0
		.amdhsa_next_free_vgpr 51
		.amdhsa_next_free_sgpr 34
		.amdhsa_named_barrier_count 0
		.amdhsa_reserve_vcc 1
		.amdhsa_float_round_mode_32 0
		.amdhsa_float_round_mode_16_64 0
		.amdhsa_float_denorm_mode_32 3
		.amdhsa_float_denorm_mode_16_64 3
		.amdhsa_fp16_overflow 0
		.amdhsa_memory_ordered 1
		.amdhsa_forward_progress 1
		.amdhsa_inst_pref_size 1
		.amdhsa_round_robin_scheduling 0
		.amdhsa_exception_fp_ieee_invalid_op 0
		.amdhsa_exception_fp_denorm_src 0
		.amdhsa_exception_fp_ieee_div_zero 0
		.amdhsa_exception_fp_ieee_overflow 0
		.amdhsa_exception_fp_ieee_underflow 0
		.amdhsa_exception_fp_ieee_inexact 0
		.amdhsa_exception_int_div_zero 0
	.end_amdhsa_kernel
	.section	.text._Z39paged_attention_ll4mi_QKV_mfma16_kernelI14__hip_bfloat16hLN4vllm18Fp8KVCacheDataTypeE1ES0_Li32ELi128ELi256ELb1ELi8EEvPKT_PKT0_S8_ifPKiSA_SA_iPKfiiiPfSD_PS3_PT2_iSC_SC_,"axG",@progbits,_Z39paged_attention_ll4mi_QKV_mfma16_kernelI14__hip_bfloat16hLN4vllm18Fp8KVCacheDataTypeE1ES0_Li32ELi128ELi256ELb1ELi8EEvPKT_PKT0_S8_ifPKiSA_SA_iPKfiiiPfSD_PS3_PT2_iSC_SC_,comdat
.Lfunc_end1377:
	.size	_Z39paged_attention_ll4mi_QKV_mfma16_kernelI14__hip_bfloat16hLN4vllm18Fp8KVCacheDataTypeE1ES0_Li32ELi128ELi256ELb1ELi8EEvPKT_PKT0_S8_ifPKiSA_SA_iPKfiiiPfSD_PS3_PT2_iSC_SC_, .Lfunc_end1377-_Z39paged_attention_ll4mi_QKV_mfma16_kernelI14__hip_bfloat16hLN4vllm18Fp8KVCacheDataTypeE1ES0_Li32ELi128ELi256ELb1ELi8EEvPKT_PKT0_S8_ifPKiSA_SA_iPKfiiiPfSD_PS3_PT2_iSC_SC_
                                        ; -- End function
	.set _Z39paged_attention_ll4mi_QKV_mfma16_kernelI14__hip_bfloat16hLN4vllm18Fp8KVCacheDataTypeE1ES0_Li32ELi128ELi256ELb1ELi8EEvPKT_PKT0_S8_ifPKiSA_SA_iPKfiiiPfSD_PS3_PT2_iSC_SC_.num_vgpr, max(3, .L__assert_fail.num_vgpr)
	.set _Z39paged_attention_ll4mi_QKV_mfma16_kernelI14__hip_bfloat16hLN4vllm18Fp8KVCacheDataTypeE1ES0_Li32ELi128ELi256ELb1ELi8EEvPKT_PKT0_S8_ifPKiSA_SA_iPKfiiiPfSD_PS3_PT2_iSC_SC_.num_agpr, max(0, .L__assert_fail.num_agpr)
	.set _Z39paged_attention_ll4mi_QKV_mfma16_kernelI14__hip_bfloat16hLN4vllm18Fp8KVCacheDataTypeE1ES0_Li32ELi128ELi256ELb1ELi8EEvPKT_PKT0_S8_ifPKiSA_SA_iPKfiiiPfSD_PS3_PT2_iSC_SC_.numbered_sgpr, max(33, .L__assert_fail.numbered_sgpr)
	.set _Z39paged_attention_ll4mi_QKV_mfma16_kernelI14__hip_bfloat16hLN4vllm18Fp8KVCacheDataTypeE1ES0_Li32ELi128ELi256ELb1ELi8EEvPKT_PKT0_S8_ifPKiSA_SA_iPKfiiiPfSD_PS3_PT2_iSC_SC_.num_named_barrier, max(0, .L__assert_fail.num_named_barrier)
	.set _Z39paged_attention_ll4mi_QKV_mfma16_kernelI14__hip_bfloat16hLN4vllm18Fp8KVCacheDataTypeE1ES0_Li32ELi128ELi256ELb1ELi8EEvPKT_PKT0_S8_ifPKiSA_SA_iPKfiiiPfSD_PS3_PT2_iSC_SC_.private_seg_size, 0+max(.L__assert_fail.private_seg_size)
	.set _Z39paged_attention_ll4mi_QKV_mfma16_kernelI14__hip_bfloat16hLN4vllm18Fp8KVCacheDataTypeE1ES0_Li32ELi128ELi256ELb1ELi8EEvPKT_PKT0_S8_ifPKiSA_SA_iPKfiiiPfSD_PS3_PT2_iSC_SC_.uses_vcc, or(1, .L__assert_fail.uses_vcc)
	.set _Z39paged_attention_ll4mi_QKV_mfma16_kernelI14__hip_bfloat16hLN4vllm18Fp8KVCacheDataTypeE1ES0_Li32ELi128ELi256ELb1ELi8EEvPKT_PKT0_S8_ifPKiSA_SA_iPKfiiiPfSD_PS3_PT2_iSC_SC_.uses_flat_scratch, or(0, .L__assert_fail.uses_flat_scratch)
	.set _Z39paged_attention_ll4mi_QKV_mfma16_kernelI14__hip_bfloat16hLN4vllm18Fp8KVCacheDataTypeE1ES0_Li32ELi128ELi256ELb1ELi8EEvPKT_PKT0_S8_ifPKiSA_SA_iPKfiiiPfSD_PS3_PT2_iSC_SC_.has_dyn_sized_stack, or(0, .L__assert_fail.has_dyn_sized_stack)
	.set _Z39paged_attention_ll4mi_QKV_mfma16_kernelI14__hip_bfloat16hLN4vllm18Fp8KVCacheDataTypeE1ES0_Li32ELi128ELi256ELb1ELi8EEvPKT_PKT0_S8_ifPKiSA_SA_iPKfiiiPfSD_PS3_PT2_iSC_SC_.has_recursion, or(0, .L__assert_fail.has_recursion)
	.set _Z39paged_attention_ll4mi_QKV_mfma16_kernelI14__hip_bfloat16hLN4vllm18Fp8KVCacheDataTypeE1ES0_Li32ELi128ELi256ELb1ELi8EEvPKT_PKT0_S8_ifPKiSA_SA_iPKfiiiPfSD_PS3_PT2_iSC_SC_.has_indirect_call, or(0, .L__assert_fail.has_indirect_call)
	.section	.AMDGPU.csdata,"",@progbits
; Kernel info:
; codeLenInByte = 68
; TotalNumSgprs: 36
; NumVgprs: 51
; ScratchSize: 64
; MemoryBound: 0
; FloatMode: 240
; IeeeMode: 1
; LDSByteSize: 0 bytes/workgroup (compile time only)
; SGPRBlocks: 0
; VGPRBlocks: 3
; NumSGPRsForWavesPerEU: 36
; NumVGPRsForWavesPerEU: 51
; NamedBarCnt: 0
; Occupancy: 16
; WaveLimiterHint : 1
; COMPUTE_PGM_RSRC2:SCRATCH_EN: 1
; COMPUTE_PGM_RSRC2:USER_SGPR: 2
; COMPUTE_PGM_RSRC2:TRAP_HANDLER: 0
; COMPUTE_PGM_RSRC2:TGID_X_EN: 1
; COMPUTE_PGM_RSRC2:TGID_Y_EN: 0
; COMPUTE_PGM_RSRC2:TGID_Z_EN: 0
; COMPUTE_PGM_RSRC2:TIDIG_COMP_CNT: 0
	.section	.text._Z39paged_attention_ll4mi_QKV_mfma16_kernelI14__hip_bfloat16hLN4vllm18Fp8KVCacheDataTypeE1ES0_Li32ELi128ELi256ELb1ELi9EEvPKT_PKT0_S8_ifPKiSA_SA_iPKfiiiPfSD_PS3_PT2_iSC_SC_,"axG",@progbits,_Z39paged_attention_ll4mi_QKV_mfma16_kernelI14__hip_bfloat16hLN4vllm18Fp8KVCacheDataTypeE1ES0_Li32ELi128ELi256ELb1ELi9EEvPKT_PKT0_S8_ifPKiSA_SA_iPKfiiiPfSD_PS3_PT2_iSC_SC_,comdat
	.protected	_Z39paged_attention_ll4mi_QKV_mfma16_kernelI14__hip_bfloat16hLN4vllm18Fp8KVCacheDataTypeE1ES0_Li32ELi128ELi256ELb1ELi9EEvPKT_PKT0_S8_ifPKiSA_SA_iPKfiiiPfSD_PS3_PT2_iSC_SC_ ; -- Begin function _Z39paged_attention_ll4mi_QKV_mfma16_kernelI14__hip_bfloat16hLN4vllm18Fp8KVCacheDataTypeE1ES0_Li32ELi128ELi256ELb1ELi9EEvPKT_PKT0_S8_ifPKiSA_SA_iPKfiiiPfSD_PS3_PT2_iSC_SC_
	.globl	_Z39paged_attention_ll4mi_QKV_mfma16_kernelI14__hip_bfloat16hLN4vllm18Fp8KVCacheDataTypeE1ES0_Li32ELi128ELi256ELb1ELi9EEvPKT_PKT0_S8_ifPKiSA_SA_iPKfiiiPfSD_PS3_PT2_iSC_SC_
	.p2align	8
	.type	_Z39paged_attention_ll4mi_QKV_mfma16_kernelI14__hip_bfloat16hLN4vllm18Fp8KVCacheDataTypeE1ES0_Li32ELi128ELi256ELb1ELi9EEvPKT_PKT0_S8_ifPKiSA_SA_iPKfiiiPfSD_PS3_PT2_iSC_SC_,@function
_Z39paged_attention_ll4mi_QKV_mfma16_kernelI14__hip_bfloat16hLN4vllm18Fp8KVCacheDataTypeE1ES0_Li32ELi128ELi256ELb1ELi9EEvPKT_PKT0_S8_ifPKiSA_SA_iPKfiiiPfSD_PS3_PT2_iSC_SC_: ; @_Z39paged_attention_ll4mi_QKV_mfma16_kernelI14__hip_bfloat16hLN4vllm18Fp8KVCacheDataTypeE1ES0_Li32ELi128ELi256ELb1ELi9EEvPKT_PKT0_S8_ifPKiSA_SA_iPKfiiiPfSD_PS3_PT2_iSC_SC_
; %bb.0:
	s_get_pc_i64 s[2:3]
	s_add_nc_u64 s[2:3], s[2:3], __PRETTY_FUNCTION__._Z39paged_attention_ll4mi_QKV_mfma16_kernelI14__hip_bfloat16hLN4vllm18Fp8KVCacheDataTypeE1ES0_Li32ELi128ELi256ELb1ELi9EEvPKT_PKT0_S8_ifPKiSA_SA_iPKfiiiPfSD_PS3_PT2_iSC_SC_@rel64+4
	s_delay_alu instid0(SALU_CYCLE_1)
	v_dual_mov_b32 v0, 0xbb3 :: v_dual_mov_b32 v1, s2
	v_mov_b32_e32 v2, s3
	s_add_nc_u64 s[8:9], s[0:1], 0x90
	s_get_pc_i64 s[0:1]
	s_add_nc_u64 s[0:1], s[0:1], __assert_fail@rel64+4
	s_mov_b32 s32, 0
	s_swap_pc_i64 s[30:31], s[0:1]
	.section	.rodata,"a",@progbits
	.p2align	6, 0x0
	.amdhsa_kernel _Z39paged_attention_ll4mi_QKV_mfma16_kernelI14__hip_bfloat16hLN4vllm18Fp8KVCacheDataTypeE1ES0_Li32ELi128ELi256ELb1ELi9EEvPKT_PKT0_S8_ifPKiSA_SA_iPKfiiiPfSD_PS3_PT2_iSC_SC_
		.amdhsa_group_segment_fixed_size 0
		.amdhsa_private_segment_fixed_size 64
		.amdhsa_kernarg_size 400
		.amdhsa_user_sgpr_count 2
		.amdhsa_user_sgpr_dispatch_ptr 0
		.amdhsa_user_sgpr_queue_ptr 0
		.amdhsa_user_sgpr_kernarg_segment_ptr 1
		.amdhsa_user_sgpr_dispatch_id 0
		.amdhsa_user_sgpr_kernarg_preload_length 0
		.amdhsa_user_sgpr_kernarg_preload_offset 0
		.amdhsa_user_sgpr_private_segment_size 0
		.amdhsa_wavefront_size32 1
		.amdhsa_uses_dynamic_stack 0
		.amdhsa_enable_private_segment 1
		.amdhsa_system_sgpr_workgroup_id_x 1
		.amdhsa_system_sgpr_workgroup_id_y 0
		.amdhsa_system_sgpr_workgroup_id_z 0
		.amdhsa_system_sgpr_workgroup_info 0
		.amdhsa_system_vgpr_workitem_id 0
		.amdhsa_next_free_vgpr 51
		.amdhsa_next_free_sgpr 34
		.amdhsa_named_barrier_count 0
		.amdhsa_reserve_vcc 1
		.amdhsa_float_round_mode_32 0
		.amdhsa_float_round_mode_16_64 0
		.amdhsa_float_denorm_mode_32 3
		.amdhsa_float_denorm_mode_16_64 3
		.amdhsa_fp16_overflow 0
		.amdhsa_memory_ordered 1
		.amdhsa_forward_progress 1
		.amdhsa_inst_pref_size 1
		.amdhsa_round_robin_scheduling 0
		.amdhsa_exception_fp_ieee_invalid_op 0
		.amdhsa_exception_fp_denorm_src 0
		.amdhsa_exception_fp_ieee_div_zero 0
		.amdhsa_exception_fp_ieee_overflow 0
		.amdhsa_exception_fp_ieee_underflow 0
		.amdhsa_exception_fp_ieee_inexact 0
		.amdhsa_exception_int_div_zero 0
	.end_amdhsa_kernel
	.section	.text._Z39paged_attention_ll4mi_QKV_mfma16_kernelI14__hip_bfloat16hLN4vllm18Fp8KVCacheDataTypeE1ES0_Li32ELi128ELi256ELb1ELi9EEvPKT_PKT0_S8_ifPKiSA_SA_iPKfiiiPfSD_PS3_PT2_iSC_SC_,"axG",@progbits,_Z39paged_attention_ll4mi_QKV_mfma16_kernelI14__hip_bfloat16hLN4vllm18Fp8KVCacheDataTypeE1ES0_Li32ELi128ELi256ELb1ELi9EEvPKT_PKT0_S8_ifPKiSA_SA_iPKfiiiPfSD_PS3_PT2_iSC_SC_,comdat
.Lfunc_end1378:
	.size	_Z39paged_attention_ll4mi_QKV_mfma16_kernelI14__hip_bfloat16hLN4vllm18Fp8KVCacheDataTypeE1ES0_Li32ELi128ELi256ELb1ELi9EEvPKT_PKT0_S8_ifPKiSA_SA_iPKfiiiPfSD_PS3_PT2_iSC_SC_, .Lfunc_end1378-_Z39paged_attention_ll4mi_QKV_mfma16_kernelI14__hip_bfloat16hLN4vllm18Fp8KVCacheDataTypeE1ES0_Li32ELi128ELi256ELb1ELi9EEvPKT_PKT0_S8_ifPKiSA_SA_iPKfiiiPfSD_PS3_PT2_iSC_SC_
                                        ; -- End function
	.set _Z39paged_attention_ll4mi_QKV_mfma16_kernelI14__hip_bfloat16hLN4vllm18Fp8KVCacheDataTypeE1ES0_Li32ELi128ELi256ELb1ELi9EEvPKT_PKT0_S8_ifPKiSA_SA_iPKfiiiPfSD_PS3_PT2_iSC_SC_.num_vgpr, max(3, .L__assert_fail.num_vgpr)
	.set _Z39paged_attention_ll4mi_QKV_mfma16_kernelI14__hip_bfloat16hLN4vllm18Fp8KVCacheDataTypeE1ES0_Li32ELi128ELi256ELb1ELi9EEvPKT_PKT0_S8_ifPKiSA_SA_iPKfiiiPfSD_PS3_PT2_iSC_SC_.num_agpr, max(0, .L__assert_fail.num_agpr)
	.set _Z39paged_attention_ll4mi_QKV_mfma16_kernelI14__hip_bfloat16hLN4vllm18Fp8KVCacheDataTypeE1ES0_Li32ELi128ELi256ELb1ELi9EEvPKT_PKT0_S8_ifPKiSA_SA_iPKfiiiPfSD_PS3_PT2_iSC_SC_.numbered_sgpr, max(33, .L__assert_fail.numbered_sgpr)
	.set _Z39paged_attention_ll4mi_QKV_mfma16_kernelI14__hip_bfloat16hLN4vllm18Fp8KVCacheDataTypeE1ES0_Li32ELi128ELi256ELb1ELi9EEvPKT_PKT0_S8_ifPKiSA_SA_iPKfiiiPfSD_PS3_PT2_iSC_SC_.num_named_barrier, max(0, .L__assert_fail.num_named_barrier)
	.set _Z39paged_attention_ll4mi_QKV_mfma16_kernelI14__hip_bfloat16hLN4vllm18Fp8KVCacheDataTypeE1ES0_Li32ELi128ELi256ELb1ELi9EEvPKT_PKT0_S8_ifPKiSA_SA_iPKfiiiPfSD_PS3_PT2_iSC_SC_.private_seg_size, 0+max(.L__assert_fail.private_seg_size)
	.set _Z39paged_attention_ll4mi_QKV_mfma16_kernelI14__hip_bfloat16hLN4vllm18Fp8KVCacheDataTypeE1ES0_Li32ELi128ELi256ELb1ELi9EEvPKT_PKT0_S8_ifPKiSA_SA_iPKfiiiPfSD_PS3_PT2_iSC_SC_.uses_vcc, or(1, .L__assert_fail.uses_vcc)
	.set _Z39paged_attention_ll4mi_QKV_mfma16_kernelI14__hip_bfloat16hLN4vllm18Fp8KVCacheDataTypeE1ES0_Li32ELi128ELi256ELb1ELi9EEvPKT_PKT0_S8_ifPKiSA_SA_iPKfiiiPfSD_PS3_PT2_iSC_SC_.uses_flat_scratch, or(0, .L__assert_fail.uses_flat_scratch)
	.set _Z39paged_attention_ll4mi_QKV_mfma16_kernelI14__hip_bfloat16hLN4vllm18Fp8KVCacheDataTypeE1ES0_Li32ELi128ELi256ELb1ELi9EEvPKT_PKT0_S8_ifPKiSA_SA_iPKfiiiPfSD_PS3_PT2_iSC_SC_.has_dyn_sized_stack, or(0, .L__assert_fail.has_dyn_sized_stack)
	.set _Z39paged_attention_ll4mi_QKV_mfma16_kernelI14__hip_bfloat16hLN4vllm18Fp8KVCacheDataTypeE1ES0_Li32ELi128ELi256ELb1ELi9EEvPKT_PKT0_S8_ifPKiSA_SA_iPKfiiiPfSD_PS3_PT2_iSC_SC_.has_recursion, or(0, .L__assert_fail.has_recursion)
	.set _Z39paged_attention_ll4mi_QKV_mfma16_kernelI14__hip_bfloat16hLN4vllm18Fp8KVCacheDataTypeE1ES0_Li32ELi128ELi256ELb1ELi9EEvPKT_PKT0_S8_ifPKiSA_SA_iPKfiiiPfSD_PS3_PT2_iSC_SC_.has_indirect_call, or(0, .L__assert_fail.has_indirect_call)
	.section	.AMDGPU.csdata,"",@progbits
; Kernel info:
; codeLenInByte = 68
; TotalNumSgprs: 36
; NumVgprs: 51
; ScratchSize: 64
; MemoryBound: 0
; FloatMode: 240
; IeeeMode: 1
; LDSByteSize: 0 bytes/workgroup (compile time only)
; SGPRBlocks: 0
; VGPRBlocks: 3
; NumSGPRsForWavesPerEU: 36
; NumVGPRsForWavesPerEU: 51
; NamedBarCnt: 0
; Occupancy: 16
; WaveLimiterHint : 1
; COMPUTE_PGM_RSRC2:SCRATCH_EN: 1
; COMPUTE_PGM_RSRC2:USER_SGPR: 2
; COMPUTE_PGM_RSRC2:TRAP_HANDLER: 0
; COMPUTE_PGM_RSRC2:TGID_X_EN: 1
; COMPUTE_PGM_RSRC2:TGID_Y_EN: 0
; COMPUTE_PGM_RSRC2:TGID_Z_EN: 0
; COMPUTE_PGM_RSRC2:TIDIG_COMP_CNT: 0
	.section	.text._Z39paged_attention_ll4mi_QKV_mfma16_kernelI14__hip_bfloat16hLN4vllm18Fp8KVCacheDataTypeE1ES0_Li32ELi128ELi256ELb1ELi10EEvPKT_PKT0_S8_ifPKiSA_SA_iPKfiiiPfSD_PS3_PT2_iSC_SC_,"axG",@progbits,_Z39paged_attention_ll4mi_QKV_mfma16_kernelI14__hip_bfloat16hLN4vllm18Fp8KVCacheDataTypeE1ES0_Li32ELi128ELi256ELb1ELi10EEvPKT_PKT0_S8_ifPKiSA_SA_iPKfiiiPfSD_PS3_PT2_iSC_SC_,comdat
	.protected	_Z39paged_attention_ll4mi_QKV_mfma16_kernelI14__hip_bfloat16hLN4vllm18Fp8KVCacheDataTypeE1ES0_Li32ELi128ELi256ELb1ELi10EEvPKT_PKT0_S8_ifPKiSA_SA_iPKfiiiPfSD_PS3_PT2_iSC_SC_ ; -- Begin function _Z39paged_attention_ll4mi_QKV_mfma16_kernelI14__hip_bfloat16hLN4vllm18Fp8KVCacheDataTypeE1ES0_Li32ELi128ELi256ELb1ELi10EEvPKT_PKT0_S8_ifPKiSA_SA_iPKfiiiPfSD_PS3_PT2_iSC_SC_
	.globl	_Z39paged_attention_ll4mi_QKV_mfma16_kernelI14__hip_bfloat16hLN4vllm18Fp8KVCacheDataTypeE1ES0_Li32ELi128ELi256ELb1ELi10EEvPKT_PKT0_S8_ifPKiSA_SA_iPKfiiiPfSD_PS3_PT2_iSC_SC_
	.p2align	8
	.type	_Z39paged_attention_ll4mi_QKV_mfma16_kernelI14__hip_bfloat16hLN4vllm18Fp8KVCacheDataTypeE1ES0_Li32ELi128ELi256ELb1ELi10EEvPKT_PKT0_S8_ifPKiSA_SA_iPKfiiiPfSD_PS3_PT2_iSC_SC_,@function
_Z39paged_attention_ll4mi_QKV_mfma16_kernelI14__hip_bfloat16hLN4vllm18Fp8KVCacheDataTypeE1ES0_Li32ELi128ELi256ELb1ELi10EEvPKT_PKT0_S8_ifPKiSA_SA_iPKfiiiPfSD_PS3_PT2_iSC_SC_: ; @_Z39paged_attention_ll4mi_QKV_mfma16_kernelI14__hip_bfloat16hLN4vllm18Fp8KVCacheDataTypeE1ES0_Li32ELi128ELi256ELb1ELi10EEvPKT_PKT0_S8_ifPKiSA_SA_iPKfiiiPfSD_PS3_PT2_iSC_SC_
; %bb.0:
	s_get_pc_i64 s[2:3]
	s_add_nc_u64 s[2:3], s[2:3], __PRETTY_FUNCTION__._Z39paged_attention_ll4mi_QKV_mfma16_kernelI14__hip_bfloat16hLN4vllm18Fp8KVCacheDataTypeE1ES0_Li32ELi128ELi256ELb1ELi10EEvPKT_PKT0_S8_ifPKiSA_SA_iPKfiiiPfSD_PS3_PT2_iSC_SC_@rel64+4
	s_delay_alu instid0(SALU_CYCLE_1)
	v_dual_mov_b32 v0, 0xbb3 :: v_dual_mov_b32 v1, s2
	v_mov_b32_e32 v2, s3
	s_add_nc_u64 s[8:9], s[0:1], 0x90
	s_get_pc_i64 s[0:1]
	s_add_nc_u64 s[0:1], s[0:1], __assert_fail@rel64+4
	s_mov_b32 s32, 0
	s_swap_pc_i64 s[30:31], s[0:1]
	.section	.rodata,"a",@progbits
	.p2align	6, 0x0
	.amdhsa_kernel _Z39paged_attention_ll4mi_QKV_mfma16_kernelI14__hip_bfloat16hLN4vllm18Fp8KVCacheDataTypeE1ES0_Li32ELi128ELi256ELb1ELi10EEvPKT_PKT0_S8_ifPKiSA_SA_iPKfiiiPfSD_PS3_PT2_iSC_SC_
		.amdhsa_group_segment_fixed_size 0
		.amdhsa_private_segment_fixed_size 64
		.amdhsa_kernarg_size 400
		.amdhsa_user_sgpr_count 2
		.amdhsa_user_sgpr_dispatch_ptr 0
		.amdhsa_user_sgpr_queue_ptr 0
		.amdhsa_user_sgpr_kernarg_segment_ptr 1
		.amdhsa_user_sgpr_dispatch_id 0
		.amdhsa_user_sgpr_kernarg_preload_length 0
		.amdhsa_user_sgpr_kernarg_preload_offset 0
		.amdhsa_user_sgpr_private_segment_size 0
		.amdhsa_wavefront_size32 1
		.amdhsa_uses_dynamic_stack 0
		.amdhsa_enable_private_segment 1
		.amdhsa_system_sgpr_workgroup_id_x 1
		.amdhsa_system_sgpr_workgroup_id_y 0
		.amdhsa_system_sgpr_workgroup_id_z 0
		.amdhsa_system_sgpr_workgroup_info 0
		.amdhsa_system_vgpr_workitem_id 0
		.amdhsa_next_free_vgpr 51
		.amdhsa_next_free_sgpr 34
		.amdhsa_named_barrier_count 0
		.amdhsa_reserve_vcc 1
		.amdhsa_float_round_mode_32 0
		.amdhsa_float_round_mode_16_64 0
		.amdhsa_float_denorm_mode_32 3
		.amdhsa_float_denorm_mode_16_64 3
		.amdhsa_fp16_overflow 0
		.amdhsa_memory_ordered 1
		.amdhsa_forward_progress 1
		.amdhsa_inst_pref_size 1
		.amdhsa_round_robin_scheduling 0
		.amdhsa_exception_fp_ieee_invalid_op 0
		.amdhsa_exception_fp_denorm_src 0
		.amdhsa_exception_fp_ieee_div_zero 0
		.amdhsa_exception_fp_ieee_overflow 0
		.amdhsa_exception_fp_ieee_underflow 0
		.amdhsa_exception_fp_ieee_inexact 0
		.amdhsa_exception_int_div_zero 0
	.end_amdhsa_kernel
	.section	.text._Z39paged_attention_ll4mi_QKV_mfma16_kernelI14__hip_bfloat16hLN4vllm18Fp8KVCacheDataTypeE1ES0_Li32ELi128ELi256ELb1ELi10EEvPKT_PKT0_S8_ifPKiSA_SA_iPKfiiiPfSD_PS3_PT2_iSC_SC_,"axG",@progbits,_Z39paged_attention_ll4mi_QKV_mfma16_kernelI14__hip_bfloat16hLN4vllm18Fp8KVCacheDataTypeE1ES0_Li32ELi128ELi256ELb1ELi10EEvPKT_PKT0_S8_ifPKiSA_SA_iPKfiiiPfSD_PS3_PT2_iSC_SC_,comdat
.Lfunc_end1379:
	.size	_Z39paged_attention_ll4mi_QKV_mfma16_kernelI14__hip_bfloat16hLN4vllm18Fp8KVCacheDataTypeE1ES0_Li32ELi128ELi256ELb1ELi10EEvPKT_PKT0_S8_ifPKiSA_SA_iPKfiiiPfSD_PS3_PT2_iSC_SC_, .Lfunc_end1379-_Z39paged_attention_ll4mi_QKV_mfma16_kernelI14__hip_bfloat16hLN4vllm18Fp8KVCacheDataTypeE1ES0_Li32ELi128ELi256ELb1ELi10EEvPKT_PKT0_S8_ifPKiSA_SA_iPKfiiiPfSD_PS3_PT2_iSC_SC_
                                        ; -- End function
	.set _Z39paged_attention_ll4mi_QKV_mfma16_kernelI14__hip_bfloat16hLN4vllm18Fp8KVCacheDataTypeE1ES0_Li32ELi128ELi256ELb1ELi10EEvPKT_PKT0_S8_ifPKiSA_SA_iPKfiiiPfSD_PS3_PT2_iSC_SC_.num_vgpr, max(3, .L__assert_fail.num_vgpr)
	.set _Z39paged_attention_ll4mi_QKV_mfma16_kernelI14__hip_bfloat16hLN4vllm18Fp8KVCacheDataTypeE1ES0_Li32ELi128ELi256ELb1ELi10EEvPKT_PKT0_S8_ifPKiSA_SA_iPKfiiiPfSD_PS3_PT2_iSC_SC_.num_agpr, max(0, .L__assert_fail.num_agpr)
	.set _Z39paged_attention_ll4mi_QKV_mfma16_kernelI14__hip_bfloat16hLN4vllm18Fp8KVCacheDataTypeE1ES0_Li32ELi128ELi256ELb1ELi10EEvPKT_PKT0_S8_ifPKiSA_SA_iPKfiiiPfSD_PS3_PT2_iSC_SC_.numbered_sgpr, max(33, .L__assert_fail.numbered_sgpr)
	.set _Z39paged_attention_ll4mi_QKV_mfma16_kernelI14__hip_bfloat16hLN4vllm18Fp8KVCacheDataTypeE1ES0_Li32ELi128ELi256ELb1ELi10EEvPKT_PKT0_S8_ifPKiSA_SA_iPKfiiiPfSD_PS3_PT2_iSC_SC_.num_named_barrier, max(0, .L__assert_fail.num_named_barrier)
	.set _Z39paged_attention_ll4mi_QKV_mfma16_kernelI14__hip_bfloat16hLN4vllm18Fp8KVCacheDataTypeE1ES0_Li32ELi128ELi256ELb1ELi10EEvPKT_PKT0_S8_ifPKiSA_SA_iPKfiiiPfSD_PS3_PT2_iSC_SC_.private_seg_size, 0+max(.L__assert_fail.private_seg_size)
	.set _Z39paged_attention_ll4mi_QKV_mfma16_kernelI14__hip_bfloat16hLN4vllm18Fp8KVCacheDataTypeE1ES0_Li32ELi128ELi256ELb1ELi10EEvPKT_PKT0_S8_ifPKiSA_SA_iPKfiiiPfSD_PS3_PT2_iSC_SC_.uses_vcc, or(1, .L__assert_fail.uses_vcc)
	.set _Z39paged_attention_ll4mi_QKV_mfma16_kernelI14__hip_bfloat16hLN4vllm18Fp8KVCacheDataTypeE1ES0_Li32ELi128ELi256ELb1ELi10EEvPKT_PKT0_S8_ifPKiSA_SA_iPKfiiiPfSD_PS3_PT2_iSC_SC_.uses_flat_scratch, or(0, .L__assert_fail.uses_flat_scratch)
	.set _Z39paged_attention_ll4mi_QKV_mfma16_kernelI14__hip_bfloat16hLN4vllm18Fp8KVCacheDataTypeE1ES0_Li32ELi128ELi256ELb1ELi10EEvPKT_PKT0_S8_ifPKiSA_SA_iPKfiiiPfSD_PS3_PT2_iSC_SC_.has_dyn_sized_stack, or(0, .L__assert_fail.has_dyn_sized_stack)
	.set _Z39paged_attention_ll4mi_QKV_mfma16_kernelI14__hip_bfloat16hLN4vllm18Fp8KVCacheDataTypeE1ES0_Li32ELi128ELi256ELb1ELi10EEvPKT_PKT0_S8_ifPKiSA_SA_iPKfiiiPfSD_PS3_PT2_iSC_SC_.has_recursion, or(0, .L__assert_fail.has_recursion)
	.set _Z39paged_attention_ll4mi_QKV_mfma16_kernelI14__hip_bfloat16hLN4vllm18Fp8KVCacheDataTypeE1ES0_Li32ELi128ELi256ELb1ELi10EEvPKT_PKT0_S8_ifPKiSA_SA_iPKfiiiPfSD_PS3_PT2_iSC_SC_.has_indirect_call, or(0, .L__assert_fail.has_indirect_call)
	.section	.AMDGPU.csdata,"",@progbits
; Kernel info:
; codeLenInByte = 68
; TotalNumSgprs: 36
; NumVgprs: 51
; ScratchSize: 64
; MemoryBound: 0
; FloatMode: 240
; IeeeMode: 1
; LDSByteSize: 0 bytes/workgroup (compile time only)
; SGPRBlocks: 0
; VGPRBlocks: 3
; NumSGPRsForWavesPerEU: 36
; NumVGPRsForWavesPerEU: 51
; NamedBarCnt: 0
; Occupancy: 16
; WaveLimiterHint : 1
; COMPUTE_PGM_RSRC2:SCRATCH_EN: 1
; COMPUTE_PGM_RSRC2:USER_SGPR: 2
; COMPUTE_PGM_RSRC2:TRAP_HANDLER: 0
; COMPUTE_PGM_RSRC2:TGID_X_EN: 1
; COMPUTE_PGM_RSRC2:TGID_Y_EN: 0
; COMPUTE_PGM_RSRC2:TGID_Z_EN: 0
; COMPUTE_PGM_RSRC2:TIDIG_COMP_CNT: 0
	.section	.text._Z39paged_attention_ll4mi_QKV_mfma16_kernelI14__hip_bfloat16hLN4vllm18Fp8KVCacheDataTypeE1ES0_Li32ELi128ELi256ELb1ELi11EEvPKT_PKT0_S8_ifPKiSA_SA_iPKfiiiPfSD_PS3_PT2_iSC_SC_,"axG",@progbits,_Z39paged_attention_ll4mi_QKV_mfma16_kernelI14__hip_bfloat16hLN4vllm18Fp8KVCacheDataTypeE1ES0_Li32ELi128ELi256ELb1ELi11EEvPKT_PKT0_S8_ifPKiSA_SA_iPKfiiiPfSD_PS3_PT2_iSC_SC_,comdat
	.protected	_Z39paged_attention_ll4mi_QKV_mfma16_kernelI14__hip_bfloat16hLN4vllm18Fp8KVCacheDataTypeE1ES0_Li32ELi128ELi256ELb1ELi11EEvPKT_PKT0_S8_ifPKiSA_SA_iPKfiiiPfSD_PS3_PT2_iSC_SC_ ; -- Begin function _Z39paged_attention_ll4mi_QKV_mfma16_kernelI14__hip_bfloat16hLN4vllm18Fp8KVCacheDataTypeE1ES0_Li32ELi128ELi256ELb1ELi11EEvPKT_PKT0_S8_ifPKiSA_SA_iPKfiiiPfSD_PS3_PT2_iSC_SC_
	.globl	_Z39paged_attention_ll4mi_QKV_mfma16_kernelI14__hip_bfloat16hLN4vllm18Fp8KVCacheDataTypeE1ES0_Li32ELi128ELi256ELb1ELi11EEvPKT_PKT0_S8_ifPKiSA_SA_iPKfiiiPfSD_PS3_PT2_iSC_SC_
	.p2align	8
	.type	_Z39paged_attention_ll4mi_QKV_mfma16_kernelI14__hip_bfloat16hLN4vllm18Fp8KVCacheDataTypeE1ES0_Li32ELi128ELi256ELb1ELi11EEvPKT_PKT0_S8_ifPKiSA_SA_iPKfiiiPfSD_PS3_PT2_iSC_SC_,@function
_Z39paged_attention_ll4mi_QKV_mfma16_kernelI14__hip_bfloat16hLN4vllm18Fp8KVCacheDataTypeE1ES0_Li32ELi128ELi256ELb1ELi11EEvPKT_PKT0_S8_ifPKiSA_SA_iPKfiiiPfSD_PS3_PT2_iSC_SC_: ; @_Z39paged_attention_ll4mi_QKV_mfma16_kernelI14__hip_bfloat16hLN4vllm18Fp8KVCacheDataTypeE1ES0_Li32ELi128ELi256ELb1ELi11EEvPKT_PKT0_S8_ifPKiSA_SA_iPKfiiiPfSD_PS3_PT2_iSC_SC_
; %bb.0:
	s_get_pc_i64 s[2:3]
	s_add_nc_u64 s[2:3], s[2:3], __PRETTY_FUNCTION__._Z39paged_attention_ll4mi_QKV_mfma16_kernelI14__hip_bfloat16hLN4vllm18Fp8KVCacheDataTypeE1ES0_Li32ELi128ELi256ELb1ELi11EEvPKT_PKT0_S8_ifPKiSA_SA_iPKfiiiPfSD_PS3_PT2_iSC_SC_@rel64+4
	s_delay_alu instid0(SALU_CYCLE_1)
	v_dual_mov_b32 v0, 0xbb3 :: v_dual_mov_b32 v1, s2
	v_mov_b32_e32 v2, s3
	s_add_nc_u64 s[8:9], s[0:1], 0x90
	s_get_pc_i64 s[0:1]
	s_add_nc_u64 s[0:1], s[0:1], __assert_fail@rel64+4
	s_mov_b32 s32, 0
	s_swap_pc_i64 s[30:31], s[0:1]
	.section	.rodata,"a",@progbits
	.p2align	6, 0x0
	.amdhsa_kernel _Z39paged_attention_ll4mi_QKV_mfma16_kernelI14__hip_bfloat16hLN4vllm18Fp8KVCacheDataTypeE1ES0_Li32ELi128ELi256ELb1ELi11EEvPKT_PKT0_S8_ifPKiSA_SA_iPKfiiiPfSD_PS3_PT2_iSC_SC_
		.amdhsa_group_segment_fixed_size 0
		.amdhsa_private_segment_fixed_size 64
		.amdhsa_kernarg_size 400
		.amdhsa_user_sgpr_count 2
		.amdhsa_user_sgpr_dispatch_ptr 0
		.amdhsa_user_sgpr_queue_ptr 0
		.amdhsa_user_sgpr_kernarg_segment_ptr 1
		.amdhsa_user_sgpr_dispatch_id 0
		.amdhsa_user_sgpr_kernarg_preload_length 0
		.amdhsa_user_sgpr_kernarg_preload_offset 0
		.amdhsa_user_sgpr_private_segment_size 0
		.amdhsa_wavefront_size32 1
		.amdhsa_uses_dynamic_stack 0
		.amdhsa_enable_private_segment 1
		.amdhsa_system_sgpr_workgroup_id_x 1
		.amdhsa_system_sgpr_workgroup_id_y 0
		.amdhsa_system_sgpr_workgroup_id_z 0
		.amdhsa_system_sgpr_workgroup_info 0
		.amdhsa_system_vgpr_workitem_id 0
		.amdhsa_next_free_vgpr 51
		.amdhsa_next_free_sgpr 34
		.amdhsa_named_barrier_count 0
		.amdhsa_reserve_vcc 1
		.amdhsa_float_round_mode_32 0
		.amdhsa_float_round_mode_16_64 0
		.amdhsa_float_denorm_mode_32 3
		.amdhsa_float_denorm_mode_16_64 3
		.amdhsa_fp16_overflow 0
		.amdhsa_memory_ordered 1
		.amdhsa_forward_progress 1
		.amdhsa_inst_pref_size 1
		.amdhsa_round_robin_scheduling 0
		.amdhsa_exception_fp_ieee_invalid_op 0
		.amdhsa_exception_fp_denorm_src 0
		.amdhsa_exception_fp_ieee_div_zero 0
		.amdhsa_exception_fp_ieee_overflow 0
		.amdhsa_exception_fp_ieee_underflow 0
		.amdhsa_exception_fp_ieee_inexact 0
		.amdhsa_exception_int_div_zero 0
	.end_amdhsa_kernel
	.section	.text._Z39paged_attention_ll4mi_QKV_mfma16_kernelI14__hip_bfloat16hLN4vllm18Fp8KVCacheDataTypeE1ES0_Li32ELi128ELi256ELb1ELi11EEvPKT_PKT0_S8_ifPKiSA_SA_iPKfiiiPfSD_PS3_PT2_iSC_SC_,"axG",@progbits,_Z39paged_attention_ll4mi_QKV_mfma16_kernelI14__hip_bfloat16hLN4vllm18Fp8KVCacheDataTypeE1ES0_Li32ELi128ELi256ELb1ELi11EEvPKT_PKT0_S8_ifPKiSA_SA_iPKfiiiPfSD_PS3_PT2_iSC_SC_,comdat
.Lfunc_end1380:
	.size	_Z39paged_attention_ll4mi_QKV_mfma16_kernelI14__hip_bfloat16hLN4vllm18Fp8KVCacheDataTypeE1ES0_Li32ELi128ELi256ELb1ELi11EEvPKT_PKT0_S8_ifPKiSA_SA_iPKfiiiPfSD_PS3_PT2_iSC_SC_, .Lfunc_end1380-_Z39paged_attention_ll4mi_QKV_mfma16_kernelI14__hip_bfloat16hLN4vllm18Fp8KVCacheDataTypeE1ES0_Li32ELi128ELi256ELb1ELi11EEvPKT_PKT0_S8_ifPKiSA_SA_iPKfiiiPfSD_PS3_PT2_iSC_SC_
                                        ; -- End function
	.set _Z39paged_attention_ll4mi_QKV_mfma16_kernelI14__hip_bfloat16hLN4vllm18Fp8KVCacheDataTypeE1ES0_Li32ELi128ELi256ELb1ELi11EEvPKT_PKT0_S8_ifPKiSA_SA_iPKfiiiPfSD_PS3_PT2_iSC_SC_.num_vgpr, max(3, .L__assert_fail.num_vgpr)
	.set _Z39paged_attention_ll4mi_QKV_mfma16_kernelI14__hip_bfloat16hLN4vllm18Fp8KVCacheDataTypeE1ES0_Li32ELi128ELi256ELb1ELi11EEvPKT_PKT0_S8_ifPKiSA_SA_iPKfiiiPfSD_PS3_PT2_iSC_SC_.num_agpr, max(0, .L__assert_fail.num_agpr)
	.set _Z39paged_attention_ll4mi_QKV_mfma16_kernelI14__hip_bfloat16hLN4vllm18Fp8KVCacheDataTypeE1ES0_Li32ELi128ELi256ELb1ELi11EEvPKT_PKT0_S8_ifPKiSA_SA_iPKfiiiPfSD_PS3_PT2_iSC_SC_.numbered_sgpr, max(33, .L__assert_fail.numbered_sgpr)
	.set _Z39paged_attention_ll4mi_QKV_mfma16_kernelI14__hip_bfloat16hLN4vllm18Fp8KVCacheDataTypeE1ES0_Li32ELi128ELi256ELb1ELi11EEvPKT_PKT0_S8_ifPKiSA_SA_iPKfiiiPfSD_PS3_PT2_iSC_SC_.num_named_barrier, max(0, .L__assert_fail.num_named_barrier)
	.set _Z39paged_attention_ll4mi_QKV_mfma16_kernelI14__hip_bfloat16hLN4vllm18Fp8KVCacheDataTypeE1ES0_Li32ELi128ELi256ELb1ELi11EEvPKT_PKT0_S8_ifPKiSA_SA_iPKfiiiPfSD_PS3_PT2_iSC_SC_.private_seg_size, 0+max(.L__assert_fail.private_seg_size)
	.set _Z39paged_attention_ll4mi_QKV_mfma16_kernelI14__hip_bfloat16hLN4vllm18Fp8KVCacheDataTypeE1ES0_Li32ELi128ELi256ELb1ELi11EEvPKT_PKT0_S8_ifPKiSA_SA_iPKfiiiPfSD_PS3_PT2_iSC_SC_.uses_vcc, or(1, .L__assert_fail.uses_vcc)
	.set _Z39paged_attention_ll4mi_QKV_mfma16_kernelI14__hip_bfloat16hLN4vllm18Fp8KVCacheDataTypeE1ES0_Li32ELi128ELi256ELb1ELi11EEvPKT_PKT0_S8_ifPKiSA_SA_iPKfiiiPfSD_PS3_PT2_iSC_SC_.uses_flat_scratch, or(0, .L__assert_fail.uses_flat_scratch)
	.set _Z39paged_attention_ll4mi_QKV_mfma16_kernelI14__hip_bfloat16hLN4vllm18Fp8KVCacheDataTypeE1ES0_Li32ELi128ELi256ELb1ELi11EEvPKT_PKT0_S8_ifPKiSA_SA_iPKfiiiPfSD_PS3_PT2_iSC_SC_.has_dyn_sized_stack, or(0, .L__assert_fail.has_dyn_sized_stack)
	.set _Z39paged_attention_ll4mi_QKV_mfma16_kernelI14__hip_bfloat16hLN4vllm18Fp8KVCacheDataTypeE1ES0_Li32ELi128ELi256ELb1ELi11EEvPKT_PKT0_S8_ifPKiSA_SA_iPKfiiiPfSD_PS3_PT2_iSC_SC_.has_recursion, or(0, .L__assert_fail.has_recursion)
	.set _Z39paged_attention_ll4mi_QKV_mfma16_kernelI14__hip_bfloat16hLN4vllm18Fp8KVCacheDataTypeE1ES0_Li32ELi128ELi256ELb1ELi11EEvPKT_PKT0_S8_ifPKiSA_SA_iPKfiiiPfSD_PS3_PT2_iSC_SC_.has_indirect_call, or(0, .L__assert_fail.has_indirect_call)
	.section	.AMDGPU.csdata,"",@progbits
; Kernel info:
; codeLenInByte = 68
; TotalNumSgprs: 36
; NumVgprs: 51
; ScratchSize: 64
; MemoryBound: 0
; FloatMode: 240
; IeeeMode: 1
; LDSByteSize: 0 bytes/workgroup (compile time only)
; SGPRBlocks: 0
; VGPRBlocks: 3
; NumSGPRsForWavesPerEU: 36
; NumVGPRsForWavesPerEU: 51
; NamedBarCnt: 0
; Occupancy: 16
; WaveLimiterHint : 1
; COMPUTE_PGM_RSRC2:SCRATCH_EN: 1
; COMPUTE_PGM_RSRC2:USER_SGPR: 2
; COMPUTE_PGM_RSRC2:TRAP_HANDLER: 0
; COMPUTE_PGM_RSRC2:TGID_X_EN: 1
; COMPUTE_PGM_RSRC2:TGID_Y_EN: 0
; COMPUTE_PGM_RSRC2:TGID_Z_EN: 0
; COMPUTE_PGM_RSRC2:TIDIG_COMP_CNT: 0
	.section	.text._Z39paged_attention_ll4mi_QKV_mfma16_kernelI14__hip_bfloat16hLN4vllm18Fp8KVCacheDataTypeE1ES0_Li32ELi128ELi256ELb1ELi12EEvPKT_PKT0_S8_ifPKiSA_SA_iPKfiiiPfSD_PS3_PT2_iSC_SC_,"axG",@progbits,_Z39paged_attention_ll4mi_QKV_mfma16_kernelI14__hip_bfloat16hLN4vllm18Fp8KVCacheDataTypeE1ES0_Li32ELi128ELi256ELb1ELi12EEvPKT_PKT0_S8_ifPKiSA_SA_iPKfiiiPfSD_PS3_PT2_iSC_SC_,comdat
	.protected	_Z39paged_attention_ll4mi_QKV_mfma16_kernelI14__hip_bfloat16hLN4vllm18Fp8KVCacheDataTypeE1ES0_Li32ELi128ELi256ELb1ELi12EEvPKT_PKT0_S8_ifPKiSA_SA_iPKfiiiPfSD_PS3_PT2_iSC_SC_ ; -- Begin function _Z39paged_attention_ll4mi_QKV_mfma16_kernelI14__hip_bfloat16hLN4vllm18Fp8KVCacheDataTypeE1ES0_Li32ELi128ELi256ELb1ELi12EEvPKT_PKT0_S8_ifPKiSA_SA_iPKfiiiPfSD_PS3_PT2_iSC_SC_
	.globl	_Z39paged_attention_ll4mi_QKV_mfma16_kernelI14__hip_bfloat16hLN4vllm18Fp8KVCacheDataTypeE1ES0_Li32ELi128ELi256ELb1ELi12EEvPKT_PKT0_S8_ifPKiSA_SA_iPKfiiiPfSD_PS3_PT2_iSC_SC_
	.p2align	8
	.type	_Z39paged_attention_ll4mi_QKV_mfma16_kernelI14__hip_bfloat16hLN4vllm18Fp8KVCacheDataTypeE1ES0_Li32ELi128ELi256ELb1ELi12EEvPKT_PKT0_S8_ifPKiSA_SA_iPKfiiiPfSD_PS3_PT2_iSC_SC_,@function
_Z39paged_attention_ll4mi_QKV_mfma16_kernelI14__hip_bfloat16hLN4vllm18Fp8KVCacheDataTypeE1ES0_Li32ELi128ELi256ELb1ELi12EEvPKT_PKT0_S8_ifPKiSA_SA_iPKfiiiPfSD_PS3_PT2_iSC_SC_: ; @_Z39paged_attention_ll4mi_QKV_mfma16_kernelI14__hip_bfloat16hLN4vllm18Fp8KVCacheDataTypeE1ES0_Li32ELi128ELi256ELb1ELi12EEvPKT_PKT0_S8_ifPKiSA_SA_iPKfiiiPfSD_PS3_PT2_iSC_SC_
; %bb.0:
	s_get_pc_i64 s[2:3]
	s_add_nc_u64 s[2:3], s[2:3], __PRETTY_FUNCTION__._Z39paged_attention_ll4mi_QKV_mfma16_kernelI14__hip_bfloat16hLN4vllm18Fp8KVCacheDataTypeE1ES0_Li32ELi128ELi256ELb1ELi12EEvPKT_PKT0_S8_ifPKiSA_SA_iPKfiiiPfSD_PS3_PT2_iSC_SC_@rel64+4
	s_delay_alu instid0(SALU_CYCLE_1)
	v_dual_mov_b32 v0, 0xbb3 :: v_dual_mov_b32 v1, s2
	v_mov_b32_e32 v2, s3
	s_add_nc_u64 s[8:9], s[0:1], 0x90
	s_get_pc_i64 s[0:1]
	s_add_nc_u64 s[0:1], s[0:1], __assert_fail@rel64+4
	s_mov_b32 s32, 0
	s_swap_pc_i64 s[30:31], s[0:1]
	.section	.rodata,"a",@progbits
	.p2align	6, 0x0
	.amdhsa_kernel _Z39paged_attention_ll4mi_QKV_mfma16_kernelI14__hip_bfloat16hLN4vllm18Fp8KVCacheDataTypeE1ES0_Li32ELi128ELi256ELb1ELi12EEvPKT_PKT0_S8_ifPKiSA_SA_iPKfiiiPfSD_PS3_PT2_iSC_SC_
		.amdhsa_group_segment_fixed_size 0
		.amdhsa_private_segment_fixed_size 64
		.amdhsa_kernarg_size 400
		.amdhsa_user_sgpr_count 2
		.amdhsa_user_sgpr_dispatch_ptr 0
		.amdhsa_user_sgpr_queue_ptr 0
		.amdhsa_user_sgpr_kernarg_segment_ptr 1
		.amdhsa_user_sgpr_dispatch_id 0
		.amdhsa_user_sgpr_kernarg_preload_length 0
		.amdhsa_user_sgpr_kernarg_preload_offset 0
		.amdhsa_user_sgpr_private_segment_size 0
		.amdhsa_wavefront_size32 1
		.amdhsa_uses_dynamic_stack 0
		.amdhsa_enable_private_segment 1
		.amdhsa_system_sgpr_workgroup_id_x 1
		.amdhsa_system_sgpr_workgroup_id_y 0
		.amdhsa_system_sgpr_workgroup_id_z 0
		.amdhsa_system_sgpr_workgroup_info 0
		.amdhsa_system_vgpr_workitem_id 0
		.amdhsa_next_free_vgpr 51
		.amdhsa_next_free_sgpr 34
		.amdhsa_named_barrier_count 0
		.amdhsa_reserve_vcc 1
		.amdhsa_float_round_mode_32 0
		.amdhsa_float_round_mode_16_64 0
		.amdhsa_float_denorm_mode_32 3
		.amdhsa_float_denorm_mode_16_64 3
		.amdhsa_fp16_overflow 0
		.amdhsa_memory_ordered 1
		.amdhsa_forward_progress 1
		.amdhsa_inst_pref_size 1
		.amdhsa_round_robin_scheduling 0
		.amdhsa_exception_fp_ieee_invalid_op 0
		.amdhsa_exception_fp_denorm_src 0
		.amdhsa_exception_fp_ieee_div_zero 0
		.amdhsa_exception_fp_ieee_overflow 0
		.amdhsa_exception_fp_ieee_underflow 0
		.amdhsa_exception_fp_ieee_inexact 0
		.amdhsa_exception_int_div_zero 0
	.end_amdhsa_kernel
	.section	.text._Z39paged_attention_ll4mi_QKV_mfma16_kernelI14__hip_bfloat16hLN4vllm18Fp8KVCacheDataTypeE1ES0_Li32ELi128ELi256ELb1ELi12EEvPKT_PKT0_S8_ifPKiSA_SA_iPKfiiiPfSD_PS3_PT2_iSC_SC_,"axG",@progbits,_Z39paged_attention_ll4mi_QKV_mfma16_kernelI14__hip_bfloat16hLN4vllm18Fp8KVCacheDataTypeE1ES0_Li32ELi128ELi256ELb1ELi12EEvPKT_PKT0_S8_ifPKiSA_SA_iPKfiiiPfSD_PS3_PT2_iSC_SC_,comdat
.Lfunc_end1381:
	.size	_Z39paged_attention_ll4mi_QKV_mfma16_kernelI14__hip_bfloat16hLN4vllm18Fp8KVCacheDataTypeE1ES0_Li32ELi128ELi256ELb1ELi12EEvPKT_PKT0_S8_ifPKiSA_SA_iPKfiiiPfSD_PS3_PT2_iSC_SC_, .Lfunc_end1381-_Z39paged_attention_ll4mi_QKV_mfma16_kernelI14__hip_bfloat16hLN4vllm18Fp8KVCacheDataTypeE1ES0_Li32ELi128ELi256ELb1ELi12EEvPKT_PKT0_S8_ifPKiSA_SA_iPKfiiiPfSD_PS3_PT2_iSC_SC_
                                        ; -- End function
	.set _Z39paged_attention_ll4mi_QKV_mfma16_kernelI14__hip_bfloat16hLN4vllm18Fp8KVCacheDataTypeE1ES0_Li32ELi128ELi256ELb1ELi12EEvPKT_PKT0_S8_ifPKiSA_SA_iPKfiiiPfSD_PS3_PT2_iSC_SC_.num_vgpr, max(3, .L__assert_fail.num_vgpr)
	.set _Z39paged_attention_ll4mi_QKV_mfma16_kernelI14__hip_bfloat16hLN4vllm18Fp8KVCacheDataTypeE1ES0_Li32ELi128ELi256ELb1ELi12EEvPKT_PKT0_S8_ifPKiSA_SA_iPKfiiiPfSD_PS3_PT2_iSC_SC_.num_agpr, max(0, .L__assert_fail.num_agpr)
	.set _Z39paged_attention_ll4mi_QKV_mfma16_kernelI14__hip_bfloat16hLN4vllm18Fp8KVCacheDataTypeE1ES0_Li32ELi128ELi256ELb1ELi12EEvPKT_PKT0_S8_ifPKiSA_SA_iPKfiiiPfSD_PS3_PT2_iSC_SC_.numbered_sgpr, max(33, .L__assert_fail.numbered_sgpr)
	.set _Z39paged_attention_ll4mi_QKV_mfma16_kernelI14__hip_bfloat16hLN4vllm18Fp8KVCacheDataTypeE1ES0_Li32ELi128ELi256ELb1ELi12EEvPKT_PKT0_S8_ifPKiSA_SA_iPKfiiiPfSD_PS3_PT2_iSC_SC_.num_named_barrier, max(0, .L__assert_fail.num_named_barrier)
	.set _Z39paged_attention_ll4mi_QKV_mfma16_kernelI14__hip_bfloat16hLN4vllm18Fp8KVCacheDataTypeE1ES0_Li32ELi128ELi256ELb1ELi12EEvPKT_PKT0_S8_ifPKiSA_SA_iPKfiiiPfSD_PS3_PT2_iSC_SC_.private_seg_size, 0+max(.L__assert_fail.private_seg_size)
	.set _Z39paged_attention_ll4mi_QKV_mfma16_kernelI14__hip_bfloat16hLN4vllm18Fp8KVCacheDataTypeE1ES0_Li32ELi128ELi256ELb1ELi12EEvPKT_PKT0_S8_ifPKiSA_SA_iPKfiiiPfSD_PS3_PT2_iSC_SC_.uses_vcc, or(1, .L__assert_fail.uses_vcc)
	.set _Z39paged_attention_ll4mi_QKV_mfma16_kernelI14__hip_bfloat16hLN4vllm18Fp8KVCacheDataTypeE1ES0_Li32ELi128ELi256ELb1ELi12EEvPKT_PKT0_S8_ifPKiSA_SA_iPKfiiiPfSD_PS3_PT2_iSC_SC_.uses_flat_scratch, or(0, .L__assert_fail.uses_flat_scratch)
	.set _Z39paged_attention_ll4mi_QKV_mfma16_kernelI14__hip_bfloat16hLN4vllm18Fp8KVCacheDataTypeE1ES0_Li32ELi128ELi256ELb1ELi12EEvPKT_PKT0_S8_ifPKiSA_SA_iPKfiiiPfSD_PS3_PT2_iSC_SC_.has_dyn_sized_stack, or(0, .L__assert_fail.has_dyn_sized_stack)
	.set _Z39paged_attention_ll4mi_QKV_mfma16_kernelI14__hip_bfloat16hLN4vllm18Fp8KVCacheDataTypeE1ES0_Li32ELi128ELi256ELb1ELi12EEvPKT_PKT0_S8_ifPKiSA_SA_iPKfiiiPfSD_PS3_PT2_iSC_SC_.has_recursion, or(0, .L__assert_fail.has_recursion)
	.set _Z39paged_attention_ll4mi_QKV_mfma16_kernelI14__hip_bfloat16hLN4vllm18Fp8KVCacheDataTypeE1ES0_Li32ELi128ELi256ELb1ELi12EEvPKT_PKT0_S8_ifPKiSA_SA_iPKfiiiPfSD_PS3_PT2_iSC_SC_.has_indirect_call, or(0, .L__assert_fail.has_indirect_call)
	.section	.AMDGPU.csdata,"",@progbits
; Kernel info:
; codeLenInByte = 68
; TotalNumSgprs: 36
; NumVgprs: 51
; ScratchSize: 64
; MemoryBound: 0
; FloatMode: 240
; IeeeMode: 1
; LDSByteSize: 0 bytes/workgroup (compile time only)
; SGPRBlocks: 0
; VGPRBlocks: 3
; NumSGPRsForWavesPerEU: 36
; NumVGPRsForWavesPerEU: 51
; NamedBarCnt: 0
; Occupancy: 16
; WaveLimiterHint : 1
; COMPUTE_PGM_RSRC2:SCRATCH_EN: 1
; COMPUTE_PGM_RSRC2:USER_SGPR: 2
; COMPUTE_PGM_RSRC2:TRAP_HANDLER: 0
; COMPUTE_PGM_RSRC2:TGID_X_EN: 1
; COMPUTE_PGM_RSRC2:TGID_Y_EN: 0
; COMPUTE_PGM_RSRC2:TGID_Z_EN: 0
; COMPUTE_PGM_RSRC2:TIDIG_COMP_CNT: 0
	.section	.text._Z39paged_attention_ll4mi_QKV_mfma16_kernelI14__hip_bfloat16hLN4vllm18Fp8KVCacheDataTypeE1ES0_Li32ELi128ELi256ELb1ELi13EEvPKT_PKT0_S8_ifPKiSA_SA_iPKfiiiPfSD_PS3_PT2_iSC_SC_,"axG",@progbits,_Z39paged_attention_ll4mi_QKV_mfma16_kernelI14__hip_bfloat16hLN4vllm18Fp8KVCacheDataTypeE1ES0_Li32ELi128ELi256ELb1ELi13EEvPKT_PKT0_S8_ifPKiSA_SA_iPKfiiiPfSD_PS3_PT2_iSC_SC_,comdat
	.protected	_Z39paged_attention_ll4mi_QKV_mfma16_kernelI14__hip_bfloat16hLN4vllm18Fp8KVCacheDataTypeE1ES0_Li32ELi128ELi256ELb1ELi13EEvPKT_PKT0_S8_ifPKiSA_SA_iPKfiiiPfSD_PS3_PT2_iSC_SC_ ; -- Begin function _Z39paged_attention_ll4mi_QKV_mfma16_kernelI14__hip_bfloat16hLN4vllm18Fp8KVCacheDataTypeE1ES0_Li32ELi128ELi256ELb1ELi13EEvPKT_PKT0_S8_ifPKiSA_SA_iPKfiiiPfSD_PS3_PT2_iSC_SC_
	.globl	_Z39paged_attention_ll4mi_QKV_mfma16_kernelI14__hip_bfloat16hLN4vllm18Fp8KVCacheDataTypeE1ES0_Li32ELi128ELi256ELb1ELi13EEvPKT_PKT0_S8_ifPKiSA_SA_iPKfiiiPfSD_PS3_PT2_iSC_SC_
	.p2align	8
	.type	_Z39paged_attention_ll4mi_QKV_mfma16_kernelI14__hip_bfloat16hLN4vllm18Fp8KVCacheDataTypeE1ES0_Li32ELi128ELi256ELb1ELi13EEvPKT_PKT0_S8_ifPKiSA_SA_iPKfiiiPfSD_PS3_PT2_iSC_SC_,@function
_Z39paged_attention_ll4mi_QKV_mfma16_kernelI14__hip_bfloat16hLN4vllm18Fp8KVCacheDataTypeE1ES0_Li32ELi128ELi256ELb1ELi13EEvPKT_PKT0_S8_ifPKiSA_SA_iPKfiiiPfSD_PS3_PT2_iSC_SC_: ; @_Z39paged_attention_ll4mi_QKV_mfma16_kernelI14__hip_bfloat16hLN4vllm18Fp8KVCacheDataTypeE1ES0_Li32ELi128ELi256ELb1ELi13EEvPKT_PKT0_S8_ifPKiSA_SA_iPKfiiiPfSD_PS3_PT2_iSC_SC_
; %bb.0:
	s_get_pc_i64 s[2:3]
	s_add_nc_u64 s[2:3], s[2:3], __PRETTY_FUNCTION__._Z39paged_attention_ll4mi_QKV_mfma16_kernelI14__hip_bfloat16hLN4vllm18Fp8KVCacheDataTypeE1ES0_Li32ELi128ELi256ELb1ELi13EEvPKT_PKT0_S8_ifPKiSA_SA_iPKfiiiPfSD_PS3_PT2_iSC_SC_@rel64+4
	s_delay_alu instid0(SALU_CYCLE_1)
	v_dual_mov_b32 v0, 0xbb3 :: v_dual_mov_b32 v1, s2
	v_mov_b32_e32 v2, s3
	s_add_nc_u64 s[8:9], s[0:1], 0x90
	s_get_pc_i64 s[0:1]
	s_add_nc_u64 s[0:1], s[0:1], __assert_fail@rel64+4
	s_mov_b32 s32, 0
	s_swap_pc_i64 s[30:31], s[0:1]
	.section	.rodata,"a",@progbits
	.p2align	6, 0x0
	.amdhsa_kernel _Z39paged_attention_ll4mi_QKV_mfma16_kernelI14__hip_bfloat16hLN4vllm18Fp8KVCacheDataTypeE1ES0_Li32ELi128ELi256ELb1ELi13EEvPKT_PKT0_S8_ifPKiSA_SA_iPKfiiiPfSD_PS3_PT2_iSC_SC_
		.amdhsa_group_segment_fixed_size 0
		.amdhsa_private_segment_fixed_size 64
		.amdhsa_kernarg_size 400
		.amdhsa_user_sgpr_count 2
		.amdhsa_user_sgpr_dispatch_ptr 0
		.amdhsa_user_sgpr_queue_ptr 0
		.amdhsa_user_sgpr_kernarg_segment_ptr 1
		.amdhsa_user_sgpr_dispatch_id 0
		.amdhsa_user_sgpr_kernarg_preload_length 0
		.amdhsa_user_sgpr_kernarg_preload_offset 0
		.amdhsa_user_sgpr_private_segment_size 0
		.amdhsa_wavefront_size32 1
		.amdhsa_uses_dynamic_stack 0
		.amdhsa_enable_private_segment 1
		.amdhsa_system_sgpr_workgroup_id_x 1
		.amdhsa_system_sgpr_workgroup_id_y 0
		.amdhsa_system_sgpr_workgroup_id_z 0
		.amdhsa_system_sgpr_workgroup_info 0
		.amdhsa_system_vgpr_workitem_id 0
		.amdhsa_next_free_vgpr 51
		.amdhsa_next_free_sgpr 34
		.amdhsa_named_barrier_count 0
		.amdhsa_reserve_vcc 1
		.amdhsa_float_round_mode_32 0
		.amdhsa_float_round_mode_16_64 0
		.amdhsa_float_denorm_mode_32 3
		.amdhsa_float_denorm_mode_16_64 3
		.amdhsa_fp16_overflow 0
		.amdhsa_memory_ordered 1
		.amdhsa_forward_progress 1
		.amdhsa_inst_pref_size 1
		.amdhsa_round_robin_scheduling 0
		.amdhsa_exception_fp_ieee_invalid_op 0
		.amdhsa_exception_fp_denorm_src 0
		.amdhsa_exception_fp_ieee_div_zero 0
		.amdhsa_exception_fp_ieee_overflow 0
		.amdhsa_exception_fp_ieee_underflow 0
		.amdhsa_exception_fp_ieee_inexact 0
		.amdhsa_exception_int_div_zero 0
	.end_amdhsa_kernel
	.section	.text._Z39paged_attention_ll4mi_QKV_mfma16_kernelI14__hip_bfloat16hLN4vllm18Fp8KVCacheDataTypeE1ES0_Li32ELi128ELi256ELb1ELi13EEvPKT_PKT0_S8_ifPKiSA_SA_iPKfiiiPfSD_PS3_PT2_iSC_SC_,"axG",@progbits,_Z39paged_attention_ll4mi_QKV_mfma16_kernelI14__hip_bfloat16hLN4vllm18Fp8KVCacheDataTypeE1ES0_Li32ELi128ELi256ELb1ELi13EEvPKT_PKT0_S8_ifPKiSA_SA_iPKfiiiPfSD_PS3_PT2_iSC_SC_,comdat
.Lfunc_end1382:
	.size	_Z39paged_attention_ll4mi_QKV_mfma16_kernelI14__hip_bfloat16hLN4vllm18Fp8KVCacheDataTypeE1ES0_Li32ELi128ELi256ELb1ELi13EEvPKT_PKT0_S8_ifPKiSA_SA_iPKfiiiPfSD_PS3_PT2_iSC_SC_, .Lfunc_end1382-_Z39paged_attention_ll4mi_QKV_mfma16_kernelI14__hip_bfloat16hLN4vllm18Fp8KVCacheDataTypeE1ES0_Li32ELi128ELi256ELb1ELi13EEvPKT_PKT0_S8_ifPKiSA_SA_iPKfiiiPfSD_PS3_PT2_iSC_SC_
                                        ; -- End function
	.set _Z39paged_attention_ll4mi_QKV_mfma16_kernelI14__hip_bfloat16hLN4vllm18Fp8KVCacheDataTypeE1ES0_Li32ELi128ELi256ELb1ELi13EEvPKT_PKT0_S8_ifPKiSA_SA_iPKfiiiPfSD_PS3_PT2_iSC_SC_.num_vgpr, max(3, .L__assert_fail.num_vgpr)
	.set _Z39paged_attention_ll4mi_QKV_mfma16_kernelI14__hip_bfloat16hLN4vllm18Fp8KVCacheDataTypeE1ES0_Li32ELi128ELi256ELb1ELi13EEvPKT_PKT0_S8_ifPKiSA_SA_iPKfiiiPfSD_PS3_PT2_iSC_SC_.num_agpr, max(0, .L__assert_fail.num_agpr)
	.set _Z39paged_attention_ll4mi_QKV_mfma16_kernelI14__hip_bfloat16hLN4vllm18Fp8KVCacheDataTypeE1ES0_Li32ELi128ELi256ELb1ELi13EEvPKT_PKT0_S8_ifPKiSA_SA_iPKfiiiPfSD_PS3_PT2_iSC_SC_.numbered_sgpr, max(33, .L__assert_fail.numbered_sgpr)
	.set _Z39paged_attention_ll4mi_QKV_mfma16_kernelI14__hip_bfloat16hLN4vllm18Fp8KVCacheDataTypeE1ES0_Li32ELi128ELi256ELb1ELi13EEvPKT_PKT0_S8_ifPKiSA_SA_iPKfiiiPfSD_PS3_PT2_iSC_SC_.num_named_barrier, max(0, .L__assert_fail.num_named_barrier)
	.set _Z39paged_attention_ll4mi_QKV_mfma16_kernelI14__hip_bfloat16hLN4vllm18Fp8KVCacheDataTypeE1ES0_Li32ELi128ELi256ELb1ELi13EEvPKT_PKT0_S8_ifPKiSA_SA_iPKfiiiPfSD_PS3_PT2_iSC_SC_.private_seg_size, 0+max(.L__assert_fail.private_seg_size)
	.set _Z39paged_attention_ll4mi_QKV_mfma16_kernelI14__hip_bfloat16hLN4vllm18Fp8KVCacheDataTypeE1ES0_Li32ELi128ELi256ELb1ELi13EEvPKT_PKT0_S8_ifPKiSA_SA_iPKfiiiPfSD_PS3_PT2_iSC_SC_.uses_vcc, or(1, .L__assert_fail.uses_vcc)
	.set _Z39paged_attention_ll4mi_QKV_mfma16_kernelI14__hip_bfloat16hLN4vllm18Fp8KVCacheDataTypeE1ES0_Li32ELi128ELi256ELb1ELi13EEvPKT_PKT0_S8_ifPKiSA_SA_iPKfiiiPfSD_PS3_PT2_iSC_SC_.uses_flat_scratch, or(0, .L__assert_fail.uses_flat_scratch)
	.set _Z39paged_attention_ll4mi_QKV_mfma16_kernelI14__hip_bfloat16hLN4vllm18Fp8KVCacheDataTypeE1ES0_Li32ELi128ELi256ELb1ELi13EEvPKT_PKT0_S8_ifPKiSA_SA_iPKfiiiPfSD_PS3_PT2_iSC_SC_.has_dyn_sized_stack, or(0, .L__assert_fail.has_dyn_sized_stack)
	.set _Z39paged_attention_ll4mi_QKV_mfma16_kernelI14__hip_bfloat16hLN4vllm18Fp8KVCacheDataTypeE1ES0_Li32ELi128ELi256ELb1ELi13EEvPKT_PKT0_S8_ifPKiSA_SA_iPKfiiiPfSD_PS3_PT2_iSC_SC_.has_recursion, or(0, .L__assert_fail.has_recursion)
	.set _Z39paged_attention_ll4mi_QKV_mfma16_kernelI14__hip_bfloat16hLN4vllm18Fp8KVCacheDataTypeE1ES0_Li32ELi128ELi256ELb1ELi13EEvPKT_PKT0_S8_ifPKiSA_SA_iPKfiiiPfSD_PS3_PT2_iSC_SC_.has_indirect_call, or(0, .L__assert_fail.has_indirect_call)
	.section	.AMDGPU.csdata,"",@progbits
; Kernel info:
; codeLenInByte = 68
; TotalNumSgprs: 36
; NumVgprs: 51
; ScratchSize: 64
; MemoryBound: 0
; FloatMode: 240
; IeeeMode: 1
; LDSByteSize: 0 bytes/workgroup (compile time only)
; SGPRBlocks: 0
; VGPRBlocks: 3
; NumSGPRsForWavesPerEU: 36
; NumVGPRsForWavesPerEU: 51
; NamedBarCnt: 0
; Occupancy: 16
; WaveLimiterHint : 1
; COMPUTE_PGM_RSRC2:SCRATCH_EN: 1
; COMPUTE_PGM_RSRC2:USER_SGPR: 2
; COMPUTE_PGM_RSRC2:TRAP_HANDLER: 0
; COMPUTE_PGM_RSRC2:TGID_X_EN: 1
; COMPUTE_PGM_RSRC2:TGID_Y_EN: 0
; COMPUTE_PGM_RSRC2:TGID_Z_EN: 0
; COMPUTE_PGM_RSRC2:TIDIG_COMP_CNT: 0
	.section	.text._Z39paged_attention_ll4mi_QKV_mfma16_kernelI14__hip_bfloat16hLN4vllm18Fp8KVCacheDataTypeE1ES0_Li32ELi128ELi256ELb1ELi14EEvPKT_PKT0_S8_ifPKiSA_SA_iPKfiiiPfSD_PS3_PT2_iSC_SC_,"axG",@progbits,_Z39paged_attention_ll4mi_QKV_mfma16_kernelI14__hip_bfloat16hLN4vllm18Fp8KVCacheDataTypeE1ES0_Li32ELi128ELi256ELb1ELi14EEvPKT_PKT0_S8_ifPKiSA_SA_iPKfiiiPfSD_PS3_PT2_iSC_SC_,comdat
	.protected	_Z39paged_attention_ll4mi_QKV_mfma16_kernelI14__hip_bfloat16hLN4vllm18Fp8KVCacheDataTypeE1ES0_Li32ELi128ELi256ELb1ELi14EEvPKT_PKT0_S8_ifPKiSA_SA_iPKfiiiPfSD_PS3_PT2_iSC_SC_ ; -- Begin function _Z39paged_attention_ll4mi_QKV_mfma16_kernelI14__hip_bfloat16hLN4vllm18Fp8KVCacheDataTypeE1ES0_Li32ELi128ELi256ELb1ELi14EEvPKT_PKT0_S8_ifPKiSA_SA_iPKfiiiPfSD_PS3_PT2_iSC_SC_
	.globl	_Z39paged_attention_ll4mi_QKV_mfma16_kernelI14__hip_bfloat16hLN4vllm18Fp8KVCacheDataTypeE1ES0_Li32ELi128ELi256ELb1ELi14EEvPKT_PKT0_S8_ifPKiSA_SA_iPKfiiiPfSD_PS3_PT2_iSC_SC_
	.p2align	8
	.type	_Z39paged_attention_ll4mi_QKV_mfma16_kernelI14__hip_bfloat16hLN4vllm18Fp8KVCacheDataTypeE1ES0_Li32ELi128ELi256ELb1ELi14EEvPKT_PKT0_S8_ifPKiSA_SA_iPKfiiiPfSD_PS3_PT2_iSC_SC_,@function
_Z39paged_attention_ll4mi_QKV_mfma16_kernelI14__hip_bfloat16hLN4vllm18Fp8KVCacheDataTypeE1ES0_Li32ELi128ELi256ELb1ELi14EEvPKT_PKT0_S8_ifPKiSA_SA_iPKfiiiPfSD_PS3_PT2_iSC_SC_: ; @_Z39paged_attention_ll4mi_QKV_mfma16_kernelI14__hip_bfloat16hLN4vllm18Fp8KVCacheDataTypeE1ES0_Li32ELi128ELi256ELb1ELi14EEvPKT_PKT0_S8_ifPKiSA_SA_iPKfiiiPfSD_PS3_PT2_iSC_SC_
; %bb.0:
	s_get_pc_i64 s[2:3]
	s_add_nc_u64 s[2:3], s[2:3], __PRETTY_FUNCTION__._Z39paged_attention_ll4mi_QKV_mfma16_kernelI14__hip_bfloat16hLN4vllm18Fp8KVCacheDataTypeE1ES0_Li32ELi128ELi256ELb1ELi14EEvPKT_PKT0_S8_ifPKiSA_SA_iPKfiiiPfSD_PS3_PT2_iSC_SC_@rel64+4
	s_delay_alu instid0(SALU_CYCLE_1)
	v_dual_mov_b32 v0, 0xbb3 :: v_dual_mov_b32 v1, s2
	v_mov_b32_e32 v2, s3
	s_add_nc_u64 s[8:9], s[0:1], 0x90
	s_get_pc_i64 s[0:1]
	s_add_nc_u64 s[0:1], s[0:1], __assert_fail@rel64+4
	s_mov_b32 s32, 0
	s_swap_pc_i64 s[30:31], s[0:1]
	.section	.rodata,"a",@progbits
	.p2align	6, 0x0
	.amdhsa_kernel _Z39paged_attention_ll4mi_QKV_mfma16_kernelI14__hip_bfloat16hLN4vllm18Fp8KVCacheDataTypeE1ES0_Li32ELi128ELi256ELb1ELi14EEvPKT_PKT0_S8_ifPKiSA_SA_iPKfiiiPfSD_PS3_PT2_iSC_SC_
		.amdhsa_group_segment_fixed_size 0
		.amdhsa_private_segment_fixed_size 64
		.amdhsa_kernarg_size 400
		.amdhsa_user_sgpr_count 2
		.amdhsa_user_sgpr_dispatch_ptr 0
		.amdhsa_user_sgpr_queue_ptr 0
		.amdhsa_user_sgpr_kernarg_segment_ptr 1
		.amdhsa_user_sgpr_dispatch_id 0
		.amdhsa_user_sgpr_kernarg_preload_length 0
		.amdhsa_user_sgpr_kernarg_preload_offset 0
		.amdhsa_user_sgpr_private_segment_size 0
		.amdhsa_wavefront_size32 1
		.amdhsa_uses_dynamic_stack 0
		.amdhsa_enable_private_segment 1
		.amdhsa_system_sgpr_workgroup_id_x 1
		.amdhsa_system_sgpr_workgroup_id_y 0
		.amdhsa_system_sgpr_workgroup_id_z 0
		.amdhsa_system_sgpr_workgroup_info 0
		.amdhsa_system_vgpr_workitem_id 0
		.amdhsa_next_free_vgpr 51
		.amdhsa_next_free_sgpr 34
		.amdhsa_named_barrier_count 0
		.amdhsa_reserve_vcc 1
		.amdhsa_float_round_mode_32 0
		.amdhsa_float_round_mode_16_64 0
		.amdhsa_float_denorm_mode_32 3
		.amdhsa_float_denorm_mode_16_64 3
		.amdhsa_fp16_overflow 0
		.amdhsa_memory_ordered 1
		.amdhsa_forward_progress 1
		.amdhsa_inst_pref_size 1
		.amdhsa_round_robin_scheduling 0
		.amdhsa_exception_fp_ieee_invalid_op 0
		.amdhsa_exception_fp_denorm_src 0
		.amdhsa_exception_fp_ieee_div_zero 0
		.amdhsa_exception_fp_ieee_overflow 0
		.amdhsa_exception_fp_ieee_underflow 0
		.amdhsa_exception_fp_ieee_inexact 0
		.amdhsa_exception_int_div_zero 0
	.end_amdhsa_kernel
	.section	.text._Z39paged_attention_ll4mi_QKV_mfma16_kernelI14__hip_bfloat16hLN4vllm18Fp8KVCacheDataTypeE1ES0_Li32ELi128ELi256ELb1ELi14EEvPKT_PKT0_S8_ifPKiSA_SA_iPKfiiiPfSD_PS3_PT2_iSC_SC_,"axG",@progbits,_Z39paged_attention_ll4mi_QKV_mfma16_kernelI14__hip_bfloat16hLN4vllm18Fp8KVCacheDataTypeE1ES0_Li32ELi128ELi256ELb1ELi14EEvPKT_PKT0_S8_ifPKiSA_SA_iPKfiiiPfSD_PS3_PT2_iSC_SC_,comdat
.Lfunc_end1383:
	.size	_Z39paged_attention_ll4mi_QKV_mfma16_kernelI14__hip_bfloat16hLN4vllm18Fp8KVCacheDataTypeE1ES0_Li32ELi128ELi256ELb1ELi14EEvPKT_PKT0_S8_ifPKiSA_SA_iPKfiiiPfSD_PS3_PT2_iSC_SC_, .Lfunc_end1383-_Z39paged_attention_ll4mi_QKV_mfma16_kernelI14__hip_bfloat16hLN4vllm18Fp8KVCacheDataTypeE1ES0_Li32ELi128ELi256ELb1ELi14EEvPKT_PKT0_S8_ifPKiSA_SA_iPKfiiiPfSD_PS3_PT2_iSC_SC_
                                        ; -- End function
	.set _Z39paged_attention_ll4mi_QKV_mfma16_kernelI14__hip_bfloat16hLN4vllm18Fp8KVCacheDataTypeE1ES0_Li32ELi128ELi256ELb1ELi14EEvPKT_PKT0_S8_ifPKiSA_SA_iPKfiiiPfSD_PS3_PT2_iSC_SC_.num_vgpr, max(3, .L__assert_fail.num_vgpr)
	.set _Z39paged_attention_ll4mi_QKV_mfma16_kernelI14__hip_bfloat16hLN4vllm18Fp8KVCacheDataTypeE1ES0_Li32ELi128ELi256ELb1ELi14EEvPKT_PKT0_S8_ifPKiSA_SA_iPKfiiiPfSD_PS3_PT2_iSC_SC_.num_agpr, max(0, .L__assert_fail.num_agpr)
	.set _Z39paged_attention_ll4mi_QKV_mfma16_kernelI14__hip_bfloat16hLN4vllm18Fp8KVCacheDataTypeE1ES0_Li32ELi128ELi256ELb1ELi14EEvPKT_PKT0_S8_ifPKiSA_SA_iPKfiiiPfSD_PS3_PT2_iSC_SC_.numbered_sgpr, max(33, .L__assert_fail.numbered_sgpr)
	.set _Z39paged_attention_ll4mi_QKV_mfma16_kernelI14__hip_bfloat16hLN4vllm18Fp8KVCacheDataTypeE1ES0_Li32ELi128ELi256ELb1ELi14EEvPKT_PKT0_S8_ifPKiSA_SA_iPKfiiiPfSD_PS3_PT2_iSC_SC_.num_named_barrier, max(0, .L__assert_fail.num_named_barrier)
	.set _Z39paged_attention_ll4mi_QKV_mfma16_kernelI14__hip_bfloat16hLN4vllm18Fp8KVCacheDataTypeE1ES0_Li32ELi128ELi256ELb1ELi14EEvPKT_PKT0_S8_ifPKiSA_SA_iPKfiiiPfSD_PS3_PT2_iSC_SC_.private_seg_size, 0+max(.L__assert_fail.private_seg_size)
	.set _Z39paged_attention_ll4mi_QKV_mfma16_kernelI14__hip_bfloat16hLN4vllm18Fp8KVCacheDataTypeE1ES0_Li32ELi128ELi256ELb1ELi14EEvPKT_PKT0_S8_ifPKiSA_SA_iPKfiiiPfSD_PS3_PT2_iSC_SC_.uses_vcc, or(1, .L__assert_fail.uses_vcc)
	.set _Z39paged_attention_ll4mi_QKV_mfma16_kernelI14__hip_bfloat16hLN4vllm18Fp8KVCacheDataTypeE1ES0_Li32ELi128ELi256ELb1ELi14EEvPKT_PKT0_S8_ifPKiSA_SA_iPKfiiiPfSD_PS3_PT2_iSC_SC_.uses_flat_scratch, or(0, .L__assert_fail.uses_flat_scratch)
	.set _Z39paged_attention_ll4mi_QKV_mfma16_kernelI14__hip_bfloat16hLN4vllm18Fp8KVCacheDataTypeE1ES0_Li32ELi128ELi256ELb1ELi14EEvPKT_PKT0_S8_ifPKiSA_SA_iPKfiiiPfSD_PS3_PT2_iSC_SC_.has_dyn_sized_stack, or(0, .L__assert_fail.has_dyn_sized_stack)
	.set _Z39paged_attention_ll4mi_QKV_mfma16_kernelI14__hip_bfloat16hLN4vllm18Fp8KVCacheDataTypeE1ES0_Li32ELi128ELi256ELb1ELi14EEvPKT_PKT0_S8_ifPKiSA_SA_iPKfiiiPfSD_PS3_PT2_iSC_SC_.has_recursion, or(0, .L__assert_fail.has_recursion)
	.set _Z39paged_attention_ll4mi_QKV_mfma16_kernelI14__hip_bfloat16hLN4vllm18Fp8KVCacheDataTypeE1ES0_Li32ELi128ELi256ELb1ELi14EEvPKT_PKT0_S8_ifPKiSA_SA_iPKfiiiPfSD_PS3_PT2_iSC_SC_.has_indirect_call, or(0, .L__assert_fail.has_indirect_call)
	.section	.AMDGPU.csdata,"",@progbits
; Kernel info:
; codeLenInByte = 68
; TotalNumSgprs: 36
; NumVgprs: 51
; ScratchSize: 64
; MemoryBound: 0
; FloatMode: 240
; IeeeMode: 1
; LDSByteSize: 0 bytes/workgroup (compile time only)
; SGPRBlocks: 0
; VGPRBlocks: 3
; NumSGPRsForWavesPerEU: 36
; NumVGPRsForWavesPerEU: 51
; NamedBarCnt: 0
; Occupancy: 16
; WaveLimiterHint : 1
; COMPUTE_PGM_RSRC2:SCRATCH_EN: 1
; COMPUTE_PGM_RSRC2:USER_SGPR: 2
; COMPUTE_PGM_RSRC2:TRAP_HANDLER: 0
; COMPUTE_PGM_RSRC2:TGID_X_EN: 1
; COMPUTE_PGM_RSRC2:TGID_Y_EN: 0
; COMPUTE_PGM_RSRC2:TGID_Z_EN: 0
; COMPUTE_PGM_RSRC2:TIDIG_COMP_CNT: 0
	.section	.text._Z39paged_attention_ll4mi_QKV_mfma16_kernelI14__hip_bfloat16hLN4vllm18Fp8KVCacheDataTypeE1ES0_Li32ELi128ELi256ELb1ELi15EEvPKT_PKT0_S8_ifPKiSA_SA_iPKfiiiPfSD_PS3_PT2_iSC_SC_,"axG",@progbits,_Z39paged_attention_ll4mi_QKV_mfma16_kernelI14__hip_bfloat16hLN4vllm18Fp8KVCacheDataTypeE1ES0_Li32ELi128ELi256ELb1ELi15EEvPKT_PKT0_S8_ifPKiSA_SA_iPKfiiiPfSD_PS3_PT2_iSC_SC_,comdat
	.protected	_Z39paged_attention_ll4mi_QKV_mfma16_kernelI14__hip_bfloat16hLN4vllm18Fp8KVCacheDataTypeE1ES0_Li32ELi128ELi256ELb1ELi15EEvPKT_PKT0_S8_ifPKiSA_SA_iPKfiiiPfSD_PS3_PT2_iSC_SC_ ; -- Begin function _Z39paged_attention_ll4mi_QKV_mfma16_kernelI14__hip_bfloat16hLN4vllm18Fp8KVCacheDataTypeE1ES0_Li32ELi128ELi256ELb1ELi15EEvPKT_PKT0_S8_ifPKiSA_SA_iPKfiiiPfSD_PS3_PT2_iSC_SC_
	.globl	_Z39paged_attention_ll4mi_QKV_mfma16_kernelI14__hip_bfloat16hLN4vllm18Fp8KVCacheDataTypeE1ES0_Li32ELi128ELi256ELb1ELi15EEvPKT_PKT0_S8_ifPKiSA_SA_iPKfiiiPfSD_PS3_PT2_iSC_SC_
	.p2align	8
	.type	_Z39paged_attention_ll4mi_QKV_mfma16_kernelI14__hip_bfloat16hLN4vllm18Fp8KVCacheDataTypeE1ES0_Li32ELi128ELi256ELb1ELi15EEvPKT_PKT0_S8_ifPKiSA_SA_iPKfiiiPfSD_PS3_PT2_iSC_SC_,@function
_Z39paged_attention_ll4mi_QKV_mfma16_kernelI14__hip_bfloat16hLN4vllm18Fp8KVCacheDataTypeE1ES0_Li32ELi128ELi256ELb1ELi15EEvPKT_PKT0_S8_ifPKiSA_SA_iPKfiiiPfSD_PS3_PT2_iSC_SC_: ; @_Z39paged_attention_ll4mi_QKV_mfma16_kernelI14__hip_bfloat16hLN4vllm18Fp8KVCacheDataTypeE1ES0_Li32ELi128ELi256ELb1ELi15EEvPKT_PKT0_S8_ifPKiSA_SA_iPKfiiiPfSD_PS3_PT2_iSC_SC_
; %bb.0:
	s_get_pc_i64 s[2:3]
	s_add_nc_u64 s[2:3], s[2:3], __PRETTY_FUNCTION__._Z39paged_attention_ll4mi_QKV_mfma16_kernelI14__hip_bfloat16hLN4vllm18Fp8KVCacheDataTypeE1ES0_Li32ELi128ELi256ELb1ELi15EEvPKT_PKT0_S8_ifPKiSA_SA_iPKfiiiPfSD_PS3_PT2_iSC_SC_@rel64+4
	s_delay_alu instid0(SALU_CYCLE_1)
	v_dual_mov_b32 v0, 0xbb3 :: v_dual_mov_b32 v1, s2
	v_mov_b32_e32 v2, s3
	s_add_nc_u64 s[8:9], s[0:1], 0x90
	s_get_pc_i64 s[0:1]
	s_add_nc_u64 s[0:1], s[0:1], __assert_fail@rel64+4
	s_mov_b32 s32, 0
	s_swap_pc_i64 s[30:31], s[0:1]
	.section	.rodata,"a",@progbits
	.p2align	6, 0x0
	.amdhsa_kernel _Z39paged_attention_ll4mi_QKV_mfma16_kernelI14__hip_bfloat16hLN4vllm18Fp8KVCacheDataTypeE1ES0_Li32ELi128ELi256ELb1ELi15EEvPKT_PKT0_S8_ifPKiSA_SA_iPKfiiiPfSD_PS3_PT2_iSC_SC_
		.amdhsa_group_segment_fixed_size 0
		.amdhsa_private_segment_fixed_size 64
		.amdhsa_kernarg_size 400
		.amdhsa_user_sgpr_count 2
		.amdhsa_user_sgpr_dispatch_ptr 0
		.amdhsa_user_sgpr_queue_ptr 0
		.amdhsa_user_sgpr_kernarg_segment_ptr 1
		.amdhsa_user_sgpr_dispatch_id 0
		.amdhsa_user_sgpr_kernarg_preload_length 0
		.amdhsa_user_sgpr_kernarg_preload_offset 0
		.amdhsa_user_sgpr_private_segment_size 0
		.amdhsa_wavefront_size32 1
		.amdhsa_uses_dynamic_stack 0
		.amdhsa_enable_private_segment 1
		.amdhsa_system_sgpr_workgroup_id_x 1
		.amdhsa_system_sgpr_workgroup_id_y 0
		.amdhsa_system_sgpr_workgroup_id_z 0
		.amdhsa_system_sgpr_workgroup_info 0
		.amdhsa_system_vgpr_workitem_id 0
		.amdhsa_next_free_vgpr 51
		.amdhsa_next_free_sgpr 34
		.amdhsa_named_barrier_count 0
		.amdhsa_reserve_vcc 1
		.amdhsa_float_round_mode_32 0
		.amdhsa_float_round_mode_16_64 0
		.amdhsa_float_denorm_mode_32 3
		.amdhsa_float_denorm_mode_16_64 3
		.amdhsa_fp16_overflow 0
		.amdhsa_memory_ordered 1
		.amdhsa_forward_progress 1
		.amdhsa_inst_pref_size 1
		.amdhsa_round_robin_scheduling 0
		.amdhsa_exception_fp_ieee_invalid_op 0
		.amdhsa_exception_fp_denorm_src 0
		.amdhsa_exception_fp_ieee_div_zero 0
		.amdhsa_exception_fp_ieee_overflow 0
		.amdhsa_exception_fp_ieee_underflow 0
		.amdhsa_exception_fp_ieee_inexact 0
		.amdhsa_exception_int_div_zero 0
	.end_amdhsa_kernel
	.section	.text._Z39paged_attention_ll4mi_QKV_mfma16_kernelI14__hip_bfloat16hLN4vllm18Fp8KVCacheDataTypeE1ES0_Li32ELi128ELi256ELb1ELi15EEvPKT_PKT0_S8_ifPKiSA_SA_iPKfiiiPfSD_PS3_PT2_iSC_SC_,"axG",@progbits,_Z39paged_attention_ll4mi_QKV_mfma16_kernelI14__hip_bfloat16hLN4vllm18Fp8KVCacheDataTypeE1ES0_Li32ELi128ELi256ELb1ELi15EEvPKT_PKT0_S8_ifPKiSA_SA_iPKfiiiPfSD_PS3_PT2_iSC_SC_,comdat
.Lfunc_end1384:
	.size	_Z39paged_attention_ll4mi_QKV_mfma16_kernelI14__hip_bfloat16hLN4vllm18Fp8KVCacheDataTypeE1ES0_Li32ELi128ELi256ELb1ELi15EEvPKT_PKT0_S8_ifPKiSA_SA_iPKfiiiPfSD_PS3_PT2_iSC_SC_, .Lfunc_end1384-_Z39paged_attention_ll4mi_QKV_mfma16_kernelI14__hip_bfloat16hLN4vllm18Fp8KVCacheDataTypeE1ES0_Li32ELi128ELi256ELb1ELi15EEvPKT_PKT0_S8_ifPKiSA_SA_iPKfiiiPfSD_PS3_PT2_iSC_SC_
                                        ; -- End function
	.set _Z39paged_attention_ll4mi_QKV_mfma16_kernelI14__hip_bfloat16hLN4vllm18Fp8KVCacheDataTypeE1ES0_Li32ELi128ELi256ELb1ELi15EEvPKT_PKT0_S8_ifPKiSA_SA_iPKfiiiPfSD_PS3_PT2_iSC_SC_.num_vgpr, max(3, .L__assert_fail.num_vgpr)
	.set _Z39paged_attention_ll4mi_QKV_mfma16_kernelI14__hip_bfloat16hLN4vllm18Fp8KVCacheDataTypeE1ES0_Li32ELi128ELi256ELb1ELi15EEvPKT_PKT0_S8_ifPKiSA_SA_iPKfiiiPfSD_PS3_PT2_iSC_SC_.num_agpr, max(0, .L__assert_fail.num_agpr)
	.set _Z39paged_attention_ll4mi_QKV_mfma16_kernelI14__hip_bfloat16hLN4vllm18Fp8KVCacheDataTypeE1ES0_Li32ELi128ELi256ELb1ELi15EEvPKT_PKT0_S8_ifPKiSA_SA_iPKfiiiPfSD_PS3_PT2_iSC_SC_.numbered_sgpr, max(33, .L__assert_fail.numbered_sgpr)
	.set _Z39paged_attention_ll4mi_QKV_mfma16_kernelI14__hip_bfloat16hLN4vllm18Fp8KVCacheDataTypeE1ES0_Li32ELi128ELi256ELb1ELi15EEvPKT_PKT0_S8_ifPKiSA_SA_iPKfiiiPfSD_PS3_PT2_iSC_SC_.num_named_barrier, max(0, .L__assert_fail.num_named_barrier)
	.set _Z39paged_attention_ll4mi_QKV_mfma16_kernelI14__hip_bfloat16hLN4vllm18Fp8KVCacheDataTypeE1ES0_Li32ELi128ELi256ELb1ELi15EEvPKT_PKT0_S8_ifPKiSA_SA_iPKfiiiPfSD_PS3_PT2_iSC_SC_.private_seg_size, 0+max(.L__assert_fail.private_seg_size)
	.set _Z39paged_attention_ll4mi_QKV_mfma16_kernelI14__hip_bfloat16hLN4vllm18Fp8KVCacheDataTypeE1ES0_Li32ELi128ELi256ELb1ELi15EEvPKT_PKT0_S8_ifPKiSA_SA_iPKfiiiPfSD_PS3_PT2_iSC_SC_.uses_vcc, or(1, .L__assert_fail.uses_vcc)
	.set _Z39paged_attention_ll4mi_QKV_mfma16_kernelI14__hip_bfloat16hLN4vllm18Fp8KVCacheDataTypeE1ES0_Li32ELi128ELi256ELb1ELi15EEvPKT_PKT0_S8_ifPKiSA_SA_iPKfiiiPfSD_PS3_PT2_iSC_SC_.uses_flat_scratch, or(0, .L__assert_fail.uses_flat_scratch)
	.set _Z39paged_attention_ll4mi_QKV_mfma16_kernelI14__hip_bfloat16hLN4vllm18Fp8KVCacheDataTypeE1ES0_Li32ELi128ELi256ELb1ELi15EEvPKT_PKT0_S8_ifPKiSA_SA_iPKfiiiPfSD_PS3_PT2_iSC_SC_.has_dyn_sized_stack, or(0, .L__assert_fail.has_dyn_sized_stack)
	.set _Z39paged_attention_ll4mi_QKV_mfma16_kernelI14__hip_bfloat16hLN4vllm18Fp8KVCacheDataTypeE1ES0_Li32ELi128ELi256ELb1ELi15EEvPKT_PKT0_S8_ifPKiSA_SA_iPKfiiiPfSD_PS3_PT2_iSC_SC_.has_recursion, or(0, .L__assert_fail.has_recursion)
	.set _Z39paged_attention_ll4mi_QKV_mfma16_kernelI14__hip_bfloat16hLN4vllm18Fp8KVCacheDataTypeE1ES0_Li32ELi128ELi256ELb1ELi15EEvPKT_PKT0_S8_ifPKiSA_SA_iPKfiiiPfSD_PS3_PT2_iSC_SC_.has_indirect_call, or(0, .L__assert_fail.has_indirect_call)
	.section	.AMDGPU.csdata,"",@progbits
; Kernel info:
; codeLenInByte = 68
; TotalNumSgprs: 36
; NumVgprs: 51
; ScratchSize: 64
; MemoryBound: 0
; FloatMode: 240
; IeeeMode: 1
; LDSByteSize: 0 bytes/workgroup (compile time only)
; SGPRBlocks: 0
; VGPRBlocks: 3
; NumSGPRsForWavesPerEU: 36
; NumVGPRsForWavesPerEU: 51
; NamedBarCnt: 0
; Occupancy: 16
; WaveLimiterHint : 1
; COMPUTE_PGM_RSRC2:SCRATCH_EN: 1
; COMPUTE_PGM_RSRC2:USER_SGPR: 2
; COMPUTE_PGM_RSRC2:TRAP_HANDLER: 0
; COMPUTE_PGM_RSRC2:TGID_X_EN: 1
; COMPUTE_PGM_RSRC2:TGID_Y_EN: 0
; COMPUTE_PGM_RSRC2:TGID_Z_EN: 0
; COMPUTE_PGM_RSRC2:TIDIG_COMP_CNT: 0
	.section	.text._Z39paged_attention_ll4mi_QKV_mfma16_kernelI14__hip_bfloat16hLN4vllm18Fp8KVCacheDataTypeE1ES0_Li32ELi128ELi256ELb1ELi16EEvPKT_PKT0_S8_ifPKiSA_SA_iPKfiiiPfSD_PS3_PT2_iSC_SC_,"axG",@progbits,_Z39paged_attention_ll4mi_QKV_mfma16_kernelI14__hip_bfloat16hLN4vllm18Fp8KVCacheDataTypeE1ES0_Li32ELi128ELi256ELb1ELi16EEvPKT_PKT0_S8_ifPKiSA_SA_iPKfiiiPfSD_PS3_PT2_iSC_SC_,comdat
	.protected	_Z39paged_attention_ll4mi_QKV_mfma16_kernelI14__hip_bfloat16hLN4vllm18Fp8KVCacheDataTypeE1ES0_Li32ELi128ELi256ELb1ELi16EEvPKT_PKT0_S8_ifPKiSA_SA_iPKfiiiPfSD_PS3_PT2_iSC_SC_ ; -- Begin function _Z39paged_attention_ll4mi_QKV_mfma16_kernelI14__hip_bfloat16hLN4vllm18Fp8KVCacheDataTypeE1ES0_Li32ELi128ELi256ELb1ELi16EEvPKT_PKT0_S8_ifPKiSA_SA_iPKfiiiPfSD_PS3_PT2_iSC_SC_
	.globl	_Z39paged_attention_ll4mi_QKV_mfma16_kernelI14__hip_bfloat16hLN4vllm18Fp8KVCacheDataTypeE1ES0_Li32ELi128ELi256ELb1ELi16EEvPKT_PKT0_S8_ifPKiSA_SA_iPKfiiiPfSD_PS3_PT2_iSC_SC_
	.p2align	8
	.type	_Z39paged_attention_ll4mi_QKV_mfma16_kernelI14__hip_bfloat16hLN4vllm18Fp8KVCacheDataTypeE1ES0_Li32ELi128ELi256ELb1ELi16EEvPKT_PKT0_S8_ifPKiSA_SA_iPKfiiiPfSD_PS3_PT2_iSC_SC_,@function
_Z39paged_attention_ll4mi_QKV_mfma16_kernelI14__hip_bfloat16hLN4vllm18Fp8KVCacheDataTypeE1ES0_Li32ELi128ELi256ELb1ELi16EEvPKT_PKT0_S8_ifPKiSA_SA_iPKfiiiPfSD_PS3_PT2_iSC_SC_: ; @_Z39paged_attention_ll4mi_QKV_mfma16_kernelI14__hip_bfloat16hLN4vllm18Fp8KVCacheDataTypeE1ES0_Li32ELi128ELi256ELb1ELi16EEvPKT_PKT0_S8_ifPKiSA_SA_iPKfiiiPfSD_PS3_PT2_iSC_SC_
; %bb.0:
	s_get_pc_i64 s[2:3]
	s_add_nc_u64 s[2:3], s[2:3], __PRETTY_FUNCTION__._Z39paged_attention_ll4mi_QKV_mfma16_kernelI14__hip_bfloat16hLN4vllm18Fp8KVCacheDataTypeE1ES0_Li32ELi128ELi256ELb1ELi16EEvPKT_PKT0_S8_ifPKiSA_SA_iPKfiiiPfSD_PS3_PT2_iSC_SC_@rel64+4
	s_delay_alu instid0(SALU_CYCLE_1)
	v_dual_mov_b32 v0, 0xbb3 :: v_dual_mov_b32 v1, s2
	v_mov_b32_e32 v2, s3
	s_add_nc_u64 s[8:9], s[0:1], 0x90
	s_get_pc_i64 s[0:1]
	s_add_nc_u64 s[0:1], s[0:1], __assert_fail@rel64+4
	s_mov_b32 s32, 0
	s_swap_pc_i64 s[30:31], s[0:1]
	.section	.rodata,"a",@progbits
	.p2align	6, 0x0
	.amdhsa_kernel _Z39paged_attention_ll4mi_QKV_mfma16_kernelI14__hip_bfloat16hLN4vllm18Fp8KVCacheDataTypeE1ES0_Li32ELi128ELi256ELb1ELi16EEvPKT_PKT0_S8_ifPKiSA_SA_iPKfiiiPfSD_PS3_PT2_iSC_SC_
		.amdhsa_group_segment_fixed_size 0
		.amdhsa_private_segment_fixed_size 64
		.amdhsa_kernarg_size 400
		.amdhsa_user_sgpr_count 2
		.amdhsa_user_sgpr_dispatch_ptr 0
		.amdhsa_user_sgpr_queue_ptr 0
		.amdhsa_user_sgpr_kernarg_segment_ptr 1
		.amdhsa_user_sgpr_dispatch_id 0
		.amdhsa_user_sgpr_kernarg_preload_length 0
		.amdhsa_user_sgpr_kernarg_preload_offset 0
		.amdhsa_user_sgpr_private_segment_size 0
		.amdhsa_wavefront_size32 1
		.amdhsa_uses_dynamic_stack 0
		.amdhsa_enable_private_segment 1
		.amdhsa_system_sgpr_workgroup_id_x 1
		.amdhsa_system_sgpr_workgroup_id_y 0
		.amdhsa_system_sgpr_workgroup_id_z 0
		.amdhsa_system_sgpr_workgroup_info 0
		.amdhsa_system_vgpr_workitem_id 0
		.amdhsa_next_free_vgpr 51
		.amdhsa_next_free_sgpr 34
		.amdhsa_named_barrier_count 0
		.amdhsa_reserve_vcc 1
		.amdhsa_float_round_mode_32 0
		.amdhsa_float_round_mode_16_64 0
		.amdhsa_float_denorm_mode_32 3
		.amdhsa_float_denorm_mode_16_64 3
		.amdhsa_fp16_overflow 0
		.amdhsa_memory_ordered 1
		.amdhsa_forward_progress 1
		.amdhsa_inst_pref_size 1
		.amdhsa_round_robin_scheduling 0
		.amdhsa_exception_fp_ieee_invalid_op 0
		.amdhsa_exception_fp_denorm_src 0
		.amdhsa_exception_fp_ieee_div_zero 0
		.amdhsa_exception_fp_ieee_overflow 0
		.amdhsa_exception_fp_ieee_underflow 0
		.amdhsa_exception_fp_ieee_inexact 0
		.amdhsa_exception_int_div_zero 0
	.end_amdhsa_kernel
	.section	.text._Z39paged_attention_ll4mi_QKV_mfma16_kernelI14__hip_bfloat16hLN4vllm18Fp8KVCacheDataTypeE1ES0_Li32ELi128ELi256ELb1ELi16EEvPKT_PKT0_S8_ifPKiSA_SA_iPKfiiiPfSD_PS3_PT2_iSC_SC_,"axG",@progbits,_Z39paged_attention_ll4mi_QKV_mfma16_kernelI14__hip_bfloat16hLN4vllm18Fp8KVCacheDataTypeE1ES0_Li32ELi128ELi256ELb1ELi16EEvPKT_PKT0_S8_ifPKiSA_SA_iPKfiiiPfSD_PS3_PT2_iSC_SC_,comdat
.Lfunc_end1385:
	.size	_Z39paged_attention_ll4mi_QKV_mfma16_kernelI14__hip_bfloat16hLN4vllm18Fp8KVCacheDataTypeE1ES0_Li32ELi128ELi256ELb1ELi16EEvPKT_PKT0_S8_ifPKiSA_SA_iPKfiiiPfSD_PS3_PT2_iSC_SC_, .Lfunc_end1385-_Z39paged_attention_ll4mi_QKV_mfma16_kernelI14__hip_bfloat16hLN4vllm18Fp8KVCacheDataTypeE1ES0_Li32ELi128ELi256ELb1ELi16EEvPKT_PKT0_S8_ifPKiSA_SA_iPKfiiiPfSD_PS3_PT2_iSC_SC_
                                        ; -- End function
	.set _Z39paged_attention_ll4mi_QKV_mfma16_kernelI14__hip_bfloat16hLN4vllm18Fp8KVCacheDataTypeE1ES0_Li32ELi128ELi256ELb1ELi16EEvPKT_PKT0_S8_ifPKiSA_SA_iPKfiiiPfSD_PS3_PT2_iSC_SC_.num_vgpr, max(3, .L__assert_fail.num_vgpr)
	.set _Z39paged_attention_ll4mi_QKV_mfma16_kernelI14__hip_bfloat16hLN4vllm18Fp8KVCacheDataTypeE1ES0_Li32ELi128ELi256ELb1ELi16EEvPKT_PKT0_S8_ifPKiSA_SA_iPKfiiiPfSD_PS3_PT2_iSC_SC_.num_agpr, max(0, .L__assert_fail.num_agpr)
	.set _Z39paged_attention_ll4mi_QKV_mfma16_kernelI14__hip_bfloat16hLN4vllm18Fp8KVCacheDataTypeE1ES0_Li32ELi128ELi256ELb1ELi16EEvPKT_PKT0_S8_ifPKiSA_SA_iPKfiiiPfSD_PS3_PT2_iSC_SC_.numbered_sgpr, max(33, .L__assert_fail.numbered_sgpr)
	.set _Z39paged_attention_ll4mi_QKV_mfma16_kernelI14__hip_bfloat16hLN4vllm18Fp8KVCacheDataTypeE1ES0_Li32ELi128ELi256ELb1ELi16EEvPKT_PKT0_S8_ifPKiSA_SA_iPKfiiiPfSD_PS3_PT2_iSC_SC_.num_named_barrier, max(0, .L__assert_fail.num_named_barrier)
	.set _Z39paged_attention_ll4mi_QKV_mfma16_kernelI14__hip_bfloat16hLN4vllm18Fp8KVCacheDataTypeE1ES0_Li32ELi128ELi256ELb1ELi16EEvPKT_PKT0_S8_ifPKiSA_SA_iPKfiiiPfSD_PS3_PT2_iSC_SC_.private_seg_size, 0+max(.L__assert_fail.private_seg_size)
	.set _Z39paged_attention_ll4mi_QKV_mfma16_kernelI14__hip_bfloat16hLN4vllm18Fp8KVCacheDataTypeE1ES0_Li32ELi128ELi256ELb1ELi16EEvPKT_PKT0_S8_ifPKiSA_SA_iPKfiiiPfSD_PS3_PT2_iSC_SC_.uses_vcc, or(1, .L__assert_fail.uses_vcc)
	.set _Z39paged_attention_ll4mi_QKV_mfma16_kernelI14__hip_bfloat16hLN4vllm18Fp8KVCacheDataTypeE1ES0_Li32ELi128ELi256ELb1ELi16EEvPKT_PKT0_S8_ifPKiSA_SA_iPKfiiiPfSD_PS3_PT2_iSC_SC_.uses_flat_scratch, or(0, .L__assert_fail.uses_flat_scratch)
	.set _Z39paged_attention_ll4mi_QKV_mfma16_kernelI14__hip_bfloat16hLN4vllm18Fp8KVCacheDataTypeE1ES0_Li32ELi128ELi256ELb1ELi16EEvPKT_PKT0_S8_ifPKiSA_SA_iPKfiiiPfSD_PS3_PT2_iSC_SC_.has_dyn_sized_stack, or(0, .L__assert_fail.has_dyn_sized_stack)
	.set _Z39paged_attention_ll4mi_QKV_mfma16_kernelI14__hip_bfloat16hLN4vllm18Fp8KVCacheDataTypeE1ES0_Li32ELi128ELi256ELb1ELi16EEvPKT_PKT0_S8_ifPKiSA_SA_iPKfiiiPfSD_PS3_PT2_iSC_SC_.has_recursion, or(0, .L__assert_fail.has_recursion)
	.set _Z39paged_attention_ll4mi_QKV_mfma16_kernelI14__hip_bfloat16hLN4vllm18Fp8KVCacheDataTypeE1ES0_Li32ELi128ELi256ELb1ELi16EEvPKT_PKT0_S8_ifPKiSA_SA_iPKfiiiPfSD_PS3_PT2_iSC_SC_.has_indirect_call, or(0, .L__assert_fail.has_indirect_call)
	.section	.AMDGPU.csdata,"",@progbits
; Kernel info:
; codeLenInByte = 68
; TotalNumSgprs: 36
; NumVgprs: 51
; ScratchSize: 64
; MemoryBound: 0
; FloatMode: 240
; IeeeMode: 1
; LDSByteSize: 0 bytes/workgroup (compile time only)
; SGPRBlocks: 0
; VGPRBlocks: 3
; NumSGPRsForWavesPerEU: 36
; NumVGPRsForWavesPerEU: 51
; NamedBarCnt: 0
; Occupancy: 16
; WaveLimiterHint : 1
; COMPUTE_PGM_RSRC2:SCRATCH_EN: 1
; COMPUTE_PGM_RSRC2:USER_SGPR: 2
; COMPUTE_PGM_RSRC2:TRAP_HANDLER: 0
; COMPUTE_PGM_RSRC2:TGID_X_EN: 1
; COMPUTE_PGM_RSRC2:TGID_Y_EN: 0
; COMPUTE_PGM_RSRC2:TGID_Z_EN: 0
; COMPUTE_PGM_RSRC2:TIDIG_COMP_CNT: 0
	.section	.text._Z39paged_attention_ll4mi_QKV_mfma16_kernelI14__hip_bfloat16hLN4vllm18Fp8KVCacheDataTypeE1ES0_Li32ELi128ELi256ELb1ELi1EEvPKT_PKT0_S8_ifPKiSA_SA_iPKfiiiPfSD_PS3_PT2_iSC_SC_,"axG",@progbits,_Z39paged_attention_ll4mi_QKV_mfma16_kernelI14__hip_bfloat16hLN4vllm18Fp8KVCacheDataTypeE1ES0_Li32ELi128ELi256ELb1ELi1EEvPKT_PKT0_S8_ifPKiSA_SA_iPKfiiiPfSD_PS3_PT2_iSC_SC_,comdat
	.protected	_Z39paged_attention_ll4mi_QKV_mfma16_kernelI14__hip_bfloat16hLN4vllm18Fp8KVCacheDataTypeE1ES0_Li32ELi128ELi256ELb1ELi1EEvPKT_PKT0_S8_ifPKiSA_SA_iPKfiiiPfSD_PS3_PT2_iSC_SC_ ; -- Begin function _Z39paged_attention_ll4mi_QKV_mfma16_kernelI14__hip_bfloat16hLN4vllm18Fp8KVCacheDataTypeE1ES0_Li32ELi128ELi256ELb1ELi1EEvPKT_PKT0_S8_ifPKiSA_SA_iPKfiiiPfSD_PS3_PT2_iSC_SC_
	.globl	_Z39paged_attention_ll4mi_QKV_mfma16_kernelI14__hip_bfloat16hLN4vllm18Fp8KVCacheDataTypeE1ES0_Li32ELi128ELi256ELb1ELi1EEvPKT_PKT0_S8_ifPKiSA_SA_iPKfiiiPfSD_PS3_PT2_iSC_SC_
	.p2align	8
	.type	_Z39paged_attention_ll4mi_QKV_mfma16_kernelI14__hip_bfloat16hLN4vllm18Fp8KVCacheDataTypeE1ES0_Li32ELi128ELi256ELb1ELi1EEvPKT_PKT0_S8_ifPKiSA_SA_iPKfiiiPfSD_PS3_PT2_iSC_SC_,@function
_Z39paged_attention_ll4mi_QKV_mfma16_kernelI14__hip_bfloat16hLN4vllm18Fp8KVCacheDataTypeE1ES0_Li32ELi128ELi256ELb1ELi1EEvPKT_PKT0_S8_ifPKiSA_SA_iPKfiiiPfSD_PS3_PT2_iSC_SC_: ; @_Z39paged_attention_ll4mi_QKV_mfma16_kernelI14__hip_bfloat16hLN4vllm18Fp8KVCacheDataTypeE1ES0_Li32ELi128ELi256ELb1ELi1EEvPKT_PKT0_S8_ifPKiSA_SA_iPKfiiiPfSD_PS3_PT2_iSC_SC_
; %bb.0:
	s_get_pc_i64 s[2:3]
	s_add_nc_u64 s[2:3], s[2:3], __PRETTY_FUNCTION__._Z39paged_attention_ll4mi_QKV_mfma16_kernelI14__hip_bfloat16hLN4vllm18Fp8KVCacheDataTypeE1ES0_Li32ELi128ELi256ELb1ELi1EEvPKT_PKT0_S8_ifPKiSA_SA_iPKfiiiPfSD_PS3_PT2_iSC_SC_@rel64+4
	s_delay_alu instid0(SALU_CYCLE_1)
	v_dual_mov_b32 v0, 0xbb3 :: v_dual_mov_b32 v1, s2
	v_mov_b32_e32 v2, s3
	s_add_nc_u64 s[8:9], s[0:1], 0x90
	s_get_pc_i64 s[0:1]
	s_add_nc_u64 s[0:1], s[0:1], __assert_fail@rel64+4
	s_mov_b32 s32, 0
	s_swap_pc_i64 s[30:31], s[0:1]
	.section	.rodata,"a",@progbits
	.p2align	6, 0x0
	.amdhsa_kernel _Z39paged_attention_ll4mi_QKV_mfma16_kernelI14__hip_bfloat16hLN4vllm18Fp8KVCacheDataTypeE1ES0_Li32ELi128ELi256ELb1ELi1EEvPKT_PKT0_S8_ifPKiSA_SA_iPKfiiiPfSD_PS3_PT2_iSC_SC_
		.amdhsa_group_segment_fixed_size 0
		.amdhsa_private_segment_fixed_size 64
		.amdhsa_kernarg_size 400
		.amdhsa_user_sgpr_count 2
		.amdhsa_user_sgpr_dispatch_ptr 0
		.amdhsa_user_sgpr_queue_ptr 0
		.amdhsa_user_sgpr_kernarg_segment_ptr 1
		.amdhsa_user_sgpr_dispatch_id 0
		.amdhsa_user_sgpr_kernarg_preload_length 0
		.amdhsa_user_sgpr_kernarg_preload_offset 0
		.amdhsa_user_sgpr_private_segment_size 0
		.amdhsa_wavefront_size32 1
		.amdhsa_uses_dynamic_stack 0
		.amdhsa_enable_private_segment 1
		.amdhsa_system_sgpr_workgroup_id_x 1
		.amdhsa_system_sgpr_workgroup_id_y 0
		.amdhsa_system_sgpr_workgroup_id_z 0
		.amdhsa_system_sgpr_workgroup_info 0
		.amdhsa_system_vgpr_workitem_id 0
		.amdhsa_next_free_vgpr 51
		.amdhsa_next_free_sgpr 34
		.amdhsa_named_barrier_count 0
		.amdhsa_reserve_vcc 1
		.amdhsa_float_round_mode_32 0
		.amdhsa_float_round_mode_16_64 0
		.amdhsa_float_denorm_mode_32 3
		.amdhsa_float_denorm_mode_16_64 3
		.amdhsa_fp16_overflow 0
		.amdhsa_memory_ordered 1
		.amdhsa_forward_progress 1
		.amdhsa_inst_pref_size 1
		.amdhsa_round_robin_scheduling 0
		.amdhsa_exception_fp_ieee_invalid_op 0
		.amdhsa_exception_fp_denorm_src 0
		.amdhsa_exception_fp_ieee_div_zero 0
		.amdhsa_exception_fp_ieee_overflow 0
		.amdhsa_exception_fp_ieee_underflow 0
		.amdhsa_exception_fp_ieee_inexact 0
		.amdhsa_exception_int_div_zero 0
	.end_amdhsa_kernel
	.section	.text._Z39paged_attention_ll4mi_QKV_mfma16_kernelI14__hip_bfloat16hLN4vllm18Fp8KVCacheDataTypeE1ES0_Li32ELi128ELi256ELb1ELi1EEvPKT_PKT0_S8_ifPKiSA_SA_iPKfiiiPfSD_PS3_PT2_iSC_SC_,"axG",@progbits,_Z39paged_attention_ll4mi_QKV_mfma16_kernelI14__hip_bfloat16hLN4vllm18Fp8KVCacheDataTypeE1ES0_Li32ELi128ELi256ELb1ELi1EEvPKT_PKT0_S8_ifPKiSA_SA_iPKfiiiPfSD_PS3_PT2_iSC_SC_,comdat
.Lfunc_end1386:
	.size	_Z39paged_attention_ll4mi_QKV_mfma16_kernelI14__hip_bfloat16hLN4vllm18Fp8KVCacheDataTypeE1ES0_Li32ELi128ELi256ELb1ELi1EEvPKT_PKT0_S8_ifPKiSA_SA_iPKfiiiPfSD_PS3_PT2_iSC_SC_, .Lfunc_end1386-_Z39paged_attention_ll4mi_QKV_mfma16_kernelI14__hip_bfloat16hLN4vllm18Fp8KVCacheDataTypeE1ES0_Li32ELi128ELi256ELb1ELi1EEvPKT_PKT0_S8_ifPKiSA_SA_iPKfiiiPfSD_PS3_PT2_iSC_SC_
                                        ; -- End function
	.set _Z39paged_attention_ll4mi_QKV_mfma16_kernelI14__hip_bfloat16hLN4vllm18Fp8KVCacheDataTypeE1ES0_Li32ELi128ELi256ELb1ELi1EEvPKT_PKT0_S8_ifPKiSA_SA_iPKfiiiPfSD_PS3_PT2_iSC_SC_.num_vgpr, max(3, .L__assert_fail.num_vgpr)
	.set _Z39paged_attention_ll4mi_QKV_mfma16_kernelI14__hip_bfloat16hLN4vllm18Fp8KVCacheDataTypeE1ES0_Li32ELi128ELi256ELb1ELi1EEvPKT_PKT0_S8_ifPKiSA_SA_iPKfiiiPfSD_PS3_PT2_iSC_SC_.num_agpr, max(0, .L__assert_fail.num_agpr)
	.set _Z39paged_attention_ll4mi_QKV_mfma16_kernelI14__hip_bfloat16hLN4vllm18Fp8KVCacheDataTypeE1ES0_Li32ELi128ELi256ELb1ELi1EEvPKT_PKT0_S8_ifPKiSA_SA_iPKfiiiPfSD_PS3_PT2_iSC_SC_.numbered_sgpr, max(33, .L__assert_fail.numbered_sgpr)
	.set _Z39paged_attention_ll4mi_QKV_mfma16_kernelI14__hip_bfloat16hLN4vllm18Fp8KVCacheDataTypeE1ES0_Li32ELi128ELi256ELb1ELi1EEvPKT_PKT0_S8_ifPKiSA_SA_iPKfiiiPfSD_PS3_PT2_iSC_SC_.num_named_barrier, max(0, .L__assert_fail.num_named_barrier)
	.set _Z39paged_attention_ll4mi_QKV_mfma16_kernelI14__hip_bfloat16hLN4vllm18Fp8KVCacheDataTypeE1ES0_Li32ELi128ELi256ELb1ELi1EEvPKT_PKT0_S8_ifPKiSA_SA_iPKfiiiPfSD_PS3_PT2_iSC_SC_.private_seg_size, 0+max(.L__assert_fail.private_seg_size)
	.set _Z39paged_attention_ll4mi_QKV_mfma16_kernelI14__hip_bfloat16hLN4vllm18Fp8KVCacheDataTypeE1ES0_Li32ELi128ELi256ELb1ELi1EEvPKT_PKT0_S8_ifPKiSA_SA_iPKfiiiPfSD_PS3_PT2_iSC_SC_.uses_vcc, or(1, .L__assert_fail.uses_vcc)
	.set _Z39paged_attention_ll4mi_QKV_mfma16_kernelI14__hip_bfloat16hLN4vllm18Fp8KVCacheDataTypeE1ES0_Li32ELi128ELi256ELb1ELi1EEvPKT_PKT0_S8_ifPKiSA_SA_iPKfiiiPfSD_PS3_PT2_iSC_SC_.uses_flat_scratch, or(0, .L__assert_fail.uses_flat_scratch)
	.set _Z39paged_attention_ll4mi_QKV_mfma16_kernelI14__hip_bfloat16hLN4vllm18Fp8KVCacheDataTypeE1ES0_Li32ELi128ELi256ELb1ELi1EEvPKT_PKT0_S8_ifPKiSA_SA_iPKfiiiPfSD_PS3_PT2_iSC_SC_.has_dyn_sized_stack, or(0, .L__assert_fail.has_dyn_sized_stack)
	.set _Z39paged_attention_ll4mi_QKV_mfma16_kernelI14__hip_bfloat16hLN4vllm18Fp8KVCacheDataTypeE1ES0_Li32ELi128ELi256ELb1ELi1EEvPKT_PKT0_S8_ifPKiSA_SA_iPKfiiiPfSD_PS3_PT2_iSC_SC_.has_recursion, or(0, .L__assert_fail.has_recursion)
	.set _Z39paged_attention_ll4mi_QKV_mfma16_kernelI14__hip_bfloat16hLN4vllm18Fp8KVCacheDataTypeE1ES0_Li32ELi128ELi256ELb1ELi1EEvPKT_PKT0_S8_ifPKiSA_SA_iPKfiiiPfSD_PS3_PT2_iSC_SC_.has_indirect_call, or(0, .L__assert_fail.has_indirect_call)
	.section	.AMDGPU.csdata,"",@progbits
; Kernel info:
; codeLenInByte = 68
; TotalNumSgprs: 36
; NumVgprs: 51
; ScratchSize: 64
; MemoryBound: 0
; FloatMode: 240
; IeeeMode: 1
; LDSByteSize: 0 bytes/workgroup (compile time only)
; SGPRBlocks: 0
; VGPRBlocks: 3
; NumSGPRsForWavesPerEU: 36
; NumVGPRsForWavesPerEU: 51
; NamedBarCnt: 0
; Occupancy: 16
; WaveLimiterHint : 1
; COMPUTE_PGM_RSRC2:SCRATCH_EN: 1
; COMPUTE_PGM_RSRC2:USER_SGPR: 2
; COMPUTE_PGM_RSRC2:TRAP_HANDLER: 0
; COMPUTE_PGM_RSRC2:TGID_X_EN: 1
; COMPUTE_PGM_RSRC2:TGID_Y_EN: 0
; COMPUTE_PGM_RSRC2:TGID_Z_EN: 0
; COMPUTE_PGM_RSRC2:TIDIG_COMP_CNT: 0
	.section	.text._Z39paged_attention_ll4mi_QKV_mfma16_kernelI14__hip_bfloat16hLN4vllm18Fp8KVCacheDataTypeE1ES0_Li32ELi128ELi256ELb1ELi2EEvPKT_PKT0_S8_ifPKiSA_SA_iPKfiiiPfSD_PS3_PT2_iSC_SC_,"axG",@progbits,_Z39paged_attention_ll4mi_QKV_mfma16_kernelI14__hip_bfloat16hLN4vllm18Fp8KVCacheDataTypeE1ES0_Li32ELi128ELi256ELb1ELi2EEvPKT_PKT0_S8_ifPKiSA_SA_iPKfiiiPfSD_PS3_PT2_iSC_SC_,comdat
	.protected	_Z39paged_attention_ll4mi_QKV_mfma16_kernelI14__hip_bfloat16hLN4vllm18Fp8KVCacheDataTypeE1ES0_Li32ELi128ELi256ELb1ELi2EEvPKT_PKT0_S8_ifPKiSA_SA_iPKfiiiPfSD_PS3_PT2_iSC_SC_ ; -- Begin function _Z39paged_attention_ll4mi_QKV_mfma16_kernelI14__hip_bfloat16hLN4vllm18Fp8KVCacheDataTypeE1ES0_Li32ELi128ELi256ELb1ELi2EEvPKT_PKT0_S8_ifPKiSA_SA_iPKfiiiPfSD_PS3_PT2_iSC_SC_
	.globl	_Z39paged_attention_ll4mi_QKV_mfma16_kernelI14__hip_bfloat16hLN4vllm18Fp8KVCacheDataTypeE1ES0_Li32ELi128ELi256ELb1ELi2EEvPKT_PKT0_S8_ifPKiSA_SA_iPKfiiiPfSD_PS3_PT2_iSC_SC_
	.p2align	8
	.type	_Z39paged_attention_ll4mi_QKV_mfma16_kernelI14__hip_bfloat16hLN4vllm18Fp8KVCacheDataTypeE1ES0_Li32ELi128ELi256ELb1ELi2EEvPKT_PKT0_S8_ifPKiSA_SA_iPKfiiiPfSD_PS3_PT2_iSC_SC_,@function
_Z39paged_attention_ll4mi_QKV_mfma16_kernelI14__hip_bfloat16hLN4vllm18Fp8KVCacheDataTypeE1ES0_Li32ELi128ELi256ELb1ELi2EEvPKT_PKT0_S8_ifPKiSA_SA_iPKfiiiPfSD_PS3_PT2_iSC_SC_: ; @_Z39paged_attention_ll4mi_QKV_mfma16_kernelI14__hip_bfloat16hLN4vllm18Fp8KVCacheDataTypeE1ES0_Li32ELi128ELi256ELb1ELi2EEvPKT_PKT0_S8_ifPKiSA_SA_iPKfiiiPfSD_PS3_PT2_iSC_SC_
; %bb.0:
	s_get_pc_i64 s[2:3]
	s_add_nc_u64 s[2:3], s[2:3], __PRETTY_FUNCTION__._Z39paged_attention_ll4mi_QKV_mfma16_kernelI14__hip_bfloat16hLN4vllm18Fp8KVCacheDataTypeE1ES0_Li32ELi128ELi256ELb1ELi2EEvPKT_PKT0_S8_ifPKiSA_SA_iPKfiiiPfSD_PS3_PT2_iSC_SC_@rel64+4
	s_delay_alu instid0(SALU_CYCLE_1)
	v_dual_mov_b32 v0, 0xbb3 :: v_dual_mov_b32 v1, s2
	v_mov_b32_e32 v2, s3
	s_add_nc_u64 s[8:9], s[0:1], 0x90
	s_get_pc_i64 s[0:1]
	s_add_nc_u64 s[0:1], s[0:1], __assert_fail@rel64+4
	s_mov_b32 s32, 0
	s_swap_pc_i64 s[30:31], s[0:1]
	.section	.rodata,"a",@progbits
	.p2align	6, 0x0
	.amdhsa_kernel _Z39paged_attention_ll4mi_QKV_mfma16_kernelI14__hip_bfloat16hLN4vllm18Fp8KVCacheDataTypeE1ES0_Li32ELi128ELi256ELb1ELi2EEvPKT_PKT0_S8_ifPKiSA_SA_iPKfiiiPfSD_PS3_PT2_iSC_SC_
		.amdhsa_group_segment_fixed_size 0
		.amdhsa_private_segment_fixed_size 64
		.amdhsa_kernarg_size 400
		.amdhsa_user_sgpr_count 2
		.amdhsa_user_sgpr_dispatch_ptr 0
		.amdhsa_user_sgpr_queue_ptr 0
		.amdhsa_user_sgpr_kernarg_segment_ptr 1
		.amdhsa_user_sgpr_dispatch_id 0
		.amdhsa_user_sgpr_kernarg_preload_length 0
		.amdhsa_user_sgpr_kernarg_preload_offset 0
		.amdhsa_user_sgpr_private_segment_size 0
		.amdhsa_wavefront_size32 1
		.amdhsa_uses_dynamic_stack 0
		.amdhsa_enable_private_segment 1
		.amdhsa_system_sgpr_workgroup_id_x 1
		.amdhsa_system_sgpr_workgroup_id_y 0
		.amdhsa_system_sgpr_workgroup_id_z 0
		.amdhsa_system_sgpr_workgroup_info 0
		.amdhsa_system_vgpr_workitem_id 0
		.amdhsa_next_free_vgpr 51
		.amdhsa_next_free_sgpr 34
		.amdhsa_named_barrier_count 0
		.amdhsa_reserve_vcc 1
		.amdhsa_float_round_mode_32 0
		.amdhsa_float_round_mode_16_64 0
		.amdhsa_float_denorm_mode_32 3
		.amdhsa_float_denorm_mode_16_64 3
		.amdhsa_fp16_overflow 0
		.amdhsa_memory_ordered 1
		.amdhsa_forward_progress 1
		.amdhsa_inst_pref_size 1
		.amdhsa_round_robin_scheduling 0
		.amdhsa_exception_fp_ieee_invalid_op 0
		.amdhsa_exception_fp_denorm_src 0
		.amdhsa_exception_fp_ieee_div_zero 0
		.amdhsa_exception_fp_ieee_overflow 0
		.amdhsa_exception_fp_ieee_underflow 0
		.amdhsa_exception_fp_ieee_inexact 0
		.amdhsa_exception_int_div_zero 0
	.end_amdhsa_kernel
	.section	.text._Z39paged_attention_ll4mi_QKV_mfma16_kernelI14__hip_bfloat16hLN4vllm18Fp8KVCacheDataTypeE1ES0_Li32ELi128ELi256ELb1ELi2EEvPKT_PKT0_S8_ifPKiSA_SA_iPKfiiiPfSD_PS3_PT2_iSC_SC_,"axG",@progbits,_Z39paged_attention_ll4mi_QKV_mfma16_kernelI14__hip_bfloat16hLN4vllm18Fp8KVCacheDataTypeE1ES0_Li32ELi128ELi256ELb1ELi2EEvPKT_PKT0_S8_ifPKiSA_SA_iPKfiiiPfSD_PS3_PT2_iSC_SC_,comdat
.Lfunc_end1387:
	.size	_Z39paged_attention_ll4mi_QKV_mfma16_kernelI14__hip_bfloat16hLN4vllm18Fp8KVCacheDataTypeE1ES0_Li32ELi128ELi256ELb1ELi2EEvPKT_PKT0_S8_ifPKiSA_SA_iPKfiiiPfSD_PS3_PT2_iSC_SC_, .Lfunc_end1387-_Z39paged_attention_ll4mi_QKV_mfma16_kernelI14__hip_bfloat16hLN4vllm18Fp8KVCacheDataTypeE1ES0_Li32ELi128ELi256ELb1ELi2EEvPKT_PKT0_S8_ifPKiSA_SA_iPKfiiiPfSD_PS3_PT2_iSC_SC_
                                        ; -- End function
	.set _Z39paged_attention_ll4mi_QKV_mfma16_kernelI14__hip_bfloat16hLN4vllm18Fp8KVCacheDataTypeE1ES0_Li32ELi128ELi256ELb1ELi2EEvPKT_PKT0_S8_ifPKiSA_SA_iPKfiiiPfSD_PS3_PT2_iSC_SC_.num_vgpr, max(3, .L__assert_fail.num_vgpr)
	.set _Z39paged_attention_ll4mi_QKV_mfma16_kernelI14__hip_bfloat16hLN4vllm18Fp8KVCacheDataTypeE1ES0_Li32ELi128ELi256ELb1ELi2EEvPKT_PKT0_S8_ifPKiSA_SA_iPKfiiiPfSD_PS3_PT2_iSC_SC_.num_agpr, max(0, .L__assert_fail.num_agpr)
	.set _Z39paged_attention_ll4mi_QKV_mfma16_kernelI14__hip_bfloat16hLN4vllm18Fp8KVCacheDataTypeE1ES0_Li32ELi128ELi256ELb1ELi2EEvPKT_PKT0_S8_ifPKiSA_SA_iPKfiiiPfSD_PS3_PT2_iSC_SC_.numbered_sgpr, max(33, .L__assert_fail.numbered_sgpr)
	.set _Z39paged_attention_ll4mi_QKV_mfma16_kernelI14__hip_bfloat16hLN4vllm18Fp8KVCacheDataTypeE1ES0_Li32ELi128ELi256ELb1ELi2EEvPKT_PKT0_S8_ifPKiSA_SA_iPKfiiiPfSD_PS3_PT2_iSC_SC_.num_named_barrier, max(0, .L__assert_fail.num_named_barrier)
	.set _Z39paged_attention_ll4mi_QKV_mfma16_kernelI14__hip_bfloat16hLN4vllm18Fp8KVCacheDataTypeE1ES0_Li32ELi128ELi256ELb1ELi2EEvPKT_PKT0_S8_ifPKiSA_SA_iPKfiiiPfSD_PS3_PT2_iSC_SC_.private_seg_size, 0+max(.L__assert_fail.private_seg_size)
	.set _Z39paged_attention_ll4mi_QKV_mfma16_kernelI14__hip_bfloat16hLN4vllm18Fp8KVCacheDataTypeE1ES0_Li32ELi128ELi256ELb1ELi2EEvPKT_PKT0_S8_ifPKiSA_SA_iPKfiiiPfSD_PS3_PT2_iSC_SC_.uses_vcc, or(1, .L__assert_fail.uses_vcc)
	.set _Z39paged_attention_ll4mi_QKV_mfma16_kernelI14__hip_bfloat16hLN4vllm18Fp8KVCacheDataTypeE1ES0_Li32ELi128ELi256ELb1ELi2EEvPKT_PKT0_S8_ifPKiSA_SA_iPKfiiiPfSD_PS3_PT2_iSC_SC_.uses_flat_scratch, or(0, .L__assert_fail.uses_flat_scratch)
	.set _Z39paged_attention_ll4mi_QKV_mfma16_kernelI14__hip_bfloat16hLN4vllm18Fp8KVCacheDataTypeE1ES0_Li32ELi128ELi256ELb1ELi2EEvPKT_PKT0_S8_ifPKiSA_SA_iPKfiiiPfSD_PS3_PT2_iSC_SC_.has_dyn_sized_stack, or(0, .L__assert_fail.has_dyn_sized_stack)
	.set _Z39paged_attention_ll4mi_QKV_mfma16_kernelI14__hip_bfloat16hLN4vllm18Fp8KVCacheDataTypeE1ES0_Li32ELi128ELi256ELb1ELi2EEvPKT_PKT0_S8_ifPKiSA_SA_iPKfiiiPfSD_PS3_PT2_iSC_SC_.has_recursion, or(0, .L__assert_fail.has_recursion)
	.set _Z39paged_attention_ll4mi_QKV_mfma16_kernelI14__hip_bfloat16hLN4vllm18Fp8KVCacheDataTypeE1ES0_Li32ELi128ELi256ELb1ELi2EEvPKT_PKT0_S8_ifPKiSA_SA_iPKfiiiPfSD_PS3_PT2_iSC_SC_.has_indirect_call, or(0, .L__assert_fail.has_indirect_call)
	.section	.AMDGPU.csdata,"",@progbits
; Kernel info:
; codeLenInByte = 68
; TotalNumSgprs: 36
; NumVgprs: 51
; ScratchSize: 64
; MemoryBound: 0
; FloatMode: 240
; IeeeMode: 1
; LDSByteSize: 0 bytes/workgroup (compile time only)
; SGPRBlocks: 0
; VGPRBlocks: 3
; NumSGPRsForWavesPerEU: 36
; NumVGPRsForWavesPerEU: 51
; NamedBarCnt: 0
; Occupancy: 16
; WaveLimiterHint : 1
; COMPUTE_PGM_RSRC2:SCRATCH_EN: 1
; COMPUTE_PGM_RSRC2:USER_SGPR: 2
; COMPUTE_PGM_RSRC2:TRAP_HANDLER: 0
; COMPUTE_PGM_RSRC2:TGID_X_EN: 1
; COMPUTE_PGM_RSRC2:TGID_Y_EN: 0
; COMPUTE_PGM_RSRC2:TGID_Z_EN: 0
; COMPUTE_PGM_RSRC2:TIDIG_COMP_CNT: 0
	.section	.text._Z39paged_attention_ll4mi_QKV_mfma16_kernelI14__hip_bfloat16hLN4vllm18Fp8KVCacheDataTypeE1ES0_Li32ELi128ELi256ELb1ELi3EEvPKT_PKT0_S8_ifPKiSA_SA_iPKfiiiPfSD_PS3_PT2_iSC_SC_,"axG",@progbits,_Z39paged_attention_ll4mi_QKV_mfma16_kernelI14__hip_bfloat16hLN4vllm18Fp8KVCacheDataTypeE1ES0_Li32ELi128ELi256ELb1ELi3EEvPKT_PKT0_S8_ifPKiSA_SA_iPKfiiiPfSD_PS3_PT2_iSC_SC_,comdat
	.protected	_Z39paged_attention_ll4mi_QKV_mfma16_kernelI14__hip_bfloat16hLN4vllm18Fp8KVCacheDataTypeE1ES0_Li32ELi128ELi256ELb1ELi3EEvPKT_PKT0_S8_ifPKiSA_SA_iPKfiiiPfSD_PS3_PT2_iSC_SC_ ; -- Begin function _Z39paged_attention_ll4mi_QKV_mfma16_kernelI14__hip_bfloat16hLN4vllm18Fp8KVCacheDataTypeE1ES0_Li32ELi128ELi256ELb1ELi3EEvPKT_PKT0_S8_ifPKiSA_SA_iPKfiiiPfSD_PS3_PT2_iSC_SC_
	.globl	_Z39paged_attention_ll4mi_QKV_mfma16_kernelI14__hip_bfloat16hLN4vllm18Fp8KVCacheDataTypeE1ES0_Li32ELi128ELi256ELb1ELi3EEvPKT_PKT0_S8_ifPKiSA_SA_iPKfiiiPfSD_PS3_PT2_iSC_SC_
	.p2align	8
	.type	_Z39paged_attention_ll4mi_QKV_mfma16_kernelI14__hip_bfloat16hLN4vllm18Fp8KVCacheDataTypeE1ES0_Li32ELi128ELi256ELb1ELi3EEvPKT_PKT0_S8_ifPKiSA_SA_iPKfiiiPfSD_PS3_PT2_iSC_SC_,@function
_Z39paged_attention_ll4mi_QKV_mfma16_kernelI14__hip_bfloat16hLN4vllm18Fp8KVCacheDataTypeE1ES0_Li32ELi128ELi256ELb1ELi3EEvPKT_PKT0_S8_ifPKiSA_SA_iPKfiiiPfSD_PS3_PT2_iSC_SC_: ; @_Z39paged_attention_ll4mi_QKV_mfma16_kernelI14__hip_bfloat16hLN4vllm18Fp8KVCacheDataTypeE1ES0_Li32ELi128ELi256ELb1ELi3EEvPKT_PKT0_S8_ifPKiSA_SA_iPKfiiiPfSD_PS3_PT2_iSC_SC_
; %bb.0:
	s_get_pc_i64 s[2:3]
	s_add_nc_u64 s[2:3], s[2:3], __PRETTY_FUNCTION__._Z39paged_attention_ll4mi_QKV_mfma16_kernelI14__hip_bfloat16hLN4vllm18Fp8KVCacheDataTypeE1ES0_Li32ELi128ELi256ELb1ELi3EEvPKT_PKT0_S8_ifPKiSA_SA_iPKfiiiPfSD_PS3_PT2_iSC_SC_@rel64+4
	s_delay_alu instid0(SALU_CYCLE_1)
	v_dual_mov_b32 v0, 0xbb3 :: v_dual_mov_b32 v1, s2
	v_mov_b32_e32 v2, s3
	s_add_nc_u64 s[8:9], s[0:1], 0x90
	s_get_pc_i64 s[0:1]
	s_add_nc_u64 s[0:1], s[0:1], __assert_fail@rel64+4
	s_mov_b32 s32, 0
	s_swap_pc_i64 s[30:31], s[0:1]
	.section	.rodata,"a",@progbits
	.p2align	6, 0x0
	.amdhsa_kernel _Z39paged_attention_ll4mi_QKV_mfma16_kernelI14__hip_bfloat16hLN4vllm18Fp8KVCacheDataTypeE1ES0_Li32ELi128ELi256ELb1ELi3EEvPKT_PKT0_S8_ifPKiSA_SA_iPKfiiiPfSD_PS3_PT2_iSC_SC_
		.amdhsa_group_segment_fixed_size 0
		.amdhsa_private_segment_fixed_size 64
		.amdhsa_kernarg_size 400
		.amdhsa_user_sgpr_count 2
		.amdhsa_user_sgpr_dispatch_ptr 0
		.amdhsa_user_sgpr_queue_ptr 0
		.amdhsa_user_sgpr_kernarg_segment_ptr 1
		.amdhsa_user_sgpr_dispatch_id 0
		.amdhsa_user_sgpr_kernarg_preload_length 0
		.amdhsa_user_sgpr_kernarg_preload_offset 0
		.amdhsa_user_sgpr_private_segment_size 0
		.amdhsa_wavefront_size32 1
		.amdhsa_uses_dynamic_stack 0
		.amdhsa_enable_private_segment 1
		.amdhsa_system_sgpr_workgroup_id_x 1
		.amdhsa_system_sgpr_workgroup_id_y 0
		.amdhsa_system_sgpr_workgroup_id_z 0
		.amdhsa_system_sgpr_workgroup_info 0
		.amdhsa_system_vgpr_workitem_id 0
		.amdhsa_next_free_vgpr 51
		.amdhsa_next_free_sgpr 34
		.amdhsa_named_barrier_count 0
		.amdhsa_reserve_vcc 1
		.amdhsa_float_round_mode_32 0
		.amdhsa_float_round_mode_16_64 0
		.amdhsa_float_denorm_mode_32 3
		.amdhsa_float_denorm_mode_16_64 3
		.amdhsa_fp16_overflow 0
		.amdhsa_memory_ordered 1
		.amdhsa_forward_progress 1
		.amdhsa_inst_pref_size 1
		.amdhsa_round_robin_scheduling 0
		.amdhsa_exception_fp_ieee_invalid_op 0
		.amdhsa_exception_fp_denorm_src 0
		.amdhsa_exception_fp_ieee_div_zero 0
		.amdhsa_exception_fp_ieee_overflow 0
		.amdhsa_exception_fp_ieee_underflow 0
		.amdhsa_exception_fp_ieee_inexact 0
		.amdhsa_exception_int_div_zero 0
	.end_amdhsa_kernel
	.section	.text._Z39paged_attention_ll4mi_QKV_mfma16_kernelI14__hip_bfloat16hLN4vllm18Fp8KVCacheDataTypeE1ES0_Li32ELi128ELi256ELb1ELi3EEvPKT_PKT0_S8_ifPKiSA_SA_iPKfiiiPfSD_PS3_PT2_iSC_SC_,"axG",@progbits,_Z39paged_attention_ll4mi_QKV_mfma16_kernelI14__hip_bfloat16hLN4vllm18Fp8KVCacheDataTypeE1ES0_Li32ELi128ELi256ELb1ELi3EEvPKT_PKT0_S8_ifPKiSA_SA_iPKfiiiPfSD_PS3_PT2_iSC_SC_,comdat
.Lfunc_end1388:
	.size	_Z39paged_attention_ll4mi_QKV_mfma16_kernelI14__hip_bfloat16hLN4vllm18Fp8KVCacheDataTypeE1ES0_Li32ELi128ELi256ELb1ELi3EEvPKT_PKT0_S8_ifPKiSA_SA_iPKfiiiPfSD_PS3_PT2_iSC_SC_, .Lfunc_end1388-_Z39paged_attention_ll4mi_QKV_mfma16_kernelI14__hip_bfloat16hLN4vllm18Fp8KVCacheDataTypeE1ES0_Li32ELi128ELi256ELb1ELi3EEvPKT_PKT0_S8_ifPKiSA_SA_iPKfiiiPfSD_PS3_PT2_iSC_SC_
                                        ; -- End function
	.set _Z39paged_attention_ll4mi_QKV_mfma16_kernelI14__hip_bfloat16hLN4vllm18Fp8KVCacheDataTypeE1ES0_Li32ELi128ELi256ELb1ELi3EEvPKT_PKT0_S8_ifPKiSA_SA_iPKfiiiPfSD_PS3_PT2_iSC_SC_.num_vgpr, max(3, .L__assert_fail.num_vgpr)
	.set _Z39paged_attention_ll4mi_QKV_mfma16_kernelI14__hip_bfloat16hLN4vllm18Fp8KVCacheDataTypeE1ES0_Li32ELi128ELi256ELb1ELi3EEvPKT_PKT0_S8_ifPKiSA_SA_iPKfiiiPfSD_PS3_PT2_iSC_SC_.num_agpr, max(0, .L__assert_fail.num_agpr)
	.set _Z39paged_attention_ll4mi_QKV_mfma16_kernelI14__hip_bfloat16hLN4vllm18Fp8KVCacheDataTypeE1ES0_Li32ELi128ELi256ELb1ELi3EEvPKT_PKT0_S8_ifPKiSA_SA_iPKfiiiPfSD_PS3_PT2_iSC_SC_.numbered_sgpr, max(33, .L__assert_fail.numbered_sgpr)
	.set _Z39paged_attention_ll4mi_QKV_mfma16_kernelI14__hip_bfloat16hLN4vllm18Fp8KVCacheDataTypeE1ES0_Li32ELi128ELi256ELb1ELi3EEvPKT_PKT0_S8_ifPKiSA_SA_iPKfiiiPfSD_PS3_PT2_iSC_SC_.num_named_barrier, max(0, .L__assert_fail.num_named_barrier)
	.set _Z39paged_attention_ll4mi_QKV_mfma16_kernelI14__hip_bfloat16hLN4vllm18Fp8KVCacheDataTypeE1ES0_Li32ELi128ELi256ELb1ELi3EEvPKT_PKT0_S8_ifPKiSA_SA_iPKfiiiPfSD_PS3_PT2_iSC_SC_.private_seg_size, 0+max(.L__assert_fail.private_seg_size)
	.set _Z39paged_attention_ll4mi_QKV_mfma16_kernelI14__hip_bfloat16hLN4vllm18Fp8KVCacheDataTypeE1ES0_Li32ELi128ELi256ELb1ELi3EEvPKT_PKT0_S8_ifPKiSA_SA_iPKfiiiPfSD_PS3_PT2_iSC_SC_.uses_vcc, or(1, .L__assert_fail.uses_vcc)
	.set _Z39paged_attention_ll4mi_QKV_mfma16_kernelI14__hip_bfloat16hLN4vllm18Fp8KVCacheDataTypeE1ES0_Li32ELi128ELi256ELb1ELi3EEvPKT_PKT0_S8_ifPKiSA_SA_iPKfiiiPfSD_PS3_PT2_iSC_SC_.uses_flat_scratch, or(0, .L__assert_fail.uses_flat_scratch)
	.set _Z39paged_attention_ll4mi_QKV_mfma16_kernelI14__hip_bfloat16hLN4vllm18Fp8KVCacheDataTypeE1ES0_Li32ELi128ELi256ELb1ELi3EEvPKT_PKT0_S8_ifPKiSA_SA_iPKfiiiPfSD_PS3_PT2_iSC_SC_.has_dyn_sized_stack, or(0, .L__assert_fail.has_dyn_sized_stack)
	.set _Z39paged_attention_ll4mi_QKV_mfma16_kernelI14__hip_bfloat16hLN4vllm18Fp8KVCacheDataTypeE1ES0_Li32ELi128ELi256ELb1ELi3EEvPKT_PKT0_S8_ifPKiSA_SA_iPKfiiiPfSD_PS3_PT2_iSC_SC_.has_recursion, or(0, .L__assert_fail.has_recursion)
	.set _Z39paged_attention_ll4mi_QKV_mfma16_kernelI14__hip_bfloat16hLN4vllm18Fp8KVCacheDataTypeE1ES0_Li32ELi128ELi256ELb1ELi3EEvPKT_PKT0_S8_ifPKiSA_SA_iPKfiiiPfSD_PS3_PT2_iSC_SC_.has_indirect_call, or(0, .L__assert_fail.has_indirect_call)
	.section	.AMDGPU.csdata,"",@progbits
; Kernel info:
; codeLenInByte = 68
; TotalNumSgprs: 36
; NumVgprs: 51
; ScratchSize: 64
; MemoryBound: 0
; FloatMode: 240
; IeeeMode: 1
; LDSByteSize: 0 bytes/workgroup (compile time only)
; SGPRBlocks: 0
; VGPRBlocks: 3
; NumSGPRsForWavesPerEU: 36
; NumVGPRsForWavesPerEU: 51
; NamedBarCnt: 0
; Occupancy: 16
; WaveLimiterHint : 1
; COMPUTE_PGM_RSRC2:SCRATCH_EN: 1
; COMPUTE_PGM_RSRC2:USER_SGPR: 2
; COMPUTE_PGM_RSRC2:TRAP_HANDLER: 0
; COMPUTE_PGM_RSRC2:TGID_X_EN: 1
; COMPUTE_PGM_RSRC2:TGID_Y_EN: 0
; COMPUTE_PGM_RSRC2:TGID_Z_EN: 0
; COMPUTE_PGM_RSRC2:TIDIG_COMP_CNT: 0
	.section	.text._Z39paged_attention_ll4mi_QKV_mfma16_kernelI14__hip_bfloat16hLN4vllm18Fp8KVCacheDataTypeE1ES0_Li32ELi128ELi256ELb1ELi4EEvPKT_PKT0_S8_ifPKiSA_SA_iPKfiiiPfSD_PS3_PT2_iSC_SC_,"axG",@progbits,_Z39paged_attention_ll4mi_QKV_mfma16_kernelI14__hip_bfloat16hLN4vllm18Fp8KVCacheDataTypeE1ES0_Li32ELi128ELi256ELb1ELi4EEvPKT_PKT0_S8_ifPKiSA_SA_iPKfiiiPfSD_PS3_PT2_iSC_SC_,comdat
	.protected	_Z39paged_attention_ll4mi_QKV_mfma16_kernelI14__hip_bfloat16hLN4vllm18Fp8KVCacheDataTypeE1ES0_Li32ELi128ELi256ELb1ELi4EEvPKT_PKT0_S8_ifPKiSA_SA_iPKfiiiPfSD_PS3_PT2_iSC_SC_ ; -- Begin function _Z39paged_attention_ll4mi_QKV_mfma16_kernelI14__hip_bfloat16hLN4vllm18Fp8KVCacheDataTypeE1ES0_Li32ELi128ELi256ELb1ELi4EEvPKT_PKT0_S8_ifPKiSA_SA_iPKfiiiPfSD_PS3_PT2_iSC_SC_
	.globl	_Z39paged_attention_ll4mi_QKV_mfma16_kernelI14__hip_bfloat16hLN4vllm18Fp8KVCacheDataTypeE1ES0_Li32ELi128ELi256ELb1ELi4EEvPKT_PKT0_S8_ifPKiSA_SA_iPKfiiiPfSD_PS3_PT2_iSC_SC_
	.p2align	8
	.type	_Z39paged_attention_ll4mi_QKV_mfma16_kernelI14__hip_bfloat16hLN4vllm18Fp8KVCacheDataTypeE1ES0_Li32ELi128ELi256ELb1ELi4EEvPKT_PKT0_S8_ifPKiSA_SA_iPKfiiiPfSD_PS3_PT2_iSC_SC_,@function
_Z39paged_attention_ll4mi_QKV_mfma16_kernelI14__hip_bfloat16hLN4vllm18Fp8KVCacheDataTypeE1ES0_Li32ELi128ELi256ELb1ELi4EEvPKT_PKT0_S8_ifPKiSA_SA_iPKfiiiPfSD_PS3_PT2_iSC_SC_: ; @_Z39paged_attention_ll4mi_QKV_mfma16_kernelI14__hip_bfloat16hLN4vllm18Fp8KVCacheDataTypeE1ES0_Li32ELi128ELi256ELb1ELi4EEvPKT_PKT0_S8_ifPKiSA_SA_iPKfiiiPfSD_PS3_PT2_iSC_SC_
; %bb.0:
	s_get_pc_i64 s[2:3]
	s_add_nc_u64 s[2:3], s[2:3], __PRETTY_FUNCTION__._Z39paged_attention_ll4mi_QKV_mfma16_kernelI14__hip_bfloat16hLN4vllm18Fp8KVCacheDataTypeE1ES0_Li32ELi128ELi256ELb1ELi4EEvPKT_PKT0_S8_ifPKiSA_SA_iPKfiiiPfSD_PS3_PT2_iSC_SC_@rel64+4
	s_delay_alu instid0(SALU_CYCLE_1)
	v_dual_mov_b32 v0, 0xbb3 :: v_dual_mov_b32 v1, s2
	v_mov_b32_e32 v2, s3
	s_add_nc_u64 s[8:9], s[0:1], 0x90
	s_get_pc_i64 s[0:1]
	s_add_nc_u64 s[0:1], s[0:1], __assert_fail@rel64+4
	s_mov_b32 s32, 0
	s_swap_pc_i64 s[30:31], s[0:1]
	.section	.rodata,"a",@progbits
	.p2align	6, 0x0
	.amdhsa_kernel _Z39paged_attention_ll4mi_QKV_mfma16_kernelI14__hip_bfloat16hLN4vllm18Fp8KVCacheDataTypeE1ES0_Li32ELi128ELi256ELb1ELi4EEvPKT_PKT0_S8_ifPKiSA_SA_iPKfiiiPfSD_PS3_PT2_iSC_SC_
		.amdhsa_group_segment_fixed_size 0
		.amdhsa_private_segment_fixed_size 64
		.amdhsa_kernarg_size 400
		.amdhsa_user_sgpr_count 2
		.amdhsa_user_sgpr_dispatch_ptr 0
		.amdhsa_user_sgpr_queue_ptr 0
		.amdhsa_user_sgpr_kernarg_segment_ptr 1
		.amdhsa_user_sgpr_dispatch_id 0
		.amdhsa_user_sgpr_kernarg_preload_length 0
		.amdhsa_user_sgpr_kernarg_preload_offset 0
		.amdhsa_user_sgpr_private_segment_size 0
		.amdhsa_wavefront_size32 1
		.amdhsa_uses_dynamic_stack 0
		.amdhsa_enable_private_segment 1
		.amdhsa_system_sgpr_workgroup_id_x 1
		.amdhsa_system_sgpr_workgroup_id_y 0
		.amdhsa_system_sgpr_workgroup_id_z 0
		.amdhsa_system_sgpr_workgroup_info 0
		.amdhsa_system_vgpr_workitem_id 0
		.amdhsa_next_free_vgpr 51
		.amdhsa_next_free_sgpr 34
		.amdhsa_named_barrier_count 0
		.amdhsa_reserve_vcc 1
		.amdhsa_float_round_mode_32 0
		.amdhsa_float_round_mode_16_64 0
		.amdhsa_float_denorm_mode_32 3
		.amdhsa_float_denorm_mode_16_64 3
		.amdhsa_fp16_overflow 0
		.amdhsa_memory_ordered 1
		.amdhsa_forward_progress 1
		.amdhsa_inst_pref_size 1
		.amdhsa_round_robin_scheduling 0
		.amdhsa_exception_fp_ieee_invalid_op 0
		.amdhsa_exception_fp_denorm_src 0
		.amdhsa_exception_fp_ieee_div_zero 0
		.amdhsa_exception_fp_ieee_overflow 0
		.amdhsa_exception_fp_ieee_underflow 0
		.amdhsa_exception_fp_ieee_inexact 0
		.amdhsa_exception_int_div_zero 0
	.end_amdhsa_kernel
	.section	.text._Z39paged_attention_ll4mi_QKV_mfma16_kernelI14__hip_bfloat16hLN4vllm18Fp8KVCacheDataTypeE1ES0_Li32ELi128ELi256ELb1ELi4EEvPKT_PKT0_S8_ifPKiSA_SA_iPKfiiiPfSD_PS3_PT2_iSC_SC_,"axG",@progbits,_Z39paged_attention_ll4mi_QKV_mfma16_kernelI14__hip_bfloat16hLN4vllm18Fp8KVCacheDataTypeE1ES0_Li32ELi128ELi256ELb1ELi4EEvPKT_PKT0_S8_ifPKiSA_SA_iPKfiiiPfSD_PS3_PT2_iSC_SC_,comdat
.Lfunc_end1389:
	.size	_Z39paged_attention_ll4mi_QKV_mfma16_kernelI14__hip_bfloat16hLN4vllm18Fp8KVCacheDataTypeE1ES0_Li32ELi128ELi256ELb1ELi4EEvPKT_PKT0_S8_ifPKiSA_SA_iPKfiiiPfSD_PS3_PT2_iSC_SC_, .Lfunc_end1389-_Z39paged_attention_ll4mi_QKV_mfma16_kernelI14__hip_bfloat16hLN4vllm18Fp8KVCacheDataTypeE1ES0_Li32ELi128ELi256ELb1ELi4EEvPKT_PKT0_S8_ifPKiSA_SA_iPKfiiiPfSD_PS3_PT2_iSC_SC_
                                        ; -- End function
	.set _Z39paged_attention_ll4mi_QKV_mfma16_kernelI14__hip_bfloat16hLN4vllm18Fp8KVCacheDataTypeE1ES0_Li32ELi128ELi256ELb1ELi4EEvPKT_PKT0_S8_ifPKiSA_SA_iPKfiiiPfSD_PS3_PT2_iSC_SC_.num_vgpr, max(3, .L__assert_fail.num_vgpr)
	.set _Z39paged_attention_ll4mi_QKV_mfma16_kernelI14__hip_bfloat16hLN4vllm18Fp8KVCacheDataTypeE1ES0_Li32ELi128ELi256ELb1ELi4EEvPKT_PKT0_S8_ifPKiSA_SA_iPKfiiiPfSD_PS3_PT2_iSC_SC_.num_agpr, max(0, .L__assert_fail.num_agpr)
	.set _Z39paged_attention_ll4mi_QKV_mfma16_kernelI14__hip_bfloat16hLN4vllm18Fp8KVCacheDataTypeE1ES0_Li32ELi128ELi256ELb1ELi4EEvPKT_PKT0_S8_ifPKiSA_SA_iPKfiiiPfSD_PS3_PT2_iSC_SC_.numbered_sgpr, max(33, .L__assert_fail.numbered_sgpr)
	.set _Z39paged_attention_ll4mi_QKV_mfma16_kernelI14__hip_bfloat16hLN4vllm18Fp8KVCacheDataTypeE1ES0_Li32ELi128ELi256ELb1ELi4EEvPKT_PKT0_S8_ifPKiSA_SA_iPKfiiiPfSD_PS3_PT2_iSC_SC_.num_named_barrier, max(0, .L__assert_fail.num_named_barrier)
	.set _Z39paged_attention_ll4mi_QKV_mfma16_kernelI14__hip_bfloat16hLN4vllm18Fp8KVCacheDataTypeE1ES0_Li32ELi128ELi256ELb1ELi4EEvPKT_PKT0_S8_ifPKiSA_SA_iPKfiiiPfSD_PS3_PT2_iSC_SC_.private_seg_size, 0+max(.L__assert_fail.private_seg_size)
	.set _Z39paged_attention_ll4mi_QKV_mfma16_kernelI14__hip_bfloat16hLN4vllm18Fp8KVCacheDataTypeE1ES0_Li32ELi128ELi256ELb1ELi4EEvPKT_PKT0_S8_ifPKiSA_SA_iPKfiiiPfSD_PS3_PT2_iSC_SC_.uses_vcc, or(1, .L__assert_fail.uses_vcc)
	.set _Z39paged_attention_ll4mi_QKV_mfma16_kernelI14__hip_bfloat16hLN4vllm18Fp8KVCacheDataTypeE1ES0_Li32ELi128ELi256ELb1ELi4EEvPKT_PKT0_S8_ifPKiSA_SA_iPKfiiiPfSD_PS3_PT2_iSC_SC_.uses_flat_scratch, or(0, .L__assert_fail.uses_flat_scratch)
	.set _Z39paged_attention_ll4mi_QKV_mfma16_kernelI14__hip_bfloat16hLN4vllm18Fp8KVCacheDataTypeE1ES0_Li32ELi128ELi256ELb1ELi4EEvPKT_PKT0_S8_ifPKiSA_SA_iPKfiiiPfSD_PS3_PT2_iSC_SC_.has_dyn_sized_stack, or(0, .L__assert_fail.has_dyn_sized_stack)
	.set _Z39paged_attention_ll4mi_QKV_mfma16_kernelI14__hip_bfloat16hLN4vllm18Fp8KVCacheDataTypeE1ES0_Li32ELi128ELi256ELb1ELi4EEvPKT_PKT0_S8_ifPKiSA_SA_iPKfiiiPfSD_PS3_PT2_iSC_SC_.has_recursion, or(0, .L__assert_fail.has_recursion)
	.set _Z39paged_attention_ll4mi_QKV_mfma16_kernelI14__hip_bfloat16hLN4vllm18Fp8KVCacheDataTypeE1ES0_Li32ELi128ELi256ELb1ELi4EEvPKT_PKT0_S8_ifPKiSA_SA_iPKfiiiPfSD_PS3_PT2_iSC_SC_.has_indirect_call, or(0, .L__assert_fail.has_indirect_call)
	.section	.AMDGPU.csdata,"",@progbits
; Kernel info:
; codeLenInByte = 68
; TotalNumSgprs: 36
; NumVgprs: 51
; ScratchSize: 64
; MemoryBound: 0
; FloatMode: 240
; IeeeMode: 1
; LDSByteSize: 0 bytes/workgroup (compile time only)
; SGPRBlocks: 0
; VGPRBlocks: 3
; NumSGPRsForWavesPerEU: 36
; NumVGPRsForWavesPerEU: 51
; NamedBarCnt: 0
; Occupancy: 16
; WaveLimiterHint : 1
; COMPUTE_PGM_RSRC2:SCRATCH_EN: 1
; COMPUTE_PGM_RSRC2:USER_SGPR: 2
; COMPUTE_PGM_RSRC2:TRAP_HANDLER: 0
; COMPUTE_PGM_RSRC2:TGID_X_EN: 1
; COMPUTE_PGM_RSRC2:TGID_Y_EN: 0
; COMPUTE_PGM_RSRC2:TGID_Z_EN: 0
; COMPUTE_PGM_RSRC2:TIDIG_COMP_CNT: 0
	.section	.text._Z38paged_attention_ll4mi_QKV_mfma4_kernelI14__hip_bfloat16hLN4vllm18Fp8KVCacheDataTypeE1ES0_Li32ELi128ELi256ELb0ELi1EEvPKT_PKT0_S8_ifPKiSA_SA_iPKfiiiPfSD_PS3_PT2_iSC_SC_,"axG",@progbits,_Z38paged_attention_ll4mi_QKV_mfma4_kernelI14__hip_bfloat16hLN4vllm18Fp8KVCacheDataTypeE1ES0_Li32ELi128ELi256ELb0ELi1EEvPKT_PKT0_S8_ifPKiSA_SA_iPKfiiiPfSD_PS3_PT2_iSC_SC_,comdat
	.protected	_Z38paged_attention_ll4mi_QKV_mfma4_kernelI14__hip_bfloat16hLN4vllm18Fp8KVCacheDataTypeE1ES0_Li32ELi128ELi256ELb0ELi1EEvPKT_PKT0_S8_ifPKiSA_SA_iPKfiiiPfSD_PS3_PT2_iSC_SC_ ; -- Begin function _Z38paged_attention_ll4mi_QKV_mfma4_kernelI14__hip_bfloat16hLN4vllm18Fp8KVCacheDataTypeE1ES0_Li32ELi128ELi256ELb0ELi1EEvPKT_PKT0_S8_ifPKiSA_SA_iPKfiiiPfSD_PS3_PT2_iSC_SC_
	.globl	_Z38paged_attention_ll4mi_QKV_mfma4_kernelI14__hip_bfloat16hLN4vllm18Fp8KVCacheDataTypeE1ES0_Li32ELi128ELi256ELb0ELi1EEvPKT_PKT0_S8_ifPKiSA_SA_iPKfiiiPfSD_PS3_PT2_iSC_SC_
	.p2align	8
	.type	_Z38paged_attention_ll4mi_QKV_mfma4_kernelI14__hip_bfloat16hLN4vllm18Fp8KVCacheDataTypeE1ES0_Li32ELi128ELi256ELb0ELi1EEvPKT_PKT0_S8_ifPKiSA_SA_iPKfiiiPfSD_PS3_PT2_iSC_SC_,@function
_Z38paged_attention_ll4mi_QKV_mfma4_kernelI14__hip_bfloat16hLN4vllm18Fp8KVCacheDataTypeE1ES0_Li32ELi128ELi256ELb0ELi1EEvPKT_PKT0_S8_ifPKiSA_SA_iPKfiiiPfSD_PS3_PT2_iSC_SC_: ; @_Z38paged_attention_ll4mi_QKV_mfma4_kernelI14__hip_bfloat16hLN4vllm18Fp8KVCacheDataTypeE1ES0_Li32ELi128ELi256ELb0ELi1EEvPKT_PKT0_S8_ifPKiSA_SA_iPKfiiiPfSD_PS3_PT2_iSC_SC_
; %bb.0:
	s_get_pc_i64 s[2:3]
	s_add_nc_u64 s[2:3], s[2:3], __PRETTY_FUNCTION__._Z38paged_attention_ll4mi_QKV_mfma4_kernelI14__hip_bfloat16hLN4vllm18Fp8KVCacheDataTypeE1ES0_Li32ELi128ELi256ELb0ELi1EEvPKT_PKT0_S8_ifPKiSA_SA_iPKfiiiPfSD_PS3_PT2_iSC_SC_@rel64+4
	s_delay_alu instid0(SALU_CYCLE_1)
	v_dual_mov_b32 v0, 0xbce :: v_dual_mov_b32 v1, s2
	v_mov_b32_e32 v2, s3
	s_add_nc_u64 s[8:9], s[0:1], 0x90
	s_get_pc_i64 s[0:1]
	s_add_nc_u64 s[0:1], s[0:1], __assert_fail@rel64+4
	s_mov_b32 s32, 0
	s_swap_pc_i64 s[30:31], s[0:1]
	.section	.rodata,"a",@progbits
	.p2align	6, 0x0
	.amdhsa_kernel _Z38paged_attention_ll4mi_QKV_mfma4_kernelI14__hip_bfloat16hLN4vllm18Fp8KVCacheDataTypeE1ES0_Li32ELi128ELi256ELb0ELi1EEvPKT_PKT0_S8_ifPKiSA_SA_iPKfiiiPfSD_PS3_PT2_iSC_SC_
		.amdhsa_group_segment_fixed_size 0
		.amdhsa_private_segment_fixed_size 64
		.amdhsa_kernarg_size 400
		.amdhsa_user_sgpr_count 2
		.amdhsa_user_sgpr_dispatch_ptr 0
		.amdhsa_user_sgpr_queue_ptr 0
		.amdhsa_user_sgpr_kernarg_segment_ptr 1
		.amdhsa_user_sgpr_dispatch_id 0
		.amdhsa_user_sgpr_kernarg_preload_length 0
		.amdhsa_user_sgpr_kernarg_preload_offset 0
		.amdhsa_user_sgpr_private_segment_size 0
		.amdhsa_wavefront_size32 1
		.amdhsa_uses_dynamic_stack 0
		.amdhsa_enable_private_segment 1
		.amdhsa_system_sgpr_workgroup_id_x 1
		.amdhsa_system_sgpr_workgroup_id_y 0
		.amdhsa_system_sgpr_workgroup_id_z 0
		.amdhsa_system_sgpr_workgroup_info 0
		.amdhsa_system_vgpr_workitem_id 0
		.amdhsa_next_free_vgpr 51
		.amdhsa_next_free_sgpr 34
		.amdhsa_named_barrier_count 0
		.amdhsa_reserve_vcc 1
		.amdhsa_float_round_mode_32 0
		.amdhsa_float_round_mode_16_64 0
		.amdhsa_float_denorm_mode_32 3
		.amdhsa_float_denorm_mode_16_64 3
		.amdhsa_fp16_overflow 0
		.amdhsa_memory_ordered 1
		.amdhsa_forward_progress 1
		.amdhsa_inst_pref_size 1
		.amdhsa_round_robin_scheduling 0
		.amdhsa_exception_fp_ieee_invalid_op 0
		.amdhsa_exception_fp_denorm_src 0
		.amdhsa_exception_fp_ieee_div_zero 0
		.amdhsa_exception_fp_ieee_overflow 0
		.amdhsa_exception_fp_ieee_underflow 0
		.amdhsa_exception_fp_ieee_inexact 0
		.amdhsa_exception_int_div_zero 0
	.end_amdhsa_kernel
	.section	.text._Z38paged_attention_ll4mi_QKV_mfma4_kernelI14__hip_bfloat16hLN4vllm18Fp8KVCacheDataTypeE1ES0_Li32ELi128ELi256ELb0ELi1EEvPKT_PKT0_S8_ifPKiSA_SA_iPKfiiiPfSD_PS3_PT2_iSC_SC_,"axG",@progbits,_Z38paged_attention_ll4mi_QKV_mfma4_kernelI14__hip_bfloat16hLN4vllm18Fp8KVCacheDataTypeE1ES0_Li32ELi128ELi256ELb0ELi1EEvPKT_PKT0_S8_ifPKiSA_SA_iPKfiiiPfSD_PS3_PT2_iSC_SC_,comdat
.Lfunc_end1390:
	.size	_Z38paged_attention_ll4mi_QKV_mfma4_kernelI14__hip_bfloat16hLN4vllm18Fp8KVCacheDataTypeE1ES0_Li32ELi128ELi256ELb0ELi1EEvPKT_PKT0_S8_ifPKiSA_SA_iPKfiiiPfSD_PS3_PT2_iSC_SC_, .Lfunc_end1390-_Z38paged_attention_ll4mi_QKV_mfma4_kernelI14__hip_bfloat16hLN4vllm18Fp8KVCacheDataTypeE1ES0_Li32ELi128ELi256ELb0ELi1EEvPKT_PKT0_S8_ifPKiSA_SA_iPKfiiiPfSD_PS3_PT2_iSC_SC_
                                        ; -- End function
	.set _Z38paged_attention_ll4mi_QKV_mfma4_kernelI14__hip_bfloat16hLN4vllm18Fp8KVCacheDataTypeE1ES0_Li32ELi128ELi256ELb0ELi1EEvPKT_PKT0_S8_ifPKiSA_SA_iPKfiiiPfSD_PS3_PT2_iSC_SC_.num_vgpr, max(3, .L__assert_fail.num_vgpr)
	.set _Z38paged_attention_ll4mi_QKV_mfma4_kernelI14__hip_bfloat16hLN4vllm18Fp8KVCacheDataTypeE1ES0_Li32ELi128ELi256ELb0ELi1EEvPKT_PKT0_S8_ifPKiSA_SA_iPKfiiiPfSD_PS3_PT2_iSC_SC_.num_agpr, max(0, .L__assert_fail.num_agpr)
	.set _Z38paged_attention_ll4mi_QKV_mfma4_kernelI14__hip_bfloat16hLN4vllm18Fp8KVCacheDataTypeE1ES0_Li32ELi128ELi256ELb0ELi1EEvPKT_PKT0_S8_ifPKiSA_SA_iPKfiiiPfSD_PS3_PT2_iSC_SC_.numbered_sgpr, max(33, .L__assert_fail.numbered_sgpr)
	.set _Z38paged_attention_ll4mi_QKV_mfma4_kernelI14__hip_bfloat16hLN4vllm18Fp8KVCacheDataTypeE1ES0_Li32ELi128ELi256ELb0ELi1EEvPKT_PKT0_S8_ifPKiSA_SA_iPKfiiiPfSD_PS3_PT2_iSC_SC_.num_named_barrier, max(0, .L__assert_fail.num_named_barrier)
	.set _Z38paged_attention_ll4mi_QKV_mfma4_kernelI14__hip_bfloat16hLN4vllm18Fp8KVCacheDataTypeE1ES0_Li32ELi128ELi256ELb0ELi1EEvPKT_PKT0_S8_ifPKiSA_SA_iPKfiiiPfSD_PS3_PT2_iSC_SC_.private_seg_size, 0+max(.L__assert_fail.private_seg_size)
	.set _Z38paged_attention_ll4mi_QKV_mfma4_kernelI14__hip_bfloat16hLN4vllm18Fp8KVCacheDataTypeE1ES0_Li32ELi128ELi256ELb0ELi1EEvPKT_PKT0_S8_ifPKiSA_SA_iPKfiiiPfSD_PS3_PT2_iSC_SC_.uses_vcc, or(1, .L__assert_fail.uses_vcc)
	.set _Z38paged_attention_ll4mi_QKV_mfma4_kernelI14__hip_bfloat16hLN4vllm18Fp8KVCacheDataTypeE1ES0_Li32ELi128ELi256ELb0ELi1EEvPKT_PKT0_S8_ifPKiSA_SA_iPKfiiiPfSD_PS3_PT2_iSC_SC_.uses_flat_scratch, or(0, .L__assert_fail.uses_flat_scratch)
	.set _Z38paged_attention_ll4mi_QKV_mfma4_kernelI14__hip_bfloat16hLN4vllm18Fp8KVCacheDataTypeE1ES0_Li32ELi128ELi256ELb0ELi1EEvPKT_PKT0_S8_ifPKiSA_SA_iPKfiiiPfSD_PS3_PT2_iSC_SC_.has_dyn_sized_stack, or(0, .L__assert_fail.has_dyn_sized_stack)
	.set _Z38paged_attention_ll4mi_QKV_mfma4_kernelI14__hip_bfloat16hLN4vllm18Fp8KVCacheDataTypeE1ES0_Li32ELi128ELi256ELb0ELi1EEvPKT_PKT0_S8_ifPKiSA_SA_iPKfiiiPfSD_PS3_PT2_iSC_SC_.has_recursion, or(0, .L__assert_fail.has_recursion)
	.set _Z38paged_attention_ll4mi_QKV_mfma4_kernelI14__hip_bfloat16hLN4vllm18Fp8KVCacheDataTypeE1ES0_Li32ELi128ELi256ELb0ELi1EEvPKT_PKT0_S8_ifPKiSA_SA_iPKfiiiPfSD_PS3_PT2_iSC_SC_.has_indirect_call, or(0, .L__assert_fail.has_indirect_call)
	.section	.AMDGPU.csdata,"",@progbits
; Kernel info:
; codeLenInByte = 68
; TotalNumSgprs: 36
; NumVgprs: 51
; ScratchSize: 64
; MemoryBound: 0
; FloatMode: 240
; IeeeMode: 1
; LDSByteSize: 0 bytes/workgroup (compile time only)
; SGPRBlocks: 0
; VGPRBlocks: 3
; NumSGPRsForWavesPerEU: 36
; NumVGPRsForWavesPerEU: 51
; NamedBarCnt: 0
; Occupancy: 16
; WaveLimiterHint : 1
; COMPUTE_PGM_RSRC2:SCRATCH_EN: 1
; COMPUTE_PGM_RSRC2:USER_SGPR: 2
; COMPUTE_PGM_RSRC2:TRAP_HANDLER: 0
; COMPUTE_PGM_RSRC2:TGID_X_EN: 1
; COMPUTE_PGM_RSRC2:TGID_Y_EN: 0
; COMPUTE_PGM_RSRC2:TGID_Z_EN: 0
; COMPUTE_PGM_RSRC2:TIDIG_COMP_CNT: 0
	.section	.text._Z38paged_attention_ll4mi_QKV_mfma4_kernelI14__hip_bfloat16hLN4vllm18Fp8KVCacheDataTypeE1ES0_Li32ELi128ELi256ELb0ELi2EEvPKT_PKT0_S8_ifPKiSA_SA_iPKfiiiPfSD_PS3_PT2_iSC_SC_,"axG",@progbits,_Z38paged_attention_ll4mi_QKV_mfma4_kernelI14__hip_bfloat16hLN4vllm18Fp8KVCacheDataTypeE1ES0_Li32ELi128ELi256ELb0ELi2EEvPKT_PKT0_S8_ifPKiSA_SA_iPKfiiiPfSD_PS3_PT2_iSC_SC_,comdat
	.protected	_Z38paged_attention_ll4mi_QKV_mfma4_kernelI14__hip_bfloat16hLN4vllm18Fp8KVCacheDataTypeE1ES0_Li32ELi128ELi256ELb0ELi2EEvPKT_PKT0_S8_ifPKiSA_SA_iPKfiiiPfSD_PS3_PT2_iSC_SC_ ; -- Begin function _Z38paged_attention_ll4mi_QKV_mfma4_kernelI14__hip_bfloat16hLN4vllm18Fp8KVCacheDataTypeE1ES0_Li32ELi128ELi256ELb0ELi2EEvPKT_PKT0_S8_ifPKiSA_SA_iPKfiiiPfSD_PS3_PT2_iSC_SC_
	.globl	_Z38paged_attention_ll4mi_QKV_mfma4_kernelI14__hip_bfloat16hLN4vllm18Fp8KVCacheDataTypeE1ES0_Li32ELi128ELi256ELb0ELi2EEvPKT_PKT0_S8_ifPKiSA_SA_iPKfiiiPfSD_PS3_PT2_iSC_SC_
	.p2align	8
	.type	_Z38paged_attention_ll4mi_QKV_mfma4_kernelI14__hip_bfloat16hLN4vllm18Fp8KVCacheDataTypeE1ES0_Li32ELi128ELi256ELb0ELi2EEvPKT_PKT0_S8_ifPKiSA_SA_iPKfiiiPfSD_PS3_PT2_iSC_SC_,@function
_Z38paged_attention_ll4mi_QKV_mfma4_kernelI14__hip_bfloat16hLN4vllm18Fp8KVCacheDataTypeE1ES0_Li32ELi128ELi256ELb0ELi2EEvPKT_PKT0_S8_ifPKiSA_SA_iPKfiiiPfSD_PS3_PT2_iSC_SC_: ; @_Z38paged_attention_ll4mi_QKV_mfma4_kernelI14__hip_bfloat16hLN4vllm18Fp8KVCacheDataTypeE1ES0_Li32ELi128ELi256ELb0ELi2EEvPKT_PKT0_S8_ifPKiSA_SA_iPKfiiiPfSD_PS3_PT2_iSC_SC_
; %bb.0:
	s_get_pc_i64 s[2:3]
	s_add_nc_u64 s[2:3], s[2:3], __PRETTY_FUNCTION__._Z38paged_attention_ll4mi_QKV_mfma4_kernelI14__hip_bfloat16hLN4vllm18Fp8KVCacheDataTypeE1ES0_Li32ELi128ELi256ELb0ELi2EEvPKT_PKT0_S8_ifPKiSA_SA_iPKfiiiPfSD_PS3_PT2_iSC_SC_@rel64+4
	s_delay_alu instid0(SALU_CYCLE_1)
	v_dual_mov_b32 v0, 0xbce :: v_dual_mov_b32 v1, s2
	v_mov_b32_e32 v2, s3
	s_add_nc_u64 s[8:9], s[0:1], 0x90
	s_get_pc_i64 s[0:1]
	s_add_nc_u64 s[0:1], s[0:1], __assert_fail@rel64+4
	s_mov_b32 s32, 0
	s_swap_pc_i64 s[30:31], s[0:1]
	.section	.rodata,"a",@progbits
	.p2align	6, 0x0
	.amdhsa_kernel _Z38paged_attention_ll4mi_QKV_mfma4_kernelI14__hip_bfloat16hLN4vllm18Fp8KVCacheDataTypeE1ES0_Li32ELi128ELi256ELb0ELi2EEvPKT_PKT0_S8_ifPKiSA_SA_iPKfiiiPfSD_PS3_PT2_iSC_SC_
		.amdhsa_group_segment_fixed_size 0
		.amdhsa_private_segment_fixed_size 64
		.amdhsa_kernarg_size 400
		.amdhsa_user_sgpr_count 2
		.amdhsa_user_sgpr_dispatch_ptr 0
		.amdhsa_user_sgpr_queue_ptr 0
		.amdhsa_user_sgpr_kernarg_segment_ptr 1
		.amdhsa_user_sgpr_dispatch_id 0
		.amdhsa_user_sgpr_kernarg_preload_length 0
		.amdhsa_user_sgpr_kernarg_preload_offset 0
		.amdhsa_user_sgpr_private_segment_size 0
		.amdhsa_wavefront_size32 1
		.amdhsa_uses_dynamic_stack 0
		.amdhsa_enable_private_segment 1
		.amdhsa_system_sgpr_workgroup_id_x 1
		.amdhsa_system_sgpr_workgroup_id_y 0
		.amdhsa_system_sgpr_workgroup_id_z 0
		.amdhsa_system_sgpr_workgroup_info 0
		.amdhsa_system_vgpr_workitem_id 0
		.amdhsa_next_free_vgpr 51
		.amdhsa_next_free_sgpr 34
		.amdhsa_named_barrier_count 0
		.amdhsa_reserve_vcc 1
		.amdhsa_float_round_mode_32 0
		.amdhsa_float_round_mode_16_64 0
		.amdhsa_float_denorm_mode_32 3
		.amdhsa_float_denorm_mode_16_64 3
		.amdhsa_fp16_overflow 0
		.amdhsa_memory_ordered 1
		.amdhsa_forward_progress 1
		.amdhsa_inst_pref_size 1
		.amdhsa_round_robin_scheduling 0
		.amdhsa_exception_fp_ieee_invalid_op 0
		.amdhsa_exception_fp_denorm_src 0
		.amdhsa_exception_fp_ieee_div_zero 0
		.amdhsa_exception_fp_ieee_overflow 0
		.amdhsa_exception_fp_ieee_underflow 0
		.amdhsa_exception_fp_ieee_inexact 0
		.amdhsa_exception_int_div_zero 0
	.end_amdhsa_kernel
	.section	.text._Z38paged_attention_ll4mi_QKV_mfma4_kernelI14__hip_bfloat16hLN4vllm18Fp8KVCacheDataTypeE1ES0_Li32ELi128ELi256ELb0ELi2EEvPKT_PKT0_S8_ifPKiSA_SA_iPKfiiiPfSD_PS3_PT2_iSC_SC_,"axG",@progbits,_Z38paged_attention_ll4mi_QKV_mfma4_kernelI14__hip_bfloat16hLN4vllm18Fp8KVCacheDataTypeE1ES0_Li32ELi128ELi256ELb0ELi2EEvPKT_PKT0_S8_ifPKiSA_SA_iPKfiiiPfSD_PS3_PT2_iSC_SC_,comdat
.Lfunc_end1391:
	.size	_Z38paged_attention_ll4mi_QKV_mfma4_kernelI14__hip_bfloat16hLN4vllm18Fp8KVCacheDataTypeE1ES0_Li32ELi128ELi256ELb0ELi2EEvPKT_PKT0_S8_ifPKiSA_SA_iPKfiiiPfSD_PS3_PT2_iSC_SC_, .Lfunc_end1391-_Z38paged_attention_ll4mi_QKV_mfma4_kernelI14__hip_bfloat16hLN4vllm18Fp8KVCacheDataTypeE1ES0_Li32ELi128ELi256ELb0ELi2EEvPKT_PKT0_S8_ifPKiSA_SA_iPKfiiiPfSD_PS3_PT2_iSC_SC_
                                        ; -- End function
	.set _Z38paged_attention_ll4mi_QKV_mfma4_kernelI14__hip_bfloat16hLN4vllm18Fp8KVCacheDataTypeE1ES0_Li32ELi128ELi256ELb0ELi2EEvPKT_PKT0_S8_ifPKiSA_SA_iPKfiiiPfSD_PS3_PT2_iSC_SC_.num_vgpr, max(3, .L__assert_fail.num_vgpr)
	.set _Z38paged_attention_ll4mi_QKV_mfma4_kernelI14__hip_bfloat16hLN4vllm18Fp8KVCacheDataTypeE1ES0_Li32ELi128ELi256ELb0ELi2EEvPKT_PKT0_S8_ifPKiSA_SA_iPKfiiiPfSD_PS3_PT2_iSC_SC_.num_agpr, max(0, .L__assert_fail.num_agpr)
	.set _Z38paged_attention_ll4mi_QKV_mfma4_kernelI14__hip_bfloat16hLN4vllm18Fp8KVCacheDataTypeE1ES0_Li32ELi128ELi256ELb0ELi2EEvPKT_PKT0_S8_ifPKiSA_SA_iPKfiiiPfSD_PS3_PT2_iSC_SC_.numbered_sgpr, max(33, .L__assert_fail.numbered_sgpr)
	.set _Z38paged_attention_ll4mi_QKV_mfma4_kernelI14__hip_bfloat16hLN4vllm18Fp8KVCacheDataTypeE1ES0_Li32ELi128ELi256ELb0ELi2EEvPKT_PKT0_S8_ifPKiSA_SA_iPKfiiiPfSD_PS3_PT2_iSC_SC_.num_named_barrier, max(0, .L__assert_fail.num_named_barrier)
	.set _Z38paged_attention_ll4mi_QKV_mfma4_kernelI14__hip_bfloat16hLN4vllm18Fp8KVCacheDataTypeE1ES0_Li32ELi128ELi256ELb0ELi2EEvPKT_PKT0_S8_ifPKiSA_SA_iPKfiiiPfSD_PS3_PT2_iSC_SC_.private_seg_size, 0+max(.L__assert_fail.private_seg_size)
	.set _Z38paged_attention_ll4mi_QKV_mfma4_kernelI14__hip_bfloat16hLN4vllm18Fp8KVCacheDataTypeE1ES0_Li32ELi128ELi256ELb0ELi2EEvPKT_PKT0_S8_ifPKiSA_SA_iPKfiiiPfSD_PS3_PT2_iSC_SC_.uses_vcc, or(1, .L__assert_fail.uses_vcc)
	.set _Z38paged_attention_ll4mi_QKV_mfma4_kernelI14__hip_bfloat16hLN4vllm18Fp8KVCacheDataTypeE1ES0_Li32ELi128ELi256ELb0ELi2EEvPKT_PKT0_S8_ifPKiSA_SA_iPKfiiiPfSD_PS3_PT2_iSC_SC_.uses_flat_scratch, or(0, .L__assert_fail.uses_flat_scratch)
	.set _Z38paged_attention_ll4mi_QKV_mfma4_kernelI14__hip_bfloat16hLN4vllm18Fp8KVCacheDataTypeE1ES0_Li32ELi128ELi256ELb0ELi2EEvPKT_PKT0_S8_ifPKiSA_SA_iPKfiiiPfSD_PS3_PT2_iSC_SC_.has_dyn_sized_stack, or(0, .L__assert_fail.has_dyn_sized_stack)
	.set _Z38paged_attention_ll4mi_QKV_mfma4_kernelI14__hip_bfloat16hLN4vllm18Fp8KVCacheDataTypeE1ES0_Li32ELi128ELi256ELb0ELi2EEvPKT_PKT0_S8_ifPKiSA_SA_iPKfiiiPfSD_PS3_PT2_iSC_SC_.has_recursion, or(0, .L__assert_fail.has_recursion)
	.set _Z38paged_attention_ll4mi_QKV_mfma4_kernelI14__hip_bfloat16hLN4vllm18Fp8KVCacheDataTypeE1ES0_Li32ELi128ELi256ELb0ELi2EEvPKT_PKT0_S8_ifPKiSA_SA_iPKfiiiPfSD_PS3_PT2_iSC_SC_.has_indirect_call, or(0, .L__assert_fail.has_indirect_call)
	.section	.AMDGPU.csdata,"",@progbits
; Kernel info:
; codeLenInByte = 68
; TotalNumSgprs: 36
; NumVgprs: 51
; ScratchSize: 64
; MemoryBound: 0
; FloatMode: 240
; IeeeMode: 1
; LDSByteSize: 0 bytes/workgroup (compile time only)
; SGPRBlocks: 0
; VGPRBlocks: 3
; NumSGPRsForWavesPerEU: 36
; NumVGPRsForWavesPerEU: 51
; NamedBarCnt: 0
; Occupancy: 16
; WaveLimiterHint : 1
; COMPUTE_PGM_RSRC2:SCRATCH_EN: 1
; COMPUTE_PGM_RSRC2:USER_SGPR: 2
; COMPUTE_PGM_RSRC2:TRAP_HANDLER: 0
; COMPUTE_PGM_RSRC2:TGID_X_EN: 1
; COMPUTE_PGM_RSRC2:TGID_Y_EN: 0
; COMPUTE_PGM_RSRC2:TGID_Z_EN: 0
; COMPUTE_PGM_RSRC2:TIDIG_COMP_CNT: 0
	.section	.text._Z38paged_attention_ll4mi_QKV_mfma4_kernelI14__hip_bfloat16hLN4vllm18Fp8KVCacheDataTypeE1ES0_Li32ELi128ELi256ELb0ELi3EEvPKT_PKT0_S8_ifPKiSA_SA_iPKfiiiPfSD_PS3_PT2_iSC_SC_,"axG",@progbits,_Z38paged_attention_ll4mi_QKV_mfma4_kernelI14__hip_bfloat16hLN4vllm18Fp8KVCacheDataTypeE1ES0_Li32ELi128ELi256ELb0ELi3EEvPKT_PKT0_S8_ifPKiSA_SA_iPKfiiiPfSD_PS3_PT2_iSC_SC_,comdat
	.protected	_Z38paged_attention_ll4mi_QKV_mfma4_kernelI14__hip_bfloat16hLN4vllm18Fp8KVCacheDataTypeE1ES0_Li32ELi128ELi256ELb0ELi3EEvPKT_PKT0_S8_ifPKiSA_SA_iPKfiiiPfSD_PS3_PT2_iSC_SC_ ; -- Begin function _Z38paged_attention_ll4mi_QKV_mfma4_kernelI14__hip_bfloat16hLN4vllm18Fp8KVCacheDataTypeE1ES0_Li32ELi128ELi256ELb0ELi3EEvPKT_PKT0_S8_ifPKiSA_SA_iPKfiiiPfSD_PS3_PT2_iSC_SC_
	.globl	_Z38paged_attention_ll4mi_QKV_mfma4_kernelI14__hip_bfloat16hLN4vllm18Fp8KVCacheDataTypeE1ES0_Li32ELi128ELi256ELb0ELi3EEvPKT_PKT0_S8_ifPKiSA_SA_iPKfiiiPfSD_PS3_PT2_iSC_SC_
	.p2align	8
	.type	_Z38paged_attention_ll4mi_QKV_mfma4_kernelI14__hip_bfloat16hLN4vllm18Fp8KVCacheDataTypeE1ES0_Li32ELi128ELi256ELb0ELi3EEvPKT_PKT0_S8_ifPKiSA_SA_iPKfiiiPfSD_PS3_PT2_iSC_SC_,@function
_Z38paged_attention_ll4mi_QKV_mfma4_kernelI14__hip_bfloat16hLN4vllm18Fp8KVCacheDataTypeE1ES0_Li32ELi128ELi256ELb0ELi3EEvPKT_PKT0_S8_ifPKiSA_SA_iPKfiiiPfSD_PS3_PT2_iSC_SC_: ; @_Z38paged_attention_ll4mi_QKV_mfma4_kernelI14__hip_bfloat16hLN4vllm18Fp8KVCacheDataTypeE1ES0_Li32ELi128ELi256ELb0ELi3EEvPKT_PKT0_S8_ifPKiSA_SA_iPKfiiiPfSD_PS3_PT2_iSC_SC_
; %bb.0:
	s_get_pc_i64 s[2:3]
	s_add_nc_u64 s[2:3], s[2:3], __PRETTY_FUNCTION__._Z38paged_attention_ll4mi_QKV_mfma4_kernelI14__hip_bfloat16hLN4vllm18Fp8KVCacheDataTypeE1ES0_Li32ELi128ELi256ELb0ELi3EEvPKT_PKT0_S8_ifPKiSA_SA_iPKfiiiPfSD_PS3_PT2_iSC_SC_@rel64+4
	s_delay_alu instid0(SALU_CYCLE_1)
	v_dual_mov_b32 v0, 0xbce :: v_dual_mov_b32 v1, s2
	v_mov_b32_e32 v2, s3
	s_add_nc_u64 s[8:9], s[0:1], 0x90
	s_get_pc_i64 s[0:1]
	s_add_nc_u64 s[0:1], s[0:1], __assert_fail@rel64+4
	s_mov_b32 s32, 0
	s_swap_pc_i64 s[30:31], s[0:1]
	.section	.rodata,"a",@progbits
	.p2align	6, 0x0
	.amdhsa_kernel _Z38paged_attention_ll4mi_QKV_mfma4_kernelI14__hip_bfloat16hLN4vllm18Fp8KVCacheDataTypeE1ES0_Li32ELi128ELi256ELb0ELi3EEvPKT_PKT0_S8_ifPKiSA_SA_iPKfiiiPfSD_PS3_PT2_iSC_SC_
		.amdhsa_group_segment_fixed_size 0
		.amdhsa_private_segment_fixed_size 64
		.amdhsa_kernarg_size 400
		.amdhsa_user_sgpr_count 2
		.amdhsa_user_sgpr_dispatch_ptr 0
		.amdhsa_user_sgpr_queue_ptr 0
		.amdhsa_user_sgpr_kernarg_segment_ptr 1
		.amdhsa_user_sgpr_dispatch_id 0
		.amdhsa_user_sgpr_kernarg_preload_length 0
		.amdhsa_user_sgpr_kernarg_preload_offset 0
		.amdhsa_user_sgpr_private_segment_size 0
		.amdhsa_wavefront_size32 1
		.amdhsa_uses_dynamic_stack 0
		.amdhsa_enable_private_segment 1
		.amdhsa_system_sgpr_workgroup_id_x 1
		.amdhsa_system_sgpr_workgroup_id_y 0
		.amdhsa_system_sgpr_workgroup_id_z 0
		.amdhsa_system_sgpr_workgroup_info 0
		.amdhsa_system_vgpr_workitem_id 0
		.amdhsa_next_free_vgpr 51
		.amdhsa_next_free_sgpr 34
		.amdhsa_named_barrier_count 0
		.amdhsa_reserve_vcc 1
		.amdhsa_float_round_mode_32 0
		.amdhsa_float_round_mode_16_64 0
		.amdhsa_float_denorm_mode_32 3
		.amdhsa_float_denorm_mode_16_64 3
		.amdhsa_fp16_overflow 0
		.amdhsa_memory_ordered 1
		.amdhsa_forward_progress 1
		.amdhsa_inst_pref_size 1
		.amdhsa_round_robin_scheduling 0
		.amdhsa_exception_fp_ieee_invalid_op 0
		.amdhsa_exception_fp_denorm_src 0
		.amdhsa_exception_fp_ieee_div_zero 0
		.amdhsa_exception_fp_ieee_overflow 0
		.amdhsa_exception_fp_ieee_underflow 0
		.amdhsa_exception_fp_ieee_inexact 0
		.amdhsa_exception_int_div_zero 0
	.end_amdhsa_kernel
	.section	.text._Z38paged_attention_ll4mi_QKV_mfma4_kernelI14__hip_bfloat16hLN4vllm18Fp8KVCacheDataTypeE1ES0_Li32ELi128ELi256ELb0ELi3EEvPKT_PKT0_S8_ifPKiSA_SA_iPKfiiiPfSD_PS3_PT2_iSC_SC_,"axG",@progbits,_Z38paged_attention_ll4mi_QKV_mfma4_kernelI14__hip_bfloat16hLN4vllm18Fp8KVCacheDataTypeE1ES0_Li32ELi128ELi256ELb0ELi3EEvPKT_PKT0_S8_ifPKiSA_SA_iPKfiiiPfSD_PS3_PT2_iSC_SC_,comdat
.Lfunc_end1392:
	.size	_Z38paged_attention_ll4mi_QKV_mfma4_kernelI14__hip_bfloat16hLN4vllm18Fp8KVCacheDataTypeE1ES0_Li32ELi128ELi256ELb0ELi3EEvPKT_PKT0_S8_ifPKiSA_SA_iPKfiiiPfSD_PS3_PT2_iSC_SC_, .Lfunc_end1392-_Z38paged_attention_ll4mi_QKV_mfma4_kernelI14__hip_bfloat16hLN4vllm18Fp8KVCacheDataTypeE1ES0_Li32ELi128ELi256ELb0ELi3EEvPKT_PKT0_S8_ifPKiSA_SA_iPKfiiiPfSD_PS3_PT2_iSC_SC_
                                        ; -- End function
	.set _Z38paged_attention_ll4mi_QKV_mfma4_kernelI14__hip_bfloat16hLN4vllm18Fp8KVCacheDataTypeE1ES0_Li32ELi128ELi256ELb0ELi3EEvPKT_PKT0_S8_ifPKiSA_SA_iPKfiiiPfSD_PS3_PT2_iSC_SC_.num_vgpr, max(3, .L__assert_fail.num_vgpr)
	.set _Z38paged_attention_ll4mi_QKV_mfma4_kernelI14__hip_bfloat16hLN4vllm18Fp8KVCacheDataTypeE1ES0_Li32ELi128ELi256ELb0ELi3EEvPKT_PKT0_S8_ifPKiSA_SA_iPKfiiiPfSD_PS3_PT2_iSC_SC_.num_agpr, max(0, .L__assert_fail.num_agpr)
	.set _Z38paged_attention_ll4mi_QKV_mfma4_kernelI14__hip_bfloat16hLN4vllm18Fp8KVCacheDataTypeE1ES0_Li32ELi128ELi256ELb0ELi3EEvPKT_PKT0_S8_ifPKiSA_SA_iPKfiiiPfSD_PS3_PT2_iSC_SC_.numbered_sgpr, max(33, .L__assert_fail.numbered_sgpr)
	.set _Z38paged_attention_ll4mi_QKV_mfma4_kernelI14__hip_bfloat16hLN4vllm18Fp8KVCacheDataTypeE1ES0_Li32ELi128ELi256ELb0ELi3EEvPKT_PKT0_S8_ifPKiSA_SA_iPKfiiiPfSD_PS3_PT2_iSC_SC_.num_named_barrier, max(0, .L__assert_fail.num_named_barrier)
	.set _Z38paged_attention_ll4mi_QKV_mfma4_kernelI14__hip_bfloat16hLN4vllm18Fp8KVCacheDataTypeE1ES0_Li32ELi128ELi256ELb0ELi3EEvPKT_PKT0_S8_ifPKiSA_SA_iPKfiiiPfSD_PS3_PT2_iSC_SC_.private_seg_size, 0+max(.L__assert_fail.private_seg_size)
	.set _Z38paged_attention_ll4mi_QKV_mfma4_kernelI14__hip_bfloat16hLN4vllm18Fp8KVCacheDataTypeE1ES0_Li32ELi128ELi256ELb0ELi3EEvPKT_PKT0_S8_ifPKiSA_SA_iPKfiiiPfSD_PS3_PT2_iSC_SC_.uses_vcc, or(1, .L__assert_fail.uses_vcc)
	.set _Z38paged_attention_ll4mi_QKV_mfma4_kernelI14__hip_bfloat16hLN4vllm18Fp8KVCacheDataTypeE1ES0_Li32ELi128ELi256ELb0ELi3EEvPKT_PKT0_S8_ifPKiSA_SA_iPKfiiiPfSD_PS3_PT2_iSC_SC_.uses_flat_scratch, or(0, .L__assert_fail.uses_flat_scratch)
	.set _Z38paged_attention_ll4mi_QKV_mfma4_kernelI14__hip_bfloat16hLN4vllm18Fp8KVCacheDataTypeE1ES0_Li32ELi128ELi256ELb0ELi3EEvPKT_PKT0_S8_ifPKiSA_SA_iPKfiiiPfSD_PS3_PT2_iSC_SC_.has_dyn_sized_stack, or(0, .L__assert_fail.has_dyn_sized_stack)
	.set _Z38paged_attention_ll4mi_QKV_mfma4_kernelI14__hip_bfloat16hLN4vllm18Fp8KVCacheDataTypeE1ES0_Li32ELi128ELi256ELb0ELi3EEvPKT_PKT0_S8_ifPKiSA_SA_iPKfiiiPfSD_PS3_PT2_iSC_SC_.has_recursion, or(0, .L__assert_fail.has_recursion)
	.set _Z38paged_attention_ll4mi_QKV_mfma4_kernelI14__hip_bfloat16hLN4vllm18Fp8KVCacheDataTypeE1ES0_Li32ELi128ELi256ELb0ELi3EEvPKT_PKT0_S8_ifPKiSA_SA_iPKfiiiPfSD_PS3_PT2_iSC_SC_.has_indirect_call, or(0, .L__assert_fail.has_indirect_call)
	.section	.AMDGPU.csdata,"",@progbits
; Kernel info:
; codeLenInByte = 68
; TotalNumSgprs: 36
; NumVgprs: 51
; ScratchSize: 64
; MemoryBound: 0
; FloatMode: 240
; IeeeMode: 1
; LDSByteSize: 0 bytes/workgroup (compile time only)
; SGPRBlocks: 0
; VGPRBlocks: 3
; NumSGPRsForWavesPerEU: 36
; NumVGPRsForWavesPerEU: 51
; NamedBarCnt: 0
; Occupancy: 16
; WaveLimiterHint : 1
; COMPUTE_PGM_RSRC2:SCRATCH_EN: 1
; COMPUTE_PGM_RSRC2:USER_SGPR: 2
; COMPUTE_PGM_RSRC2:TRAP_HANDLER: 0
; COMPUTE_PGM_RSRC2:TGID_X_EN: 1
; COMPUTE_PGM_RSRC2:TGID_Y_EN: 0
; COMPUTE_PGM_RSRC2:TGID_Z_EN: 0
; COMPUTE_PGM_RSRC2:TIDIG_COMP_CNT: 0
	.section	.text._Z38paged_attention_ll4mi_QKV_mfma4_kernelI14__hip_bfloat16hLN4vllm18Fp8KVCacheDataTypeE1ES0_Li32ELi128ELi256ELb0ELi4EEvPKT_PKT0_S8_ifPKiSA_SA_iPKfiiiPfSD_PS3_PT2_iSC_SC_,"axG",@progbits,_Z38paged_attention_ll4mi_QKV_mfma4_kernelI14__hip_bfloat16hLN4vllm18Fp8KVCacheDataTypeE1ES0_Li32ELi128ELi256ELb0ELi4EEvPKT_PKT0_S8_ifPKiSA_SA_iPKfiiiPfSD_PS3_PT2_iSC_SC_,comdat
	.protected	_Z38paged_attention_ll4mi_QKV_mfma4_kernelI14__hip_bfloat16hLN4vllm18Fp8KVCacheDataTypeE1ES0_Li32ELi128ELi256ELb0ELi4EEvPKT_PKT0_S8_ifPKiSA_SA_iPKfiiiPfSD_PS3_PT2_iSC_SC_ ; -- Begin function _Z38paged_attention_ll4mi_QKV_mfma4_kernelI14__hip_bfloat16hLN4vllm18Fp8KVCacheDataTypeE1ES0_Li32ELi128ELi256ELb0ELi4EEvPKT_PKT0_S8_ifPKiSA_SA_iPKfiiiPfSD_PS3_PT2_iSC_SC_
	.globl	_Z38paged_attention_ll4mi_QKV_mfma4_kernelI14__hip_bfloat16hLN4vllm18Fp8KVCacheDataTypeE1ES0_Li32ELi128ELi256ELb0ELi4EEvPKT_PKT0_S8_ifPKiSA_SA_iPKfiiiPfSD_PS3_PT2_iSC_SC_
	.p2align	8
	.type	_Z38paged_attention_ll4mi_QKV_mfma4_kernelI14__hip_bfloat16hLN4vllm18Fp8KVCacheDataTypeE1ES0_Li32ELi128ELi256ELb0ELi4EEvPKT_PKT0_S8_ifPKiSA_SA_iPKfiiiPfSD_PS3_PT2_iSC_SC_,@function
_Z38paged_attention_ll4mi_QKV_mfma4_kernelI14__hip_bfloat16hLN4vllm18Fp8KVCacheDataTypeE1ES0_Li32ELi128ELi256ELb0ELi4EEvPKT_PKT0_S8_ifPKiSA_SA_iPKfiiiPfSD_PS3_PT2_iSC_SC_: ; @_Z38paged_attention_ll4mi_QKV_mfma4_kernelI14__hip_bfloat16hLN4vllm18Fp8KVCacheDataTypeE1ES0_Li32ELi128ELi256ELb0ELi4EEvPKT_PKT0_S8_ifPKiSA_SA_iPKfiiiPfSD_PS3_PT2_iSC_SC_
; %bb.0:
	s_get_pc_i64 s[2:3]
	s_add_nc_u64 s[2:3], s[2:3], __PRETTY_FUNCTION__._Z38paged_attention_ll4mi_QKV_mfma4_kernelI14__hip_bfloat16hLN4vllm18Fp8KVCacheDataTypeE1ES0_Li32ELi128ELi256ELb0ELi4EEvPKT_PKT0_S8_ifPKiSA_SA_iPKfiiiPfSD_PS3_PT2_iSC_SC_@rel64+4
	s_delay_alu instid0(SALU_CYCLE_1)
	v_dual_mov_b32 v0, 0xbce :: v_dual_mov_b32 v1, s2
	v_mov_b32_e32 v2, s3
	s_add_nc_u64 s[8:9], s[0:1], 0x90
	s_get_pc_i64 s[0:1]
	s_add_nc_u64 s[0:1], s[0:1], __assert_fail@rel64+4
	s_mov_b32 s32, 0
	s_swap_pc_i64 s[30:31], s[0:1]
	.section	.rodata,"a",@progbits
	.p2align	6, 0x0
	.amdhsa_kernel _Z38paged_attention_ll4mi_QKV_mfma4_kernelI14__hip_bfloat16hLN4vllm18Fp8KVCacheDataTypeE1ES0_Li32ELi128ELi256ELb0ELi4EEvPKT_PKT0_S8_ifPKiSA_SA_iPKfiiiPfSD_PS3_PT2_iSC_SC_
		.amdhsa_group_segment_fixed_size 0
		.amdhsa_private_segment_fixed_size 64
		.amdhsa_kernarg_size 400
		.amdhsa_user_sgpr_count 2
		.amdhsa_user_sgpr_dispatch_ptr 0
		.amdhsa_user_sgpr_queue_ptr 0
		.amdhsa_user_sgpr_kernarg_segment_ptr 1
		.amdhsa_user_sgpr_dispatch_id 0
		.amdhsa_user_sgpr_kernarg_preload_length 0
		.amdhsa_user_sgpr_kernarg_preload_offset 0
		.amdhsa_user_sgpr_private_segment_size 0
		.amdhsa_wavefront_size32 1
		.amdhsa_uses_dynamic_stack 0
		.amdhsa_enable_private_segment 1
		.amdhsa_system_sgpr_workgroup_id_x 1
		.amdhsa_system_sgpr_workgroup_id_y 0
		.amdhsa_system_sgpr_workgroup_id_z 0
		.amdhsa_system_sgpr_workgroup_info 0
		.amdhsa_system_vgpr_workitem_id 0
		.amdhsa_next_free_vgpr 51
		.amdhsa_next_free_sgpr 34
		.amdhsa_named_barrier_count 0
		.amdhsa_reserve_vcc 1
		.amdhsa_float_round_mode_32 0
		.amdhsa_float_round_mode_16_64 0
		.amdhsa_float_denorm_mode_32 3
		.amdhsa_float_denorm_mode_16_64 3
		.amdhsa_fp16_overflow 0
		.amdhsa_memory_ordered 1
		.amdhsa_forward_progress 1
		.amdhsa_inst_pref_size 1
		.amdhsa_round_robin_scheduling 0
		.amdhsa_exception_fp_ieee_invalid_op 0
		.amdhsa_exception_fp_denorm_src 0
		.amdhsa_exception_fp_ieee_div_zero 0
		.amdhsa_exception_fp_ieee_overflow 0
		.amdhsa_exception_fp_ieee_underflow 0
		.amdhsa_exception_fp_ieee_inexact 0
		.amdhsa_exception_int_div_zero 0
	.end_amdhsa_kernel
	.section	.text._Z38paged_attention_ll4mi_QKV_mfma4_kernelI14__hip_bfloat16hLN4vllm18Fp8KVCacheDataTypeE1ES0_Li32ELi128ELi256ELb0ELi4EEvPKT_PKT0_S8_ifPKiSA_SA_iPKfiiiPfSD_PS3_PT2_iSC_SC_,"axG",@progbits,_Z38paged_attention_ll4mi_QKV_mfma4_kernelI14__hip_bfloat16hLN4vllm18Fp8KVCacheDataTypeE1ES0_Li32ELi128ELi256ELb0ELi4EEvPKT_PKT0_S8_ifPKiSA_SA_iPKfiiiPfSD_PS3_PT2_iSC_SC_,comdat
.Lfunc_end1393:
	.size	_Z38paged_attention_ll4mi_QKV_mfma4_kernelI14__hip_bfloat16hLN4vllm18Fp8KVCacheDataTypeE1ES0_Li32ELi128ELi256ELb0ELi4EEvPKT_PKT0_S8_ifPKiSA_SA_iPKfiiiPfSD_PS3_PT2_iSC_SC_, .Lfunc_end1393-_Z38paged_attention_ll4mi_QKV_mfma4_kernelI14__hip_bfloat16hLN4vllm18Fp8KVCacheDataTypeE1ES0_Li32ELi128ELi256ELb0ELi4EEvPKT_PKT0_S8_ifPKiSA_SA_iPKfiiiPfSD_PS3_PT2_iSC_SC_
                                        ; -- End function
	.set _Z38paged_attention_ll4mi_QKV_mfma4_kernelI14__hip_bfloat16hLN4vllm18Fp8KVCacheDataTypeE1ES0_Li32ELi128ELi256ELb0ELi4EEvPKT_PKT0_S8_ifPKiSA_SA_iPKfiiiPfSD_PS3_PT2_iSC_SC_.num_vgpr, max(3, .L__assert_fail.num_vgpr)
	.set _Z38paged_attention_ll4mi_QKV_mfma4_kernelI14__hip_bfloat16hLN4vllm18Fp8KVCacheDataTypeE1ES0_Li32ELi128ELi256ELb0ELi4EEvPKT_PKT0_S8_ifPKiSA_SA_iPKfiiiPfSD_PS3_PT2_iSC_SC_.num_agpr, max(0, .L__assert_fail.num_agpr)
	.set _Z38paged_attention_ll4mi_QKV_mfma4_kernelI14__hip_bfloat16hLN4vllm18Fp8KVCacheDataTypeE1ES0_Li32ELi128ELi256ELb0ELi4EEvPKT_PKT0_S8_ifPKiSA_SA_iPKfiiiPfSD_PS3_PT2_iSC_SC_.numbered_sgpr, max(33, .L__assert_fail.numbered_sgpr)
	.set _Z38paged_attention_ll4mi_QKV_mfma4_kernelI14__hip_bfloat16hLN4vllm18Fp8KVCacheDataTypeE1ES0_Li32ELi128ELi256ELb0ELi4EEvPKT_PKT0_S8_ifPKiSA_SA_iPKfiiiPfSD_PS3_PT2_iSC_SC_.num_named_barrier, max(0, .L__assert_fail.num_named_barrier)
	.set _Z38paged_attention_ll4mi_QKV_mfma4_kernelI14__hip_bfloat16hLN4vllm18Fp8KVCacheDataTypeE1ES0_Li32ELi128ELi256ELb0ELi4EEvPKT_PKT0_S8_ifPKiSA_SA_iPKfiiiPfSD_PS3_PT2_iSC_SC_.private_seg_size, 0+max(.L__assert_fail.private_seg_size)
	.set _Z38paged_attention_ll4mi_QKV_mfma4_kernelI14__hip_bfloat16hLN4vllm18Fp8KVCacheDataTypeE1ES0_Li32ELi128ELi256ELb0ELi4EEvPKT_PKT0_S8_ifPKiSA_SA_iPKfiiiPfSD_PS3_PT2_iSC_SC_.uses_vcc, or(1, .L__assert_fail.uses_vcc)
	.set _Z38paged_attention_ll4mi_QKV_mfma4_kernelI14__hip_bfloat16hLN4vllm18Fp8KVCacheDataTypeE1ES0_Li32ELi128ELi256ELb0ELi4EEvPKT_PKT0_S8_ifPKiSA_SA_iPKfiiiPfSD_PS3_PT2_iSC_SC_.uses_flat_scratch, or(0, .L__assert_fail.uses_flat_scratch)
	.set _Z38paged_attention_ll4mi_QKV_mfma4_kernelI14__hip_bfloat16hLN4vllm18Fp8KVCacheDataTypeE1ES0_Li32ELi128ELi256ELb0ELi4EEvPKT_PKT0_S8_ifPKiSA_SA_iPKfiiiPfSD_PS3_PT2_iSC_SC_.has_dyn_sized_stack, or(0, .L__assert_fail.has_dyn_sized_stack)
	.set _Z38paged_attention_ll4mi_QKV_mfma4_kernelI14__hip_bfloat16hLN4vllm18Fp8KVCacheDataTypeE1ES0_Li32ELi128ELi256ELb0ELi4EEvPKT_PKT0_S8_ifPKiSA_SA_iPKfiiiPfSD_PS3_PT2_iSC_SC_.has_recursion, or(0, .L__assert_fail.has_recursion)
	.set _Z38paged_attention_ll4mi_QKV_mfma4_kernelI14__hip_bfloat16hLN4vllm18Fp8KVCacheDataTypeE1ES0_Li32ELi128ELi256ELb0ELi4EEvPKT_PKT0_S8_ifPKiSA_SA_iPKfiiiPfSD_PS3_PT2_iSC_SC_.has_indirect_call, or(0, .L__assert_fail.has_indirect_call)
	.section	.AMDGPU.csdata,"",@progbits
; Kernel info:
; codeLenInByte = 68
; TotalNumSgprs: 36
; NumVgprs: 51
; ScratchSize: 64
; MemoryBound: 0
; FloatMode: 240
; IeeeMode: 1
; LDSByteSize: 0 bytes/workgroup (compile time only)
; SGPRBlocks: 0
; VGPRBlocks: 3
; NumSGPRsForWavesPerEU: 36
; NumVGPRsForWavesPerEU: 51
; NamedBarCnt: 0
; Occupancy: 16
; WaveLimiterHint : 1
; COMPUTE_PGM_RSRC2:SCRATCH_EN: 1
; COMPUTE_PGM_RSRC2:USER_SGPR: 2
; COMPUTE_PGM_RSRC2:TRAP_HANDLER: 0
; COMPUTE_PGM_RSRC2:TGID_X_EN: 1
; COMPUTE_PGM_RSRC2:TGID_Y_EN: 0
; COMPUTE_PGM_RSRC2:TGID_Z_EN: 0
; COMPUTE_PGM_RSRC2:TIDIG_COMP_CNT: 0
	.section	.text._Z39paged_attention_ll4mi_QKV_mfma16_kernelI14__hip_bfloat16hLN4vllm18Fp8KVCacheDataTypeE1ES0_Li32ELi128ELi256ELb0ELi5EEvPKT_PKT0_S8_ifPKiSA_SA_iPKfiiiPfSD_PS3_PT2_iSC_SC_,"axG",@progbits,_Z39paged_attention_ll4mi_QKV_mfma16_kernelI14__hip_bfloat16hLN4vllm18Fp8KVCacheDataTypeE1ES0_Li32ELi128ELi256ELb0ELi5EEvPKT_PKT0_S8_ifPKiSA_SA_iPKfiiiPfSD_PS3_PT2_iSC_SC_,comdat
	.protected	_Z39paged_attention_ll4mi_QKV_mfma16_kernelI14__hip_bfloat16hLN4vllm18Fp8KVCacheDataTypeE1ES0_Li32ELi128ELi256ELb0ELi5EEvPKT_PKT0_S8_ifPKiSA_SA_iPKfiiiPfSD_PS3_PT2_iSC_SC_ ; -- Begin function _Z39paged_attention_ll4mi_QKV_mfma16_kernelI14__hip_bfloat16hLN4vllm18Fp8KVCacheDataTypeE1ES0_Li32ELi128ELi256ELb0ELi5EEvPKT_PKT0_S8_ifPKiSA_SA_iPKfiiiPfSD_PS3_PT2_iSC_SC_
	.globl	_Z39paged_attention_ll4mi_QKV_mfma16_kernelI14__hip_bfloat16hLN4vllm18Fp8KVCacheDataTypeE1ES0_Li32ELi128ELi256ELb0ELi5EEvPKT_PKT0_S8_ifPKiSA_SA_iPKfiiiPfSD_PS3_PT2_iSC_SC_
	.p2align	8
	.type	_Z39paged_attention_ll4mi_QKV_mfma16_kernelI14__hip_bfloat16hLN4vllm18Fp8KVCacheDataTypeE1ES0_Li32ELi128ELi256ELb0ELi5EEvPKT_PKT0_S8_ifPKiSA_SA_iPKfiiiPfSD_PS3_PT2_iSC_SC_,@function
_Z39paged_attention_ll4mi_QKV_mfma16_kernelI14__hip_bfloat16hLN4vllm18Fp8KVCacheDataTypeE1ES0_Li32ELi128ELi256ELb0ELi5EEvPKT_PKT0_S8_ifPKiSA_SA_iPKfiiiPfSD_PS3_PT2_iSC_SC_: ; @_Z39paged_attention_ll4mi_QKV_mfma16_kernelI14__hip_bfloat16hLN4vllm18Fp8KVCacheDataTypeE1ES0_Li32ELi128ELi256ELb0ELi5EEvPKT_PKT0_S8_ifPKiSA_SA_iPKfiiiPfSD_PS3_PT2_iSC_SC_
; %bb.0:
	s_get_pc_i64 s[2:3]
	s_add_nc_u64 s[2:3], s[2:3], __PRETTY_FUNCTION__._Z39paged_attention_ll4mi_QKV_mfma16_kernelI14__hip_bfloat16hLN4vllm18Fp8KVCacheDataTypeE1ES0_Li32ELi128ELi256ELb0ELi5EEvPKT_PKT0_S8_ifPKiSA_SA_iPKfiiiPfSD_PS3_PT2_iSC_SC_@rel64+4
	s_delay_alu instid0(SALU_CYCLE_1)
	v_dual_mov_b32 v0, 0xbb3 :: v_dual_mov_b32 v1, s2
	v_mov_b32_e32 v2, s3
	s_add_nc_u64 s[8:9], s[0:1], 0x90
	s_get_pc_i64 s[0:1]
	s_add_nc_u64 s[0:1], s[0:1], __assert_fail@rel64+4
	s_mov_b32 s32, 0
	s_swap_pc_i64 s[30:31], s[0:1]
	.section	.rodata,"a",@progbits
	.p2align	6, 0x0
	.amdhsa_kernel _Z39paged_attention_ll4mi_QKV_mfma16_kernelI14__hip_bfloat16hLN4vllm18Fp8KVCacheDataTypeE1ES0_Li32ELi128ELi256ELb0ELi5EEvPKT_PKT0_S8_ifPKiSA_SA_iPKfiiiPfSD_PS3_PT2_iSC_SC_
		.amdhsa_group_segment_fixed_size 0
		.amdhsa_private_segment_fixed_size 64
		.amdhsa_kernarg_size 400
		.amdhsa_user_sgpr_count 2
		.amdhsa_user_sgpr_dispatch_ptr 0
		.amdhsa_user_sgpr_queue_ptr 0
		.amdhsa_user_sgpr_kernarg_segment_ptr 1
		.amdhsa_user_sgpr_dispatch_id 0
		.amdhsa_user_sgpr_kernarg_preload_length 0
		.amdhsa_user_sgpr_kernarg_preload_offset 0
		.amdhsa_user_sgpr_private_segment_size 0
		.amdhsa_wavefront_size32 1
		.amdhsa_uses_dynamic_stack 0
		.amdhsa_enable_private_segment 1
		.amdhsa_system_sgpr_workgroup_id_x 1
		.amdhsa_system_sgpr_workgroup_id_y 0
		.amdhsa_system_sgpr_workgroup_id_z 0
		.amdhsa_system_sgpr_workgroup_info 0
		.amdhsa_system_vgpr_workitem_id 0
		.amdhsa_next_free_vgpr 51
		.amdhsa_next_free_sgpr 34
		.amdhsa_named_barrier_count 0
		.amdhsa_reserve_vcc 1
		.amdhsa_float_round_mode_32 0
		.amdhsa_float_round_mode_16_64 0
		.amdhsa_float_denorm_mode_32 3
		.amdhsa_float_denorm_mode_16_64 3
		.amdhsa_fp16_overflow 0
		.amdhsa_memory_ordered 1
		.amdhsa_forward_progress 1
		.amdhsa_inst_pref_size 1
		.amdhsa_round_robin_scheduling 0
		.amdhsa_exception_fp_ieee_invalid_op 0
		.amdhsa_exception_fp_denorm_src 0
		.amdhsa_exception_fp_ieee_div_zero 0
		.amdhsa_exception_fp_ieee_overflow 0
		.amdhsa_exception_fp_ieee_underflow 0
		.amdhsa_exception_fp_ieee_inexact 0
		.amdhsa_exception_int_div_zero 0
	.end_amdhsa_kernel
	.section	.text._Z39paged_attention_ll4mi_QKV_mfma16_kernelI14__hip_bfloat16hLN4vllm18Fp8KVCacheDataTypeE1ES0_Li32ELi128ELi256ELb0ELi5EEvPKT_PKT0_S8_ifPKiSA_SA_iPKfiiiPfSD_PS3_PT2_iSC_SC_,"axG",@progbits,_Z39paged_attention_ll4mi_QKV_mfma16_kernelI14__hip_bfloat16hLN4vllm18Fp8KVCacheDataTypeE1ES0_Li32ELi128ELi256ELb0ELi5EEvPKT_PKT0_S8_ifPKiSA_SA_iPKfiiiPfSD_PS3_PT2_iSC_SC_,comdat
.Lfunc_end1394:
	.size	_Z39paged_attention_ll4mi_QKV_mfma16_kernelI14__hip_bfloat16hLN4vllm18Fp8KVCacheDataTypeE1ES0_Li32ELi128ELi256ELb0ELi5EEvPKT_PKT0_S8_ifPKiSA_SA_iPKfiiiPfSD_PS3_PT2_iSC_SC_, .Lfunc_end1394-_Z39paged_attention_ll4mi_QKV_mfma16_kernelI14__hip_bfloat16hLN4vllm18Fp8KVCacheDataTypeE1ES0_Li32ELi128ELi256ELb0ELi5EEvPKT_PKT0_S8_ifPKiSA_SA_iPKfiiiPfSD_PS3_PT2_iSC_SC_
                                        ; -- End function
	.set _Z39paged_attention_ll4mi_QKV_mfma16_kernelI14__hip_bfloat16hLN4vllm18Fp8KVCacheDataTypeE1ES0_Li32ELi128ELi256ELb0ELi5EEvPKT_PKT0_S8_ifPKiSA_SA_iPKfiiiPfSD_PS3_PT2_iSC_SC_.num_vgpr, max(3, .L__assert_fail.num_vgpr)
	.set _Z39paged_attention_ll4mi_QKV_mfma16_kernelI14__hip_bfloat16hLN4vllm18Fp8KVCacheDataTypeE1ES0_Li32ELi128ELi256ELb0ELi5EEvPKT_PKT0_S8_ifPKiSA_SA_iPKfiiiPfSD_PS3_PT2_iSC_SC_.num_agpr, max(0, .L__assert_fail.num_agpr)
	.set _Z39paged_attention_ll4mi_QKV_mfma16_kernelI14__hip_bfloat16hLN4vllm18Fp8KVCacheDataTypeE1ES0_Li32ELi128ELi256ELb0ELi5EEvPKT_PKT0_S8_ifPKiSA_SA_iPKfiiiPfSD_PS3_PT2_iSC_SC_.numbered_sgpr, max(33, .L__assert_fail.numbered_sgpr)
	.set _Z39paged_attention_ll4mi_QKV_mfma16_kernelI14__hip_bfloat16hLN4vllm18Fp8KVCacheDataTypeE1ES0_Li32ELi128ELi256ELb0ELi5EEvPKT_PKT0_S8_ifPKiSA_SA_iPKfiiiPfSD_PS3_PT2_iSC_SC_.num_named_barrier, max(0, .L__assert_fail.num_named_barrier)
	.set _Z39paged_attention_ll4mi_QKV_mfma16_kernelI14__hip_bfloat16hLN4vllm18Fp8KVCacheDataTypeE1ES0_Li32ELi128ELi256ELb0ELi5EEvPKT_PKT0_S8_ifPKiSA_SA_iPKfiiiPfSD_PS3_PT2_iSC_SC_.private_seg_size, 0+max(.L__assert_fail.private_seg_size)
	.set _Z39paged_attention_ll4mi_QKV_mfma16_kernelI14__hip_bfloat16hLN4vllm18Fp8KVCacheDataTypeE1ES0_Li32ELi128ELi256ELb0ELi5EEvPKT_PKT0_S8_ifPKiSA_SA_iPKfiiiPfSD_PS3_PT2_iSC_SC_.uses_vcc, or(1, .L__assert_fail.uses_vcc)
	.set _Z39paged_attention_ll4mi_QKV_mfma16_kernelI14__hip_bfloat16hLN4vllm18Fp8KVCacheDataTypeE1ES0_Li32ELi128ELi256ELb0ELi5EEvPKT_PKT0_S8_ifPKiSA_SA_iPKfiiiPfSD_PS3_PT2_iSC_SC_.uses_flat_scratch, or(0, .L__assert_fail.uses_flat_scratch)
	.set _Z39paged_attention_ll4mi_QKV_mfma16_kernelI14__hip_bfloat16hLN4vllm18Fp8KVCacheDataTypeE1ES0_Li32ELi128ELi256ELb0ELi5EEvPKT_PKT0_S8_ifPKiSA_SA_iPKfiiiPfSD_PS3_PT2_iSC_SC_.has_dyn_sized_stack, or(0, .L__assert_fail.has_dyn_sized_stack)
	.set _Z39paged_attention_ll4mi_QKV_mfma16_kernelI14__hip_bfloat16hLN4vllm18Fp8KVCacheDataTypeE1ES0_Li32ELi128ELi256ELb0ELi5EEvPKT_PKT0_S8_ifPKiSA_SA_iPKfiiiPfSD_PS3_PT2_iSC_SC_.has_recursion, or(0, .L__assert_fail.has_recursion)
	.set _Z39paged_attention_ll4mi_QKV_mfma16_kernelI14__hip_bfloat16hLN4vllm18Fp8KVCacheDataTypeE1ES0_Li32ELi128ELi256ELb0ELi5EEvPKT_PKT0_S8_ifPKiSA_SA_iPKfiiiPfSD_PS3_PT2_iSC_SC_.has_indirect_call, or(0, .L__assert_fail.has_indirect_call)
	.section	.AMDGPU.csdata,"",@progbits
; Kernel info:
; codeLenInByte = 68
; TotalNumSgprs: 36
; NumVgprs: 51
; ScratchSize: 64
; MemoryBound: 0
; FloatMode: 240
; IeeeMode: 1
; LDSByteSize: 0 bytes/workgroup (compile time only)
; SGPRBlocks: 0
; VGPRBlocks: 3
; NumSGPRsForWavesPerEU: 36
; NumVGPRsForWavesPerEU: 51
; NamedBarCnt: 0
; Occupancy: 16
; WaveLimiterHint : 1
; COMPUTE_PGM_RSRC2:SCRATCH_EN: 1
; COMPUTE_PGM_RSRC2:USER_SGPR: 2
; COMPUTE_PGM_RSRC2:TRAP_HANDLER: 0
; COMPUTE_PGM_RSRC2:TGID_X_EN: 1
; COMPUTE_PGM_RSRC2:TGID_Y_EN: 0
; COMPUTE_PGM_RSRC2:TGID_Z_EN: 0
; COMPUTE_PGM_RSRC2:TIDIG_COMP_CNT: 0
	.section	.text._Z39paged_attention_ll4mi_QKV_mfma16_kernelI14__hip_bfloat16hLN4vllm18Fp8KVCacheDataTypeE1ES0_Li32ELi128ELi256ELb0ELi6EEvPKT_PKT0_S8_ifPKiSA_SA_iPKfiiiPfSD_PS3_PT2_iSC_SC_,"axG",@progbits,_Z39paged_attention_ll4mi_QKV_mfma16_kernelI14__hip_bfloat16hLN4vllm18Fp8KVCacheDataTypeE1ES0_Li32ELi128ELi256ELb0ELi6EEvPKT_PKT0_S8_ifPKiSA_SA_iPKfiiiPfSD_PS3_PT2_iSC_SC_,comdat
	.protected	_Z39paged_attention_ll4mi_QKV_mfma16_kernelI14__hip_bfloat16hLN4vllm18Fp8KVCacheDataTypeE1ES0_Li32ELi128ELi256ELb0ELi6EEvPKT_PKT0_S8_ifPKiSA_SA_iPKfiiiPfSD_PS3_PT2_iSC_SC_ ; -- Begin function _Z39paged_attention_ll4mi_QKV_mfma16_kernelI14__hip_bfloat16hLN4vllm18Fp8KVCacheDataTypeE1ES0_Li32ELi128ELi256ELb0ELi6EEvPKT_PKT0_S8_ifPKiSA_SA_iPKfiiiPfSD_PS3_PT2_iSC_SC_
	.globl	_Z39paged_attention_ll4mi_QKV_mfma16_kernelI14__hip_bfloat16hLN4vllm18Fp8KVCacheDataTypeE1ES0_Li32ELi128ELi256ELb0ELi6EEvPKT_PKT0_S8_ifPKiSA_SA_iPKfiiiPfSD_PS3_PT2_iSC_SC_
	.p2align	8
	.type	_Z39paged_attention_ll4mi_QKV_mfma16_kernelI14__hip_bfloat16hLN4vllm18Fp8KVCacheDataTypeE1ES0_Li32ELi128ELi256ELb0ELi6EEvPKT_PKT0_S8_ifPKiSA_SA_iPKfiiiPfSD_PS3_PT2_iSC_SC_,@function
_Z39paged_attention_ll4mi_QKV_mfma16_kernelI14__hip_bfloat16hLN4vllm18Fp8KVCacheDataTypeE1ES0_Li32ELi128ELi256ELb0ELi6EEvPKT_PKT0_S8_ifPKiSA_SA_iPKfiiiPfSD_PS3_PT2_iSC_SC_: ; @_Z39paged_attention_ll4mi_QKV_mfma16_kernelI14__hip_bfloat16hLN4vllm18Fp8KVCacheDataTypeE1ES0_Li32ELi128ELi256ELb0ELi6EEvPKT_PKT0_S8_ifPKiSA_SA_iPKfiiiPfSD_PS3_PT2_iSC_SC_
; %bb.0:
	s_get_pc_i64 s[2:3]
	s_add_nc_u64 s[2:3], s[2:3], __PRETTY_FUNCTION__._Z39paged_attention_ll4mi_QKV_mfma16_kernelI14__hip_bfloat16hLN4vllm18Fp8KVCacheDataTypeE1ES0_Li32ELi128ELi256ELb0ELi6EEvPKT_PKT0_S8_ifPKiSA_SA_iPKfiiiPfSD_PS3_PT2_iSC_SC_@rel64+4
	s_delay_alu instid0(SALU_CYCLE_1)
	v_dual_mov_b32 v0, 0xbb3 :: v_dual_mov_b32 v1, s2
	v_mov_b32_e32 v2, s3
	s_add_nc_u64 s[8:9], s[0:1], 0x90
	s_get_pc_i64 s[0:1]
	s_add_nc_u64 s[0:1], s[0:1], __assert_fail@rel64+4
	s_mov_b32 s32, 0
	s_swap_pc_i64 s[30:31], s[0:1]
	.section	.rodata,"a",@progbits
	.p2align	6, 0x0
	.amdhsa_kernel _Z39paged_attention_ll4mi_QKV_mfma16_kernelI14__hip_bfloat16hLN4vllm18Fp8KVCacheDataTypeE1ES0_Li32ELi128ELi256ELb0ELi6EEvPKT_PKT0_S8_ifPKiSA_SA_iPKfiiiPfSD_PS3_PT2_iSC_SC_
		.amdhsa_group_segment_fixed_size 0
		.amdhsa_private_segment_fixed_size 64
		.amdhsa_kernarg_size 400
		.amdhsa_user_sgpr_count 2
		.amdhsa_user_sgpr_dispatch_ptr 0
		.amdhsa_user_sgpr_queue_ptr 0
		.amdhsa_user_sgpr_kernarg_segment_ptr 1
		.amdhsa_user_sgpr_dispatch_id 0
		.amdhsa_user_sgpr_kernarg_preload_length 0
		.amdhsa_user_sgpr_kernarg_preload_offset 0
		.amdhsa_user_sgpr_private_segment_size 0
		.amdhsa_wavefront_size32 1
		.amdhsa_uses_dynamic_stack 0
		.amdhsa_enable_private_segment 1
		.amdhsa_system_sgpr_workgroup_id_x 1
		.amdhsa_system_sgpr_workgroup_id_y 0
		.amdhsa_system_sgpr_workgroup_id_z 0
		.amdhsa_system_sgpr_workgroup_info 0
		.amdhsa_system_vgpr_workitem_id 0
		.amdhsa_next_free_vgpr 51
		.amdhsa_next_free_sgpr 34
		.amdhsa_named_barrier_count 0
		.amdhsa_reserve_vcc 1
		.amdhsa_float_round_mode_32 0
		.amdhsa_float_round_mode_16_64 0
		.amdhsa_float_denorm_mode_32 3
		.amdhsa_float_denorm_mode_16_64 3
		.amdhsa_fp16_overflow 0
		.amdhsa_memory_ordered 1
		.amdhsa_forward_progress 1
		.amdhsa_inst_pref_size 1
		.amdhsa_round_robin_scheduling 0
		.amdhsa_exception_fp_ieee_invalid_op 0
		.amdhsa_exception_fp_denorm_src 0
		.amdhsa_exception_fp_ieee_div_zero 0
		.amdhsa_exception_fp_ieee_overflow 0
		.amdhsa_exception_fp_ieee_underflow 0
		.amdhsa_exception_fp_ieee_inexact 0
		.amdhsa_exception_int_div_zero 0
	.end_amdhsa_kernel
	.section	.text._Z39paged_attention_ll4mi_QKV_mfma16_kernelI14__hip_bfloat16hLN4vllm18Fp8KVCacheDataTypeE1ES0_Li32ELi128ELi256ELb0ELi6EEvPKT_PKT0_S8_ifPKiSA_SA_iPKfiiiPfSD_PS3_PT2_iSC_SC_,"axG",@progbits,_Z39paged_attention_ll4mi_QKV_mfma16_kernelI14__hip_bfloat16hLN4vllm18Fp8KVCacheDataTypeE1ES0_Li32ELi128ELi256ELb0ELi6EEvPKT_PKT0_S8_ifPKiSA_SA_iPKfiiiPfSD_PS3_PT2_iSC_SC_,comdat
.Lfunc_end1395:
	.size	_Z39paged_attention_ll4mi_QKV_mfma16_kernelI14__hip_bfloat16hLN4vllm18Fp8KVCacheDataTypeE1ES0_Li32ELi128ELi256ELb0ELi6EEvPKT_PKT0_S8_ifPKiSA_SA_iPKfiiiPfSD_PS3_PT2_iSC_SC_, .Lfunc_end1395-_Z39paged_attention_ll4mi_QKV_mfma16_kernelI14__hip_bfloat16hLN4vllm18Fp8KVCacheDataTypeE1ES0_Li32ELi128ELi256ELb0ELi6EEvPKT_PKT0_S8_ifPKiSA_SA_iPKfiiiPfSD_PS3_PT2_iSC_SC_
                                        ; -- End function
	.set _Z39paged_attention_ll4mi_QKV_mfma16_kernelI14__hip_bfloat16hLN4vllm18Fp8KVCacheDataTypeE1ES0_Li32ELi128ELi256ELb0ELi6EEvPKT_PKT0_S8_ifPKiSA_SA_iPKfiiiPfSD_PS3_PT2_iSC_SC_.num_vgpr, max(3, .L__assert_fail.num_vgpr)
	.set _Z39paged_attention_ll4mi_QKV_mfma16_kernelI14__hip_bfloat16hLN4vllm18Fp8KVCacheDataTypeE1ES0_Li32ELi128ELi256ELb0ELi6EEvPKT_PKT0_S8_ifPKiSA_SA_iPKfiiiPfSD_PS3_PT2_iSC_SC_.num_agpr, max(0, .L__assert_fail.num_agpr)
	.set _Z39paged_attention_ll4mi_QKV_mfma16_kernelI14__hip_bfloat16hLN4vllm18Fp8KVCacheDataTypeE1ES0_Li32ELi128ELi256ELb0ELi6EEvPKT_PKT0_S8_ifPKiSA_SA_iPKfiiiPfSD_PS3_PT2_iSC_SC_.numbered_sgpr, max(33, .L__assert_fail.numbered_sgpr)
	.set _Z39paged_attention_ll4mi_QKV_mfma16_kernelI14__hip_bfloat16hLN4vllm18Fp8KVCacheDataTypeE1ES0_Li32ELi128ELi256ELb0ELi6EEvPKT_PKT0_S8_ifPKiSA_SA_iPKfiiiPfSD_PS3_PT2_iSC_SC_.num_named_barrier, max(0, .L__assert_fail.num_named_barrier)
	.set _Z39paged_attention_ll4mi_QKV_mfma16_kernelI14__hip_bfloat16hLN4vllm18Fp8KVCacheDataTypeE1ES0_Li32ELi128ELi256ELb0ELi6EEvPKT_PKT0_S8_ifPKiSA_SA_iPKfiiiPfSD_PS3_PT2_iSC_SC_.private_seg_size, 0+max(.L__assert_fail.private_seg_size)
	.set _Z39paged_attention_ll4mi_QKV_mfma16_kernelI14__hip_bfloat16hLN4vllm18Fp8KVCacheDataTypeE1ES0_Li32ELi128ELi256ELb0ELi6EEvPKT_PKT0_S8_ifPKiSA_SA_iPKfiiiPfSD_PS3_PT2_iSC_SC_.uses_vcc, or(1, .L__assert_fail.uses_vcc)
	.set _Z39paged_attention_ll4mi_QKV_mfma16_kernelI14__hip_bfloat16hLN4vllm18Fp8KVCacheDataTypeE1ES0_Li32ELi128ELi256ELb0ELi6EEvPKT_PKT0_S8_ifPKiSA_SA_iPKfiiiPfSD_PS3_PT2_iSC_SC_.uses_flat_scratch, or(0, .L__assert_fail.uses_flat_scratch)
	.set _Z39paged_attention_ll4mi_QKV_mfma16_kernelI14__hip_bfloat16hLN4vllm18Fp8KVCacheDataTypeE1ES0_Li32ELi128ELi256ELb0ELi6EEvPKT_PKT0_S8_ifPKiSA_SA_iPKfiiiPfSD_PS3_PT2_iSC_SC_.has_dyn_sized_stack, or(0, .L__assert_fail.has_dyn_sized_stack)
	.set _Z39paged_attention_ll4mi_QKV_mfma16_kernelI14__hip_bfloat16hLN4vllm18Fp8KVCacheDataTypeE1ES0_Li32ELi128ELi256ELb0ELi6EEvPKT_PKT0_S8_ifPKiSA_SA_iPKfiiiPfSD_PS3_PT2_iSC_SC_.has_recursion, or(0, .L__assert_fail.has_recursion)
	.set _Z39paged_attention_ll4mi_QKV_mfma16_kernelI14__hip_bfloat16hLN4vllm18Fp8KVCacheDataTypeE1ES0_Li32ELi128ELi256ELb0ELi6EEvPKT_PKT0_S8_ifPKiSA_SA_iPKfiiiPfSD_PS3_PT2_iSC_SC_.has_indirect_call, or(0, .L__assert_fail.has_indirect_call)
	.section	.AMDGPU.csdata,"",@progbits
; Kernel info:
; codeLenInByte = 68
; TotalNumSgprs: 36
; NumVgprs: 51
; ScratchSize: 64
; MemoryBound: 0
; FloatMode: 240
; IeeeMode: 1
; LDSByteSize: 0 bytes/workgroup (compile time only)
; SGPRBlocks: 0
; VGPRBlocks: 3
; NumSGPRsForWavesPerEU: 36
; NumVGPRsForWavesPerEU: 51
; NamedBarCnt: 0
; Occupancy: 16
; WaveLimiterHint : 1
; COMPUTE_PGM_RSRC2:SCRATCH_EN: 1
; COMPUTE_PGM_RSRC2:USER_SGPR: 2
; COMPUTE_PGM_RSRC2:TRAP_HANDLER: 0
; COMPUTE_PGM_RSRC2:TGID_X_EN: 1
; COMPUTE_PGM_RSRC2:TGID_Y_EN: 0
; COMPUTE_PGM_RSRC2:TGID_Z_EN: 0
; COMPUTE_PGM_RSRC2:TIDIG_COMP_CNT: 0
	.section	.text._Z39paged_attention_ll4mi_QKV_mfma16_kernelI14__hip_bfloat16hLN4vllm18Fp8KVCacheDataTypeE1ES0_Li32ELi128ELi256ELb0ELi7EEvPKT_PKT0_S8_ifPKiSA_SA_iPKfiiiPfSD_PS3_PT2_iSC_SC_,"axG",@progbits,_Z39paged_attention_ll4mi_QKV_mfma16_kernelI14__hip_bfloat16hLN4vllm18Fp8KVCacheDataTypeE1ES0_Li32ELi128ELi256ELb0ELi7EEvPKT_PKT0_S8_ifPKiSA_SA_iPKfiiiPfSD_PS3_PT2_iSC_SC_,comdat
	.protected	_Z39paged_attention_ll4mi_QKV_mfma16_kernelI14__hip_bfloat16hLN4vllm18Fp8KVCacheDataTypeE1ES0_Li32ELi128ELi256ELb0ELi7EEvPKT_PKT0_S8_ifPKiSA_SA_iPKfiiiPfSD_PS3_PT2_iSC_SC_ ; -- Begin function _Z39paged_attention_ll4mi_QKV_mfma16_kernelI14__hip_bfloat16hLN4vllm18Fp8KVCacheDataTypeE1ES0_Li32ELi128ELi256ELb0ELi7EEvPKT_PKT0_S8_ifPKiSA_SA_iPKfiiiPfSD_PS3_PT2_iSC_SC_
	.globl	_Z39paged_attention_ll4mi_QKV_mfma16_kernelI14__hip_bfloat16hLN4vllm18Fp8KVCacheDataTypeE1ES0_Li32ELi128ELi256ELb0ELi7EEvPKT_PKT0_S8_ifPKiSA_SA_iPKfiiiPfSD_PS3_PT2_iSC_SC_
	.p2align	8
	.type	_Z39paged_attention_ll4mi_QKV_mfma16_kernelI14__hip_bfloat16hLN4vllm18Fp8KVCacheDataTypeE1ES0_Li32ELi128ELi256ELb0ELi7EEvPKT_PKT0_S8_ifPKiSA_SA_iPKfiiiPfSD_PS3_PT2_iSC_SC_,@function
_Z39paged_attention_ll4mi_QKV_mfma16_kernelI14__hip_bfloat16hLN4vllm18Fp8KVCacheDataTypeE1ES0_Li32ELi128ELi256ELb0ELi7EEvPKT_PKT0_S8_ifPKiSA_SA_iPKfiiiPfSD_PS3_PT2_iSC_SC_: ; @_Z39paged_attention_ll4mi_QKV_mfma16_kernelI14__hip_bfloat16hLN4vllm18Fp8KVCacheDataTypeE1ES0_Li32ELi128ELi256ELb0ELi7EEvPKT_PKT0_S8_ifPKiSA_SA_iPKfiiiPfSD_PS3_PT2_iSC_SC_
; %bb.0:
	s_get_pc_i64 s[2:3]
	s_add_nc_u64 s[2:3], s[2:3], __PRETTY_FUNCTION__._Z39paged_attention_ll4mi_QKV_mfma16_kernelI14__hip_bfloat16hLN4vllm18Fp8KVCacheDataTypeE1ES0_Li32ELi128ELi256ELb0ELi7EEvPKT_PKT0_S8_ifPKiSA_SA_iPKfiiiPfSD_PS3_PT2_iSC_SC_@rel64+4
	s_delay_alu instid0(SALU_CYCLE_1)
	v_dual_mov_b32 v0, 0xbb3 :: v_dual_mov_b32 v1, s2
	v_mov_b32_e32 v2, s3
	s_add_nc_u64 s[8:9], s[0:1], 0x90
	s_get_pc_i64 s[0:1]
	s_add_nc_u64 s[0:1], s[0:1], __assert_fail@rel64+4
	s_mov_b32 s32, 0
	s_swap_pc_i64 s[30:31], s[0:1]
	.section	.rodata,"a",@progbits
	.p2align	6, 0x0
	.amdhsa_kernel _Z39paged_attention_ll4mi_QKV_mfma16_kernelI14__hip_bfloat16hLN4vllm18Fp8KVCacheDataTypeE1ES0_Li32ELi128ELi256ELb0ELi7EEvPKT_PKT0_S8_ifPKiSA_SA_iPKfiiiPfSD_PS3_PT2_iSC_SC_
		.amdhsa_group_segment_fixed_size 0
		.amdhsa_private_segment_fixed_size 64
		.amdhsa_kernarg_size 400
		.amdhsa_user_sgpr_count 2
		.amdhsa_user_sgpr_dispatch_ptr 0
		.amdhsa_user_sgpr_queue_ptr 0
		.amdhsa_user_sgpr_kernarg_segment_ptr 1
		.amdhsa_user_sgpr_dispatch_id 0
		.amdhsa_user_sgpr_kernarg_preload_length 0
		.amdhsa_user_sgpr_kernarg_preload_offset 0
		.amdhsa_user_sgpr_private_segment_size 0
		.amdhsa_wavefront_size32 1
		.amdhsa_uses_dynamic_stack 0
		.amdhsa_enable_private_segment 1
		.amdhsa_system_sgpr_workgroup_id_x 1
		.amdhsa_system_sgpr_workgroup_id_y 0
		.amdhsa_system_sgpr_workgroup_id_z 0
		.amdhsa_system_sgpr_workgroup_info 0
		.amdhsa_system_vgpr_workitem_id 0
		.amdhsa_next_free_vgpr 51
		.amdhsa_next_free_sgpr 34
		.amdhsa_named_barrier_count 0
		.amdhsa_reserve_vcc 1
		.amdhsa_float_round_mode_32 0
		.amdhsa_float_round_mode_16_64 0
		.amdhsa_float_denorm_mode_32 3
		.amdhsa_float_denorm_mode_16_64 3
		.amdhsa_fp16_overflow 0
		.amdhsa_memory_ordered 1
		.amdhsa_forward_progress 1
		.amdhsa_inst_pref_size 1
		.amdhsa_round_robin_scheduling 0
		.amdhsa_exception_fp_ieee_invalid_op 0
		.amdhsa_exception_fp_denorm_src 0
		.amdhsa_exception_fp_ieee_div_zero 0
		.amdhsa_exception_fp_ieee_overflow 0
		.amdhsa_exception_fp_ieee_underflow 0
		.amdhsa_exception_fp_ieee_inexact 0
		.amdhsa_exception_int_div_zero 0
	.end_amdhsa_kernel
	.section	.text._Z39paged_attention_ll4mi_QKV_mfma16_kernelI14__hip_bfloat16hLN4vllm18Fp8KVCacheDataTypeE1ES0_Li32ELi128ELi256ELb0ELi7EEvPKT_PKT0_S8_ifPKiSA_SA_iPKfiiiPfSD_PS3_PT2_iSC_SC_,"axG",@progbits,_Z39paged_attention_ll4mi_QKV_mfma16_kernelI14__hip_bfloat16hLN4vllm18Fp8KVCacheDataTypeE1ES0_Li32ELi128ELi256ELb0ELi7EEvPKT_PKT0_S8_ifPKiSA_SA_iPKfiiiPfSD_PS3_PT2_iSC_SC_,comdat
.Lfunc_end1396:
	.size	_Z39paged_attention_ll4mi_QKV_mfma16_kernelI14__hip_bfloat16hLN4vllm18Fp8KVCacheDataTypeE1ES0_Li32ELi128ELi256ELb0ELi7EEvPKT_PKT0_S8_ifPKiSA_SA_iPKfiiiPfSD_PS3_PT2_iSC_SC_, .Lfunc_end1396-_Z39paged_attention_ll4mi_QKV_mfma16_kernelI14__hip_bfloat16hLN4vllm18Fp8KVCacheDataTypeE1ES0_Li32ELi128ELi256ELb0ELi7EEvPKT_PKT0_S8_ifPKiSA_SA_iPKfiiiPfSD_PS3_PT2_iSC_SC_
                                        ; -- End function
	.set _Z39paged_attention_ll4mi_QKV_mfma16_kernelI14__hip_bfloat16hLN4vllm18Fp8KVCacheDataTypeE1ES0_Li32ELi128ELi256ELb0ELi7EEvPKT_PKT0_S8_ifPKiSA_SA_iPKfiiiPfSD_PS3_PT2_iSC_SC_.num_vgpr, max(3, .L__assert_fail.num_vgpr)
	.set _Z39paged_attention_ll4mi_QKV_mfma16_kernelI14__hip_bfloat16hLN4vllm18Fp8KVCacheDataTypeE1ES0_Li32ELi128ELi256ELb0ELi7EEvPKT_PKT0_S8_ifPKiSA_SA_iPKfiiiPfSD_PS3_PT2_iSC_SC_.num_agpr, max(0, .L__assert_fail.num_agpr)
	.set _Z39paged_attention_ll4mi_QKV_mfma16_kernelI14__hip_bfloat16hLN4vllm18Fp8KVCacheDataTypeE1ES0_Li32ELi128ELi256ELb0ELi7EEvPKT_PKT0_S8_ifPKiSA_SA_iPKfiiiPfSD_PS3_PT2_iSC_SC_.numbered_sgpr, max(33, .L__assert_fail.numbered_sgpr)
	.set _Z39paged_attention_ll4mi_QKV_mfma16_kernelI14__hip_bfloat16hLN4vllm18Fp8KVCacheDataTypeE1ES0_Li32ELi128ELi256ELb0ELi7EEvPKT_PKT0_S8_ifPKiSA_SA_iPKfiiiPfSD_PS3_PT2_iSC_SC_.num_named_barrier, max(0, .L__assert_fail.num_named_barrier)
	.set _Z39paged_attention_ll4mi_QKV_mfma16_kernelI14__hip_bfloat16hLN4vllm18Fp8KVCacheDataTypeE1ES0_Li32ELi128ELi256ELb0ELi7EEvPKT_PKT0_S8_ifPKiSA_SA_iPKfiiiPfSD_PS3_PT2_iSC_SC_.private_seg_size, 0+max(.L__assert_fail.private_seg_size)
	.set _Z39paged_attention_ll4mi_QKV_mfma16_kernelI14__hip_bfloat16hLN4vllm18Fp8KVCacheDataTypeE1ES0_Li32ELi128ELi256ELb0ELi7EEvPKT_PKT0_S8_ifPKiSA_SA_iPKfiiiPfSD_PS3_PT2_iSC_SC_.uses_vcc, or(1, .L__assert_fail.uses_vcc)
	.set _Z39paged_attention_ll4mi_QKV_mfma16_kernelI14__hip_bfloat16hLN4vllm18Fp8KVCacheDataTypeE1ES0_Li32ELi128ELi256ELb0ELi7EEvPKT_PKT0_S8_ifPKiSA_SA_iPKfiiiPfSD_PS3_PT2_iSC_SC_.uses_flat_scratch, or(0, .L__assert_fail.uses_flat_scratch)
	.set _Z39paged_attention_ll4mi_QKV_mfma16_kernelI14__hip_bfloat16hLN4vllm18Fp8KVCacheDataTypeE1ES0_Li32ELi128ELi256ELb0ELi7EEvPKT_PKT0_S8_ifPKiSA_SA_iPKfiiiPfSD_PS3_PT2_iSC_SC_.has_dyn_sized_stack, or(0, .L__assert_fail.has_dyn_sized_stack)
	.set _Z39paged_attention_ll4mi_QKV_mfma16_kernelI14__hip_bfloat16hLN4vllm18Fp8KVCacheDataTypeE1ES0_Li32ELi128ELi256ELb0ELi7EEvPKT_PKT0_S8_ifPKiSA_SA_iPKfiiiPfSD_PS3_PT2_iSC_SC_.has_recursion, or(0, .L__assert_fail.has_recursion)
	.set _Z39paged_attention_ll4mi_QKV_mfma16_kernelI14__hip_bfloat16hLN4vllm18Fp8KVCacheDataTypeE1ES0_Li32ELi128ELi256ELb0ELi7EEvPKT_PKT0_S8_ifPKiSA_SA_iPKfiiiPfSD_PS3_PT2_iSC_SC_.has_indirect_call, or(0, .L__assert_fail.has_indirect_call)
	.section	.AMDGPU.csdata,"",@progbits
; Kernel info:
; codeLenInByte = 68
; TotalNumSgprs: 36
; NumVgprs: 51
; ScratchSize: 64
; MemoryBound: 0
; FloatMode: 240
; IeeeMode: 1
; LDSByteSize: 0 bytes/workgroup (compile time only)
; SGPRBlocks: 0
; VGPRBlocks: 3
; NumSGPRsForWavesPerEU: 36
; NumVGPRsForWavesPerEU: 51
; NamedBarCnt: 0
; Occupancy: 16
; WaveLimiterHint : 1
; COMPUTE_PGM_RSRC2:SCRATCH_EN: 1
; COMPUTE_PGM_RSRC2:USER_SGPR: 2
; COMPUTE_PGM_RSRC2:TRAP_HANDLER: 0
; COMPUTE_PGM_RSRC2:TGID_X_EN: 1
; COMPUTE_PGM_RSRC2:TGID_Y_EN: 0
; COMPUTE_PGM_RSRC2:TGID_Z_EN: 0
; COMPUTE_PGM_RSRC2:TIDIG_COMP_CNT: 0
	.section	.text._Z39paged_attention_ll4mi_QKV_mfma16_kernelI14__hip_bfloat16hLN4vllm18Fp8KVCacheDataTypeE1ES0_Li32ELi128ELi256ELb0ELi8EEvPKT_PKT0_S8_ifPKiSA_SA_iPKfiiiPfSD_PS3_PT2_iSC_SC_,"axG",@progbits,_Z39paged_attention_ll4mi_QKV_mfma16_kernelI14__hip_bfloat16hLN4vllm18Fp8KVCacheDataTypeE1ES0_Li32ELi128ELi256ELb0ELi8EEvPKT_PKT0_S8_ifPKiSA_SA_iPKfiiiPfSD_PS3_PT2_iSC_SC_,comdat
	.protected	_Z39paged_attention_ll4mi_QKV_mfma16_kernelI14__hip_bfloat16hLN4vllm18Fp8KVCacheDataTypeE1ES0_Li32ELi128ELi256ELb0ELi8EEvPKT_PKT0_S8_ifPKiSA_SA_iPKfiiiPfSD_PS3_PT2_iSC_SC_ ; -- Begin function _Z39paged_attention_ll4mi_QKV_mfma16_kernelI14__hip_bfloat16hLN4vllm18Fp8KVCacheDataTypeE1ES0_Li32ELi128ELi256ELb0ELi8EEvPKT_PKT0_S8_ifPKiSA_SA_iPKfiiiPfSD_PS3_PT2_iSC_SC_
	.globl	_Z39paged_attention_ll4mi_QKV_mfma16_kernelI14__hip_bfloat16hLN4vllm18Fp8KVCacheDataTypeE1ES0_Li32ELi128ELi256ELb0ELi8EEvPKT_PKT0_S8_ifPKiSA_SA_iPKfiiiPfSD_PS3_PT2_iSC_SC_
	.p2align	8
	.type	_Z39paged_attention_ll4mi_QKV_mfma16_kernelI14__hip_bfloat16hLN4vllm18Fp8KVCacheDataTypeE1ES0_Li32ELi128ELi256ELb0ELi8EEvPKT_PKT0_S8_ifPKiSA_SA_iPKfiiiPfSD_PS3_PT2_iSC_SC_,@function
_Z39paged_attention_ll4mi_QKV_mfma16_kernelI14__hip_bfloat16hLN4vllm18Fp8KVCacheDataTypeE1ES0_Li32ELi128ELi256ELb0ELi8EEvPKT_PKT0_S8_ifPKiSA_SA_iPKfiiiPfSD_PS3_PT2_iSC_SC_: ; @_Z39paged_attention_ll4mi_QKV_mfma16_kernelI14__hip_bfloat16hLN4vllm18Fp8KVCacheDataTypeE1ES0_Li32ELi128ELi256ELb0ELi8EEvPKT_PKT0_S8_ifPKiSA_SA_iPKfiiiPfSD_PS3_PT2_iSC_SC_
; %bb.0:
	s_get_pc_i64 s[2:3]
	s_add_nc_u64 s[2:3], s[2:3], __PRETTY_FUNCTION__._Z39paged_attention_ll4mi_QKV_mfma16_kernelI14__hip_bfloat16hLN4vllm18Fp8KVCacheDataTypeE1ES0_Li32ELi128ELi256ELb0ELi8EEvPKT_PKT0_S8_ifPKiSA_SA_iPKfiiiPfSD_PS3_PT2_iSC_SC_@rel64+4
	s_delay_alu instid0(SALU_CYCLE_1)
	v_dual_mov_b32 v0, 0xbb3 :: v_dual_mov_b32 v1, s2
	v_mov_b32_e32 v2, s3
	s_add_nc_u64 s[8:9], s[0:1], 0x90
	s_get_pc_i64 s[0:1]
	s_add_nc_u64 s[0:1], s[0:1], __assert_fail@rel64+4
	s_mov_b32 s32, 0
	s_swap_pc_i64 s[30:31], s[0:1]
	.section	.rodata,"a",@progbits
	.p2align	6, 0x0
	.amdhsa_kernel _Z39paged_attention_ll4mi_QKV_mfma16_kernelI14__hip_bfloat16hLN4vllm18Fp8KVCacheDataTypeE1ES0_Li32ELi128ELi256ELb0ELi8EEvPKT_PKT0_S8_ifPKiSA_SA_iPKfiiiPfSD_PS3_PT2_iSC_SC_
		.amdhsa_group_segment_fixed_size 0
		.amdhsa_private_segment_fixed_size 64
		.amdhsa_kernarg_size 400
		.amdhsa_user_sgpr_count 2
		.amdhsa_user_sgpr_dispatch_ptr 0
		.amdhsa_user_sgpr_queue_ptr 0
		.amdhsa_user_sgpr_kernarg_segment_ptr 1
		.amdhsa_user_sgpr_dispatch_id 0
		.amdhsa_user_sgpr_kernarg_preload_length 0
		.amdhsa_user_sgpr_kernarg_preload_offset 0
		.amdhsa_user_sgpr_private_segment_size 0
		.amdhsa_wavefront_size32 1
		.amdhsa_uses_dynamic_stack 0
		.amdhsa_enable_private_segment 1
		.amdhsa_system_sgpr_workgroup_id_x 1
		.amdhsa_system_sgpr_workgroup_id_y 0
		.amdhsa_system_sgpr_workgroup_id_z 0
		.amdhsa_system_sgpr_workgroup_info 0
		.amdhsa_system_vgpr_workitem_id 0
		.amdhsa_next_free_vgpr 51
		.amdhsa_next_free_sgpr 34
		.amdhsa_named_barrier_count 0
		.amdhsa_reserve_vcc 1
		.amdhsa_float_round_mode_32 0
		.amdhsa_float_round_mode_16_64 0
		.amdhsa_float_denorm_mode_32 3
		.amdhsa_float_denorm_mode_16_64 3
		.amdhsa_fp16_overflow 0
		.amdhsa_memory_ordered 1
		.amdhsa_forward_progress 1
		.amdhsa_inst_pref_size 1
		.amdhsa_round_robin_scheduling 0
		.amdhsa_exception_fp_ieee_invalid_op 0
		.amdhsa_exception_fp_denorm_src 0
		.amdhsa_exception_fp_ieee_div_zero 0
		.amdhsa_exception_fp_ieee_overflow 0
		.amdhsa_exception_fp_ieee_underflow 0
		.amdhsa_exception_fp_ieee_inexact 0
		.amdhsa_exception_int_div_zero 0
	.end_amdhsa_kernel
	.section	.text._Z39paged_attention_ll4mi_QKV_mfma16_kernelI14__hip_bfloat16hLN4vllm18Fp8KVCacheDataTypeE1ES0_Li32ELi128ELi256ELb0ELi8EEvPKT_PKT0_S8_ifPKiSA_SA_iPKfiiiPfSD_PS3_PT2_iSC_SC_,"axG",@progbits,_Z39paged_attention_ll4mi_QKV_mfma16_kernelI14__hip_bfloat16hLN4vllm18Fp8KVCacheDataTypeE1ES0_Li32ELi128ELi256ELb0ELi8EEvPKT_PKT0_S8_ifPKiSA_SA_iPKfiiiPfSD_PS3_PT2_iSC_SC_,comdat
.Lfunc_end1397:
	.size	_Z39paged_attention_ll4mi_QKV_mfma16_kernelI14__hip_bfloat16hLN4vllm18Fp8KVCacheDataTypeE1ES0_Li32ELi128ELi256ELb0ELi8EEvPKT_PKT0_S8_ifPKiSA_SA_iPKfiiiPfSD_PS3_PT2_iSC_SC_, .Lfunc_end1397-_Z39paged_attention_ll4mi_QKV_mfma16_kernelI14__hip_bfloat16hLN4vllm18Fp8KVCacheDataTypeE1ES0_Li32ELi128ELi256ELb0ELi8EEvPKT_PKT0_S8_ifPKiSA_SA_iPKfiiiPfSD_PS3_PT2_iSC_SC_
                                        ; -- End function
	.set _Z39paged_attention_ll4mi_QKV_mfma16_kernelI14__hip_bfloat16hLN4vllm18Fp8KVCacheDataTypeE1ES0_Li32ELi128ELi256ELb0ELi8EEvPKT_PKT0_S8_ifPKiSA_SA_iPKfiiiPfSD_PS3_PT2_iSC_SC_.num_vgpr, max(3, .L__assert_fail.num_vgpr)
	.set _Z39paged_attention_ll4mi_QKV_mfma16_kernelI14__hip_bfloat16hLN4vllm18Fp8KVCacheDataTypeE1ES0_Li32ELi128ELi256ELb0ELi8EEvPKT_PKT0_S8_ifPKiSA_SA_iPKfiiiPfSD_PS3_PT2_iSC_SC_.num_agpr, max(0, .L__assert_fail.num_agpr)
	.set _Z39paged_attention_ll4mi_QKV_mfma16_kernelI14__hip_bfloat16hLN4vllm18Fp8KVCacheDataTypeE1ES0_Li32ELi128ELi256ELb0ELi8EEvPKT_PKT0_S8_ifPKiSA_SA_iPKfiiiPfSD_PS3_PT2_iSC_SC_.numbered_sgpr, max(33, .L__assert_fail.numbered_sgpr)
	.set _Z39paged_attention_ll4mi_QKV_mfma16_kernelI14__hip_bfloat16hLN4vllm18Fp8KVCacheDataTypeE1ES0_Li32ELi128ELi256ELb0ELi8EEvPKT_PKT0_S8_ifPKiSA_SA_iPKfiiiPfSD_PS3_PT2_iSC_SC_.num_named_barrier, max(0, .L__assert_fail.num_named_barrier)
	.set _Z39paged_attention_ll4mi_QKV_mfma16_kernelI14__hip_bfloat16hLN4vllm18Fp8KVCacheDataTypeE1ES0_Li32ELi128ELi256ELb0ELi8EEvPKT_PKT0_S8_ifPKiSA_SA_iPKfiiiPfSD_PS3_PT2_iSC_SC_.private_seg_size, 0+max(.L__assert_fail.private_seg_size)
	.set _Z39paged_attention_ll4mi_QKV_mfma16_kernelI14__hip_bfloat16hLN4vllm18Fp8KVCacheDataTypeE1ES0_Li32ELi128ELi256ELb0ELi8EEvPKT_PKT0_S8_ifPKiSA_SA_iPKfiiiPfSD_PS3_PT2_iSC_SC_.uses_vcc, or(1, .L__assert_fail.uses_vcc)
	.set _Z39paged_attention_ll4mi_QKV_mfma16_kernelI14__hip_bfloat16hLN4vllm18Fp8KVCacheDataTypeE1ES0_Li32ELi128ELi256ELb0ELi8EEvPKT_PKT0_S8_ifPKiSA_SA_iPKfiiiPfSD_PS3_PT2_iSC_SC_.uses_flat_scratch, or(0, .L__assert_fail.uses_flat_scratch)
	.set _Z39paged_attention_ll4mi_QKV_mfma16_kernelI14__hip_bfloat16hLN4vllm18Fp8KVCacheDataTypeE1ES0_Li32ELi128ELi256ELb0ELi8EEvPKT_PKT0_S8_ifPKiSA_SA_iPKfiiiPfSD_PS3_PT2_iSC_SC_.has_dyn_sized_stack, or(0, .L__assert_fail.has_dyn_sized_stack)
	.set _Z39paged_attention_ll4mi_QKV_mfma16_kernelI14__hip_bfloat16hLN4vllm18Fp8KVCacheDataTypeE1ES0_Li32ELi128ELi256ELb0ELi8EEvPKT_PKT0_S8_ifPKiSA_SA_iPKfiiiPfSD_PS3_PT2_iSC_SC_.has_recursion, or(0, .L__assert_fail.has_recursion)
	.set _Z39paged_attention_ll4mi_QKV_mfma16_kernelI14__hip_bfloat16hLN4vllm18Fp8KVCacheDataTypeE1ES0_Li32ELi128ELi256ELb0ELi8EEvPKT_PKT0_S8_ifPKiSA_SA_iPKfiiiPfSD_PS3_PT2_iSC_SC_.has_indirect_call, or(0, .L__assert_fail.has_indirect_call)
	.section	.AMDGPU.csdata,"",@progbits
; Kernel info:
; codeLenInByte = 68
; TotalNumSgprs: 36
; NumVgprs: 51
; ScratchSize: 64
; MemoryBound: 0
; FloatMode: 240
; IeeeMode: 1
; LDSByteSize: 0 bytes/workgroup (compile time only)
; SGPRBlocks: 0
; VGPRBlocks: 3
; NumSGPRsForWavesPerEU: 36
; NumVGPRsForWavesPerEU: 51
; NamedBarCnt: 0
; Occupancy: 16
; WaveLimiterHint : 1
; COMPUTE_PGM_RSRC2:SCRATCH_EN: 1
; COMPUTE_PGM_RSRC2:USER_SGPR: 2
; COMPUTE_PGM_RSRC2:TRAP_HANDLER: 0
; COMPUTE_PGM_RSRC2:TGID_X_EN: 1
; COMPUTE_PGM_RSRC2:TGID_Y_EN: 0
; COMPUTE_PGM_RSRC2:TGID_Z_EN: 0
; COMPUTE_PGM_RSRC2:TIDIG_COMP_CNT: 0
	.section	.text._Z39paged_attention_ll4mi_QKV_mfma16_kernelI14__hip_bfloat16hLN4vllm18Fp8KVCacheDataTypeE1ES0_Li32ELi128ELi256ELb0ELi9EEvPKT_PKT0_S8_ifPKiSA_SA_iPKfiiiPfSD_PS3_PT2_iSC_SC_,"axG",@progbits,_Z39paged_attention_ll4mi_QKV_mfma16_kernelI14__hip_bfloat16hLN4vllm18Fp8KVCacheDataTypeE1ES0_Li32ELi128ELi256ELb0ELi9EEvPKT_PKT0_S8_ifPKiSA_SA_iPKfiiiPfSD_PS3_PT2_iSC_SC_,comdat
	.protected	_Z39paged_attention_ll4mi_QKV_mfma16_kernelI14__hip_bfloat16hLN4vllm18Fp8KVCacheDataTypeE1ES0_Li32ELi128ELi256ELb0ELi9EEvPKT_PKT0_S8_ifPKiSA_SA_iPKfiiiPfSD_PS3_PT2_iSC_SC_ ; -- Begin function _Z39paged_attention_ll4mi_QKV_mfma16_kernelI14__hip_bfloat16hLN4vllm18Fp8KVCacheDataTypeE1ES0_Li32ELi128ELi256ELb0ELi9EEvPKT_PKT0_S8_ifPKiSA_SA_iPKfiiiPfSD_PS3_PT2_iSC_SC_
	.globl	_Z39paged_attention_ll4mi_QKV_mfma16_kernelI14__hip_bfloat16hLN4vllm18Fp8KVCacheDataTypeE1ES0_Li32ELi128ELi256ELb0ELi9EEvPKT_PKT0_S8_ifPKiSA_SA_iPKfiiiPfSD_PS3_PT2_iSC_SC_
	.p2align	8
	.type	_Z39paged_attention_ll4mi_QKV_mfma16_kernelI14__hip_bfloat16hLN4vllm18Fp8KVCacheDataTypeE1ES0_Li32ELi128ELi256ELb0ELi9EEvPKT_PKT0_S8_ifPKiSA_SA_iPKfiiiPfSD_PS3_PT2_iSC_SC_,@function
_Z39paged_attention_ll4mi_QKV_mfma16_kernelI14__hip_bfloat16hLN4vllm18Fp8KVCacheDataTypeE1ES0_Li32ELi128ELi256ELb0ELi9EEvPKT_PKT0_S8_ifPKiSA_SA_iPKfiiiPfSD_PS3_PT2_iSC_SC_: ; @_Z39paged_attention_ll4mi_QKV_mfma16_kernelI14__hip_bfloat16hLN4vllm18Fp8KVCacheDataTypeE1ES0_Li32ELi128ELi256ELb0ELi9EEvPKT_PKT0_S8_ifPKiSA_SA_iPKfiiiPfSD_PS3_PT2_iSC_SC_
; %bb.0:
	s_get_pc_i64 s[2:3]
	s_add_nc_u64 s[2:3], s[2:3], __PRETTY_FUNCTION__._Z39paged_attention_ll4mi_QKV_mfma16_kernelI14__hip_bfloat16hLN4vllm18Fp8KVCacheDataTypeE1ES0_Li32ELi128ELi256ELb0ELi9EEvPKT_PKT0_S8_ifPKiSA_SA_iPKfiiiPfSD_PS3_PT2_iSC_SC_@rel64+4
	s_delay_alu instid0(SALU_CYCLE_1)
	v_dual_mov_b32 v0, 0xbb3 :: v_dual_mov_b32 v1, s2
	v_mov_b32_e32 v2, s3
	s_add_nc_u64 s[8:9], s[0:1], 0x90
	s_get_pc_i64 s[0:1]
	s_add_nc_u64 s[0:1], s[0:1], __assert_fail@rel64+4
	s_mov_b32 s32, 0
	s_swap_pc_i64 s[30:31], s[0:1]
	.section	.rodata,"a",@progbits
	.p2align	6, 0x0
	.amdhsa_kernel _Z39paged_attention_ll4mi_QKV_mfma16_kernelI14__hip_bfloat16hLN4vllm18Fp8KVCacheDataTypeE1ES0_Li32ELi128ELi256ELb0ELi9EEvPKT_PKT0_S8_ifPKiSA_SA_iPKfiiiPfSD_PS3_PT2_iSC_SC_
		.amdhsa_group_segment_fixed_size 0
		.amdhsa_private_segment_fixed_size 64
		.amdhsa_kernarg_size 400
		.amdhsa_user_sgpr_count 2
		.amdhsa_user_sgpr_dispatch_ptr 0
		.amdhsa_user_sgpr_queue_ptr 0
		.amdhsa_user_sgpr_kernarg_segment_ptr 1
		.amdhsa_user_sgpr_dispatch_id 0
		.amdhsa_user_sgpr_kernarg_preload_length 0
		.amdhsa_user_sgpr_kernarg_preload_offset 0
		.amdhsa_user_sgpr_private_segment_size 0
		.amdhsa_wavefront_size32 1
		.amdhsa_uses_dynamic_stack 0
		.amdhsa_enable_private_segment 1
		.amdhsa_system_sgpr_workgroup_id_x 1
		.amdhsa_system_sgpr_workgroup_id_y 0
		.amdhsa_system_sgpr_workgroup_id_z 0
		.amdhsa_system_sgpr_workgroup_info 0
		.amdhsa_system_vgpr_workitem_id 0
		.amdhsa_next_free_vgpr 51
		.amdhsa_next_free_sgpr 34
		.amdhsa_named_barrier_count 0
		.amdhsa_reserve_vcc 1
		.amdhsa_float_round_mode_32 0
		.amdhsa_float_round_mode_16_64 0
		.amdhsa_float_denorm_mode_32 3
		.amdhsa_float_denorm_mode_16_64 3
		.amdhsa_fp16_overflow 0
		.amdhsa_memory_ordered 1
		.amdhsa_forward_progress 1
		.amdhsa_inst_pref_size 1
		.amdhsa_round_robin_scheduling 0
		.amdhsa_exception_fp_ieee_invalid_op 0
		.amdhsa_exception_fp_denorm_src 0
		.amdhsa_exception_fp_ieee_div_zero 0
		.amdhsa_exception_fp_ieee_overflow 0
		.amdhsa_exception_fp_ieee_underflow 0
		.amdhsa_exception_fp_ieee_inexact 0
		.amdhsa_exception_int_div_zero 0
	.end_amdhsa_kernel
	.section	.text._Z39paged_attention_ll4mi_QKV_mfma16_kernelI14__hip_bfloat16hLN4vllm18Fp8KVCacheDataTypeE1ES0_Li32ELi128ELi256ELb0ELi9EEvPKT_PKT0_S8_ifPKiSA_SA_iPKfiiiPfSD_PS3_PT2_iSC_SC_,"axG",@progbits,_Z39paged_attention_ll4mi_QKV_mfma16_kernelI14__hip_bfloat16hLN4vllm18Fp8KVCacheDataTypeE1ES0_Li32ELi128ELi256ELb0ELi9EEvPKT_PKT0_S8_ifPKiSA_SA_iPKfiiiPfSD_PS3_PT2_iSC_SC_,comdat
.Lfunc_end1398:
	.size	_Z39paged_attention_ll4mi_QKV_mfma16_kernelI14__hip_bfloat16hLN4vllm18Fp8KVCacheDataTypeE1ES0_Li32ELi128ELi256ELb0ELi9EEvPKT_PKT0_S8_ifPKiSA_SA_iPKfiiiPfSD_PS3_PT2_iSC_SC_, .Lfunc_end1398-_Z39paged_attention_ll4mi_QKV_mfma16_kernelI14__hip_bfloat16hLN4vllm18Fp8KVCacheDataTypeE1ES0_Li32ELi128ELi256ELb0ELi9EEvPKT_PKT0_S8_ifPKiSA_SA_iPKfiiiPfSD_PS3_PT2_iSC_SC_
                                        ; -- End function
	.set _Z39paged_attention_ll4mi_QKV_mfma16_kernelI14__hip_bfloat16hLN4vllm18Fp8KVCacheDataTypeE1ES0_Li32ELi128ELi256ELb0ELi9EEvPKT_PKT0_S8_ifPKiSA_SA_iPKfiiiPfSD_PS3_PT2_iSC_SC_.num_vgpr, max(3, .L__assert_fail.num_vgpr)
	.set _Z39paged_attention_ll4mi_QKV_mfma16_kernelI14__hip_bfloat16hLN4vllm18Fp8KVCacheDataTypeE1ES0_Li32ELi128ELi256ELb0ELi9EEvPKT_PKT0_S8_ifPKiSA_SA_iPKfiiiPfSD_PS3_PT2_iSC_SC_.num_agpr, max(0, .L__assert_fail.num_agpr)
	.set _Z39paged_attention_ll4mi_QKV_mfma16_kernelI14__hip_bfloat16hLN4vllm18Fp8KVCacheDataTypeE1ES0_Li32ELi128ELi256ELb0ELi9EEvPKT_PKT0_S8_ifPKiSA_SA_iPKfiiiPfSD_PS3_PT2_iSC_SC_.numbered_sgpr, max(33, .L__assert_fail.numbered_sgpr)
	.set _Z39paged_attention_ll4mi_QKV_mfma16_kernelI14__hip_bfloat16hLN4vllm18Fp8KVCacheDataTypeE1ES0_Li32ELi128ELi256ELb0ELi9EEvPKT_PKT0_S8_ifPKiSA_SA_iPKfiiiPfSD_PS3_PT2_iSC_SC_.num_named_barrier, max(0, .L__assert_fail.num_named_barrier)
	.set _Z39paged_attention_ll4mi_QKV_mfma16_kernelI14__hip_bfloat16hLN4vllm18Fp8KVCacheDataTypeE1ES0_Li32ELi128ELi256ELb0ELi9EEvPKT_PKT0_S8_ifPKiSA_SA_iPKfiiiPfSD_PS3_PT2_iSC_SC_.private_seg_size, 0+max(.L__assert_fail.private_seg_size)
	.set _Z39paged_attention_ll4mi_QKV_mfma16_kernelI14__hip_bfloat16hLN4vllm18Fp8KVCacheDataTypeE1ES0_Li32ELi128ELi256ELb0ELi9EEvPKT_PKT0_S8_ifPKiSA_SA_iPKfiiiPfSD_PS3_PT2_iSC_SC_.uses_vcc, or(1, .L__assert_fail.uses_vcc)
	.set _Z39paged_attention_ll4mi_QKV_mfma16_kernelI14__hip_bfloat16hLN4vllm18Fp8KVCacheDataTypeE1ES0_Li32ELi128ELi256ELb0ELi9EEvPKT_PKT0_S8_ifPKiSA_SA_iPKfiiiPfSD_PS3_PT2_iSC_SC_.uses_flat_scratch, or(0, .L__assert_fail.uses_flat_scratch)
	.set _Z39paged_attention_ll4mi_QKV_mfma16_kernelI14__hip_bfloat16hLN4vllm18Fp8KVCacheDataTypeE1ES0_Li32ELi128ELi256ELb0ELi9EEvPKT_PKT0_S8_ifPKiSA_SA_iPKfiiiPfSD_PS3_PT2_iSC_SC_.has_dyn_sized_stack, or(0, .L__assert_fail.has_dyn_sized_stack)
	.set _Z39paged_attention_ll4mi_QKV_mfma16_kernelI14__hip_bfloat16hLN4vllm18Fp8KVCacheDataTypeE1ES0_Li32ELi128ELi256ELb0ELi9EEvPKT_PKT0_S8_ifPKiSA_SA_iPKfiiiPfSD_PS3_PT2_iSC_SC_.has_recursion, or(0, .L__assert_fail.has_recursion)
	.set _Z39paged_attention_ll4mi_QKV_mfma16_kernelI14__hip_bfloat16hLN4vllm18Fp8KVCacheDataTypeE1ES0_Li32ELi128ELi256ELb0ELi9EEvPKT_PKT0_S8_ifPKiSA_SA_iPKfiiiPfSD_PS3_PT2_iSC_SC_.has_indirect_call, or(0, .L__assert_fail.has_indirect_call)
	.section	.AMDGPU.csdata,"",@progbits
; Kernel info:
; codeLenInByte = 68
; TotalNumSgprs: 36
; NumVgprs: 51
; ScratchSize: 64
; MemoryBound: 0
; FloatMode: 240
; IeeeMode: 1
; LDSByteSize: 0 bytes/workgroup (compile time only)
; SGPRBlocks: 0
; VGPRBlocks: 3
; NumSGPRsForWavesPerEU: 36
; NumVGPRsForWavesPerEU: 51
; NamedBarCnt: 0
; Occupancy: 16
; WaveLimiterHint : 1
; COMPUTE_PGM_RSRC2:SCRATCH_EN: 1
; COMPUTE_PGM_RSRC2:USER_SGPR: 2
; COMPUTE_PGM_RSRC2:TRAP_HANDLER: 0
; COMPUTE_PGM_RSRC2:TGID_X_EN: 1
; COMPUTE_PGM_RSRC2:TGID_Y_EN: 0
; COMPUTE_PGM_RSRC2:TGID_Z_EN: 0
; COMPUTE_PGM_RSRC2:TIDIG_COMP_CNT: 0
	.section	.text._Z39paged_attention_ll4mi_QKV_mfma16_kernelI14__hip_bfloat16hLN4vllm18Fp8KVCacheDataTypeE1ES0_Li32ELi128ELi256ELb0ELi10EEvPKT_PKT0_S8_ifPKiSA_SA_iPKfiiiPfSD_PS3_PT2_iSC_SC_,"axG",@progbits,_Z39paged_attention_ll4mi_QKV_mfma16_kernelI14__hip_bfloat16hLN4vllm18Fp8KVCacheDataTypeE1ES0_Li32ELi128ELi256ELb0ELi10EEvPKT_PKT0_S8_ifPKiSA_SA_iPKfiiiPfSD_PS3_PT2_iSC_SC_,comdat
	.protected	_Z39paged_attention_ll4mi_QKV_mfma16_kernelI14__hip_bfloat16hLN4vllm18Fp8KVCacheDataTypeE1ES0_Li32ELi128ELi256ELb0ELi10EEvPKT_PKT0_S8_ifPKiSA_SA_iPKfiiiPfSD_PS3_PT2_iSC_SC_ ; -- Begin function _Z39paged_attention_ll4mi_QKV_mfma16_kernelI14__hip_bfloat16hLN4vllm18Fp8KVCacheDataTypeE1ES0_Li32ELi128ELi256ELb0ELi10EEvPKT_PKT0_S8_ifPKiSA_SA_iPKfiiiPfSD_PS3_PT2_iSC_SC_
	.globl	_Z39paged_attention_ll4mi_QKV_mfma16_kernelI14__hip_bfloat16hLN4vllm18Fp8KVCacheDataTypeE1ES0_Li32ELi128ELi256ELb0ELi10EEvPKT_PKT0_S8_ifPKiSA_SA_iPKfiiiPfSD_PS3_PT2_iSC_SC_
	.p2align	8
	.type	_Z39paged_attention_ll4mi_QKV_mfma16_kernelI14__hip_bfloat16hLN4vllm18Fp8KVCacheDataTypeE1ES0_Li32ELi128ELi256ELb0ELi10EEvPKT_PKT0_S8_ifPKiSA_SA_iPKfiiiPfSD_PS3_PT2_iSC_SC_,@function
_Z39paged_attention_ll4mi_QKV_mfma16_kernelI14__hip_bfloat16hLN4vllm18Fp8KVCacheDataTypeE1ES0_Li32ELi128ELi256ELb0ELi10EEvPKT_PKT0_S8_ifPKiSA_SA_iPKfiiiPfSD_PS3_PT2_iSC_SC_: ; @_Z39paged_attention_ll4mi_QKV_mfma16_kernelI14__hip_bfloat16hLN4vllm18Fp8KVCacheDataTypeE1ES0_Li32ELi128ELi256ELb0ELi10EEvPKT_PKT0_S8_ifPKiSA_SA_iPKfiiiPfSD_PS3_PT2_iSC_SC_
; %bb.0:
	s_get_pc_i64 s[2:3]
	s_add_nc_u64 s[2:3], s[2:3], __PRETTY_FUNCTION__._Z39paged_attention_ll4mi_QKV_mfma16_kernelI14__hip_bfloat16hLN4vllm18Fp8KVCacheDataTypeE1ES0_Li32ELi128ELi256ELb0ELi10EEvPKT_PKT0_S8_ifPKiSA_SA_iPKfiiiPfSD_PS3_PT2_iSC_SC_@rel64+4
	s_delay_alu instid0(SALU_CYCLE_1)
	v_dual_mov_b32 v0, 0xbb3 :: v_dual_mov_b32 v1, s2
	v_mov_b32_e32 v2, s3
	s_add_nc_u64 s[8:9], s[0:1], 0x90
	s_get_pc_i64 s[0:1]
	s_add_nc_u64 s[0:1], s[0:1], __assert_fail@rel64+4
	s_mov_b32 s32, 0
	s_swap_pc_i64 s[30:31], s[0:1]
	.section	.rodata,"a",@progbits
	.p2align	6, 0x0
	.amdhsa_kernel _Z39paged_attention_ll4mi_QKV_mfma16_kernelI14__hip_bfloat16hLN4vllm18Fp8KVCacheDataTypeE1ES0_Li32ELi128ELi256ELb0ELi10EEvPKT_PKT0_S8_ifPKiSA_SA_iPKfiiiPfSD_PS3_PT2_iSC_SC_
		.amdhsa_group_segment_fixed_size 0
		.amdhsa_private_segment_fixed_size 64
		.amdhsa_kernarg_size 400
		.amdhsa_user_sgpr_count 2
		.amdhsa_user_sgpr_dispatch_ptr 0
		.amdhsa_user_sgpr_queue_ptr 0
		.amdhsa_user_sgpr_kernarg_segment_ptr 1
		.amdhsa_user_sgpr_dispatch_id 0
		.amdhsa_user_sgpr_kernarg_preload_length 0
		.amdhsa_user_sgpr_kernarg_preload_offset 0
		.amdhsa_user_sgpr_private_segment_size 0
		.amdhsa_wavefront_size32 1
		.amdhsa_uses_dynamic_stack 0
		.amdhsa_enable_private_segment 1
		.amdhsa_system_sgpr_workgroup_id_x 1
		.amdhsa_system_sgpr_workgroup_id_y 0
		.amdhsa_system_sgpr_workgroup_id_z 0
		.amdhsa_system_sgpr_workgroup_info 0
		.amdhsa_system_vgpr_workitem_id 0
		.amdhsa_next_free_vgpr 51
		.amdhsa_next_free_sgpr 34
		.amdhsa_named_barrier_count 0
		.amdhsa_reserve_vcc 1
		.amdhsa_float_round_mode_32 0
		.amdhsa_float_round_mode_16_64 0
		.amdhsa_float_denorm_mode_32 3
		.amdhsa_float_denorm_mode_16_64 3
		.amdhsa_fp16_overflow 0
		.amdhsa_memory_ordered 1
		.amdhsa_forward_progress 1
		.amdhsa_inst_pref_size 1
		.amdhsa_round_robin_scheduling 0
		.amdhsa_exception_fp_ieee_invalid_op 0
		.amdhsa_exception_fp_denorm_src 0
		.amdhsa_exception_fp_ieee_div_zero 0
		.amdhsa_exception_fp_ieee_overflow 0
		.amdhsa_exception_fp_ieee_underflow 0
		.amdhsa_exception_fp_ieee_inexact 0
		.amdhsa_exception_int_div_zero 0
	.end_amdhsa_kernel
	.section	.text._Z39paged_attention_ll4mi_QKV_mfma16_kernelI14__hip_bfloat16hLN4vllm18Fp8KVCacheDataTypeE1ES0_Li32ELi128ELi256ELb0ELi10EEvPKT_PKT0_S8_ifPKiSA_SA_iPKfiiiPfSD_PS3_PT2_iSC_SC_,"axG",@progbits,_Z39paged_attention_ll4mi_QKV_mfma16_kernelI14__hip_bfloat16hLN4vllm18Fp8KVCacheDataTypeE1ES0_Li32ELi128ELi256ELb0ELi10EEvPKT_PKT0_S8_ifPKiSA_SA_iPKfiiiPfSD_PS3_PT2_iSC_SC_,comdat
.Lfunc_end1399:
	.size	_Z39paged_attention_ll4mi_QKV_mfma16_kernelI14__hip_bfloat16hLN4vllm18Fp8KVCacheDataTypeE1ES0_Li32ELi128ELi256ELb0ELi10EEvPKT_PKT0_S8_ifPKiSA_SA_iPKfiiiPfSD_PS3_PT2_iSC_SC_, .Lfunc_end1399-_Z39paged_attention_ll4mi_QKV_mfma16_kernelI14__hip_bfloat16hLN4vllm18Fp8KVCacheDataTypeE1ES0_Li32ELi128ELi256ELb0ELi10EEvPKT_PKT0_S8_ifPKiSA_SA_iPKfiiiPfSD_PS3_PT2_iSC_SC_
                                        ; -- End function
	.set _Z39paged_attention_ll4mi_QKV_mfma16_kernelI14__hip_bfloat16hLN4vllm18Fp8KVCacheDataTypeE1ES0_Li32ELi128ELi256ELb0ELi10EEvPKT_PKT0_S8_ifPKiSA_SA_iPKfiiiPfSD_PS3_PT2_iSC_SC_.num_vgpr, max(3, .L__assert_fail.num_vgpr)
	.set _Z39paged_attention_ll4mi_QKV_mfma16_kernelI14__hip_bfloat16hLN4vllm18Fp8KVCacheDataTypeE1ES0_Li32ELi128ELi256ELb0ELi10EEvPKT_PKT0_S8_ifPKiSA_SA_iPKfiiiPfSD_PS3_PT2_iSC_SC_.num_agpr, max(0, .L__assert_fail.num_agpr)
	.set _Z39paged_attention_ll4mi_QKV_mfma16_kernelI14__hip_bfloat16hLN4vllm18Fp8KVCacheDataTypeE1ES0_Li32ELi128ELi256ELb0ELi10EEvPKT_PKT0_S8_ifPKiSA_SA_iPKfiiiPfSD_PS3_PT2_iSC_SC_.numbered_sgpr, max(33, .L__assert_fail.numbered_sgpr)
	.set _Z39paged_attention_ll4mi_QKV_mfma16_kernelI14__hip_bfloat16hLN4vllm18Fp8KVCacheDataTypeE1ES0_Li32ELi128ELi256ELb0ELi10EEvPKT_PKT0_S8_ifPKiSA_SA_iPKfiiiPfSD_PS3_PT2_iSC_SC_.num_named_barrier, max(0, .L__assert_fail.num_named_barrier)
	.set _Z39paged_attention_ll4mi_QKV_mfma16_kernelI14__hip_bfloat16hLN4vllm18Fp8KVCacheDataTypeE1ES0_Li32ELi128ELi256ELb0ELi10EEvPKT_PKT0_S8_ifPKiSA_SA_iPKfiiiPfSD_PS3_PT2_iSC_SC_.private_seg_size, 0+max(.L__assert_fail.private_seg_size)
	.set _Z39paged_attention_ll4mi_QKV_mfma16_kernelI14__hip_bfloat16hLN4vllm18Fp8KVCacheDataTypeE1ES0_Li32ELi128ELi256ELb0ELi10EEvPKT_PKT0_S8_ifPKiSA_SA_iPKfiiiPfSD_PS3_PT2_iSC_SC_.uses_vcc, or(1, .L__assert_fail.uses_vcc)
	.set _Z39paged_attention_ll4mi_QKV_mfma16_kernelI14__hip_bfloat16hLN4vllm18Fp8KVCacheDataTypeE1ES0_Li32ELi128ELi256ELb0ELi10EEvPKT_PKT0_S8_ifPKiSA_SA_iPKfiiiPfSD_PS3_PT2_iSC_SC_.uses_flat_scratch, or(0, .L__assert_fail.uses_flat_scratch)
	.set _Z39paged_attention_ll4mi_QKV_mfma16_kernelI14__hip_bfloat16hLN4vllm18Fp8KVCacheDataTypeE1ES0_Li32ELi128ELi256ELb0ELi10EEvPKT_PKT0_S8_ifPKiSA_SA_iPKfiiiPfSD_PS3_PT2_iSC_SC_.has_dyn_sized_stack, or(0, .L__assert_fail.has_dyn_sized_stack)
	.set _Z39paged_attention_ll4mi_QKV_mfma16_kernelI14__hip_bfloat16hLN4vllm18Fp8KVCacheDataTypeE1ES0_Li32ELi128ELi256ELb0ELi10EEvPKT_PKT0_S8_ifPKiSA_SA_iPKfiiiPfSD_PS3_PT2_iSC_SC_.has_recursion, or(0, .L__assert_fail.has_recursion)
	.set _Z39paged_attention_ll4mi_QKV_mfma16_kernelI14__hip_bfloat16hLN4vllm18Fp8KVCacheDataTypeE1ES0_Li32ELi128ELi256ELb0ELi10EEvPKT_PKT0_S8_ifPKiSA_SA_iPKfiiiPfSD_PS3_PT2_iSC_SC_.has_indirect_call, or(0, .L__assert_fail.has_indirect_call)
	.section	.AMDGPU.csdata,"",@progbits
; Kernel info:
; codeLenInByte = 68
; TotalNumSgprs: 36
; NumVgprs: 51
; ScratchSize: 64
; MemoryBound: 0
; FloatMode: 240
; IeeeMode: 1
; LDSByteSize: 0 bytes/workgroup (compile time only)
; SGPRBlocks: 0
; VGPRBlocks: 3
; NumSGPRsForWavesPerEU: 36
; NumVGPRsForWavesPerEU: 51
; NamedBarCnt: 0
; Occupancy: 16
; WaveLimiterHint : 1
; COMPUTE_PGM_RSRC2:SCRATCH_EN: 1
; COMPUTE_PGM_RSRC2:USER_SGPR: 2
; COMPUTE_PGM_RSRC2:TRAP_HANDLER: 0
; COMPUTE_PGM_RSRC2:TGID_X_EN: 1
; COMPUTE_PGM_RSRC2:TGID_Y_EN: 0
; COMPUTE_PGM_RSRC2:TGID_Z_EN: 0
; COMPUTE_PGM_RSRC2:TIDIG_COMP_CNT: 0
	.section	.text._Z39paged_attention_ll4mi_QKV_mfma16_kernelI14__hip_bfloat16hLN4vllm18Fp8KVCacheDataTypeE1ES0_Li32ELi128ELi256ELb0ELi11EEvPKT_PKT0_S8_ifPKiSA_SA_iPKfiiiPfSD_PS3_PT2_iSC_SC_,"axG",@progbits,_Z39paged_attention_ll4mi_QKV_mfma16_kernelI14__hip_bfloat16hLN4vllm18Fp8KVCacheDataTypeE1ES0_Li32ELi128ELi256ELb0ELi11EEvPKT_PKT0_S8_ifPKiSA_SA_iPKfiiiPfSD_PS3_PT2_iSC_SC_,comdat
	.protected	_Z39paged_attention_ll4mi_QKV_mfma16_kernelI14__hip_bfloat16hLN4vllm18Fp8KVCacheDataTypeE1ES0_Li32ELi128ELi256ELb0ELi11EEvPKT_PKT0_S8_ifPKiSA_SA_iPKfiiiPfSD_PS3_PT2_iSC_SC_ ; -- Begin function _Z39paged_attention_ll4mi_QKV_mfma16_kernelI14__hip_bfloat16hLN4vllm18Fp8KVCacheDataTypeE1ES0_Li32ELi128ELi256ELb0ELi11EEvPKT_PKT0_S8_ifPKiSA_SA_iPKfiiiPfSD_PS3_PT2_iSC_SC_
	.globl	_Z39paged_attention_ll4mi_QKV_mfma16_kernelI14__hip_bfloat16hLN4vllm18Fp8KVCacheDataTypeE1ES0_Li32ELi128ELi256ELb0ELi11EEvPKT_PKT0_S8_ifPKiSA_SA_iPKfiiiPfSD_PS3_PT2_iSC_SC_
	.p2align	8
	.type	_Z39paged_attention_ll4mi_QKV_mfma16_kernelI14__hip_bfloat16hLN4vllm18Fp8KVCacheDataTypeE1ES0_Li32ELi128ELi256ELb0ELi11EEvPKT_PKT0_S8_ifPKiSA_SA_iPKfiiiPfSD_PS3_PT2_iSC_SC_,@function
_Z39paged_attention_ll4mi_QKV_mfma16_kernelI14__hip_bfloat16hLN4vllm18Fp8KVCacheDataTypeE1ES0_Li32ELi128ELi256ELb0ELi11EEvPKT_PKT0_S8_ifPKiSA_SA_iPKfiiiPfSD_PS3_PT2_iSC_SC_: ; @_Z39paged_attention_ll4mi_QKV_mfma16_kernelI14__hip_bfloat16hLN4vllm18Fp8KVCacheDataTypeE1ES0_Li32ELi128ELi256ELb0ELi11EEvPKT_PKT0_S8_ifPKiSA_SA_iPKfiiiPfSD_PS3_PT2_iSC_SC_
; %bb.0:
	s_get_pc_i64 s[2:3]
	s_add_nc_u64 s[2:3], s[2:3], __PRETTY_FUNCTION__._Z39paged_attention_ll4mi_QKV_mfma16_kernelI14__hip_bfloat16hLN4vllm18Fp8KVCacheDataTypeE1ES0_Li32ELi128ELi256ELb0ELi11EEvPKT_PKT0_S8_ifPKiSA_SA_iPKfiiiPfSD_PS3_PT2_iSC_SC_@rel64+4
	s_delay_alu instid0(SALU_CYCLE_1)
	v_dual_mov_b32 v0, 0xbb3 :: v_dual_mov_b32 v1, s2
	v_mov_b32_e32 v2, s3
	s_add_nc_u64 s[8:9], s[0:1], 0x90
	s_get_pc_i64 s[0:1]
	s_add_nc_u64 s[0:1], s[0:1], __assert_fail@rel64+4
	s_mov_b32 s32, 0
	s_swap_pc_i64 s[30:31], s[0:1]
	.section	.rodata,"a",@progbits
	.p2align	6, 0x0
	.amdhsa_kernel _Z39paged_attention_ll4mi_QKV_mfma16_kernelI14__hip_bfloat16hLN4vllm18Fp8KVCacheDataTypeE1ES0_Li32ELi128ELi256ELb0ELi11EEvPKT_PKT0_S8_ifPKiSA_SA_iPKfiiiPfSD_PS3_PT2_iSC_SC_
		.amdhsa_group_segment_fixed_size 0
		.amdhsa_private_segment_fixed_size 64
		.amdhsa_kernarg_size 400
		.amdhsa_user_sgpr_count 2
		.amdhsa_user_sgpr_dispatch_ptr 0
		.amdhsa_user_sgpr_queue_ptr 0
		.amdhsa_user_sgpr_kernarg_segment_ptr 1
		.amdhsa_user_sgpr_dispatch_id 0
		.amdhsa_user_sgpr_kernarg_preload_length 0
		.amdhsa_user_sgpr_kernarg_preload_offset 0
		.amdhsa_user_sgpr_private_segment_size 0
		.amdhsa_wavefront_size32 1
		.amdhsa_uses_dynamic_stack 0
		.amdhsa_enable_private_segment 1
		.amdhsa_system_sgpr_workgroup_id_x 1
		.amdhsa_system_sgpr_workgroup_id_y 0
		.amdhsa_system_sgpr_workgroup_id_z 0
		.amdhsa_system_sgpr_workgroup_info 0
		.amdhsa_system_vgpr_workitem_id 0
		.amdhsa_next_free_vgpr 51
		.amdhsa_next_free_sgpr 34
		.amdhsa_named_barrier_count 0
		.amdhsa_reserve_vcc 1
		.amdhsa_float_round_mode_32 0
		.amdhsa_float_round_mode_16_64 0
		.amdhsa_float_denorm_mode_32 3
		.amdhsa_float_denorm_mode_16_64 3
		.amdhsa_fp16_overflow 0
		.amdhsa_memory_ordered 1
		.amdhsa_forward_progress 1
		.amdhsa_inst_pref_size 1
		.amdhsa_round_robin_scheduling 0
		.amdhsa_exception_fp_ieee_invalid_op 0
		.amdhsa_exception_fp_denorm_src 0
		.amdhsa_exception_fp_ieee_div_zero 0
		.amdhsa_exception_fp_ieee_overflow 0
		.amdhsa_exception_fp_ieee_underflow 0
		.amdhsa_exception_fp_ieee_inexact 0
		.amdhsa_exception_int_div_zero 0
	.end_amdhsa_kernel
	.section	.text._Z39paged_attention_ll4mi_QKV_mfma16_kernelI14__hip_bfloat16hLN4vllm18Fp8KVCacheDataTypeE1ES0_Li32ELi128ELi256ELb0ELi11EEvPKT_PKT0_S8_ifPKiSA_SA_iPKfiiiPfSD_PS3_PT2_iSC_SC_,"axG",@progbits,_Z39paged_attention_ll4mi_QKV_mfma16_kernelI14__hip_bfloat16hLN4vllm18Fp8KVCacheDataTypeE1ES0_Li32ELi128ELi256ELb0ELi11EEvPKT_PKT0_S8_ifPKiSA_SA_iPKfiiiPfSD_PS3_PT2_iSC_SC_,comdat
.Lfunc_end1400:
	.size	_Z39paged_attention_ll4mi_QKV_mfma16_kernelI14__hip_bfloat16hLN4vllm18Fp8KVCacheDataTypeE1ES0_Li32ELi128ELi256ELb0ELi11EEvPKT_PKT0_S8_ifPKiSA_SA_iPKfiiiPfSD_PS3_PT2_iSC_SC_, .Lfunc_end1400-_Z39paged_attention_ll4mi_QKV_mfma16_kernelI14__hip_bfloat16hLN4vllm18Fp8KVCacheDataTypeE1ES0_Li32ELi128ELi256ELb0ELi11EEvPKT_PKT0_S8_ifPKiSA_SA_iPKfiiiPfSD_PS3_PT2_iSC_SC_
                                        ; -- End function
	.set _Z39paged_attention_ll4mi_QKV_mfma16_kernelI14__hip_bfloat16hLN4vllm18Fp8KVCacheDataTypeE1ES0_Li32ELi128ELi256ELb0ELi11EEvPKT_PKT0_S8_ifPKiSA_SA_iPKfiiiPfSD_PS3_PT2_iSC_SC_.num_vgpr, max(3, .L__assert_fail.num_vgpr)
	.set _Z39paged_attention_ll4mi_QKV_mfma16_kernelI14__hip_bfloat16hLN4vllm18Fp8KVCacheDataTypeE1ES0_Li32ELi128ELi256ELb0ELi11EEvPKT_PKT0_S8_ifPKiSA_SA_iPKfiiiPfSD_PS3_PT2_iSC_SC_.num_agpr, max(0, .L__assert_fail.num_agpr)
	.set _Z39paged_attention_ll4mi_QKV_mfma16_kernelI14__hip_bfloat16hLN4vllm18Fp8KVCacheDataTypeE1ES0_Li32ELi128ELi256ELb0ELi11EEvPKT_PKT0_S8_ifPKiSA_SA_iPKfiiiPfSD_PS3_PT2_iSC_SC_.numbered_sgpr, max(33, .L__assert_fail.numbered_sgpr)
	.set _Z39paged_attention_ll4mi_QKV_mfma16_kernelI14__hip_bfloat16hLN4vllm18Fp8KVCacheDataTypeE1ES0_Li32ELi128ELi256ELb0ELi11EEvPKT_PKT0_S8_ifPKiSA_SA_iPKfiiiPfSD_PS3_PT2_iSC_SC_.num_named_barrier, max(0, .L__assert_fail.num_named_barrier)
	.set _Z39paged_attention_ll4mi_QKV_mfma16_kernelI14__hip_bfloat16hLN4vllm18Fp8KVCacheDataTypeE1ES0_Li32ELi128ELi256ELb0ELi11EEvPKT_PKT0_S8_ifPKiSA_SA_iPKfiiiPfSD_PS3_PT2_iSC_SC_.private_seg_size, 0+max(.L__assert_fail.private_seg_size)
	.set _Z39paged_attention_ll4mi_QKV_mfma16_kernelI14__hip_bfloat16hLN4vllm18Fp8KVCacheDataTypeE1ES0_Li32ELi128ELi256ELb0ELi11EEvPKT_PKT0_S8_ifPKiSA_SA_iPKfiiiPfSD_PS3_PT2_iSC_SC_.uses_vcc, or(1, .L__assert_fail.uses_vcc)
	.set _Z39paged_attention_ll4mi_QKV_mfma16_kernelI14__hip_bfloat16hLN4vllm18Fp8KVCacheDataTypeE1ES0_Li32ELi128ELi256ELb0ELi11EEvPKT_PKT0_S8_ifPKiSA_SA_iPKfiiiPfSD_PS3_PT2_iSC_SC_.uses_flat_scratch, or(0, .L__assert_fail.uses_flat_scratch)
	.set _Z39paged_attention_ll4mi_QKV_mfma16_kernelI14__hip_bfloat16hLN4vllm18Fp8KVCacheDataTypeE1ES0_Li32ELi128ELi256ELb0ELi11EEvPKT_PKT0_S8_ifPKiSA_SA_iPKfiiiPfSD_PS3_PT2_iSC_SC_.has_dyn_sized_stack, or(0, .L__assert_fail.has_dyn_sized_stack)
	.set _Z39paged_attention_ll4mi_QKV_mfma16_kernelI14__hip_bfloat16hLN4vllm18Fp8KVCacheDataTypeE1ES0_Li32ELi128ELi256ELb0ELi11EEvPKT_PKT0_S8_ifPKiSA_SA_iPKfiiiPfSD_PS3_PT2_iSC_SC_.has_recursion, or(0, .L__assert_fail.has_recursion)
	.set _Z39paged_attention_ll4mi_QKV_mfma16_kernelI14__hip_bfloat16hLN4vllm18Fp8KVCacheDataTypeE1ES0_Li32ELi128ELi256ELb0ELi11EEvPKT_PKT0_S8_ifPKiSA_SA_iPKfiiiPfSD_PS3_PT2_iSC_SC_.has_indirect_call, or(0, .L__assert_fail.has_indirect_call)
	.section	.AMDGPU.csdata,"",@progbits
; Kernel info:
; codeLenInByte = 68
; TotalNumSgprs: 36
; NumVgprs: 51
; ScratchSize: 64
; MemoryBound: 0
; FloatMode: 240
; IeeeMode: 1
; LDSByteSize: 0 bytes/workgroup (compile time only)
; SGPRBlocks: 0
; VGPRBlocks: 3
; NumSGPRsForWavesPerEU: 36
; NumVGPRsForWavesPerEU: 51
; NamedBarCnt: 0
; Occupancy: 16
; WaveLimiterHint : 1
; COMPUTE_PGM_RSRC2:SCRATCH_EN: 1
; COMPUTE_PGM_RSRC2:USER_SGPR: 2
; COMPUTE_PGM_RSRC2:TRAP_HANDLER: 0
; COMPUTE_PGM_RSRC2:TGID_X_EN: 1
; COMPUTE_PGM_RSRC2:TGID_Y_EN: 0
; COMPUTE_PGM_RSRC2:TGID_Z_EN: 0
; COMPUTE_PGM_RSRC2:TIDIG_COMP_CNT: 0
	.section	.text._Z39paged_attention_ll4mi_QKV_mfma16_kernelI14__hip_bfloat16hLN4vllm18Fp8KVCacheDataTypeE1ES0_Li32ELi128ELi256ELb0ELi12EEvPKT_PKT0_S8_ifPKiSA_SA_iPKfiiiPfSD_PS3_PT2_iSC_SC_,"axG",@progbits,_Z39paged_attention_ll4mi_QKV_mfma16_kernelI14__hip_bfloat16hLN4vllm18Fp8KVCacheDataTypeE1ES0_Li32ELi128ELi256ELb0ELi12EEvPKT_PKT0_S8_ifPKiSA_SA_iPKfiiiPfSD_PS3_PT2_iSC_SC_,comdat
	.protected	_Z39paged_attention_ll4mi_QKV_mfma16_kernelI14__hip_bfloat16hLN4vllm18Fp8KVCacheDataTypeE1ES0_Li32ELi128ELi256ELb0ELi12EEvPKT_PKT0_S8_ifPKiSA_SA_iPKfiiiPfSD_PS3_PT2_iSC_SC_ ; -- Begin function _Z39paged_attention_ll4mi_QKV_mfma16_kernelI14__hip_bfloat16hLN4vllm18Fp8KVCacheDataTypeE1ES0_Li32ELi128ELi256ELb0ELi12EEvPKT_PKT0_S8_ifPKiSA_SA_iPKfiiiPfSD_PS3_PT2_iSC_SC_
	.globl	_Z39paged_attention_ll4mi_QKV_mfma16_kernelI14__hip_bfloat16hLN4vllm18Fp8KVCacheDataTypeE1ES0_Li32ELi128ELi256ELb0ELi12EEvPKT_PKT0_S8_ifPKiSA_SA_iPKfiiiPfSD_PS3_PT2_iSC_SC_
	.p2align	8
	.type	_Z39paged_attention_ll4mi_QKV_mfma16_kernelI14__hip_bfloat16hLN4vllm18Fp8KVCacheDataTypeE1ES0_Li32ELi128ELi256ELb0ELi12EEvPKT_PKT0_S8_ifPKiSA_SA_iPKfiiiPfSD_PS3_PT2_iSC_SC_,@function
_Z39paged_attention_ll4mi_QKV_mfma16_kernelI14__hip_bfloat16hLN4vllm18Fp8KVCacheDataTypeE1ES0_Li32ELi128ELi256ELb0ELi12EEvPKT_PKT0_S8_ifPKiSA_SA_iPKfiiiPfSD_PS3_PT2_iSC_SC_: ; @_Z39paged_attention_ll4mi_QKV_mfma16_kernelI14__hip_bfloat16hLN4vllm18Fp8KVCacheDataTypeE1ES0_Li32ELi128ELi256ELb0ELi12EEvPKT_PKT0_S8_ifPKiSA_SA_iPKfiiiPfSD_PS3_PT2_iSC_SC_
; %bb.0:
	s_get_pc_i64 s[2:3]
	s_add_nc_u64 s[2:3], s[2:3], __PRETTY_FUNCTION__._Z39paged_attention_ll4mi_QKV_mfma16_kernelI14__hip_bfloat16hLN4vllm18Fp8KVCacheDataTypeE1ES0_Li32ELi128ELi256ELb0ELi12EEvPKT_PKT0_S8_ifPKiSA_SA_iPKfiiiPfSD_PS3_PT2_iSC_SC_@rel64+4
	s_delay_alu instid0(SALU_CYCLE_1)
	v_dual_mov_b32 v0, 0xbb3 :: v_dual_mov_b32 v1, s2
	v_mov_b32_e32 v2, s3
	s_add_nc_u64 s[8:9], s[0:1], 0x90
	s_get_pc_i64 s[0:1]
	s_add_nc_u64 s[0:1], s[0:1], __assert_fail@rel64+4
	s_mov_b32 s32, 0
	s_swap_pc_i64 s[30:31], s[0:1]
	.section	.rodata,"a",@progbits
	.p2align	6, 0x0
	.amdhsa_kernel _Z39paged_attention_ll4mi_QKV_mfma16_kernelI14__hip_bfloat16hLN4vllm18Fp8KVCacheDataTypeE1ES0_Li32ELi128ELi256ELb0ELi12EEvPKT_PKT0_S8_ifPKiSA_SA_iPKfiiiPfSD_PS3_PT2_iSC_SC_
		.amdhsa_group_segment_fixed_size 0
		.amdhsa_private_segment_fixed_size 64
		.amdhsa_kernarg_size 400
		.amdhsa_user_sgpr_count 2
		.amdhsa_user_sgpr_dispatch_ptr 0
		.amdhsa_user_sgpr_queue_ptr 0
		.amdhsa_user_sgpr_kernarg_segment_ptr 1
		.amdhsa_user_sgpr_dispatch_id 0
		.amdhsa_user_sgpr_kernarg_preload_length 0
		.amdhsa_user_sgpr_kernarg_preload_offset 0
		.amdhsa_user_sgpr_private_segment_size 0
		.amdhsa_wavefront_size32 1
		.amdhsa_uses_dynamic_stack 0
		.amdhsa_enable_private_segment 1
		.amdhsa_system_sgpr_workgroup_id_x 1
		.amdhsa_system_sgpr_workgroup_id_y 0
		.amdhsa_system_sgpr_workgroup_id_z 0
		.amdhsa_system_sgpr_workgroup_info 0
		.amdhsa_system_vgpr_workitem_id 0
		.amdhsa_next_free_vgpr 51
		.amdhsa_next_free_sgpr 34
		.amdhsa_named_barrier_count 0
		.amdhsa_reserve_vcc 1
		.amdhsa_float_round_mode_32 0
		.amdhsa_float_round_mode_16_64 0
		.amdhsa_float_denorm_mode_32 3
		.amdhsa_float_denorm_mode_16_64 3
		.amdhsa_fp16_overflow 0
		.amdhsa_memory_ordered 1
		.amdhsa_forward_progress 1
		.amdhsa_inst_pref_size 1
		.amdhsa_round_robin_scheduling 0
		.amdhsa_exception_fp_ieee_invalid_op 0
		.amdhsa_exception_fp_denorm_src 0
		.amdhsa_exception_fp_ieee_div_zero 0
		.amdhsa_exception_fp_ieee_overflow 0
		.amdhsa_exception_fp_ieee_underflow 0
		.amdhsa_exception_fp_ieee_inexact 0
		.amdhsa_exception_int_div_zero 0
	.end_amdhsa_kernel
	.section	.text._Z39paged_attention_ll4mi_QKV_mfma16_kernelI14__hip_bfloat16hLN4vllm18Fp8KVCacheDataTypeE1ES0_Li32ELi128ELi256ELb0ELi12EEvPKT_PKT0_S8_ifPKiSA_SA_iPKfiiiPfSD_PS3_PT2_iSC_SC_,"axG",@progbits,_Z39paged_attention_ll4mi_QKV_mfma16_kernelI14__hip_bfloat16hLN4vllm18Fp8KVCacheDataTypeE1ES0_Li32ELi128ELi256ELb0ELi12EEvPKT_PKT0_S8_ifPKiSA_SA_iPKfiiiPfSD_PS3_PT2_iSC_SC_,comdat
.Lfunc_end1401:
	.size	_Z39paged_attention_ll4mi_QKV_mfma16_kernelI14__hip_bfloat16hLN4vllm18Fp8KVCacheDataTypeE1ES0_Li32ELi128ELi256ELb0ELi12EEvPKT_PKT0_S8_ifPKiSA_SA_iPKfiiiPfSD_PS3_PT2_iSC_SC_, .Lfunc_end1401-_Z39paged_attention_ll4mi_QKV_mfma16_kernelI14__hip_bfloat16hLN4vllm18Fp8KVCacheDataTypeE1ES0_Li32ELi128ELi256ELb0ELi12EEvPKT_PKT0_S8_ifPKiSA_SA_iPKfiiiPfSD_PS3_PT2_iSC_SC_
                                        ; -- End function
	.set _Z39paged_attention_ll4mi_QKV_mfma16_kernelI14__hip_bfloat16hLN4vllm18Fp8KVCacheDataTypeE1ES0_Li32ELi128ELi256ELb0ELi12EEvPKT_PKT0_S8_ifPKiSA_SA_iPKfiiiPfSD_PS3_PT2_iSC_SC_.num_vgpr, max(3, .L__assert_fail.num_vgpr)
	.set _Z39paged_attention_ll4mi_QKV_mfma16_kernelI14__hip_bfloat16hLN4vllm18Fp8KVCacheDataTypeE1ES0_Li32ELi128ELi256ELb0ELi12EEvPKT_PKT0_S8_ifPKiSA_SA_iPKfiiiPfSD_PS3_PT2_iSC_SC_.num_agpr, max(0, .L__assert_fail.num_agpr)
	.set _Z39paged_attention_ll4mi_QKV_mfma16_kernelI14__hip_bfloat16hLN4vllm18Fp8KVCacheDataTypeE1ES0_Li32ELi128ELi256ELb0ELi12EEvPKT_PKT0_S8_ifPKiSA_SA_iPKfiiiPfSD_PS3_PT2_iSC_SC_.numbered_sgpr, max(33, .L__assert_fail.numbered_sgpr)
	.set _Z39paged_attention_ll4mi_QKV_mfma16_kernelI14__hip_bfloat16hLN4vllm18Fp8KVCacheDataTypeE1ES0_Li32ELi128ELi256ELb0ELi12EEvPKT_PKT0_S8_ifPKiSA_SA_iPKfiiiPfSD_PS3_PT2_iSC_SC_.num_named_barrier, max(0, .L__assert_fail.num_named_barrier)
	.set _Z39paged_attention_ll4mi_QKV_mfma16_kernelI14__hip_bfloat16hLN4vllm18Fp8KVCacheDataTypeE1ES0_Li32ELi128ELi256ELb0ELi12EEvPKT_PKT0_S8_ifPKiSA_SA_iPKfiiiPfSD_PS3_PT2_iSC_SC_.private_seg_size, 0+max(.L__assert_fail.private_seg_size)
	.set _Z39paged_attention_ll4mi_QKV_mfma16_kernelI14__hip_bfloat16hLN4vllm18Fp8KVCacheDataTypeE1ES0_Li32ELi128ELi256ELb0ELi12EEvPKT_PKT0_S8_ifPKiSA_SA_iPKfiiiPfSD_PS3_PT2_iSC_SC_.uses_vcc, or(1, .L__assert_fail.uses_vcc)
	.set _Z39paged_attention_ll4mi_QKV_mfma16_kernelI14__hip_bfloat16hLN4vllm18Fp8KVCacheDataTypeE1ES0_Li32ELi128ELi256ELb0ELi12EEvPKT_PKT0_S8_ifPKiSA_SA_iPKfiiiPfSD_PS3_PT2_iSC_SC_.uses_flat_scratch, or(0, .L__assert_fail.uses_flat_scratch)
	.set _Z39paged_attention_ll4mi_QKV_mfma16_kernelI14__hip_bfloat16hLN4vllm18Fp8KVCacheDataTypeE1ES0_Li32ELi128ELi256ELb0ELi12EEvPKT_PKT0_S8_ifPKiSA_SA_iPKfiiiPfSD_PS3_PT2_iSC_SC_.has_dyn_sized_stack, or(0, .L__assert_fail.has_dyn_sized_stack)
	.set _Z39paged_attention_ll4mi_QKV_mfma16_kernelI14__hip_bfloat16hLN4vllm18Fp8KVCacheDataTypeE1ES0_Li32ELi128ELi256ELb0ELi12EEvPKT_PKT0_S8_ifPKiSA_SA_iPKfiiiPfSD_PS3_PT2_iSC_SC_.has_recursion, or(0, .L__assert_fail.has_recursion)
	.set _Z39paged_attention_ll4mi_QKV_mfma16_kernelI14__hip_bfloat16hLN4vllm18Fp8KVCacheDataTypeE1ES0_Li32ELi128ELi256ELb0ELi12EEvPKT_PKT0_S8_ifPKiSA_SA_iPKfiiiPfSD_PS3_PT2_iSC_SC_.has_indirect_call, or(0, .L__assert_fail.has_indirect_call)
	.section	.AMDGPU.csdata,"",@progbits
; Kernel info:
; codeLenInByte = 68
; TotalNumSgprs: 36
; NumVgprs: 51
; ScratchSize: 64
; MemoryBound: 0
; FloatMode: 240
; IeeeMode: 1
; LDSByteSize: 0 bytes/workgroup (compile time only)
; SGPRBlocks: 0
; VGPRBlocks: 3
; NumSGPRsForWavesPerEU: 36
; NumVGPRsForWavesPerEU: 51
; NamedBarCnt: 0
; Occupancy: 16
; WaveLimiterHint : 1
; COMPUTE_PGM_RSRC2:SCRATCH_EN: 1
; COMPUTE_PGM_RSRC2:USER_SGPR: 2
; COMPUTE_PGM_RSRC2:TRAP_HANDLER: 0
; COMPUTE_PGM_RSRC2:TGID_X_EN: 1
; COMPUTE_PGM_RSRC2:TGID_Y_EN: 0
; COMPUTE_PGM_RSRC2:TGID_Z_EN: 0
; COMPUTE_PGM_RSRC2:TIDIG_COMP_CNT: 0
	.section	.text._Z39paged_attention_ll4mi_QKV_mfma16_kernelI14__hip_bfloat16hLN4vllm18Fp8KVCacheDataTypeE1ES0_Li32ELi128ELi256ELb0ELi13EEvPKT_PKT0_S8_ifPKiSA_SA_iPKfiiiPfSD_PS3_PT2_iSC_SC_,"axG",@progbits,_Z39paged_attention_ll4mi_QKV_mfma16_kernelI14__hip_bfloat16hLN4vllm18Fp8KVCacheDataTypeE1ES0_Li32ELi128ELi256ELb0ELi13EEvPKT_PKT0_S8_ifPKiSA_SA_iPKfiiiPfSD_PS3_PT2_iSC_SC_,comdat
	.protected	_Z39paged_attention_ll4mi_QKV_mfma16_kernelI14__hip_bfloat16hLN4vllm18Fp8KVCacheDataTypeE1ES0_Li32ELi128ELi256ELb0ELi13EEvPKT_PKT0_S8_ifPKiSA_SA_iPKfiiiPfSD_PS3_PT2_iSC_SC_ ; -- Begin function _Z39paged_attention_ll4mi_QKV_mfma16_kernelI14__hip_bfloat16hLN4vllm18Fp8KVCacheDataTypeE1ES0_Li32ELi128ELi256ELb0ELi13EEvPKT_PKT0_S8_ifPKiSA_SA_iPKfiiiPfSD_PS3_PT2_iSC_SC_
	.globl	_Z39paged_attention_ll4mi_QKV_mfma16_kernelI14__hip_bfloat16hLN4vllm18Fp8KVCacheDataTypeE1ES0_Li32ELi128ELi256ELb0ELi13EEvPKT_PKT0_S8_ifPKiSA_SA_iPKfiiiPfSD_PS3_PT2_iSC_SC_
	.p2align	8
	.type	_Z39paged_attention_ll4mi_QKV_mfma16_kernelI14__hip_bfloat16hLN4vllm18Fp8KVCacheDataTypeE1ES0_Li32ELi128ELi256ELb0ELi13EEvPKT_PKT0_S8_ifPKiSA_SA_iPKfiiiPfSD_PS3_PT2_iSC_SC_,@function
_Z39paged_attention_ll4mi_QKV_mfma16_kernelI14__hip_bfloat16hLN4vllm18Fp8KVCacheDataTypeE1ES0_Li32ELi128ELi256ELb0ELi13EEvPKT_PKT0_S8_ifPKiSA_SA_iPKfiiiPfSD_PS3_PT2_iSC_SC_: ; @_Z39paged_attention_ll4mi_QKV_mfma16_kernelI14__hip_bfloat16hLN4vllm18Fp8KVCacheDataTypeE1ES0_Li32ELi128ELi256ELb0ELi13EEvPKT_PKT0_S8_ifPKiSA_SA_iPKfiiiPfSD_PS3_PT2_iSC_SC_
; %bb.0:
	s_get_pc_i64 s[2:3]
	s_add_nc_u64 s[2:3], s[2:3], __PRETTY_FUNCTION__._Z39paged_attention_ll4mi_QKV_mfma16_kernelI14__hip_bfloat16hLN4vllm18Fp8KVCacheDataTypeE1ES0_Li32ELi128ELi256ELb0ELi13EEvPKT_PKT0_S8_ifPKiSA_SA_iPKfiiiPfSD_PS3_PT2_iSC_SC_@rel64+4
	s_delay_alu instid0(SALU_CYCLE_1)
	v_dual_mov_b32 v0, 0xbb3 :: v_dual_mov_b32 v1, s2
	v_mov_b32_e32 v2, s3
	s_add_nc_u64 s[8:9], s[0:1], 0x90
	s_get_pc_i64 s[0:1]
	s_add_nc_u64 s[0:1], s[0:1], __assert_fail@rel64+4
	s_mov_b32 s32, 0
	s_swap_pc_i64 s[30:31], s[0:1]
	.section	.rodata,"a",@progbits
	.p2align	6, 0x0
	.amdhsa_kernel _Z39paged_attention_ll4mi_QKV_mfma16_kernelI14__hip_bfloat16hLN4vllm18Fp8KVCacheDataTypeE1ES0_Li32ELi128ELi256ELb0ELi13EEvPKT_PKT0_S8_ifPKiSA_SA_iPKfiiiPfSD_PS3_PT2_iSC_SC_
		.amdhsa_group_segment_fixed_size 0
		.amdhsa_private_segment_fixed_size 64
		.amdhsa_kernarg_size 400
		.amdhsa_user_sgpr_count 2
		.amdhsa_user_sgpr_dispatch_ptr 0
		.amdhsa_user_sgpr_queue_ptr 0
		.amdhsa_user_sgpr_kernarg_segment_ptr 1
		.amdhsa_user_sgpr_dispatch_id 0
		.amdhsa_user_sgpr_kernarg_preload_length 0
		.amdhsa_user_sgpr_kernarg_preload_offset 0
		.amdhsa_user_sgpr_private_segment_size 0
		.amdhsa_wavefront_size32 1
		.amdhsa_uses_dynamic_stack 0
		.amdhsa_enable_private_segment 1
		.amdhsa_system_sgpr_workgroup_id_x 1
		.amdhsa_system_sgpr_workgroup_id_y 0
		.amdhsa_system_sgpr_workgroup_id_z 0
		.amdhsa_system_sgpr_workgroup_info 0
		.amdhsa_system_vgpr_workitem_id 0
		.amdhsa_next_free_vgpr 51
		.amdhsa_next_free_sgpr 34
		.amdhsa_named_barrier_count 0
		.amdhsa_reserve_vcc 1
		.amdhsa_float_round_mode_32 0
		.amdhsa_float_round_mode_16_64 0
		.amdhsa_float_denorm_mode_32 3
		.amdhsa_float_denorm_mode_16_64 3
		.amdhsa_fp16_overflow 0
		.amdhsa_memory_ordered 1
		.amdhsa_forward_progress 1
		.amdhsa_inst_pref_size 1
		.amdhsa_round_robin_scheduling 0
		.amdhsa_exception_fp_ieee_invalid_op 0
		.amdhsa_exception_fp_denorm_src 0
		.amdhsa_exception_fp_ieee_div_zero 0
		.amdhsa_exception_fp_ieee_overflow 0
		.amdhsa_exception_fp_ieee_underflow 0
		.amdhsa_exception_fp_ieee_inexact 0
		.amdhsa_exception_int_div_zero 0
	.end_amdhsa_kernel
	.section	.text._Z39paged_attention_ll4mi_QKV_mfma16_kernelI14__hip_bfloat16hLN4vllm18Fp8KVCacheDataTypeE1ES0_Li32ELi128ELi256ELb0ELi13EEvPKT_PKT0_S8_ifPKiSA_SA_iPKfiiiPfSD_PS3_PT2_iSC_SC_,"axG",@progbits,_Z39paged_attention_ll4mi_QKV_mfma16_kernelI14__hip_bfloat16hLN4vllm18Fp8KVCacheDataTypeE1ES0_Li32ELi128ELi256ELb0ELi13EEvPKT_PKT0_S8_ifPKiSA_SA_iPKfiiiPfSD_PS3_PT2_iSC_SC_,comdat
.Lfunc_end1402:
	.size	_Z39paged_attention_ll4mi_QKV_mfma16_kernelI14__hip_bfloat16hLN4vllm18Fp8KVCacheDataTypeE1ES0_Li32ELi128ELi256ELb0ELi13EEvPKT_PKT0_S8_ifPKiSA_SA_iPKfiiiPfSD_PS3_PT2_iSC_SC_, .Lfunc_end1402-_Z39paged_attention_ll4mi_QKV_mfma16_kernelI14__hip_bfloat16hLN4vllm18Fp8KVCacheDataTypeE1ES0_Li32ELi128ELi256ELb0ELi13EEvPKT_PKT0_S8_ifPKiSA_SA_iPKfiiiPfSD_PS3_PT2_iSC_SC_
                                        ; -- End function
	.set _Z39paged_attention_ll4mi_QKV_mfma16_kernelI14__hip_bfloat16hLN4vllm18Fp8KVCacheDataTypeE1ES0_Li32ELi128ELi256ELb0ELi13EEvPKT_PKT0_S8_ifPKiSA_SA_iPKfiiiPfSD_PS3_PT2_iSC_SC_.num_vgpr, max(3, .L__assert_fail.num_vgpr)
	.set _Z39paged_attention_ll4mi_QKV_mfma16_kernelI14__hip_bfloat16hLN4vllm18Fp8KVCacheDataTypeE1ES0_Li32ELi128ELi256ELb0ELi13EEvPKT_PKT0_S8_ifPKiSA_SA_iPKfiiiPfSD_PS3_PT2_iSC_SC_.num_agpr, max(0, .L__assert_fail.num_agpr)
	.set _Z39paged_attention_ll4mi_QKV_mfma16_kernelI14__hip_bfloat16hLN4vllm18Fp8KVCacheDataTypeE1ES0_Li32ELi128ELi256ELb0ELi13EEvPKT_PKT0_S8_ifPKiSA_SA_iPKfiiiPfSD_PS3_PT2_iSC_SC_.numbered_sgpr, max(33, .L__assert_fail.numbered_sgpr)
	.set _Z39paged_attention_ll4mi_QKV_mfma16_kernelI14__hip_bfloat16hLN4vllm18Fp8KVCacheDataTypeE1ES0_Li32ELi128ELi256ELb0ELi13EEvPKT_PKT0_S8_ifPKiSA_SA_iPKfiiiPfSD_PS3_PT2_iSC_SC_.num_named_barrier, max(0, .L__assert_fail.num_named_barrier)
	.set _Z39paged_attention_ll4mi_QKV_mfma16_kernelI14__hip_bfloat16hLN4vllm18Fp8KVCacheDataTypeE1ES0_Li32ELi128ELi256ELb0ELi13EEvPKT_PKT0_S8_ifPKiSA_SA_iPKfiiiPfSD_PS3_PT2_iSC_SC_.private_seg_size, 0+max(.L__assert_fail.private_seg_size)
	.set _Z39paged_attention_ll4mi_QKV_mfma16_kernelI14__hip_bfloat16hLN4vllm18Fp8KVCacheDataTypeE1ES0_Li32ELi128ELi256ELb0ELi13EEvPKT_PKT0_S8_ifPKiSA_SA_iPKfiiiPfSD_PS3_PT2_iSC_SC_.uses_vcc, or(1, .L__assert_fail.uses_vcc)
	.set _Z39paged_attention_ll4mi_QKV_mfma16_kernelI14__hip_bfloat16hLN4vllm18Fp8KVCacheDataTypeE1ES0_Li32ELi128ELi256ELb0ELi13EEvPKT_PKT0_S8_ifPKiSA_SA_iPKfiiiPfSD_PS3_PT2_iSC_SC_.uses_flat_scratch, or(0, .L__assert_fail.uses_flat_scratch)
	.set _Z39paged_attention_ll4mi_QKV_mfma16_kernelI14__hip_bfloat16hLN4vllm18Fp8KVCacheDataTypeE1ES0_Li32ELi128ELi256ELb0ELi13EEvPKT_PKT0_S8_ifPKiSA_SA_iPKfiiiPfSD_PS3_PT2_iSC_SC_.has_dyn_sized_stack, or(0, .L__assert_fail.has_dyn_sized_stack)
	.set _Z39paged_attention_ll4mi_QKV_mfma16_kernelI14__hip_bfloat16hLN4vllm18Fp8KVCacheDataTypeE1ES0_Li32ELi128ELi256ELb0ELi13EEvPKT_PKT0_S8_ifPKiSA_SA_iPKfiiiPfSD_PS3_PT2_iSC_SC_.has_recursion, or(0, .L__assert_fail.has_recursion)
	.set _Z39paged_attention_ll4mi_QKV_mfma16_kernelI14__hip_bfloat16hLN4vllm18Fp8KVCacheDataTypeE1ES0_Li32ELi128ELi256ELb0ELi13EEvPKT_PKT0_S8_ifPKiSA_SA_iPKfiiiPfSD_PS3_PT2_iSC_SC_.has_indirect_call, or(0, .L__assert_fail.has_indirect_call)
	.section	.AMDGPU.csdata,"",@progbits
; Kernel info:
; codeLenInByte = 68
; TotalNumSgprs: 36
; NumVgprs: 51
; ScratchSize: 64
; MemoryBound: 0
; FloatMode: 240
; IeeeMode: 1
; LDSByteSize: 0 bytes/workgroup (compile time only)
; SGPRBlocks: 0
; VGPRBlocks: 3
; NumSGPRsForWavesPerEU: 36
; NumVGPRsForWavesPerEU: 51
; NamedBarCnt: 0
; Occupancy: 16
; WaveLimiterHint : 1
; COMPUTE_PGM_RSRC2:SCRATCH_EN: 1
; COMPUTE_PGM_RSRC2:USER_SGPR: 2
; COMPUTE_PGM_RSRC2:TRAP_HANDLER: 0
; COMPUTE_PGM_RSRC2:TGID_X_EN: 1
; COMPUTE_PGM_RSRC2:TGID_Y_EN: 0
; COMPUTE_PGM_RSRC2:TGID_Z_EN: 0
; COMPUTE_PGM_RSRC2:TIDIG_COMP_CNT: 0
	.section	.text._Z39paged_attention_ll4mi_QKV_mfma16_kernelI14__hip_bfloat16hLN4vllm18Fp8KVCacheDataTypeE1ES0_Li32ELi128ELi256ELb0ELi14EEvPKT_PKT0_S8_ifPKiSA_SA_iPKfiiiPfSD_PS3_PT2_iSC_SC_,"axG",@progbits,_Z39paged_attention_ll4mi_QKV_mfma16_kernelI14__hip_bfloat16hLN4vllm18Fp8KVCacheDataTypeE1ES0_Li32ELi128ELi256ELb0ELi14EEvPKT_PKT0_S8_ifPKiSA_SA_iPKfiiiPfSD_PS3_PT2_iSC_SC_,comdat
	.protected	_Z39paged_attention_ll4mi_QKV_mfma16_kernelI14__hip_bfloat16hLN4vllm18Fp8KVCacheDataTypeE1ES0_Li32ELi128ELi256ELb0ELi14EEvPKT_PKT0_S8_ifPKiSA_SA_iPKfiiiPfSD_PS3_PT2_iSC_SC_ ; -- Begin function _Z39paged_attention_ll4mi_QKV_mfma16_kernelI14__hip_bfloat16hLN4vllm18Fp8KVCacheDataTypeE1ES0_Li32ELi128ELi256ELb0ELi14EEvPKT_PKT0_S8_ifPKiSA_SA_iPKfiiiPfSD_PS3_PT2_iSC_SC_
	.globl	_Z39paged_attention_ll4mi_QKV_mfma16_kernelI14__hip_bfloat16hLN4vllm18Fp8KVCacheDataTypeE1ES0_Li32ELi128ELi256ELb0ELi14EEvPKT_PKT0_S8_ifPKiSA_SA_iPKfiiiPfSD_PS3_PT2_iSC_SC_
	.p2align	8
	.type	_Z39paged_attention_ll4mi_QKV_mfma16_kernelI14__hip_bfloat16hLN4vllm18Fp8KVCacheDataTypeE1ES0_Li32ELi128ELi256ELb0ELi14EEvPKT_PKT0_S8_ifPKiSA_SA_iPKfiiiPfSD_PS3_PT2_iSC_SC_,@function
_Z39paged_attention_ll4mi_QKV_mfma16_kernelI14__hip_bfloat16hLN4vllm18Fp8KVCacheDataTypeE1ES0_Li32ELi128ELi256ELb0ELi14EEvPKT_PKT0_S8_ifPKiSA_SA_iPKfiiiPfSD_PS3_PT2_iSC_SC_: ; @_Z39paged_attention_ll4mi_QKV_mfma16_kernelI14__hip_bfloat16hLN4vllm18Fp8KVCacheDataTypeE1ES0_Li32ELi128ELi256ELb0ELi14EEvPKT_PKT0_S8_ifPKiSA_SA_iPKfiiiPfSD_PS3_PT2_iSC_SC_
; %bb.0:
	s_get_pc_i64 s[2:3]
	s_add_nc_u64 s[2:3], s[2:3], __PRETTY_FUNCTION__._Z39paged_attention_ll4mi_QKV_mfma16_kernelI14__hip_bfloat16hLN4vllm18Fp8KVCacheDataTypeE1ES0_Li32ELi128ELi256ELb0ELi14EEvPKT_PKT0_S8_ifPKiSA_SA_iPKfiiiPfSD_PS3_PT2_iSC_SC_@rel64+4
	s_delay_alu instid0(SALU_CYCLE_1)
	v_dual_mov_b32 v0, 0xbb3 :: v_dual_mov_b32 v1, s2
	v_mov_b32_e32 v2, s3
	s_add_nc_u64 s[8:9], s[0:1], 0x90
	s_get_pc_i64 s[0:1]
	s_add_nc_u64 s[0:1], s[0:1], __assert_fail@rel64+4
	s_mov_b32 s32, 0
	s_swap_pc_i64 s[30:31], s[0:1]
	.section	.rodata,"a",@progbits
	.p2align	6, 0x0
	.amdhsa_kernel _Z39paged_attention_ll4mi_QKV_mfma16_kernelI14__hip_bfloat16hLN4vllm18Fp8KVCacheDataTypeE1ES0_Li32ELi128ELi256ELb0ELi14EEvPKT_PKT0_S8_ifPKiSA_SA_iPKfiiiPfSD_PS3_PT2_iSC_SC_
		.amdhsa_group_segment_fixed_size 0
		.amdhsa_private_segment_fixed_size 64
		.amdhsa_kernarg_size 400
		.amdhsa_user_sgpr_count 2
		.amdhsa_user_sgpr_dispatch_ptr 0
		.amdhsa_user_sgpr_queue_ptr 0
		.amdhsa_user_sgpr_kernarg_segment_ptr 1
		.amdhsa_user_sgpr_dispatch_id 0
		.amdhsa_user_sgpr_kernarg_preload_length 0
		.amdhsa_user_sgpr_kernarg_preload_offset 0
		.amdhsa_user_sgpr_private_segment_size 0
		.amdhsa_wavefront_size32 1
		.amdhsa_uses_dynamic_stack 0
		.amdhsa_enable_private_segment 1
		.amdhsa_system_sgpr_workgroup_id_x 1
		.amdhsa_system_sgpr_workgroup_id_y 0
		.amdhsa_system_sgpr_workgroup_id_z 0
		.amdhsa_system_sgpr_workgroup_info 0
		.amdhsa_system_vgpr_workitem_id 0
		.amdhsa_next_free_vgpr 51
		.amdhsa_next_free_sgpr 34
		.amdhsa_named_barrier_count 0
		.amdhsa_reserve_vcc 1
		.amdhsa_float_round_mode_32 0
		.amdhsa_float_round_mode_16_64 0
		.amdhsa_float_denorm_mode_32 3
		.amdhsa_float_denorm_mode_16_64 3
		.amdhsa_fp16_overflow 0
		.amdhsa_memory_ordered 1
		.amdhsa_forward_progress 1
		.amdhsa_inst_pref_size 1
		.amdhsa_round_robin_scheduling 0
		.amdhsa_exception_fp_ieee_invalid_op 0
		.amdhsa_exception_fp_denorm_src 0
		.amdhsa_exception_fp_ieee_div_zero 0
		.amdhsa_exception_fp_ieee_overflow 0
		.amdhsa_exception_fp_ieee_underflow 0
		.amdhsa_exception_fp_ieee_inexact 0
		.amdhsa_exception_int_div_zero 0
	.end_amdhsa_kernel
	.section	.text._Z39paged_attention_ll4mi_QKV_mfma16_kernelI14__hip_bfloat16hLN4vllm18Fp8KVCacheDataTypeE1ES0_Li32ELi128ELi256ELb0ELi14EEvPKT_PKT0_S8_ifPKiSA_SA_iPKfiiiPfSD_PS3_PT2_iSC_SC_,"axG",@progbits,_Z39paged_attention_ll4mi_QKV_mfma16_kernelI14__hip_bfloat16hLN4vllm18Fp8KVCacheDataTypeE1ES0_Li32ELi128ELi256ELb0ELi14EEvPKT_PKT0_S8_ifPKiSA_SA_iPKfiiiPfSD_PS3_PT2_iSC_SC_,comdat
.Lfunc_end1403:
	.size	_Z39paged_attention_ll4mi_QKV_mfma16_kernelI14__hip_bfloat16hLN4vllm18Fp8KVCacheDataTypeE1ES0_Li32ELi128ELi256ELb0ELi14EEvPKT_PKT0_S8_ifPKiSA_SA_iPKfiiiPfSD_PS3_PT2_iSC_SC_, .Lfunc_end1403-_Z39paged_attention_ll4mi_QKV_mfma16_kernelI14__hip_bfloat16hLN4vllm18Fp8KVCacheDataTypeE1ES0_Li32ELi128ELi256ELb0ELi14EEvPKT_PKT0_S8_ifPKiSA_SA_iPKfiiiPfSD_PS3_PT2_iSC_SC_
                                        ; -- End function
	.set _Z39paged_attention_ll4mi_QKV_mfma16_kernelI14__hip_bfloat16hLN4vllm18Fp8KVCacheDataTypeE1ES0_Li32ELi128ELi256ELb0ELi14EEvPKT_PKT0_S8_ifPKiSA_SA_iPKfiiiPfSD_PS3_PT2_iSC_SC_.num_vgpr, max(3, .L__assert_fail.num_vgpr)
	.set _Z39paged_attention_ll4mi_QKV_mfma16_kernelI14__hip_bfloat16hLN4vllm18Fp8KVCacheDataTypeE1ES0_Li32ELi128ELi256ELb0ELi14EEvPKT_PKT0_S8_ifPKiSA_SA_iPKfiiiPfSD_PS3_PT2_iSC_SC_.num_agpr, max(0, .L__assert_fail.num_agpr)
	.set _Z39paged_attention_ll4mi_QKV_mfma16_kernelI14__hip_bfloat16hLN4vllm18Fp8KVCacheDataTypeE1ES0_Li32ELi128ELi256ELb0ELi14EEvPKT_PKT0_S8_ifPKiSA_SA_iPKfiiiPfSD_PS3_PT2_iSC_SC_.numbered_sgpr, max(33, .L__assert_fail.numbered_sgpr)
	.set _Z39paged_attention_ll4mi_QKV_mfma16_kernelI14__hip_bfloat16hLN4vllm18Fp8KVCacheDataTypeE1ES0_Li32ELi128ELi256ELb0ELi14EEvPKT_PKT0_S8_ifPKiSA_SA_iPKfiiiPfSD_PS3_PT2_iSC_SC_.num_named_barrier, max(0, .L__assert_fail.num_named_barrier)
	.set _Z39paged_attention_ll4mi_QKV_mfma16_kernelI14__hip_bfloat16hLN4vllm18Fp8KVCacheDataTypeE1ES0_Li32ELi128ELi256ELb0ELi14EEvPKT_PKT0_S8_ifPKiSA_SA_iPKfiiiPfSD_PS3_PT2_iSC_SC_.private_seg_size, 0+max(.L__assert_fail.private_seg_size)
	.set _Z39paged_attention_ll4mi_QKV_mfma16_kernelI14__hip_bfloat16hLN4vllm18Fp8KVCacheDataTypeE1ES0_Li32ELi128ELi256ELb0ELi14EEvPKT_PKT0_S8_ifPKiSA_SA_iPKfiiiPfSD_PS3_PT2_iSC_SC_.uses_vcc, or(1, .L__assert_fail.uses_vcc)
	.set _Z39paged_attention_ll4mi_QKV_mfma16_kernelI14__hip_bfloat16hLN4vllm18Fp8KVCacheDataTypeE1ES0_Li32ELi128ELi256ELb0ELi14EEvPKT_PKT0_S8_ifPKiSA_SA_iPKfiiiPfSD_PS3_PT2_iSC_SC_.uses_flat_scratch, or(0, .L__assert_fail.uses_flat_scratch)
	.set _Z39paged_attention_ll4mi_QKV_mfma16_kernelI14__hip_bfloat16hLN4vllm18Fp8KVCacheDataTypeE1ES0_Li32ELi128ELi256ELb0ELi14EEvPKT_PKT0_S8_ifPKiSA_SA_iPKfiiiPfSD_PS3_PT2_iSC_SC_.has_dyn_sized_stack, or(0, .L__assert_fail.has_dyn_sized_stack)
	.set _Z39paged_attention_ll4mi_QKV_mfma16_kernelI14__hip_bfloat16hLN4vllm18Fp8KVCacheDataTypeE1ES0_Li32ELi128ELi256ELb0ELi14EEvPKT_PKT0_S8_ifPKiSA_SA_iPKfiiiPfSD_PS3_PT2_iSC_SC_.has_recursion, or(0, .L__assert_fail.has_recursion)
	.set _Z39paged_attention_ll4mi_QKV_mfma16_kernelI14__hip_bfloat16hLN4vllm18Fp8KVCacheDataTypeE1ES0_Li32ELi128ELi256ELb0ELi14EEvPKT_PKT0_S8_ifPKiSA_SA_iPKfiiiPfSD_PS3_PT2_iSC_SC_.has_indirect_call, or(0, .L__assert_fail.has_indirect_call)
	.section	.AMDGPU.csdata,"",@progbits
; Kernel info:
; codeLenInByte = 68
; TotalNumSgprs: 36
; NumVgprs: 51
; ScratchSize: 64
; MemoryBound: 0
; FloatMode: 240
; IeeeMode: 1
; LDSByteSize: 0 bytes/workgroup (compile time only)
; SGPRBlocks: 0
; VGPRBlocks: 3
; NumSGPRsForWavesPerEU: 36
; NumVGPRsForWavesPerEU: 51
; NamedBarCnt: 0
; Occupancy: 16
; WaveLimiterHint : 1
; COMPUTE_PGM_RSRC2:SCRATCH_EN: 1
; COMPUTE_PGM_RSRC2:USER_SGPR: 2
; COMPUTE_PGM_RSRC2:TRAP_HANDLER: 0
; COMPUTE_PGM_RSRC2:TGID_X_EN: 1
; COMPUTE_PGM_RSRC2:TGID_Y_EN: 0
; COMPUTE_PGM_RSRC2:TGID_Z_EN: 0
; COMPUTE_PGM_RSRC2:TIDIG_COMP_CNT: 0
	.section	.text._Z39paged_attention_ll4mi_QKV_mfma16_kernelI14__hip_bfloat16hLN4vllm18Fp8KVCacheDataTypeE1ES0_Li32ELi128ELi256ELb0ELi15EEvPKT_PKT0_S8_ifPKiSA_SA_iPKfiiiPfSD_PS3_PT2_iSC_SC_,"axG",@progbits,_Z39paged_attention_ll4mi_QKV_mfma16_kernelI14__hip_bfloat16hLN4vllm18Fp8KVCacheDataTypeE1ES0_Li32ELi128ELi256ELb0ELi15EEvPKT_PKT0_S8_ifPKiSA_SA_iPKfiiiPfSD_PS3_PT2_iSC_SC_,comdat
	.protected	_Z39paged_attention_ll4mi_QKV_mfma16_kernelI14__hip_bfloat16hLN4vllm18Fp8KVCacheDataTypeE1ES0_Li32ELi128ELi256ELb0ELi15EEvPKT_PKT0_S8_ifPKiSA_SA_iPKfiiiPfSD_PS3_PT2_iSC_SC_ ; -- Begin function _Z39paged_attention_ll4mi_QKV_mfma16_kernelI14__hip_bfloat16hLN4vllm18Fp8KVCacheDataTypeE1ES0_Li32ELi128ELi256ELb0ELi15EEvPKT_PKT0_S8_ifPKiSA_SA_iPKfiiiPfSD_PS3_PT2_iSC_SC_
	.globl	_Z39paged_attention_ll4mi_QKV_mfma16_kernelI14__hip_bfloat16hLN4vllm18Fp8KVCacheDataTypeE1ES0_Li32ELi128ELi256ELb0ELi15EEvPKT_PKT0_S8_ifPKiSA_SA_iPKfiiiPfSD_PS3_PT2_iSC_SC_
	.p2align	8
	.type	_Z39paged_attention_ll4mi_QKV_mfma16_kernelI14__hip_bfloat16hLN4vllm18Fp8KVCacheDataTypeE1ES0_Li32ELi128ELi256ELb0ELi15EEvPKT_PKT0_S8_ifPKiSA_SA_iPKfiiiPfSD_PS3_PT2_iSC_SC_,@function
_Z39paged_attention_ll4mi_QKV_mfma16_kernelI14__hip_bfloat16hLN4vllm18Fp8KVCacheDataTypeE1ES0_Li32ELi128ELi256ELb0ELi15EEvPKT_PKT0_S8_ifPKiSA_SA_iPKfiiiPfSD_PS3_PT2_iSC_SC_: ; @_Z39paged_attention_ll4mi_QKV_mfma16_kernelI14__hip_bfloat16hLN4vllm18Fp8KVCacheDataTypeE1ES0_Li32ELi128ELi256ELb0ELi15EEvPKT_PKT0_S8_ifPKiSA_SA_iPKfiiiPfSD_PS3_PT2_iSC_SC_
; %bb.0:
	s_get_pc_i64 s[2:3]
	s_add_nc_u64 s[2:3], s[2:3], __PRETTY_FUNCTION__._Z39paged_attention_ll4mi_QKV_mfma16_kernelI14__hip_bfloat16hLN4vllm18Fp8KVCacheDataTypeE1ES0_Li32ELi128ELi256ELb0ELi15EEvPKT_PKT0_S8_ifPKiSA_SA_iPKfiiiPfSD_PS3_PT2_iSC_SC_@rel64+4
	s_delay_alu instid0(SALU_CYCLE_1)
	v_dual_mov_b32 v0, 0xbb3 :: v_dual_mov_b32 v1, s2
	v_mov_b32_e32 v2, s3
	s_add_nc_u64 s[8:9], s[0:1], 0x90
	s_get_pc_i64 s[0:1]
	s_add_nc_u64 s[0:1], s[0:1], __assert_fail@rel64+4
	s_mov_b32 s32, 0
	s_swap_pc_i64 s[30:31], s[0:1]
	.section	.rodata,"a",@progbits
	.p2align	6, 0x0
	.amdhsa_kernel _Z39paged_attention_ll4mi_QKV_mfma16_kernelI14__hip_bfloat16hLN4vllm18Fp8KVCacheDataTypeE1ES0_Li32ELi128ELi256ELb0ELi15EEvPKT_PKT0_S8_ifPKiSA_SA_iPKfiiiPfSD_PS3_PT2_iSC_SC_
		.amdhsa_group_segment_fixed_size 0
		.amdhsa_private_segment_fixed_size 64
		.amdhsa_kernarg_size 400
		.amdhsa_user_sgpr_count 2
		.amdhsa_user_sgpr_dispatch_ptr 0
		.amdhsa_user_sgpr_queue_ptr 0
		.amdhsa_user_sgpr_kernarg_segment_ptr 1
		.amdhsa_user_sgpr_dispatch_id 0
		.amdhsa_user_sgpr_kernarg_preload_length 0
		.amdhsa_user_sgpr_kernarg_preload_offset 0
		.amdhsa_user_sgpr_private_segment_size 0
		.amdhsa_wavefront_size32 1
		.amdhsa_uses_dynamic_stack 0
		.amdhsa_enable_private_segment 1
		.amdhsa_system_sgpr_workgroup_id_x 1
		.amdhsa_system_sgpr_workgroup_id_y 0
		.amdhsa_system_sgpr_workgroup_id_z 0
		.amdhsa_system_sgpr_workgroup_info 0
		.amdhsa_system_vgpr_workitem_id 0
		.amdhsa_next_free_vgpr 51
		.amdhsa_next_free_sgpr 34
		.amdhsa_named_barrier_count 0
		.amdhsa_reserve_vcc 1
		.amdhsa_float_round_mode_32 0
		.amdhsa_float_round_mode_16_64 0
		.amdhsa_float_denorm_mode_32 3
		.amdhsa_float_denorm_mode_16_64 3
		.amdhsa_fp16_overflow 0
		.amdhsa_memory_ordered 1
		.amdhsa_forward_progress 1
		.amdhsa_inst_pref_size 1
		.amdhsa_round_robin_scheduling 0
		.amdhsa_exception_fp_ieee_invalid_op 0
		.amdhsa_exception_fp_denorm_src 0
		.amdhsa_exception_fp_ieee_div_zero 0
		.amdhsa_exception_fp_ieee_overflow 0
		.amdhsa_exception_fp_ieee_underflow 0
		.amdhsa_exception_fp_ieee_inexact 0
		.amdhsa_exception_int_div_zero 0
	.end_amdhsa_kernel
	.section	.text._Z39paged_attention_ll4mi_QKV_mfma16_kernelI14__hip_bfloat16hLN4vllm18Fp8KVCacheDataTypeE1ES0_Li32ELi128ELi256ELb0ELi15EEvPKT_PKT0_S8_ifPKiSA_SA_iPKfiiiPfSD_PS3_PT2_iSC_SC_,"axG",@progbits,_Z39paged_attention_ll4mi_QKV_mfma16_kernelI14__hip_bfloat16hLN4vllm18Fp8KVCacheDataTypeE1ES0_Li32ELi128ELi256ELb0ELi15EEvPKT_PKT0_S8_ifPKiSA_SA_iPKfiiiPfSD_PS3_PT2_iSC_SC_,comdat
.Lfunc_end1404:
	.size	_Z39paged_attention_ll4mi_QKV_mfma16_kernelI14__hip_bfloat16hLN4vllm18Fp8KVCacheDataTypeE1ES0_Li32ELi128ELi256ELb0ELi15EEvPKT_PKT0_S8_ifPKiSA_SA_iPKfiiiPfSD_PS3_PT2_iSC_SC_, .Lfunc_end1404-_Z39paged_attention_ll4mi_QKV_mfma16_kernelI14__hip_bfloat16hLN4vllm18Fp8KVCacheDataTypeE1ES0_Li32ELi128ELi256ELb0ELi15EEvPKT_PKT0_S8_ifPKiSA_SA_iPKfiiiPfSD_PS3_PT2_iSC_SC_
                                        ; -- End function
	.set _Z39paged_attention_ll4mi_QKV_mfma16_kernelI14__hip_bfloat16hLN4vllm18Fp8KVCacheDataTypeE1ES0_Li32ELi128ELi256ELb0ELi15EEvPKT_PKT0_S8_ifPKiSA_SA_iPKfiiiPfSD_PS3_PT2_iSC_SC_.num_vgpr, max(3, .L__assert_fail.num_vgpr)
	.set _Z39paged_attention_ll4mi_QKV_mfma16_kernelI14__hip_bfloat16hLN4vllm18Fp8KVCacheDataTypeE1ES0_Li32ELi128ELi256ELb0ELi15EEvPKT_PKT0_S8_ifPKiSA_SA_iPKfiiiPfSD_PS3_PT2_iSC_SC_.num_agpr, max(0, .L__assert_fail.num_agpr)
	.set _Z39paged_attention_ll4mi_QKV_mfma16_kernelI14__hip_bfloat16hLN4vllm18Fp8KVCacheDataTypeE1ES0_Li32ELi128ELi256ELb0ELi15EEvPKT_PKT0_S8_ifPKiSA_SA_iPKfiiiPfSD_PS3_PT2_iSC_SC_.numbered_sgpr, max(33, .L__assert_fail.numbered_sgpr)
	.set _Z39paged_attention_ll4mi_QKV_mfma16_kernelI14__hip_bfloat16hLN4vllm18Fp8KVCacheDataTypeE1ES0_Li32ELi128ELi256ELb0ELi15EEvPKT_PKT0_S8_ifPKiSA_SA_iPKfiiiPfSD_PS3_PT2_iSC_SC_.num_named_barrier, max(0, .L__assert_fail.num_named_barrier)
	.set _Z39paged_attention_ll4mi_QKV_mfma16_kernelI14__hip_bfloat16hLN4vllm18Fp8KVCacheDataTypeE1ES0_Li32ELi128ELi256ELb0ELi15EEvPKT_PKT0_S8_ifPKiSA_SA_iPKfiiiPfSD_PS3_PT2_iSC_SC_.private_seg_size, 0+max(.L__assert_fail.private_seg_size)
	.set _Z39paged_attention_ll4mi_QKV_mfma16_kernelI14__hip_bfloat16hLN4vllm18Fp8KVCacheDataTypeE1ES0_Li32ELi128ELi256ELb0ELi15EEvPKT_PKT0_S8_ifPKiSA_SA_iPKfiiiPfSD_PS3_PT2_iSC_SC_.uses_vcc, or(1, .L__assert_fail.uses_vcc)
	.set _Z39paged_attention_ll4mi_QKV_mfma16_kernelI14__hip_bfloat16hLN4vllm18Fp8KVCacheDataTypeE1ES0_Li32ELi128ELi256ELb0ELi15EEvPKT_PKT0_S8_ifPKiSA_SA_iPKfiiiPfSD_PS3_PT2_iSC_SC_.uses_flat_scratch, or(0, .L__assert_fail.uses_flat_scratch)
	.set _Z39paged_attention_ll4mi_QKV_mfma16_kernelI14__hip_bfloat16hLN4vllm18Fp8KVCacheDataTypeE1ES0_Li32ELi128ELi256ELb0ELi15EEvPKT_PKT0_S8_ifPKiSA_SA_iPKfiiiPfSD_PS3_PT2_iSC_SC_.has_dyn_sized_stack, or(0, .L__assert_fail.has_dyn_sized_stack)
	.set _Z39paged_attention_ll4mi_QKV_mfma16_kernelI14__hip_bfloat16hLN4vllm18Fp8KVCacheDataTypeE1ES0_Li32ELi128ELi256ELb0ELi15EEvPKT_PKT0_S8_ifPKiSA_SA_iPKfiiiPfSD_PS3_PT2_iSC_SC_.has_recursion, or(0, .L__assert_fail.has_recursion)
	.set _Z39paged_attention_ll4mi_QKV_mfma16_kernelI14__hip_bfloat16hLN4vllm18Fp8KVCacheDataTypeE1ES0_Li32ELi128ELi256ELb0ELi15EEvPKT_PKT0_S8_ifPKiSA_SA_iPKfiiiPfSD_PS3_PT2_iSC_SC_.has_indirect_call, or(0, .L__assert_fail.has_indirect_call)
	.section	.AMDGPU.csdata,"",@progbits
; Kernel info:
; codeLenInByte = 68
; TotalNumSgprs: 36
; NumVgprs: 51
; ScratchSize: 64
; MemoryBound: 0
; FloatMode: 240
; IeeeMode: 1
; LDSByteSize: 0 bytes/workgroup (compile time only)
; SGPRBlocks: 0
; VGPRBlocks: 3
; NumSGPRsForWavesPerEU: 36
; NumVGPRsForWavesPerEU: 51
; NamedBarCnt: 0
; Occupancy: 16
; WaveLimiterHint : 1
; COMPUTE_PGM_RSRC2:SCRATCH_EN: 1
; COMPUTE_PGM_RSRC2:USER_SGPR: 2
; COMPUTE_PGM_RSRC2:TRAP_HANDLER: 0
; COMPUTE_PGM_RSRC2:TGID_X_EN: 1
; COMPUTE_PGM_RSRC2:TGID_Y_EN: 0
; COMPUTE_PGM_RSRC2:TGID_Z_EN: 0
; COMPUTE_PGM_RSRC2:TIDIG_COMP_CNT: 0
	.section	.text._Z39paged_attention_ll4mi_QKV_mfma16_kernelI14__hip_bfloat16hLN4vllm18Fp8KVCacheDataTypeE1ES0_Li32ELi128ELi256ELb0ELi16EEvPKT_PKT0_S8_ifPKiSA_SA_iPKfiiiPfSD_PS3_PT2_iSC_SC_,"axG",@progbits,_Z39paged_attention_ll4mi_QKV_mfma16_kernelI14__hip_bfloat16hLN4vllm18Fp8KVCacheDataTypeE1ES0_Li32ELi128ELi256ELb0ELi16EEvPKT_PKT0_S8_ifPKiSA_SA_iPKfiiiPfSD_PS3_PT2_iSC_SC_,comdat
	.protected	_Z39paged_attention_ll4mi_QKV_mfma16_kernelI14__hip_bfloat16hLN4vllm18Fp8KVCacheDataTypeE1ES0_Li32ELi128ELi256ELb0ELi16EEvPKT_PKT0_S8_ifPKiSA_SA_iPKfiiiPfSD_PS3_PT2_iSC_SC_ ; -- Begin function _Z39paged_attention_ll4mi_QKV_mfma16_kernelI14__hip_bfloat16hLN4vllm18Fp8KVCacheDataTypeE1ES0_Li32ELi128ELi256ELb0ELi16EEvPKT_PKT0_S8_ifPKiSA_SA_iPKfiiiPfSD_PS3_PT2_iSC_SC_
	.globl	_Z39paged_attention_ll4mi_QKV_mfma16_kernelI14__hip_bfloat16hLN4vllm18Fp8KVCacheDataTypeE1ES0_Li32ELi128ELi256ELb0ELi16EEvPKT_PKT0_S8_ifPKiSA_SA_iPKfiiiPfSD_PS3_PT2_iSC_SC_
	.p2align	8
	.type	_Z39paged_attention_ll4mi_QKV_mfma16_kernelI14__hip_bfloat16hLN4vllm18Fp8KVCacheDataTypeE1ES0_Li32ELi128ELi256ELb0ELi16EEvPKT_PKT0_S8_ifPKiSA_SA_iPKfiiiPfSD_PS3_PT2_iSC_SC_,@function
_Z39paged_attention_ll4mi_QKV_mfma16_kernelI14__hip_bfloat16hLN4vllm18Fp8KVCacheDataTypeE1ES0_Li32ELi128ELi256ELb0ELi16EEvPKT_PKT0_S8_ifPKiSA_SA_iPKfiiiPfSD_PS3_PT2_iSC_SC_: ; @_Z39paged_attention_ll4mi_QKV_mfma16_kernelI14__hip_bfloat16hLN4vllm18Fp8KVCacheDataTypeE1ES0_Li32ELi128ELi256ELb0ELi16EEvPKT_PKT0_S8_ifPKiSA_SA_iPKfiiiPfSD_PS3_PT2_iSC_SC_
; %bb.0:
	s_get_pc_i64 s[2:3]
	s_add_nc_u64 s[2:3], s[2:3], __PRETTY_FUNCTION__._Z39paged_attention_ll4mi_QKV_mfma16_kernelI14__hip_bfloat16hLN4vllm18Fp8KVCacheDataTypeE1ES0_Li32ELi128ELi256ELb0ELi16EEvPKT_PKT0_S8_ifPKiSA_SA_iPKfiiiPfSD_PS3_PT2_iSC_SC_@rel64+4
	s_delay_alu instid0(SALU_CYCLE_1)
	v_dual_mov_b32 v0, 0xbb3 :: v_dual_mov_b32 v1, s2
	v_mov_b32_e32 v2, s3
	s_add_nc_u64 s[8:9], s[0:1], 0x90
	s_get_pc_i64 s[0:1]
	s_add_nc_u64 s[0:1], s[0:1], __assert_fail@rel64+4
	s_mov_b32 s32, 0
	s_swap_pc_i64 s[30:31], s[0:1]
	.section	.rodata,"a",@progbits
	.p2align	6, 0x0
	.amdhsa_kernel _Z39paged_attention_ll4mi_QKV_mfma16_kernelI14__hip_bfloat16hLN4vllm18Fp8KVCacheDataTypeE1ES0_Li32ELi128ELi256ELb0ELi16EEvPKT_PKT0_S8_ifPKiSA_SA_iPKfiiiPfSD_PS3_PT2_iSC_SC_
		.amdhsa_group_segment_fixed_size 0
		.amdhsa_private_segment_fixed_size 64
		.amdhsa_kernarg_size 400
		.amdhsa_user_sgpr_count 2
		.amdhsa_user_sgpr_dispatch_ptr 0
		.amdhsa_user_sgpr_queue_ptr 0
		.amdhsa_user_sgpr_kernarg_segment_ptr 1
		.amdhsa_user_sgpr_dispatch_id 0
		.amdhsa_user_sgpr_kernarg_preload_length 0
		.amdhsa_user_sgpr_kernarg_preload_offset 0
		.amdhsa_user_sgpr_private_segment_size 0
		.amdhsa_wavefront_size32 1
		.amdhsa_uses_dynamic_stack 0
		.amdhsa_enable_private_segment 1
		.amdhsa_system_sgpr_workgroup_id_x 1
		.amdhsa_system_sgpr_workgroup_id_y 0
		.amdhsa_system_sgpr_workgroup_id_z 0
		.amdhsa_system_sgpr_workgroup_info 0
		.amdhsa_system_vgpr_workitem_id 0
		.amdhsa_next_free_vgpr 51
		.amdhsa_next_free_sgpr 34
		.amdhsa_named_barrier_count 0
		.amdhsa_reserve_vcc 1
		.amdhsa_float_round_mode_32 0
		.amdhsa_float_round_mode_16_64 0
		.amdhsa_float_denorm_mode_32 3
		.amdhsa_float_denorm_mode_16_64 3
		.amdhsa_fp16_overflow 0
		.amdhsa_memory_ordered 1
		.amdhsa_forward_progress 1
		.amdhsa_inst_pref_size 1
		.amdhsa_round_robin_scheduling 0
		.amdhsa_exception_fp_ieee_invalid_op 0
		.amdhsa_exception_fp_denorm_src 0
		.amdhsa_exception_fp_ieee_div_zero 0
		.amdhsa_exception_fp_ieee_overflow 0
		.amdhsa_exception_fp_ieee_underflow 0
		.amdhsa_exception_fp_ieee_inexact 0
		.amdhsa_exception_int_div_zero 0
	.end_amdhsa_kernel
	.section	.text._Z39paged_attention_ll4mi_QKV_mfma16_kernelI14__hip_bfloat16hLN4vllm18Fp8KVCacheDataTypeE1ES0_Li32ELi128ELi256ELb0ELi16EEvPKT_PKT0_S8_ifPKiSA_SA_iPKfiiiPfSD_PS3_PT2_iSC_SC_,"axG",@progbits,_Z39paged_attention_ll4mi_QKV_mfma16_kernelI14__hip_bfloat16hLN4vllm18Fp8KVCacheDataTypeE1ES0_Li32ELi128ELi256ELb0ELi16EEvPKT_PKT0_S8_ifPKiSA_SA_iPKfiiiPfSD_PS3_PT2_iSC_SC_,comdat
.Lfunc_end1405:
	.size	_Z39paged_attention_ll4mi_QKV_mfma16_kernelI14__hip_bfloat16hLN4vllm18Fp8KVCacheDataTypeE1ES0_Li32ELi128ELi256ELb0ELi16EEvPKT_PKT0_S8_ifPKiSA_SA_iPKfiiiPfSD_PS3_PT2_iSC_SC_, .Lfunc_end1405-_Z39paged_attention_ll4mi_QKV_mfma16_kernelI14__hip_bfloat16hLN4vllm18Fp8KVCacheDataTypeE1ES0_Li32ELi128ELi256ELb0ELi16EEvPKT_PKT0_S8_ifPKiSA_SA_iPKfiiiPfSD_PS3_PT2_iSC_SC_
                                        ; -- End function
	.set _Z39paged_attention_ll4mi_QKV_mfma16_kernelI14__hip_bfloat16hLN4vllm18Fp8KVCacheDataTypeE1ES0_Li32ELi128ELi256ELb0ELi16EEvPKT_PKT0_S8_ifPKiSA_SA_iPKfiiiPfSD_PS3_PT2_iSC_SC_.num_vgpr, max(3, .L__assert_fail.num_vgpr)
	.set _Z39paged_attention_ll4mi_QKV_mfma16_kernelI14__hip_bfloat16hLN4vllm18Fp8KVCacheDataTypeE1ES0_Li32ELi128ELi256ELb0ELi16EEvPKT_PKT0_S8_ifPKiSA_SA_iPKfiiiPfSD_PS3_PT2_iSC_SC_.num_agpr, max(0, .L__assert_fail.num_agpr)
	.set _Z39paged_attention_ll4mi_QKV_mfma16_kernelI14__hip_bfloat16hLN4vllm18Fp8KVCacheDataTypeE1ES0_Li32ELi128ELi256ELb0ELi16EEvPKT_PKT0_S8_ifPKiSA_SA_iPKfiiiPfSD_PS3_PT2_iSC_SC_.numbered_sgpr, max(33, .L__assert_fail.numbered_sgpr)
	.set _Z39paged_attention_ll4mi_QKV_mfma16_kernelI14__hip_bfloat16hLN4vllm18Fp8KVCacheDataTypeE1ES0_Li32ELi128ELi256ELb0ELi16EEvPKT_PKT0_S8_ifPKiSA_SA_iPKfiiiPfSD_PS3_PT2_iSC_SC_.num_named_barrier, max(0, .L__assert_fail.num_named_barrier)
	.set _Z39paged_attention_ll4mi_QKV_mfma16_kernelI14__hip_bfloat16hLN4vllm18Fp8KVCacheDataTypeE1ES0_Li32ELi128ELi256ELb0ELi16EEvPKT_PKT0_S8_ifPKiSA_SA_iPKfiiiPfSD_PS3_PT2_iSC_SC_.private_seg_size, 0+max(.L__assert_fail.private_seg_size)
	.set _Z39paged_attention_ll4mi_QKV_mfma16_kernelI14__hip_bfloat16hLN4vllm18Fp8KVCacheDataTypeE1ES0_Li32ELi128ELi256ELb0ELi16EEvPKT_PKT0_S8_ifPKiSA_SA_iPKfiiiPfSD_PS3_PT2_iSC_SC_.uses_vcc, or(1, .L__assert_fail.uses_vcc)
	.set _Z39paged_attention_ll4mi_QKV_mfma16_kernelI14__hip_bfloat16hLN4vllm18Fp8KVCacheDataTypeE1ES0_Li32ELi128ELi256ELb0ELi16EEvPKT_PKT0_S8_ifPKiSA_SA_iPKfiiiPfSD_PS3_PT2_iSC_SC_.uses_flat_scratch, or(0, .L__assert_fail.uses_flat_scratch)
	.set _Z39paged_attention_ll4mi_QKV_mfma16_kernelI14__hip_bfloat16hLN4vllm18Fp8KVCacheDataTypeE1ES0_Li32ELi128ELi256ELb0ELi16EEvPKT_PKT0_S8_ifPKiSA_SA_iPKfiiiPfSD_PS3_PT2_iSC_SC_.has_dyn_sized_stack, or(0, .L__assert_fail.has_dyn_sized_stack)
	.set _Z39paged_attention_ll4mi_QKV_mfma16_kernelI14__hip_bfloat16hLN4vllm18Fp8KVCacheDataTypeE1ES0_Li32ELi128ELi256ELb0ELi16EEvPKT_PKT0_S8_ifPKiSA_SA_iPKfiiiPfSD_PS3_PT2_iSC_SC_.has_recursion, or(0, .L__assert_fail.has_recursion)
	.set _Z39paged_attention_ll4mi_QKV_mfma16_kernelI14__hip_bfloat16hLN4vllm18Fp8KVCacheDataTypeE1ES0_Li32ELi128ELi256ELb0ELi16EEvPKT_PKT0_S8_ifPKiSA_SA_iPKfiiiPfSD_PS3_PT2_iSC_SC_.has_indirect_call, or(0, .L__assert_fail.has_indirect_call)
	.section	.AMDGPU.csdata,"",@progbits
; Kernel info:
; codeLenInByte = 68
; TotalNumSgprs: 36
; NumVgprs: 51
; ScratchSize: 64
; MemoryBound: 0
; FloatMode: 240
; IeeeMode: 1
; LDSByteSize: 0 bytes/workgroup (compile time only)
; SGPRBlocks: 0
; VGPRBlocks: 3
; NumSGPRsForWavesPerEU: 36
; NumVGPRsForWavesPerEU: 51
; NamedBarCnt: 0
; Occupancy: 16
; WaveLimiterHint : 1
; COMPUTE_PGM_RSRC2:SCRATCH_EN: 1
; COMPUTE_PGM_RSRC2:USER_SGPR: 2
; COMPUTE_PGM_RSRC2:TRAP_HANDLER: 0
; COMPUTE_PGM_RSRC2:TGID_X_EN: 1
; COMPUTE_PGM_RSRC2:TGID_Y_EN: 0
; COMPUTE_PGM_RSRC2:TGID_Z_EN: 0
; COMPUTE_PGM_RSRC2:TIDIG_COMP_CNT: 0
	.section	.text._Z39paged_attention_ll4mi_QKV_mfma16_kernelI14__hip_bfloat16hLN4vllm18Fp8KVCacheDataTypeE1ES0_Li32ELi128ELi256ELb0ELi1EEvPKT_PKT0_S8_ifPKiSA_SA_iPKfiiiPfSD_PS3_PT2_iSC_SC_,"axG",@progbits,_Z39paged_attention_ll4mi_QKV_mfma16_kernelI14__hip_bfloat16hLN4vllm18Fp8KVCacheDataTypeE1ES0_Li32ELi128ELi256ELb0ELi1EEvPKT_PKT0_S8_ifPKiSA_SA_iPKfiiiPfSD_PS3_PT2_iSC_SC_,comdat
	.protected	_Z39paged_attention_ll4mi_QKV_mfma16_kernelI14__hip_bfloat16hLN4vllm18Fp8KVCacheDataTypeE1ES0_Li32ELi128ELi256ELb0ELi1EEvPKT_PKT0_S8_ifPKiSA_SA_iPKfiiiPfSD_PS3_PT2_iSC_SC_ ; -- Begin function _Z39paged_attention_ll4mi_QKV_mfma16_kernelI14__hip_bfloat16hLN4vllm18Fp8KVCacheDataTypeE1ES0_Li32ELi128ELi256ELb0ELi1EEvPKT_PKT0_S8_ifPKiSA_SA_iPKfiiiPfSD_PS3_PT2_iSC_SC_
	.globl	_Z39paged_attention_ll4mi_QKV_mfma16_kernelI14__hip_bfloat16hLN4vllm18Fp8KVCacheDataTypeE1ES0_Li32ELi128ELi256ELb0ELi1EEvPKT_PKT0_S8_ifPKiSA_SA_iPKfiiiPfSD_PS3_PT2_iSC_SC_
	.p2align	8
	.type	_Z39paged_attention_ll4mi_QKV_mfma16_kernelI14__hip_bfloat16hLN4vllm18Fp8KVCacheDataTypeE1ES0_Li32ELi128ELi256ELb0ELi1EEvPKT_PKT0_S8_ifPKiSA_SA_iPKfiiiPfSD_PS3_PT2_iSC_SC_,@function
_Z39paged_attention_ll4mi_QKV_mfma16_kernelI14__hip_bfloat16hLN4vllm18Fp8KVCacheDataTypeE1ES0_Li32ELi128ELi256ELb0ELi1EEvPKT_PKT0_S8_ifPKiSA_SA_iPKfiiiPfSD_PS3_PT2_iSC_SC_: ; @_Z39paged_attention_ll4mi_QKV_mfma16_kernelI14__hip_bfloat16hLN4vllm18Fp8KVCacheDataTypeE1ES0_Li32ELi128ELi256ELb0ELi1EEvPKT_PKT0_S8_ifPKiSA_SA_iPKfiiiPfSD_PS3_PT2_iSC_SC_
; %bb.0:
	s_get_pc_i64 s[2:3]
	s_add_nc_u64 s[2:3], s[2:3], __PRETTY_FUNCTION__._Z39paged_attention_ll4mi_QKV_mfma16_kernelI14__hip_bfloat16hLN4vllm18Fp8KVCacheDataTypeE1ES0_Li32ELi128ELi256ELb0ELi1EEvPKT_PKT0_S8_ifPKiSA_SA_iPKfiiiPfSD_PS3_PT2_iSC_SC_@rel64+4
	s_delay_alu instid0(SALU_CYCLE_1)
	v_dual_mov_b32 v0, 0xbb3 :: v_dual_mov_b32 v1, s2
	v_mov_b32_e32 v2, s3
	s_add_nc_u64 s[8:9], s[0:1], 0x90
	s_get_pc_i64 s[0:1]
	s_add_nc_u64 s[0:1], s[0:1], __assert_fail@rel64+4
	s_mov_b32 s32, 0
	s_swap_pc_i64 s[30:31], s[0:1]
	.section	.rodata,"a",@progbits
	.p2align	6, 0x0
	.amdhsa_kernel _Z39paged_attention_ll4mi_QKV_mfma16_kernelI14__hip_bfloat16hLN4vllm18Fp8KVCacheDataTypeE1ES0_Li32ELi128ELi256ELb0ELi1EEvPKT_PKT0_S8_ifPKiSA_SA_iPKfiiiPfSD_PS3_PT2_iSC_SC_
		.amdhsa_group_segment_fixed_size 0
		.amdhsa_private_segment_fixed_size 64
		.amdhsa_kernarg_size 400
		.amdhsa_user_sgpr_count 2
		.amdhsa_user_sgpr_dispatch_ptr 0
		.amdhsa_user_sgpr_queue_ptr 0
		.amdhsa_user_sgpr_kernarg_segment_ptr 1
		.amdhsa_user_sgpr_dispatch_id 0
		.amdhsa_user_sgpr_kernarg_preload_length 0
		.amdhsa_user_sgpr_kernarg_preload_offset 0
		.amdhsa_user_sgpr_private_segment_size 0
		.amdhsa_wavefront_size32 1
		.amdhsa_uses_dynamic_stack 0
		.amdhsa_enable_private_segment 1
		.amdhsa_system_sgpr_workgroup_id_x 1
		.amdhsa_system_sgpr_workgroup_id_y 0
		.amdhsa_system_sgpr_workgroup_id_z 0
		.amdhsa_system_sgpr_workgroup_info 0
		.amdhsa_system_vgpr_workitem_id 0
		.amdhsa_next_free_vgpr 51
		.amdhsa_next_free_sgpr 34
		.amdhsa_named_barrier_count 0
		.amdhsa_reserve_vcc 1
		.amdhsa_float_round_mode_32 0
		.amdhsa_float_round_mode_16_64 0
		.amdhsa_float_denorm_mode_32 3
		.amdhsa_float_denorm_mode_16_64 3
		.amdhsa_fp16_overflow 0
		.amdhsa_memory_ordered 1
		.amdhsa_forward_progress 1
		.amdhsa_inst_pref_size 1
		.amdhsa_round_robin_scheduling 0
		.amdhsa_exception_fp_ieee_invalid_op 0
		.amdhsa_exception_fp_denorm_src 0
		.amdhsa_exception_fp_ieee_div_zero 0
		.amdhsa_exception_fp_ieee_overflow 0
		.amdhsa_exception_fp_ieee_underflow 0
		.amdhsa_exception_fp_ieee_inexact 0
		.amdhsa_exception_int_div_zero 0
	.end_amdhsa_kernel
	.section	.text._Z39paged_attention_ll4mi_QKV_mfma16_kernelI14__hip_bfloat16hLN4vllm18Fp8KVCacheDataTypeE1ES0_Li32ELi128ELi256ELb0ELi1EEvPKT_PKT0_S8_ifPKiSA_SA_iPKfiiiPfSD_PS3_PT2_iSC_SC_,"axG",@progbits,_Z39paged_attention_ll4mi_QKV_mfma16_kernelI14__hip_bfloat16hLN4vllm18Fp8KVCacheDataTypeE1ES0_Li32ELi128ELi256ELb0ELi1EEvPKT_PKT0_S8_ifPKiSA_SA_iPKfiiiPfSD_PS3_PT2_iSC_SC_,comdat
.Lfunc_end1406:
	.size	_Z39paged_attention_ll4mi_QKV_mfma16_kernelI14__hip_bfloat16hLN4vllm18Fp8KVCacheDataTypeE1ES0_Li32ELi128ELi256ELb0ELi1EEvPKT_PKT0_S8_ifPKiSA_SA_iPKfiiiPfSD_PS3_PT2_iSC_SC_, .Lfunc_end1406-_Z39paged_attention_ll4mi_QKV_mfma16_kernelI14__hip_bfloat16hLN4vllm18Fp8KVCacheDataTypeE1ES0_Li32ELi128ELi256ELb0ELi1EEvPKT_PKT0_S8_ifPKiSA_SA_iPKfiiiPfSD_PS3_PT2_iSC_SC_
                                        ; -- End function
	.set _Z39paged_attention_ll4mi_QKV_mfma16_kernelI14__hip_bfloat16hLN4vllm18Fp8KVCacheDataTypeE1ES0_Li32ELi128ELi256ELb0ELi1EEvPKT_PKT0_S8_ifPKiSA_SA_iPKfiiiPfSD_PS3_PT2_iSC_SC_.num_vgpr, max(3, .L__assert_fail.num_vgpr)
	.set _Z39paged_attention_ll4mi_QKV_mfma16_kernelI14__hip_bfloat16hLN4vllm18Fp8KVCacheDataTypeE1ES0_Li32ELi128ELi256ELb0ELi1EEvPKT_PKT0_S8_ifPKiSA_SA_iPKfiiiPfSD_PS3_PT2_iSC_SC_.num_agpr, max(0, .L__assert_fail.num_agpr)
	.set _Z39paged_attention_ll4mi_QKV_mfma16_kernelI14__hip_bfloat16hLN4vllm18Fp8KVCacheDataTypeE1ES0_Li32ELi128ELi256ELb0ELi1EEvPKT_PKT0_S8_ifPKiSA_SA_iPKfiiiPfSD_PS3_PT2_iSC_SC_.numbered_sgpr, max(33, .L__assert_fail.numbered_sgpr)
	.set _Z39paged_attention_ll4mi_QKV_mfma16_kernelI14__hip_bfloat16hLN4vllm18Fp8KVCacheDataTypeE1ES0_Li32ELi128ELi256ELb0ELi1EEvPKT_PKT0_S8_ifPKiSA_SA_iPKfiiiPfSD_PS3_PT2_iSC_SC_.num_named_barrier, max(0, .L__assert_fail.num_named_barrier)
	.set _Z39paged_attention_ll4mi_QKV_mfma16_kernelI14__hip_bfloat16hLN4vllm18Fp8KVCacheDataTypeE1ES0_Li32ELi128ELi256ELb0ELi1EEvPKT_PKT0_S8_ifPKiSA_SA_iPKfiiiPfSD_PS3_PT2_iSC_SC_.private_seg_size, 0+max(.L__assert_fail.private_seg_size)
	.set _Z39paged_attention_ll4mi_QKV_mfma16_kernelI14__hip_bfloat16hLN4vllm18Fp8KVCacheDataTypeE1ES0_Li32ELi128ELi256ELb0ELi1EEvPKT_PKT0_S8_ifPKiSA_SA_iPKfiiiPfSD_PS3_PT2_iSC_SC_.uses_vcc, or(1, .L__assert_fail.uses_vcc)
	.set _Z39paged_attention_ll4mi_QKV_mfma16_kernelI14__hip_bfloat16hLN4vllm18Fp8KVCacheDataTypeE1ES0_Li32ELi128ELi256ELb0ELi1EEvPKT_PKT0_S8_ifPKiSA_SA_iPKfiiiPfSD_PS3_PT2_iSC_SC_.uses_flat_scratch, or(0, .L__assert_fail.uses_flat_scratch)
	.set _Z39paged_attention_ll4mi_QKV_mfma16_kernelI14__hip_bfloat16hLN4vllm18Fp8KVCacheDataTypeE1ES0_Li32ELi128ELi256ELb0ELi1EEvPKT_PKT0_S8_ifPKiSA_SA_iPKfiiiPfSD_PS3_PT2_iSC_SC_.has_dyn_sized_stack, or(0, .L__assert_fail.has_dyn_sized_stack)
	.set _Z39paged_attention_ll4mi_QKV_mfma16_kernelI14__hip_bfloat16hLN4vllm18Fp8KVCacheDataTypeE1ES0_Li32ELi128ELi256ELb0ELi1EEvPKT_PKT0_S8_ifPKiSA_SA_iPKfiiiPfSD_PS3_PT2_iSC_SC_.has_recursion, or(0, .L__assert_fail.has_recursion)
	.set _Z39paged_attention_ll4mi_QKV_mfma16_kernelI14__hip_bfloat16hLN4vllm18Fp8KVCacheDataTypeE1ES0_Li32ELi128ELi256ELb0ELi1EEvPKT_PKT0_S8_ifPKiSA_SA_iPKfiiiPfSD_PS3_PT2_iSC_SC_.has_indirect_call, or(0, .L__assert_fail.has_indirect_call)
	.section	.AMDGPU.csdata,"",@progbits
; Kernel info:
; codeLenInByte = 68
; TotalNumSgprs: 36
; NumVgprs: 51
; ScratchSize: 64
; MemoryBound: 0
; FloatMode: 240
; IeeeMode: 1
; LDSByteSize: 0 bytes/workgroup (compile time only)
; SGPRBlocks: 0
; VGPRBlocks: 3
; NumSGPRsForWavesPerEU: 36
; NumVGPRsForWavesPerEU: 51
; NamedBarCnt: 0
; Occupancy: 16
; WaveLimiterHint : 1
; COMPUTE_PGM_RSRC2:SCRATCH_EN: 1
; COMPUTE_PGM_RSRC2:USER_SGPR: 2
; COMPUTE_PGM_RSRC2:TRAP_HANDLER: 0
; COMPUTE_PGM_RSRC2:TGID_X_EN: 1
; COMPUTE_PGM_RSRC2:TGID_Y_EN: 0
; COMPUTE_PGM_RSRC2:TGID_Z_EN: 0
; COMPUTE_PGM_RSRC2:TIDIG_COMP_CNT: 0
	.section	.text._Z39paged_attention_ll4mi_QKV_mfma16_kernelI14__hip_bfloat16hLN4vllm18Fp8KVCacheDataTypeE1ES0_Li32ELi128ELi256ELb0ELi2EEvPKT_PKT0_S8_ifPKiSA_SA_iPKfiiiPfSD_PS3_PT2_iSC_SC_,"axG",@progbits,_Z39paged_attention_ll4mi_QKV_mfma16_kernelI14__hip_bfloat16hLN4vllm18Fp8KVCacheDataTypeE1ES0_Li32ELi128ELi256ELb0ELi2EEvPKT_PKT0_S8_ifPKiSA_SA_iPKfiiiPfSD_PS3_PT2_iSC_SC_,comdat
	.protected	_Z39paged_attention_ll4mi_QKV_mfma16_kernelI14__hip_bfloat16hLN4vllm18Fp8KVCacheDataTypeE1ES0_Li32ELi128ELi256ELb0ELi2EEvPKT_PKT0_S8_ifPKiSA_SA_iPKfiiiPfSD_PS3_PT2_iSC_SC_ ; -- Begin function _Z39paged_attention_ll4mi_QKV_mfma16_kernelI14__hip_bfloat16hLN4vllm18Fp8KVCacheDataTypeE1ES0_Li32ELi128ELi256ELb0ELi2EEvPKT_PKT0_S8_ifPKiSA_SA_iPKfiiiPfSD_PS3_PT2_iSC_SC_
	.globl	_Z39paged_attention_ll4mi_QKV_mfma16_kernelI14__hip_bfloat16hLN4vllm18Fp8KVCacheDataTypeE1ES0_Li32ELi128ELi256ELb0ELi2EEvPKT_PKT0_S8_ifPKiSA_SA_iPKfiiiPfSD_PS3_PT2_iSC_SC_
	.p2align	8
	.type	_Z39paged_attention_ll4mi_QKV_mfma16_kernelI14__hip_bfloat16hLN4vllm18Fp8KVCacheDataTypeE1ES0_Li32ELi128ELi256ELb0ELi2EEvPKT_PKT0_S8_ifPKiSA_SA_iPKfiiiPfSD_PS3_PT2_iSC_SC_,@function
_Z39paged_attention_ll4mi_QKV_mfma16_kernelI14__hip_bfloat16hLN4vllm18Fp8KVCacheDataTypeE1ES0_Li32ELi128ELi256ELb0ELi2EEvPKT_PKT0_S8_ifPKiSA_SA_iPKfiiiPfSD_PS3_PT2_iSC_SC_: ; @_Z39paged_attention_ll4mi_QKV_mfma16_kernelI14__hip_bfloat16hLN4vllm18Fp8KVCacheDataTypeE1ES0_Li32ELi128ELi256ELb0ELi2EEvPKT_PKT0_S8_ifPKiSA_SA_iPKfiiiPfSD_PS3_PT2_iSC_SC_
; %bb.0:
	s_get_pc_i64 s[2:3]
	s_add_nc_u64 s[2:3], s[2:3], __PRETTY_FUNCTION__._Z39paged_attention_ll4mi_QKV_mfma16_kernelI14__hip_bfloat16hLN4vllm18Fp8KVCacheDataTypeE1ES0_Li32ELi128ELi256ELb0ELi2EEvPKT_PKT0_S8_ifPKiSA_SA_iPKfiiiPfSD_PS3_PT2_iSC_SC_@rel64+4
	s_delay_alu instid0(SALU_CYCLE_1)
	v_dual_mov_b32 v0, 0xbb3 :: v_dual_mov_b32 v1, s2
	v_mov_b32_e32 v2, s3
	s_add_nc_u64 s[8:9], s[0:1], 0x90
	s_get_pc_i64 s[0:1]
	s_add_nc_u64 s[0:1], s[0:1], __assert_fail@rel64+4
	s_mov_b32 s32, 0
	s_swap_pc_i64 s[30:31], s[0:1]
	.section	.rodata,"a",@progbits
	.p2align	6, 0x0
	.amdhsa_kernel _Z39paged_attention_ll4mi_QKV_mfma16_kernelI14__hip_bfloat16hLN4vllm18Fp8KVCacheDataTypeE1ES0_Li32ELi128ELi256ELb0ELi2EEvPKT_PKT0_S8_ifPKiSA_SA_iPKfiiiPfSD_PS3_PT2_iSC_SC_
		.amdhsa_group_segment_fixed_size 0
		.amdhsa_private_segment_fixed_size 64
		.amdhsa_kernarg_size 400
		.amdhsa_user_sgpr_count 2
		.amdhsa_user_sgpr_dispatch_ptr 0
		.amdhsa_user_sgpr_queue_ptr 0
		.amdhsa_user_sgpr_kernarg_segment_ptr 1
		.amdhsa_user_sgpr_dispatch_id 0
		.amdhsa_user_sgpr_kernarg_preload_length 0
		.amdhsa_user_sgpr_kernarg_preload_offset 0
		.amdhsa_user_sgpr_private_segment_size 0
		.amdhsa_wavefront_size32 1
		.amdhsa_uses_dynamic_stack 0
		.amdhsa_enable_private_segment 1
		.amdhsa_system_sgpr_workgroup_id_x 1
		.amdhsa_system_sgpr_workgroup_id_y 0
		.amdhsa_system_sgpr_workgroup_id_z 0
		.amdhsa_system_sgpr_workgroup_info 0
		.amdhsa_system_vgpr_workitem_id 0
		.amdhsa_next_free_vgpr 51
		.amdhsa_next_free_sgpr 34
		.amdhsa_named_barrier_count 0
		.amdhsa_reserve_vcc 1
		.amdhsa_float_round_mode_32 0
		.amdhsa_float_round_mode_16_64 0
		.amdhsa_float_denorm_mode_32 3
		.amdhsa_float_denorm_mode_16_64 3
		.amdhsa_fp16_overflow 0
		.amdhsa_memory_ordered 1
		.amdhsa_forward_progress 1
		.amdhsa_inst_pref_size 1
		.amdhsa_round_robin_scheduling 0
		.amdhsa_exception_fp_ieee_invalid_op 0
		.amdhsa_exception_fp_denorm_src 0
		.amdhsa_exception_fp_ieee_div_zero 0
		.amdhsa_exception_fp_ieee_overflow 0
		.amdhsa_exception_fp_ieee_underflow 0
		.amdhsa_exception_fp_ieee_inexact 0
		.amdhsa_exception_int_div_zero 0
	.end_amdhsa_kernel
	.section	.text._Z39paged_attention_ll4mi_QKV_mfma16_kernelI14__hip_bfloat16hLN4vllm18Fp8KVCacheDataTypeE1ES0_Li32ELi128ELi256ELb0ELi2EEvPKT_PKT0_S8_ifPKiSA_SA_iPKfiiiPfSD_PS3_PT2_iSC_SC_,"axG",@progbits,_Z39paged_attention_ll4mi_QKV_mfma16_kernelI14__hip_bfloat16hLN4vllm18Fp8KVCacheDataTypeE1ES0_Li32ELi128ELi256ELb0ELi2EEvPKT_PKT0_S8_ifPKiSA_SA_iPKfiiiPfSD_PS3_PT2_iSC_SC_,comdat
.Lfunc_end1407:
	.size	_Z39paged_attention_ll4mi_QKV_mfma16_kernelI14__hip_bfloat16hLN4vllm18Fp8KVCacheDataTypeE1ES0_Li32ELi128ELi256ELb0ELi2EEvPKT_PKT0_S8_ifPKiSA_SA_iPKfiiiPfSD_PS3_PT2_iSC_SC_, .Lfunc_end1407-_Z39paged_attention_ll4mi_QKV_mfma16_kernelI14__hip_bfloat16hLN4vllm18Fp8KVCacheDataTypeE1ES0_Li32ELi128ELi256ELb0ELi2EEvPKT_PKT0_S8_ifPKiSA_SA_iPKfiiiPfSD_PS3_PT2_iSC_SC_
                                        ; -- End function
	.set _Z39paged_attention_ll4mi_QKV_mfma16_kernelI14__hip_bfloat16hLN4vllm18Fp8KVCacheDataTypeE1ES0_Li32ELi128ELi256ELb0ELi2EEvPKT_PKT0_S8_ifPKiSA_SA_iPKfiiiPfSD_PS3_PT2_iSC_SC_.num_vgpr, max(3, .L__assert_fail.num_vgpr)
	.set _Z39paged_attention_ll4mi_QKV_mfma16_kernelI14__hip_bfloat16hLN4vllm18Fp8KVCacheDataTypeE1ES0_Li32ELi128ELi256ELb0ELi2EEvPKT_PKT0_S8_ifPKiSA_SA_iPKfiiiPfSD_PS3_PT2_iSC_SC_.num_agpr, max(0, .L__assert_fail.num_agpr)
	.set _Z39paged_attention_ll4mi_QKV_mfma16_kernelI14__hip_bfloat16hLN4vllm18Fp8KVCacheDataTypeE1ES0_Li32ELi128ELi256ELb0ELi2EEvPKT_PKT0_S8_ifPKiSA_SA_iPKfiiiPfSD_PS3_PT2_iSC_SC_.numbered_sgpr, max(33, .L__assert_fail.numbered_sgpr)
	.set _Z39paged_attention_ll4mi_QKV_mfma16_kernelI14__hip_bfloat16hLN4vllm18Fp8KVCacheDataTypeE1ES0_Li32ELi128ELi256ELb0ELi2EEvPKT_PKT0_S8_ifPKiSA_SA_iPKfiiiPfSD_PS3_PT2_iSC_SC_.num_named_barrier, max(0, .L__assert_fail.num_named_barrier)
	.set _Z39paged_attention_ll4mi_QKV_mfma16_kernelI14__hip_bfloat16hLN4vllm18Fp8KVCacheDataTypeE1ES0_Li32ELi128ELi256ELb0ELi2EEvPKT_PKT0_S8_ifPKiSA_SA_iPKfiiiPfSD_PS3_PT2_iSC_SC_.private_seg_size, 0+max(.L__assert_fail.private_seg_size)
	.set _Z39paged_attention_ll4mi_QKV_mfma16_kernelI14__hip_bfloat16hLN4vllm18Fp8KVCacheDataTypeE1ES0_Li32ELi128ELi256ELb0ELi2EEvPKT_PKT0_S8_ifPKiSA_SA_iPKfiiiPfSD_PS3_PT2_iSC_SC_.uses_vcc, or(1, .L__assert_fail.uses_vcc)
	.set _Z39paged_attention_ll4mi_QKV_mfma16_kernelI14__hip_bfloat16hLN4vllm18Fp8KVCacheDataTypeE1ES0_Li32ELi128ELi256ELb0ELi2EEvPKT_PKT0_S8_ifPKiSA_SA_iPKfiiiPfSD_PS3_PT2_iSC_SC_.uses_flat_scratch, or(0, .L__assert_fail.uses_flat_scratch)
	.set _Z39paged_attention_ll4mi_QKV_mfma16_kernelI14__hip_bfloat16hLN4vllm18Fp8KVCacheDataTypeE1ES0_Li32ELi128ELi256ELb0ELi2EEvPKT_PKT0_S8_ifPKiSA_SA_iPKfiiiPfSD_PS3_PT2_iSC_SC_.has_dyn_sized_stack, or(0, .L__assert_fail.has_dyn_sized_stack)
	.set _Z39paged_attention_ll4mi_QKV_mfma16_kernelI14__hip_bfloat16hLN4vllm18Fp8KVCacheDataTypeE1ES0_Li32ELi128ELi256ELb0ELi2EEvPKT_PKT0_S8_ifPKiSA_SA_iPKfiiiPfSD_PS3_PT2_iSC_SC_.has_recursion, or(0, .L__assert_fail.has_recursion)
	.set _Z39paged_attention_ll4mi_QKV_mfma16_kernelI14__hip_bfloat16hLN4vllm18Fp8KVCacheDataTypeE1ES0_Li32ELi128ELi256ELb0ELi2EEvPKT_PKT0_S8_ifPKiSA_SA_iPKfiiiPfSD_PS3_PT2_iSC_SC_.has_indirect_call, or(0, .L__assert_fail.has_indirect_call)
	.section	.AMDGPU.csdata,"",@progbits
; Kernel info:
; codeLenInByte = 68
; TotalNumSgprs: 36
; NumVgprs: 51
; ScratchSize: 64
; MemoryBound: 0
; FloatMode: 240
; IeeeMode: 1
; LDSByteSize: 0 bytes/workgroup (compile time only)
; SGPRBlocks: 0
; VGPRBlocks: 3
; NumSGPRsForWavesPerEU: 36
; NumVGPRsForWavesPerEU: 51
; NamedBarCnt: 0
; Occupancy: 16
; WaveLimiterHint : 1
; COMPUTE_PGM_RSRC2:SCRATCH_EN: 1
; COMPUTE_PGM_RSRC2:USER_SGPR: 2
; COMPUTE_PGM_RSRC2:TRAP_HANDLER: 0
; COMPUTE_PGM_RSRC2:TGID_X_EN: 1
; COMPUTE_PGM_RSRC2:TGID_Y_EN: 0
; COMPUTE_PGM_RSRC2:TGID_Z_EN: 0
; COMPUTE_PGM_RSRC2:TIDIG_COMP_CNT: 0
	.section	.text._Z39paged_attention_ll4mi_QKV_mfma16_kernelI14__hip_bfloat16hLN4vllm18Fp8KVCacheDataTypeE1ES0_Li32ELi128ELi256ELb0ELi3EEvPKT_PKT0_S8_ifPKiSA_SA_iPKfiiiPfSD_PS3_PT2_iSC_SC_,"axG",@progbits,_Z39paged_attention_ll4mi_QKV_mfma16_kernelI14__hip_bfloat16hLN4vllm18Fp8KVCacheDataTypeE1ES0_Li32ELi128ELi256ELb0ELi3EEvPKT_PKT0_S8_ifPKiSA_SA_iPKfiiiPfSD_PS3_PT2_iSC_SC_,comdat
	.protected	_Z39paged_attention_ll4mi_QKV_mfma16_kernelI14__hip_bfloat16hLN4vllm18Fp8KVCacheDataTypeE1ES0_Li32ELi128ELi256ELb0ELi3EEvPKT_PKT0_S8_ifPKiSA_SA_iPKfiiiPfSD_PS3_PT2_iSC_SC_ ; -- Begin function _Z39paged_attention_ll4mi_QKV_mfma16_kernelI14__hip_bfloat16hLN4vllm18Fp8KVCacheDataTypeE1ES0_Li32ELi128ELi256ELb0ELi3EEvPKT_PKT0_S8_ifPKiSA_SA_iPKfiiiPfSD_PS3_PT2_iSC_SC_
	.globl	_Z39paged_attention_ll4mi_QKV_mfma16_kernelI14__hip_bfloat16hLN4vllm18Fp8KVCacheDataTypeE1ES0_Li32ELi128ELi256ELb0ELi3EEvPKT_PKT0_S8_ifPKiSA_SA_iPKfiiiPfSD_PS3_PT2_iSC_SC_
	.p2align	8
	.type	_Z39paged_attention_ll4mi_QKV_mfma16_kernelI14__hip_bfloat16hLN4vllm18Fp8KVCacheDataTypeE1ES0_Li32ELi128ELi256ELb0ELi3EEvPKT_PKT0_S8_ifPKiSA_SA_iPKfiiiPfSD_PS3_PT2_iSC_SC_,@function
_Z39paged_attention_ll4mi_QKV_mfma16_kernelI14__hip_bfloat16hLN4vllm18Fp8KVCacheDataTypeE1ES0_Li32ELi128ELi256ELb0ELi3EEvPKT_PKT0_S8_ifPKiSA_SA_iPKfiiiPfSD_PS3_PT2_iSC_SC_: ; @_Z39paged_attention_ll4mi_QKV_mfma16_kernelI14__hip_bfloat16hLN4vllm18Fp8KVCacheDataTypeE1ES0_Li32ELi128ELi256ELb0ELi3EEvPKT_PKT0_S8_ifPKiSA_SA_iPKfiiiPfSD_PS3_PT2_iSC_SC_
; %bb.0:
	s_get_pc_i64 s[2:3]
	s_add_nc_u64 s[2:3], s[2:3], __PRETTY_FUNCTION__._Z39paged_attention_ll4mi_QKV_mfma16_kernelI14__hip_bfloat16hLN4vllm18Fp8KVCacheDataTypeE1ES0_Li32ELi128ELi256ELb0ELi3EEvPKT_PKT0_S8_ifPKiSA_SA_iPKfiiiPfSD_PS3_PT2_iSC_SC_@rel64+4
	s_delay_alu instid0(SALU_CYCLE_1)
	v_dual_mov_b32 v0, 0xbb3 :: v_dual_mov_b32 v1, s2
	v_mov_b32_e32 v2, s3
	s_add_nc_u64 s[8:9], s[0:1], 0x90
	s_get_pc_i64 s[0:1]
	s_add_nc_u64 s[0:1], s[0:1], __assert_fail@rel64+4
	s_mov_b32 s32, 0
	s_swap_pc_i64 s[30:31], s[0:1]
	.section	.rodata,"a",@progbits
	.p2align	6, 0x0
	.amdhsa_kernel _Z39paged_attention_ll4mi_QKV_mfma16_kernelI14__hip_bfloat16hLN4vllm18Fp8KVCacheDataTypeE1ES0_Li32ELi128ELi256ELb0ELi3EEvPKT_PKT0_S8_ifPKiSA_SA_iPKfiiiPfSD_PS3_PT2_iSC_SC_
		.amdhsa_group_segment_fixed_size 0
		.amdhsa_private_segment_fixed_size 64
		.amdhsa_kernarg_size 400
		.amdhsa_user_sgpr_count 2
		.amdhsa_user_sgpr_dispatch_ptr 0
		.amdhsa_user_sgpr_queue_ptr 0
		.amdhsa_user_sgpr_kernarg_segment_ptr 1
		.amdhsa_user_sgpr_dispatch_id 0
		.amdhsa_user_sgpr_kernarg_preload_length 0
		.amdhsa_user_sgpr_kernarg_preload_offset 0
		.amdhsa_user_sgpr_private_segment_size 0
		.amdhsa_wavefront_size32 1
		.amdhsa_uses_dynamic_stack 0
		.amdhsa_enable_private_segment 1
		.amdhsa_system_sgpr_workgroup_id_x 1
		.amdhsa_system_sgpr_workgroup_id_y 0
		.amdhsa_system_sgpr_workgroup_id_z 0
		.amdhsa_system_sgpr_workgroup_info 0
		.amdhsa_system_vgpr_workitem_id 0
		.amdhsa_next_free_vgpr 51
		.amdhsa_next_free_sgpr 34
		.amdhsa_named_barrier_count 0
		.amdhsa_reserve_vcc 1
		.amdhsa_float_round_mode_32 0
		.amdhsa_float_round_mode_16_64 0
		.amdhsa_float_denorm_mode_32 3
		.amdhsa_float_denorm_mode_16_64 3
		.amdhsa_fp16_overflow 0
		.amdhsa_memory_ordered 1
		.amdhsa_forward_progress 1
		.amdhsa_inst_pref_size 1
		.amdhsa_round_robin_scheduling 0
		.amdhsa_exception_fp_ieee_invalid_op 0
		.amdhsa_exception_fp_denorm_src 0
		.amdhsa_exception_fp_ieee_div_zero 0
		.amdhsa_exception_fp_ieee_overflow 0
		.amdhsa_exception_fp_ieee_underflow 0
		.amdhsa_exception_fp_ieee_inexact 0
		.amdhsa_exception_int_div_zero 0
	.end_amdhsa_kernel
	.section	.text._Z39paged_attention_ll4mi_QKV_mfma16_kernelI14__hip_bfloat16hLN4vllm18Fp8KVCacheDataTypeE1ES0_Li32ELi128ELi256ELb0ELi3EEvPKT_PKT0_S8_ifPKiSA_SA_iPKfiiiPfSD_PS3_PT2_iSC_SC_,"axG",@progbits,_Z39paged_attention_ll4mi_QKV_mfma16_kernelI14__hip_bfloat16hLN4vllm18Fp8KVCacheDataTypeE1ES0_Li32ELi128ELi256ELb0ELi3EEvPKT_PKT0_S8_ifPKiSA_SA_iPKfiiiPfSD_PS3_PT2_iSC_SC_,comdat
.Lfunc_end1408:
	.size	_Z39paged_attention_ll4mi_QKV_mfma16_kernelI14__hip_bfloat16hLN4vllm18Fp8KVCacheDataTypeE1ES0_Li32ELi128ELi256ELb0ELi3EEvPKT_PKT0_S8_ifPKiSA_SA_iPKfiiiPfSD_PS3_PT2_iSC_SC_, .Lfunc_end1408-_Z39paged_attention_ll4mi_QKV_mfma16_kernelI14__hip_bfloat16hLN4vllm18Fp8KVCacheDataTypeE1ES0_Li32ELi128ELi256ELb0ELi3EEvPKT_PKT0_S8_ifPKiSA_SA_iPKfiiiPfSD_PS3_PT2_iSC_SC_
                                        ; -- End function
	.set _Z39paged_attention_ll4mi_QKV_mfma16_kernelI14__hip_bfloat16hLN4vllm18Fp8KVCacheDataTypeE1ES0_Li32ELi128ELi256ELb0ELi3EEvPKT_PKT0_S8_ifPKiSA_SA_iPKfiiiPfSD_PS3_PT2_iSC_SC_.num_vgpr, max(3, .L__assert_fail.num_vgpr)
	.set _Z39paged_attention_ll4mi_QKV_mfma16_kernelI14__hip_bfloat16hLN4vllm18Fp8KVCacheDataTypeE1ES0_Li32ELi128ELi256ELb0ELi3EEvPKT_PKT0_S8_ifPKiSA_SA_iPKfiiiPfSD_PS3_PT2_iSC_SC_.num_agpr, max(0, .L__assert_fail.num_agpr)
	.set _Z39paged_attention_ll4mi_QKV_mfma16_kernelI14__hip_bfloat16hLN4vllm18Fp8KVCacheDataTypeE1ES0_Li32ELi128ELi256ELb0ELi3EEvPKT_PKT0_S8_ifPKiSA_SA_iPKfiiiPfSD_PS3_PT2_iSC_SC_.numbered_sgpr, max(33, .L__assert_fail.numbered_sgpr)
	.set _Z39paged_attention_ll4mi_QKV_mfma16_kernelI14__hip_bfloat16hLN4vllm18Fp8KVCacheDataTypeE1ES0_Li32ELi128ELi256ELb0ELi3EEvPKT_PKT0_S8_ifPKiSA_SA_iPKfiiiPfSD_PS3_PT2_iSC_SC_.num_named_barrier, max(0, .L__assert_fail.num_named_barrier)
	.set _Z39paged_attention_ll4mi_QKV_mfma16_kernelI14__hip_bfloat16hLN4vllm18Fp8KVCacheDataTypeE1ES0_Li32ELi128ELi256ELb0ELi3EEvPKT_PKT0_S8_ifPKiSA_SA_iPKfiiiPfSD_PS3_PT2_iSC_SC_.private_seg_size, 0+max(.L__assert_fail.private_seg_size)
	.set _Z39paged_attention_ll4mi_QKV_mfma16_kernelI14__hip_bfloat16hLN4vllm18Fp8KVCacheDataTypeE1ES0_Li32ELi128ELi256ELb0ELi3EEvPKT_PKT0_S8_ifPKiSA_SA_iPKfiiiPfSD_PS3_PT2_iSC_SC_.uses_vcc, or(1, .L__assert_fail.uses_vcc)
	.set _Z39paged_attention_ll4mi_QKV_mfma16_kernelI14__hip_bfloat16hLN4vllm18Fp8KVCacheDataTypeE1ES0_Li32ELi128ELi256ELb0ELi3EEvPKT_PKT0_S8_ifPKiSA_SA_iPKfiiiPfSD_PS3_PT2_iSC_SC_.uses_flat_scratch, or(0, .L__assert_fail.uses_flat_scratch)
	.set _Z39paged_attention_ll4mi_QKV_mfma16_kernelI14__hip_bfloat16hLN4vllm18Fp8KVCacheDataTypeE1ES0_Li32ELi128ELi256ELb0ELi3EEvPKT_PKT0_S8_ifPKiSA_SA_iPKfiiiPfSD_PS3_PT2_iSC_SC_.has_dyn_sized_stack, or(0, .L__assert_fail.has_dyn_sized_stack)
	.set _Z39paged_attention_ll4mi_QKV_mfma16_kernelI14__hip_bfloat16hLN4vllm18Fp8KVCacheDataTypeE1ES0_Li32ELi128ELi256ELb0ELi3EEvPKT_PKT0_S8_ifPKiSA_SA_iPKfiiiPfSD_PS3_PT2_iSC_SC_.has_recursion, or(0, .L__assert_fail.has_recursion)
	.set _Z39paged_attention_ll4mi_QKV_mfma16_kernelI14__hip_bfloat16hLN4vllm18Fp8KVCacheDataTypeE1ES0_Li32ELi128ELi256ELb0ELi3EEvPKT_PKT0_S8_ifPKiSA_SA_iPKfiiiPfSD_PS3_PT2_iSC_SC_.has_indirect_call, or(0, .L__assert_fail.has_indirect_call)
	.section	.AMDGPU.csdata,"",@progbits
; Kernel info:
; codeLenInByte = 68
; TotalNumSgprs: 36
; NumVgprs: 51
; ScratchSize: 64
; MemoryBound: 0
; FloatMode: 240
; IeeeMode: 1
; LDSByteSize: 0 bytes/workgroup (compile time only)
; SGPRBlocks: 0
; VGPRBlocks: 3
; NumSGPRsForWavesPerEU: 36
; NumVGPRsForWavesPerEU: 51
; NamedBarCnt: 0
; Occupancy: 16
; WaveLimiterHint : 1
; COMPUTE_PGM_RSRC2:SCRATCH_EN: 1
; COMPUTE_PGM_RSRC2:USER_SGPR: 2
; COMPUTE_PGM_RSRC2:TRAP_HANDLER: 0
; COMPUTE_PGM_RSRC2:TGID_X_EN: 1
; COMPUTE_PGM_RSRC2:TGID_Y_EN: 0
; COMPUTE_PGM_RSRC2:TGID_Z_EN: 0
; COMPUTE_PGM_RSRC2:TIDIG_COMP_CNT: 0
	.section	.text._Z39paged_attention_ll4mi_QKV_mfma16_kernelI14__hip_bfloat16hLN4vllm18Fp8KVCacheDataTypeE1ES0_Li32ELi128ELi256ELb0ELi4EEvPKT_PKT0_S8_ifPKiSA_SA_iPKfiiiPfSD_PS3_PT2_iSC_SC_,"axG",@progbits,_Z39paged_attention_ll4mi_QKV_mfma16_kernelI14__hip_bfloat16hLN4vllm18Fp8KVCacheDataTypeE1ES0_Li32ELi128ELi256ELb0ELi4EEvPKT_PKT0_S8_ifPKiSA_SA_iPKfiiiPfSD_PS3_PT2_iSC_SC_,comdat
	.protected	_Z39paged_attention_ll4mi_QKV_mfma16_kernelI14__hip_bfloat16hLN4vllm18Fp8KVCacheDataTypeE1ES0_Li32ELi128ELi256ELb0ELi4EEvPKT_PKT0_S8_ifPKiSA_SA_iPKfiiiPfSD_PS3_PT2_iSC_SC_ ; -- Begin function _Z39paged_attention_ll4mi_QKV_mfma16_kernelI14__hip_bfloat16hLN4vllm18Fp8KVCacheDataTypeE1ES0_Li32ELi128ELi256ELb0ELi4EEvPKT_PKT0_S8_ifPKiSA_SA_iPKfiiiPfSD_PS3_PT2_iSC_SC_
	.globl	_Z39paged_attention_ll4mi_QKV_mfma16_kernelI14__hip_bfloat16hLN4vllm18Fp8KVCacheDataTypeE1ES0_Li32ELi128ELi256ELb0ELi4EEvPKT_PKT0_S8_ifPKiSA_SA_iPKfiiiPfSD_PS3_PT2_iSC_SC_
	.p2align	8
	.type	_Z39paged_attention_ll4mi_QKV_mfma16_kernelI14__hip_bfloat16hLN4vllm18Fp8KVCacheDataTypeE1ES0_Li32ELi128ELi256ELb0ELi4EEvPKT_PKT0_S8_ifPKiSA_SA_iPKfiiiPfSD_PS3_PT2_iSC_SC_,@function
_Z39paged_attention_ll4mi_QKV_mfma16_kernelI14__hip_bfloat16hLN4vllm18Fp8KVCacheDataTypeE1ES0_Li32ELi128ELi256ELb0ELi4EEvPKT_PKT0_S8_ifPKiSA_SA_iPKfiiiPfSD_PS3_PT2_iSC_SC_: ; @_Z39paged_attention_ll4mi_QKV_mfma16_kernelI14__hip_bfloat16hLN4vllm18Fp8KVCacheDataTypeE1ES0_Li32ELi128ELi256ELb0ELi4EEvPKT_PKT0_S8_ifPKiSA_SA_iPKfiiiPfSD_PS3_PT2_iSC_SC_
; %bb.0:
	s_get_pc_i64 s[2:3]
	s_add_nc_u64 s[2:3], s[2:3], __PRETTY_FUNCTION__._Z39paged_attention_ll4mi_QKV_mfma16_kernelI14__hip_bfloat16hLN4vllm18Fp8KVCacheDataTypeE1ES0_Li32ELi128ELi256ELb0ELi4EEvPKT_PKT0_S8_ifPKiSA_SA_iPKfiiiPfSD_PS3_PT2_iSC_SC_@rel64+4
	s_delay_alu instid0(SALU_CYCLE_1)
	v_dual_mov_b32 v0, 0xbb3 :: v_dual_mov_b32 v1, s2
	v_mov_b32_e32 v2, s3
	s_add_nc_u64 s[8:9], s[0:1], 0x90
	s_get_pc_i64 s[0:1]
	s_add_nc_u64 s[0:1], s[0:1], __assert_fail@rel64+4
	s_mov_b32 s32, 0
	s_swap_pc_i64 s[30:31], s[0:1]
	.section	.rodata,"a",@progbits
	.p2align	6, 0x0
	.amdhsa_kernel _Z39paged_attention_ll4mi_QKV_mfma16_kernelI14__hip_bfloat16hLN4vllm18Fp8KVCacheDataTypeE1ES0_Li32ELi128ELi256ELb0ELi4EEvPKT_PKT0_S8_ifPKiSA_SA_iPKfiiiPfSD_PS3_PT2_iSC_SC_
		.amdhsa_group_segment_fixed_size 0
		.amdhsa_private_segment_fixed_size 64
		.amdhsa_kernarg_size 400
		.amdhsa_user_sgpr_count 2
		.amdhsa_user_sgpr_dispatch_ptr 0
		.amdhsa_user_sgpr_queue_ptr 0
		.amdhsa_user_sgpr_kernarg_segment_ptr 1
		.amdhsa_user_sgpr_dispatch_id 0
		.amdhsa_user_sgpr_kernarg_preload_length 0
		.amdhsa_user_sgpr_kernarg_preload_offset 0
		.amdhsa_user_sgpr_private_segment_size 0
		.amdhsa_wavefront_size32 1
		.amdhsa_uses_dynamic_stack 0
		.amdhsa_enable_private_segment 1
		.amdhsa_system_sgpr_workgroup_id_x 1
		.amdhsa_system_sgpr_workgroup_id_y 0
		.amdhsa_system_sgpr_workgroup_id_z 0
		.amdhsa_system_sgpr_workgroup_info 0
		.amdhsa_system_vgpr_workitem_id 0
		.amdhsa_next_free_vgpr 51
		.amdhsa_next_free_sgpr 34
		.amdhsa_named_barrier_count 0
		.amdhsa_reserve_vcc 1
		.amdhsa_float_round_mode_32 0
		.amdhsa_float_round_mode_16_64 0
		.amdhsa_float_denorm_mode_32 3
		.amdhsa_float_denorm_mode_16_64 3
		.amdhsa_fp16_overflow 0
		.amdhsa_memory_ordered 1
		.amdhsa_forward_progress 1
		.amdhsa_inst_pref_size 1
		.amdhsa_round_robin_scheduling 0
		.amdhsa_exception_fp_ieee_invalid_op 0
		.amdhsa_exception_fp_denorm_src 0
		.amdhsa_exception_fp_ieee_div_zero 0
		.amdhsa_exception_fp_ieee_overflow 0
		.amdhsa_exception_fp_ieee_underflow 0
		.amdhsa_exception_fp_ieee_inexact 0
		.amdhsa_exception_int_div_zero 0
	.end_amdhsa_kernel
	.section	.text._Z39paged_attention_ll4mi_QKV_mfma16_kernelI14__hip_bfloat16hLN4vllm18Fp8KVCacheDataTypeE1ES0_Li32ELi128ELi256ELb0ELi4EEvPKT_PKT0_S8_ifPKiSA_SA_iPKfiiiPfSD_PS3_PT2_iSC_SC_,"axG",@progbits,_Z39paged_attention_ll4mi_QKV_mfma16_kernelI14__hip_bfloat16hLN4vllm18Fp8KVCacheDataTypeE1ES0_Li32ELi128ELi256ELb0ELi4EEvPKT_PKT0_S8_ifPKiSA_SA_iPKfiiiPfSD_PS3_PT2_iSC_SC_,comdat
.Lfunc_end1409:
	.size	_Z39paged_attention_ll4mi_QKV_mfma16_kernelI14__hip_bfloat16hLN4vllm18Fp8KVCacheDataTypeE1ES0_Li32ELi128ELi256ELb0ELi4EEvPKT_PKT0_S8_ifPKiSA_SA_iPKfiiiPfSD_PS3_PT2_iSC_SC_, .Lfunc_end1409-_Z39paged_attention_ll4mi_QKV_mfma16_kernelI14__hip_bfloat16hLN4vllm18Fp8KVCacheDataTypeE1ES0_Li32ELi128ELi256ELb0ELi4EEvPKT_PKT0_S8_ifPKiSA_SA_iPKfiiiPfSD_PS3_PT2_iSC_SC_
                                        ; -- End function
	.set _Z39paged_attention_ll4mi_QKV_mfma16_kernelI14__hip_bfloat16hLN4vllm18Fp8KVCacheDataTypeE1ES0_Li32ELi128ELi256ELb0ELi4EEvPKT_PKT0_S8_ifPKiSA_SA_iPKfiiiPfSD_PS3_PT2_iSC_SC_.num_vgpr, max(3, .L__assert_fail.num_vgpr)
	.set _Z39paged_attention_ll4mi_QKV_mfma16_kernelI14__hip_bfloat16hLN4vllm18Fp8KVCacheDataTypeE1ES0_Li32ELi128ELi256ELb0ELi4EEvPKT_PKT0_S8_ifPKiSA_SA_iPKfiiiPfSD_PS3_PT2_iSC_SC_.num_agpr, max(0, .L__assert_fail.num_agpr)
	.set _Z39paged_attention_ll4mi_QKV_mfma16_kernelI14__hip_bfloat16hLN4vllm18Fp8KVCacheDataTypeE1ES0_Li32ELi128ELi256ELb0ELi4EEvPKT_PKT0_S8_ifPKiSA_SA_iPKfiiiPfSD_PS3_PT2_iSC_SC_.numbered_sgpr, max(33, .L__assert_fail.numbered_sgpr)
	.set _Z39paged_attention_ll4mi_QKV_mfma16_kernelI14__hip_bfloat16hLN4vllm18Fp8KVCacheDataTypeE1ES0_Li32ELi128ELi256ELb0ELi4EEvPKT_PKT0_S8_ifPKiSA_SA_iPKfiiiPfSD_PS3_PT2_iSC_SC_.num_named_barrier, max(0, .L__assert_fail.num_named_barrier)
	.set _Z39paged_attention_ll4mi_QKV_mfma16_kernelI14__hip_bfloat16hLN4vllm18Fp8KVCacheDataTypeE1ES0_Li32ELi128ELi256ELb0ELi4EEvPKT_PKT0_S8_ifPKiSA_SA_iPKfiiiPfSD_PS3_PT2_iSC_SC_.private_seg_size, 0+max(.L__assert_fail.private_seg_size)
	.set _Z39paged_attention_ll4mi_QKV_mfma16_kernelI14__hip_bfloat16hLN4vllm18Fp8KVCacheDataTypeE1ES0_Li32ELi128ELi256ELb0ELi4EEvPKT_PKT0_S8_ifPKiSA_SA_iPKfiiiPfSD_PS3_PT2_iSC_SC_.uses_vcc, or(1, .L__assert_fail.uses_vcc)
	.set _Z39paged_attention_ll4mi_QKV_mfma16_kernelI14__hip_bfloat16hLN4vllm18Fp8KVCacheDataTypeE1ES0_Li32ELi128ELi256ELb0ELi4EEvPKT_PKT0_S8_ifPKiSA_SA_iPKfiiiPfSD_PS3_PT2_iSC_SC_.uses_flat_scratch, or(0, .L__assert_fail.uses_flat_scratch)
	.set _Z39paged_attention_ll4mi_QKV_mfma16_kernelI14__hip_bfloat16hLN4vllm18Fp8KVCacheDataTypeE1ES0_Li32ELi128ELi256ELb0ELi4EEvPKT_PKT0_S8_ifPKiSA_SA_iPKfiiiPfSD_PS3_PT2_iSC_SC_.has_dyn_sized_stack, or(0, .L__assert_fail.has_dyn_sized_stack)
	.set _Z39paged_attention_ll4mi_QKV_mfma16_kernelI14__hip_bfloat16hLN4vllm18Fp8KVCacheDataTypeE1ES0_Li32ELi128ELi256ELb0ELi4EEvPKT_PKT0_S8_ifPKiSA_SA_iPKfiiiPfSD_PS3_PT2_iSC_SC_.has_recursion, or(0, .L__assert_fail.has_recursion)
	.set _Z39paged_attention_ll4mi_QKV_mfma16_kernelI14__hip_bfloat16hLN4vllm18Fp8KVCacheDataTypeE1ES0_Li32ELi128ELi256ELb0ELi4EEvPKT_PKT0_S8_ifPKiSA_SA_iPKfiiiPfSD_PS3_PT2_iSC_SC_.has_indirect_call, or(0, .L__assert_fail.has_indirect_call)
	.section	.AMDGPU.csdata,"",@progbits
; Kernel info:
; codeLenInByte = 68
; TotalNumSgprs: 36
; NumVgprs: 51
; ScratchSize: 64
; MemoryBound: 0
; FloatMode: 240
; IeeeMode: 1
; LDSByteSize: 0 bytes/workgroup (compile time only)
; SGPRBlocks: 0
; VGPRBlocks: 3
; NumSGPRsForWavesPerEU: 36
; NumVGPRsForWavesPerEU: 51
; NamedBarCnt: 0
; Occupancy: 16
; WaveLimiterHint : 1
; COMPUTE_PGM_RSRC2:SCRATCH_EN: 1
; COMPUTE_PGM_RSRC2:USER_SGPR: 2
; COMPUTE_PGM_RSRC2:TRAP_HANDLER: 0
; COMPUTE_PGM_RSRC2:TGID_X_EN: 1
; COMPUTE_PGM_RSRC2:TGID_Y_EN: 0
; COMPUTE_PGM_RSRC2:TGID_Z_EN: 0
; COMPUTE_PGM_RSRC2:TIDIG_COMP_CNT: 0
	.text
	.p2alignl 7, 3214868480
	.fill 96, 4, 3214868480
	.section	.AMDGPU.gpr_maximums,"",@progbits
	.set amdgpu.max_num_vgpr, 51
	.set amdgpu.max_num_agpr, 0
	.set amdgpu.max_num_sgpr, 34
	.text
	.type	__const.__assert_fail.fmt,@object ; @__const.__assert_fail.fmt
	.section	.rodata.str1.16,"aMS",@progbits,1
	.p2align	4, 0x0
__const.__assert_fail.fmt:
	.asciz	"%s:%u: %s: Device-side assertion `%s' failed.\n"
	.size	__const.__assert_fail.fmt, 47

	.type	.str,@object                    ; @.str
	.section	.rodata.str1.1,"aMS",@progbits,1
.str:
	.asciz	"false"
	.size	.str, 6

	.type	.str.1,@object                  ; @.str.1
.str.1:
	.asciz	"/root/src/amdgpu-assembly/repos/ROCm__vllm/csrc/rocm/attention.hip"
	.size	.str.1, 67

	.type	__PRETTY_FUNCTION__._Z38paged_attention_ll4mi_QKV_mfma4_kernelIDF16_DF16_LN4vllm18Fp8KVCacheDataTypeE0EhLi16ELi64ELi256ELb1ELi1EEvPKT_PKT0_S7_ifPKiS9_S9_iPKfiiiPfSC_PS2_PT2_iSB_SB_,@object ; @__PRETTY_FUNCTION__._Z38paged_attention_ll4mi_QKV_mfma4_kernelIDF16_DF16_LN4vllm18Fp8KVCacheDataTypeE0EhLi16ELi64ELi256ELb1ELi1EEvPKT_PKT0_S7_ifPKiS9_S9_iPKfiiiPfSC_PS2_PT2_iSB_SB_
__PRETTY_FUNCTION__._Z38paged_attention_ll4mi_QKV_mfma4_kernelIDF16_DF16_LN4vllm18Fp8KVCacheDataTypeE0EhLi16ELi64ELi256ELb1ELi1EEvPKT_PKT0_S7_ifPKiS9_S9_iPKfiiiPfSC_PS2_PT2_iSB_SB_:
	.asciz	"void paged_attention_ll4mi_QKV_mfma4_kernel(const scalar_t *__restrict, const cache_t *__restrict, const cache_t *__restrict, const int, const float, const int *__restrict, const int *__restrict, const int *__restrict, const int, const float *__restrict, const int, const int, const int, float *__restrict, float *__restrict, scalar_t *__restrict, OUTT *__restrict, int, const float *, const float *) [scalar_t = _Float16, cache_t = _Float16, KV_DTYPE = vllm::Fp8KVCacheDataType::kAuto, OUTT = unsigned char, BLOCK_SIZE = 16, HEAD_SIZE = 64, NUM_THREADS = 256, ALIBI_ENABLED = true, GQA_RATIO = 1]"
	.size	__PRETTY_FUNCTION__._Z38paged_attention_ll4mi_QKV_mfma4_kernelIDF16_DF16_LN4vllm18Fp8KVCacheDataTypeE0EhLi16ELi64ELi256ELb1ELi1EEvPKT_PKT0_S7_ifPKiS9_S9_iPKfiiiPfSC_PS2_PT2_iSB_SB_, 598

	.type	__PRETTY_FUNCTION__._Z38paged_attention_ll4mi_QKV_mfma4_kernelIDF16_DF16_LN4vllm18Fp8KVCacheDataTypeE0EhLi16ELi64ELi256ELb1ELi2EEvPKT_PKT0_S7_ifPKiS9_S9_iPKfiiiPfSC_PS2_PT2_iSB_SB_,@object ; @__PRETTY_FUNCTION__._Z38paged_attention_ll4mi_QKV_mfma4_kernelIDF16_DF16_LN4vllm18Fp8KVCacheDataTypeE0EhLi16ELi64ELi256ELb1ELi2EEvPKT_PKT0_S7_ifPKiS9_S9_iPKfiiiPfSC_PS2_PT2_iSB_SB_
__PRETTY_FUNCTION__._Z38paged_attention_ll4mi_QKV_mfma4_kernelIDF16_DF16_LN4vllm18Fp8KVCacheDataTypeE0EhLi16ELi64ELi256ELb1ELi2EEvPKT_PKT0_S7_ifPKiS9_S9_iPKfiiiPfSC_PS2_PT2_iSB_SB_:
	.asciz	"void paged_attention_ll4mi_QKV_mfma4_kernel(const scalar_t *__restrict, const cache_t *__restrict, const cache_t *__restrict, const int, const float, const int *__restrict, const int *__restrict, const int *__restrict, const int, const float *__restrict, const int, const int, const int, float *__restrict, float *__restrict, scalar_t *__restrict, OUTT *__restrict, int, const float *, const float *) [scalar_t = _Float16, cache_t = _Float16, KV_DTYPE = vllm::Fp8KVCacheDataType::kAuto, OUTT = unsigned char, BLOCK_SIZE = 16, HEAD_SIZE = 64, NUM_THREADS = 256, ALIBI_ENABLED = true, GQA_RATIO = 2]"
	.size	__PRETTY_FUNCTION__._Z38paged_attention_ll4mi_QKV_mfma4_kernelIDF16_DF16_LN4vllm18Fp8KVCacheDataTypeE0EhLi16ELi64ELi256ELb1ELi2EEvPKT_PKT0_S7_ifPKiS9_S9_iPKfiiiPfSC_PS2_PT2_iSB_SB_, 598

	.type	__PRETTY_FUNCTION__._Z38paged_attention_ll4mi_QKV_mfma4_kernelIDF16_DF16_LN4vllm18Fp8KVCacheDataTypeE0EhLi16ELi64ELi256ELb1ELi3EEvPKT_PKT0_S7_ifPKiS9_S9_iPKfiiiPfSC_PS2_PT2_iSB_SB_,@object ; @__PRETTY_FUNCTION__._Z38paged_attention_ll4mi_QKV_mfma4_kernelIDF16_DF16_LN4vllm18Fp8KVCacheDataTypeE0EhLi16ELi64ELi256ELb1ELi3EEvPKT_PKT0_S7_ifPKiS9_S9_iPKfiiiPfSC_PS2_PT2_iSB_SB_
__PRETTY_FUNCTION__._Z38paged_attention_ll4mi_QKV_mfma4_kernelIDF16_DF16_LN4vllm18Fp8KVCacheDataTypeE0EhLi16ELi64ELi256ELb1ELi3EEvPKT_PKT0_S7_ifPKiS9_S9_iPKfiiiPfSC_PS2_PT2_iSB_SB_:
	.asciz	"void paged_attention_ll4mi_QKV_mfma4_kernel(const scalar_t *__restrict, const cache_t *__restrict, const cache_t *__restrict, const int, const float, const int *__restrict, const int *__restrict, const int *__restrict, const int, const float *__restrict, const int, const int, const int, float *__restrict, float *__restrict, scalar_t *__restrict, OUTT *__restrict, int, const float *, const float *) [scalar_t = _Float16, cache_t = _Float16, KV_DTYPE = vllm::Fp8KVCacheDataType::kAuto, OUTT = unsigned char, BLOCK_SIZE = 16, HEAD_SIZE = 64, NUM_THREADS = 256, ALIBI_ENABLED = true, GQA_RATIO = 3]"
	.size	__PRETTY_FUNCTION__._Z38paged_attention_ll4mi_QKV_mfma4_kernelIDF16_DF16_LN4vllm18Fp8KVCacheDataTypeE0EhLi16ELi64ELi256ELb1ELi3EEvPKT_PKT0_S7_ifPKiS9_S9_iPKfiiiPfSC_PS2_PT2_iSB_SB_, 598

	.type	__PRETTY_FUNCTION__._Z38paged_attention_ll4mi_QKV_mfma4_kernelIDF16_DF16_LN4vllm18Fp8KVCacheDataTypeE0EhLi16ELi64ELi256ELb1ELi4EEvPKT_PKT0_S7_ifPKiS9_S9_iPKfiiiPfSC_PS2_PT2_iSB_SB_,@object ; @__PRETTY_FUNCTION__._Z38paged_attention_ll4mi_QKV_mfma4_kernelIDF16_DF16_LN4vllm18Fp8KVCacheDataTypeE0EhLi16ELi64ELi256ELb1ELi4EEvPKT_PKT0_S7_ifPKiS9_S9_iPKfiiiPfSC_PS2_PT2_iSB_SB_
__PRETTY_FUNCTION__._Z38paged_attention_ll4mi_QKV_mfma4_kernelIDF16_DF16_LN4vllm18Fp8KVCacheDataTypeE0EhLi16ELi64ELi256ELb1ELi4EEvPKT_PKT0_S7_ifPKiS9_S9_iPKfiiiPfSC_PS2_PT2_iSB_SB_:
	.asciz	"void paged_attention_ll4mi_QKV_mfma4_kernel(const scalar_t *__restrict, const cache_t *__restrict, const cache_t *__restrict, const int, const float, const int *__restrict, const int *__restrict, const int *__restrict, const int, const float *__restrict, const int, const int, const int, float *__restrict, float *__restrict, scalar_t *__restrict, OUTT *__restrict, int, const float *, const float *) [scalar_t = _Float16, cache_t = _Float16, KV_DTYPE = vllm::Fp8KVCacheDataType::kAuto, OUTT = unsigned char, BLOCK_SIZE = 16, HEAD_SIZE = 64, NUM_THREADS = 256, ALIBI_ENABLED = true, GQA_RATIO = 4]"
	.size	__PRETTY_FUNCTION__._Z38paged_attention_ll4mi_QKV_mfma4_kernelIDF16_DF16_LN4vllm18Fp8KVCacheDataTypeE0EhLi16ELi64ELi256ELb1ELi4EEvPKT_PKT0_S7_ifPKiS9_S9_iPKfiiiPfSC_PS2_PT2_iSB_SB_, 598

	.type	__PRETTY_FUNCTION__._Z39paged_attention_ll4mi_QKV_mfma16_kernelIDF16_DF16_LN4vllm18Fp8KVCacheDataTypeE0EhLi16ELi64ELi256ELb1ELi5EEvPKT_PKT0_S7_ifPKiS9_S9_iPKfiiiPfSC_PS2_PT2_iSB_SB_,@object ; @__PRETTY_FUNCTION__._Z39paged_attention_ll4mi_QKV_mfma16_kernelIDF16_DF16_LN4vllm18Fp8KVCacheDataTypeE0EhLi16ELi64ELi256ELb1ELi5EEvPKT_PKT0_S7_ifPKiS9_S9_iPKfiiiPfSC_PS2_PT2_iSB_SB_
__PRETTY_FUNCTION__._Z39paged_attention_ll4mi_QKV_mfma16_kernelIDF16_DF16_LN4vllm18Fp8KVCacheDataTypeE0EhLi16ELi64ELi256ELb1ELi5EEvPKT_PKT0_S7_ifPKiS9_S9_iPKfiiiPfSC_PS2_PT2_iSB_SB_:
	.asciz	"void paged_attention_ll4mi_QKV_mfma16_kernel(const scalar_t *__restrict, const cache_t *__restrict, const cache_t *__restrict, const int, const float, const int *__restrict, const int *__restrict, const int *__restrict, const int, const float *__restrict, const int, const int, const int, float *__restrict, float *__restrict, scalar_t *__restrict, OUTT *__restrict, int, const float *, const float *) [scalar_t = _Float16, cache_t = _Float16, KV_DTYPE = vllm::Fp8KVCacheDataType::kAuto, OUTT = unsigned char, BLOCK_SIZE = 16, HEAD_SIZE = 64, NUM_THREADS = 256, ALIBI_ENABLED = true, GQA_RATIO = 5]"
	.size	__PRETTY_FUNCTION__._Z39paged_attention_ll4mi_QKV_mfma16_kernelIDF16_DF16_LN4vllm18Fp8KVCacheDataTypeE0EhLi16ELi64ELi256ELb1ELi5EEvPKT_PKT0_S7_ifPKiS9_S9_iPKfiiiPfSC_PS2_PT2_iSB_SB_, 599

	.type	__PRETTY_FUNCTION__._Z39paged_attention_ll4mi_QKV_mfma16_kernelIDF16_DF16_LN4vllm18Fp8KVCacheDataTypeE0EhLi16ELi64ELi256ELb1ELi6EEvPKT_PKT0_S7_ifPKiS9_S9_iPKfiiiPfSC_PS2_PT2_iSB_SB_,@object ; @__PRETTY_FUNCTION__._Z39paged_attention_ll4mi_QKV_mfma16_kernelIDF16_DF16_LN4vllm18Fp8KVCacheDataTypeE0EhLi16ELi64ELi256ELb1ELi6EEvPKT_PKT0_S7_ifPKiS9_S9_iPKfiiiPfSC_PS2_PT2_iSB_SB_
__PRETTY_FUNCTION__._Z39paged_attention_ll4mi_QKV_mfma16_kernelIDF16_DF16_LN4vllm18Fp8KVCacheDataTypeE0EhLi16ELi64ELi256ELb1ELi6EEvPKT_PKT0_S7_ifPKiS9_S9_iPKfiiiPfSC_PS2_PT2_iSB_SB_:
	.asciz	"void paged_attention_ll4mi_QKV_mfma16_kernel(const scalar_t *__restrict, const cache_t *__restrict, const cache_t *__restrict, const int, const float, const int *__restrict, const int *__restrict, const int *__restrict, const int, const float *__restrict, const int, const int, const int, float *__restrict, float *__restrict, scalar_t *__restrict, OUTT *__restrict, int, const float *, const float *) [scalar_t = _Float16, cache_t = _Float16, KV_DTYPE = vllm::Fp8KVCacheDataType::kAuto, OUTT = unsigned char, BLOCK_SIZE = 16, HEAD_SIZE = 64, NUM_THREADS = 256, ALIBI_ENABLED = true, GQA_RATIO = 6]"
	.size	__PRETTY_FUNCTION__._Z39paged_attention_ll4mi_QKV_mfma16_kernelIDF16_DF16_LN4vllm18Fp8KVCacheDataTypeE0EhLi16ELi64ELi256ELb1ELi6EEvPKT_PKT0_S7_ifPKiS9_S9_iPKfiiiPfSC_PS2_PT2_iSB_SB_, 599

	.type	__PRETTY_FUNCTION__._Z39paged_attention_ll4mi_QKV_mfma16_kernelIDF16_DF16_LN4vllm18Fp8KVCacheDataTypeE0EhLi16ELi64ELi256ELb1ELi7EEvPKT_PKT0_S7_ifPKiS9_S9_iPKfiiiPfSC_PS2_PT2_iSB_SB_,@object ; @__PRETTY_FUNCTION__._Z39paged_attention_ll4mi_QKV_mfma16_kernelIDF16_DF16_LN4vllm18Fp8KVCacheDataTypeE0EhLi16ELi64ELi256ELb1ELi7EEvPKT_PKT0_S7_ifPKiS9_S9_iPKfiiiPfSC_PS2_PT2_iSB_SB_
__PRETTY_FUNCTION__._Z39paged_attention_ll4mi_QKV_mfma16_kernelIDF16_DF16_LN4vllm18Fp8KVCacheDataTypeE0EhLi16ELi64ELi256ELb1ELi7EEvPKT_PKT0_S7_ifPKiS9_S9_iPKfiiiPfSC_PS2_PT2_iSB_SB_:
	.asciz	"void paged_attention_ll4mi_QKV_mfma16_kernel(const scalar_t *__restrict, const cache_t *__restrict, const cache_t *__restrict, const int, const float, const int *__restrict, const int *__restrict, const int *__restrict, const int, const float *__restrict, const int, const int, const int, float *__restrict, float *__restrict, scalar_t *__restrict, OUTT *__restrict, int, const float *, const float *) [scalar_t = _Float16, cache_t = _Float16, KV_DTYPE = vllm::Fp8KVCacheDataType::kAuto, OUTT = unsigned char, BLOCK_SIZE = 16, HEAD_SIZE = 64, NUM_THREADS = 256, ALIBI_ENABLED = true, GQA_RATIO = 7]"
	.size	__PRETTY_FUNCTION__._Z39paged_attention_ll4mi_QKV_mfma16_kernelIDF16_DF16_LN4vllm18Fp8KVCacheDataTypeE0EhLi16ELi64ELi256ELb1ELi7EEvPKT_PKT0_S7_ifPKiS9_S9_iPKfiiiPfSC_PS2_PT2_iSB_SB_, 599

	.type	__PRETTY_FUNCTION__._Z39paged_attention_ll4mi_QKV_mfma16_kernelIDF16_DF16_LN4vllm18Fp8KVCacheDataTypeE0EhLi16ELi64ELi256ELb1ELi8EEvPKT_PKT0_S7_ifPKiS9_S9_iPKfiiiPfSC_PS2_PT2_iSB_SB_,@object ; @__PRETTY_FUNCTION__._Z39paged_attention_ll4mi_QKV_mfma16_kernelIDF16_DF16_LN4vllm18Fp8KVCacheDataTypeE0EhLi16ELi64ELi256ELb1ELi8EEvPKT_PKT0_S7_ifPKiS9_S9_iPKfiiiPfSC_PS2_PT2_iSB_SB_
__PRETTY_FUNCTION__._Z39paged_attention_ll4mi_QKV_mfma16_kernelIDF16_DF16_LN4vllm18Fp8KVCacheDataTypeE0EhLi16ELi64ELi256ELb1ELi8EEvPKT_PKT0_S7_ifPKiS9_S9_iPKfiiiPfSC_PS2_PT2_iSB_SB_:
	.asciz	"void paged_attention_ll4mi_QKV_mfma16_kernel(const scalar_t *__restrict, const cache_t *__restrict, const cache_t *__restrict, const int, const float, const int *__restrict, const int *__restrict, const int *__restrict, const int, const float *__restrict, const int, const int, const int, float *__restrict, float *__restrict, scalar_t *__restrict, OUTT *__restrict, int, const float *, const float *) [scalar_t = _Float16, cache_t = _Float16, KV_DTYPE = vllm::Fp8KVCacheDataType::kAuto, OUTT = unsigned char, BLOCK_SIZE = 16, HEAD_SIZE = 64, NUM_THREADS = 256, ALIBI_ENABLED = true, GQA_RATIO = 8]"
	.size	__PRETTY_FUNCTION__._Z39paged_attention_ll4mi_QKV_mfma16_kernelIDF16_DF16_LN4vllm18Fp8KVCacheDataTypeE0EhLi16ELi64ELi256ELb1ELi8EEvPKT_PKT0_S7_ifPKiS9_S9_iPKfiiiPfSC_PS2_PT2_iSB_SB_, 599

	.type	__PRETTY_FUNCTION__._Z39paged_attention_ll4mi_QKV_mfma16_kernelIDF16_DF16_LN4vllm18Fp8KVCacheDataTypeE0EhLi16ELi64ELi256ELb1ELi9EEvPKT_PKT0_S7_ifPKiS9_S9_iPKfiiiPfSC_PS2_PT2_iSB_SB_,@object ; @__PRETTY_FUNCTION__._Z39paged_attention_ll4mi_QKV_mfma16_kernelIDF16_DF16_LN4vllm18Fp8KVCacheDataTypeE0EhLi16ELi64ELi256ELb1ELi9EEvPKT_PKT0_S7_ifPKiS9_S9_iPKfiiiPfSC_PS2_PT2_iSB_SB_
__PRETTY_FUNCTION__._Z39paged_attention_ll4mi_QKV_mfma16_kernelIDF16_DF16_LN4vllm18Fp8KVCacheDataTypeE0EhLi16ELi64ELi256ELb1ELi9EEvPKT_PKT0_S7_ifPKiS9_S9_iPKfiiiPfSC_PS2_PT2_iSB_SB_:
	.asciz	"void paged_attention_ll4mi_QKV_mfma16_kernel(const scalar_t *__restrict, const cache_t *__restrict, const cache_t *__restrict, const int, const float, const int *__restrict, const int *__restrict, const int *__restrict, const int, const float *__restrict, const int, const int, const int, float *__restrict, float *__restrict, scalar_t *__restrict, OUTT *__restrict, int, const float *, const float *) [scalar_t = _Float16, cache_t = _Float16, KV_DTYPE = vllm::Fp8KVCacheDataType::kAuto, OUTT = unsigned char, BLOCK_SIZE = 16, HEAD_SIZE = 64, NUM_THREADS = 256, ALIBI_ENABLED = true, GQA_RATIO = 9]"
	.size	__PRETTY_FUNCTION__._Z39paged_attention_ll4mi_QKV_mfma16_kernelIDF16_DF16_LN4vllm18Fp8KVCacheDataTypeE0EhLi16ELi64ELi256ELb1ELi9EEvPKT_PKT0_S7_ifPKiS9_S9_iPKfiiiPfSC_PS2_PT2_iSB_SB_, 599

	.type	__PRETTY_FUNCTION__._Z39paged_attention_ll4mi_QKV_mfma16_kernelIDF16_DF16_LN4vllm18Fp8KVCacheDataTypeE0EhLi16ELi64ELi256ELb1ELi10EEvPKT_PKT0_S7_ifPKiS9_S9_iPKfiiiPfSC_PS2_PT2_iSB_SB_,@object ; @__PRETTY_FUNCTION__._Z39paged_attention_ll4mi_QKV_mfma16_kernelIDF16_DF16_LN4vllm18Fp8KVCacheDataTypeE0EhLi16ELi64ELi256ELb1ELi10EEvPKT_PKT0_S7_ifPKiS9_S9_iPKfiiiPfSC_PS2_PT2_iSB_SB_
__PRETTY_FUNCTION__._Z39paged_attention_ll4mi_QKV_mfma16_kernelIDF16_DF16_LN4vllm18Fp8KVCacheDataTypeE0EhLi16ELi64ELi256ELb1ELi10EEvPKT_PKT0_S7_ifPKiS9_S9_iPKfiiiPfSC_PS2_PT2_iSB_SB_:
	.asciz	"void paged_attention_ll4mi_QKV_mfma16_kernel(const scalar_t *__restrict, const cache_t *__restrict, const cache_t *__restrict, const int, const float, const int *__restrict, const int *__restrict, const int *__restrict, const int, const float *__restrict, const int, const int, const int, float *__restrict, float *__restrict, scalar_t *__restrict, OUTT *__restrict, int, const float *, const float *) [scalar_t = _Float16, cache_t = _Float16, KV_DTYPE = vllm::Fp8KVCacheDataType::kAuto, OUTT = unsigned char, BLOCK_SIZE = 16, HEAD_SIZE = 64, NUM_THREADS = 256, ALIBI_ENABLED = true, GQA_RATIO = 10]"
	.size	__PRETTY_FUNCTION__._Z39paged_attention_ll4mi_QKV_mfma16_kernelIDF16_DF16_LN4vllm18Fp8KVCacheDataTypeE0EhLi16ELi64ELi256ELb1ELi10EEvPKT_PKT0_S7_ifPKiS9_S9_iPKfiiiPfSC_PS2_PT2_iSB_SB_, 600

	.type	__PRETTY_FUNCTION__._Z39paged_attention_ll4mi_QKV_mfma16_kernelIDF16_DF16_LN4vllm18Fp8KVCacheDataTypeE0EhLi16ELi64ELi256ELb1ELi11EEvPKT_PKT0_S7_ifPKiS9_S9_iPKfiiiPfSC_PS2_PT2_iSB_SB_,@object ; @__PRETTY_FUNCTION__._Z39paged_attention_ll4mi_QKV_mfma16_kernelIDF16_DF16_LN4vllm18Fp8KVCacheDataTypeE0EhLi16ELi64ELi256ELb1ELi11EEvPKT_PKT0_S7_ifPKiS9_S9_iPKfiiiPfSC_PS2_PT2_iSB_SB_
__PRETTY_FUNCTION__._Z39paged_attention_ll4mi_QKV_mfma16_kernelIDF16_DF16_LN4vllm18Fp8KVCacheDataTypeE0EhLi16ELi64ELi256ELb1ELi11EEvPKT_PKT0_S7_ifPKiS9_S9_iPKfiiiPfSC_PS2_PT2_iSB_SB_:
	.asciz	"void paged_attention_ll4mi_QKV_mfma16_kernel(const scalar_t *__restrict, const cache_t *__restrict, const cache_t *__restrict, const int, const float, const int *__restrict, const int *__restrict, const int *__restrict, const int, const float *__restrict, const int, const int, const int, float *__restrict, float *__restrict, scalar_t *__restrict, OUTT *__restrict, int, const float *, const float *) [scalar_t = _Float16, cache_t = _Float16, KV_DTYPE = vllm::Fp8KVCacheDataType::kAuto, OUTT = unsigned char, BLOCK_SIZE = 16, HEAD_SIZE = 64, NUM_THREADS = 256, ALIBI_ENABLED = true, GQA_RATIO = 11]"
	.size	__PRETTY_FUNCTION__._Z39paged_attention_ll4mi_QKV_mfma16_kernelIDF16_DF16_LN4vllm18Fp8KVCacheDataTypeE0EhLi16ELi64ELi256ELb1ELi11EEvPKT_PKT0_S7_ifPKiS9_S9_iPKfiiiPfSC_PS2_PT2_iSB_SB_, 600

	.type	__PRETTY_FUNCTION__._Z39paged_attention_ll4mi_QKV_mfma16_kernelIDF16_DF16_LN4vllm18Fp8KVCacheDataTypeE0EhLi16ELi64ELi256ELb1ELi12EEvPKT_PKT0_S7_ifPKiS9_S9_iPKfiiiPfSC_PS2_PT2_iSB_SB_,@object ; @__PRETTY_FUNCTION__._Z39paged_attention_ll4mi_QKV_mfma16_kernelIDF16_DF16_LN4vllm18Fp8KVCacheDataTypeE0EhLi16ELi64ELi256ELb1ELi12EEvPKT_PKT0_S7_ifPKiS9_S9_iPKfiiiPfSC_PS2_PT2_iSB_SB_
__PRETTY_FUNCTION__._Z39paged_attention_ll4mi_QKV_mfma16_kernelIDF16_DF16_LN4vllm18Fp8KVCacheDataTypeE0EhLi16ELi64ELi256ELb1ELi12EEvPKT_PKT0_S7_ifPKiS9_S9_iPKfiiiPfSC_PS2_PT2_iSB_SB_:
	.asciz	"void paged_attention_ll4mi_QKV_mfma16_kernel(const scalar_t *__restrict, const cache_t *__restrict, const cache_t *__restrict, const int, const float, const int *__restrict, const int *__restrict, const int *__restrict, const int, const float *__restrict, const int, const int, const int, float *__restrict, float *__restrict, scalar_t *__restrict, OUTT *__restrict, int, const float *, const float *) [scalar_t = _Float16, cache_t = _Float16, KV_DTYPE = vllm::Fp8KVCacheDataType::kAuto, OUTT = unsigned char, BLOCK_SIZE = 16, HEAD_SIZE = 64, NUM_THREADS = 256, ALIBI_ENABLED = true, GQA_RATIO = 12]"
	.size	__PRETTY_FUNCTION__._Z39paged_attention_ll4mi_QKV_mfma16_kernelIDF16_DF16_LN4vllm18Fp8KVCacheDataTypeE0EhLi16ELi64ELi256ELb1ELi12EEvPKT_PKT0_S7_ifPKiS9_S9_iPKfiiiPfSC_PS2_PT2_iSB_SB_, 600

	.type	__PRETTY_FUNCTION__._Z39paged_attention_ll4mi_QKV_mfma16_kernelIDF16_DF16_LN4vllm18Fp8KVCacheDataTypeE0EhLi16ELi64ELi256ELb1ELi13EEvPKT_PKT0_S7_ifPKiS9_S9_iPKfiiiPfSC_PS2_PT2_iSB_SB_,@object ; @__PRETTY_FUNCTION__._Z39paged_attention_ll4mi_QKV_mfma16_kernelIDF16_DF16_LN4vllm18Fp8KVCacheDataTypeE0EhLi16ELi64ELi256ELb1ELi13EEvPKT_PKT0_S7_ifPKiS9_S9_iPKfiiiPfSC_PS2_PT2_iSB_SB_
__PRETTY_FUNCTION__._Z39paged_attention_ll4mi_QKV_mfma16_kernelIDF16_DF16_LN4vllm18Fp8KVCacheDataTypeE0EhLi16ELi64ELi256ELb1ELi13EEvPKT_PKT0_S7_ifPKiS9_S9_iPKfiiiPfSC_PS2_PT2_iSB_SB_:
	.asciz	"void paged_attention_ll4mi_QKV_mfma16_kernel(const scalar_t *__restrict, const cache_t *__restrict, const cache_t *__restrict, const int, const float, const int *__restrict, const int *__restrict, const int *__restrict, const int, const float *__restrict, const int, const int, const int, float *__restrict, float *__restrict, scalar_t *__restrict, OUTT *__restrict, int, const float *, const float *) [scalar_t = _Float16, cache_t = _Float16, KV_DTYPE = vllm::Fp8KVCacheDataType::kAuto, OUTT = unsigned char, BLOCK_SIZE = 16, HEAD_SIZE = 64, NUM_THREADS = 256, ALIBI_ENABLED = true, GQA_RATIO = 13]"
	.size	__PRETTY_FUNCTION__._Z39paged_attention_ll4mi_QKV_mfma16_kernelIDF16_DF16_LN4vllm18Fp8KVCacheDataTypeE0EhLi16ELi64ELi256ELb1ELi13EEvPKT_PKT0_S7_ifPKiS9_S9_iPKfiiiPfSC_PS2_PT2_iSB_SB_, 600

	.type	__PRETTY_FUNCTION__._Z39paged_attention_ll4mi_QKV_mfma16_kernelIDF16_DF16_LN4vllm18Fp8KVCacheDataTypeE0EhLi16ELi64ELi256ELb1ELi14EEvPKT_PKT0_S7_ifPKiS9_S9_iPKfiiiPfSC_PS2_PT2_iSB_SB_,@object ; @__PRETTY_FUNCTION__._Z39paged_attention_ll4mi_QKV_mfma16_kernelIDF16_DF16_LN4vllm18Fp8KVCacheDataTypeE0EhLi16ELi64ELi256ELb1ELi14EEvPKT_PKT0_S7_ifPKiS9_S9_iPKfiiiPfSC_PS2_PT2_iSB_SB_
__PRETTY_FUNCTION__._Z39paged_attention_ll4mi_QKV_mfma16_kernelIDF16_DF16_LN4vllm18Fp8KVCacheDataTypeE0EhLi16ELi64ELi256ELb1ELi14EEvPKT_PKT0_S7_ifPKiS9_S9_iPKfiiiPfSC_PS2_PT2_iSB_SB_:
	.asciz	"void paged_attention_ll4mi_QKV_mfma16_kernel(const scalar_t *__restrict, const cache_t *__restrict, const cache_t *__restrict, const int, const float, const int *__restrict, const int *__restrict, const int *__restrict, const int, const float *__restrict, const int, const int, const int, float *__restrict, float *__restrict, scalar_t *__restrict, OUTT *__restrict, int, const float *, const float *) [scalar_t = _Float16, cache_t = _Float16, KV_DTYPE = vllm::Fp8KVCacheDataType::kAuto, OUTT = unsigned char, BLOCK_SIZE = 16, HEAD_SIZE = 64, NUM_THREADS = 256, ALIBI_ENABLED = true, GQA_RATIO = 14]"
	.size	__PRETTY_FUNCTION__._Z39paged_attention_ll4mi_QKV_mfma16_kernelIDF16_DF16_LN4vllm18Fp8KVCacheDataTypeE0EhLi16ELi64ELi256ELb1ELi14EEvPKT_PKT0_S7_ifPKiS9_S9_iPKfiiiPfSC_PS2_PT2_iSB_SB_, 600

	.type	__PRETTY_FUNCTION__._Z39paged_attention_ll4mi_QKV_mfma16_kernelIDF16_DF16_LN4vllm18Fp8KVCacheDataTypeE0EhLi16ELi64ELi256ELb1ELi15EEvPKT_PKT0_S7_ifPKiS9_S9_iPKfiiiPfSC_PS2_PT2_iSB_SB_,@object ; @__PRETTY_FUNCTION__._Z39paged_attention_ll4mi_QKV_mfma16_kernelIDF16_DF16_LN4vllm18Fp8KVCacheDataTypeE0EhLi16ELi64ELi256ELb1ELi15EEvPKT_PKT0_S7_ifPKiS9_S9_iPKfiiiPfSC_PS2_PT2_iSB_SB_
__PRETTY_FUNCTION__._Z39paged_attention_ll4mi_QKV_mfma16_kernelIDF16_DF16_LN4vllm18Fp8KVCacheDataTypeE0EhLi16ELi64ELi256ELb1ELi15EEvPKT_PKT0_S7_ifPKiS9_S9_iPKfiiiPfSC_PS2_PT2_iSB_SB_:
	.asciz	"void paged_attention_ll4mi_QKV_mfma16_kernel(const scalar_t *__restrict, const cache_t *__restrict, const cache_t *__restrict, const int, const float, const int *__restrict, const int *__restrict, const int *__restrict, const int, const float *__restrict, const int, const int, const int, float *__restrict, float *__restrict, scalar_t *__restrict, OUTT *__restrict, int, const float *, const float *) [scalar_t = _Float16, cache_t = _Float16, KV_DTYPE = vllm::Fp8KVCacheDataType::kAuto, OUTT = unsigned char, BLOCK_SIZE = 16, HEAD_SIZE = 64, NUM_THREADS = 256, ALIBI_ENABLED = true, GQA_RATIO = 15]"
	.size	__PRETTY_FUNCTION__._Z39paged_attention_ll4mi_QKV_mfma16_kernelIDF16_DF16_LN4vllm18Fp8KVCacheDataTypeE0EhLi16ELi64ELi256ELb1ELi15EEvPKT_PKT0_S7_ifPKiS9_S9_iPKfiiiPfSC_PS2_PT2_iSB_SB_, 600

	.type	__PRETTY_FUNCTION__._Z39paged_attention_ll4mi_QKV_mfma16_kernelIDF16_DF16_LN4vllm18Fp8KVCacheDataTypeE0EhLi16ELi64ELi256ELb1ELi16EEvPKT_PKT0_S7_ifPKiS9_S9_iPKfiiiPfSC_PS2_PT2_iSB_SB_,@object ; @__PRETTY_FUNCTION__._Z39paged_attention_ll4mi_QKV_mfma16_kernelIDF16_DF16_LN4vllm18Fp8KVCacheDataTypeE0EhLi16ELi64ELi256ELb1ELi16EEvPKT_PKT0_S7_ifPKiS9_S9_iPKfiiiPfSC_PS2_PT2_iSB_SB_
__PRETTY_FUNCTION__._Z39paged_attention_ll4mi_QKV_mfma16_kernelIDF16_DF16_LN4vllm18Fp8KVCacheDataTypeE0EhLi16ELi64ELi256ELb1ELi16EEvPKT_PKT0_S7_ifPKiS9_S9_iPKfiiiPfSC_PS2_PT2_iSB_SB_:
	.asciz	"void paged_attention_ll4mi_QKV_mfma16_kernel(const scalar_t *__restrict, const cache_t *__restrict, const cache_t *__restrict, const int, const float, const int *__restrict, const int *__restrict, const int *__restrict, const int, const float *__restrict, const int, const int, const int, float *__restrict, float *__restrict, scalar_t *__restrict, OUTT *__restrict, int, const float *, const float *) [scalar_t = _Float16, cache_t = _Float16, KV_DTYPE = vllm::Fp8KVCacheDataType::kAuto, OUTT = unsigned char, BLOCK_SIZE = 16, HEAD_SIZE = 64, NUM_THREADS = 256, ALIBI_ENABLED = true, GQA_RATIO = 16]"
	.size	__PRETTY_FUNCTION__._Z39paged_attention_ll4mi_QKV_mfma16_kernelIDF16_DF16_LN4vllm18Fp8KVCacheDataTypeE0EhLi16ELi64ELi256ELb1ELi16EEvPKT_PKT0_S7_ifPKiS9_S9_iPKfiiiPfSC_PS2_PT2_iSB_SB_, 600

	.type	__PRETTY_FUNCTION__._Z35paged_attention_ll4mi_reduce_kernelIDF16_hLi64ELi64ELi256ELi1EEvPT0_PKfS3_PKT_PKiS8_iS3_,@object ; @__PRETTY_FUNCTION__._Z35paged_attention_ll4mi_reduce_kernelIDF16_hLi64ELi64ELi256ELi1EEvPT0_PKfS3_PKT_PKiS8_iS3_
__PRETTY_FUNCTION__._Z35paged_attention_ll4mi_reduce_kernelIDF16_hLi64ELi64ELi256ELi1EEvPT0_PKfS3_PKT_PKiS8_iS3_:
	.asciz	"void paged_attention_ll4mi_reduce_kernel(OUTT *__restrict, const float *__restrict, const float *__restrict, const scalar_t *__restrict, const int *__restrict, const int *__restrict, const int, const float *__restrict) [scalar_t = _Float16, OUTT = unsigned char, HEAD_SIZE = 64, NUM_THREADS = 64, PARTITION_SIZE = 256, NPAR_LOOPS = 1]"
	.size	__PRETTY_FUNCTION__._Z35paged_attention_ll4mi_reduce_kernelIDF16_hLi64ELi64ELi256ELi1EEvPT0_PKfS3_PKT_PKiS8_iS3_, 335

	.type	__PRETTY_FUNCTION__._Z35paged_attention_ll4mi_reduce_kernelIDF16_hLi64ELi64ELi256ELi2EEvPT0_PKfS3_PKT_PKiS8_iS3_,@object ; @__PRETTY_FUNCTION__._Z35paged_attention_ll4mi_reduce_kernelIDF16_hLi64ELi64ELi256ELi2EEvPT0_PKfS3_PKT_PKiS8_iS3_
__PRETTY_FUNCTION__._Z35paged_attention_ll4mi_reduce_kernelIDF16_hLi64ELi64ELi256ELi2EEvPT0_PKfS3_PKT_PKiS8_iS3_:
	.asciz	"void paged_attention_ll4mi_reduce_kernel(OUTT *__restrict, const float *__restrict, const float *__restrict, const scalar_t *__restrict, const int *__restrict, const int *__restrict, const int, const float *__restrict) [scalar_t = _Float16, OUTT = unsigned char, HEAD_SIZE = 64, NUM_THREADS = 64, PARTITION_SIZE = 256, NPAR_LOOPS = 2]"
	.size	__PRETTY_FUNCTION__._Z35paged_attention_ll4mi_reduce_kernelIDF16_hLi64ELi64ELi256ELi2EEvPT0_PKfS3_PKT_PKiS8_iS3_, 335

	.type	__PRETTY_FUNCTION__._Z35paged_attention_ll4mi_reduce_kernelIDF16_hLi64ELi64ELi256ELi3EEvPT0_PKfS3_PKT_PKiS8_iS3_,@object ; @__PRETTY_FUNCTION__._Z35paged_attention_ll4mi_reduce_kernelIDF16_hLi64ELi64ELi256ELi3EEvPT0_PKfS3_PKT_PKiS8_iS3_
__PRETTY_FUNCTION__._Z35paged_attention_ll4mi_reduce_kernelIDF16_hLi64ELi64ELi256ELi3EEvPT0_PKfS3_PKT_PKiS8_iS3_:
	.asciz	"void paged_attention_ll4mi_reduce_kernel(OUTT *__restrict, const float *__restrict, const float *__restrict, const scalar_t *__restrict, const int *__restrict, const int *__restrict, const int, const float *__restrict) [scalar_t = _Float16, OUTT = unsigned char, HEAD_SIZE = 64, NUM_THREADS = 64, PARTITION_SIZE = 256, NPAR_LOOPS = 3]"
	.size	__PRETTY_FUNCTION__._Z35paged_attention_ll4mi_reduce_kernelIDF16_hLi64ELi64ELi256ELi3EEvPT0_PKfS3_PKT_PKiS8_iS3_, 335

	.type	__PRETTY_FUNCTION__._Z35paged_attention_ll4mi_reduce_kernelIDF16_hLi64ELi64ELi256ELi4EEvPT0_PKfS3_PKT_PKiS8_iS3_,@object ; @__PRETTY_FUNCTION__._Z35paged_attention_ll4mi_reduce_kernelIDF16_hLi64ELi64ELi256ELi4EEvPT0_PKfS3_PKT_PKiS8_iS3_
__PRETTY_FUNCTION__._Z35paged_attention_ll4mi_reduce_kernelIDF16_hLi64ELi64ELi256ELi4EEvPT0_PKfS3_PKT_PKiS8_iS3_:
	.asciz	"void paged_attention_ll4mi_reduce_kernel(OUTT *__restrict, const float *__restrict, const float *__restrict, const scalar_t *__restrict, const int *__restrict, const int *__restrict, const int, const float *__restrict) [scalar_t = _Float16, OUTT = unsigned char, HEAD_SIZE = 64, NUM_THREADS = 64, PARTITION_SIZE = 256, NPAR_LOOPS = 4]"
	.size	__PRETTY_FUNCTION__._Z35paged_attention_ll4mi_reduce_kernelIDF16_hLi64ELi64ELi256ELi4EEvPT0_PKfS3_PKT_PKiS8_iS3_, 335

	.type	__PRETTY_FUNCTION__._Z35paged_attention_ll4mi_reduce_kernelIDF16_hLi64ELi64ELi256ELi5EEvPT0_PKfS3_PKT_PKiS8_iS3_,@object ; @__PRETTY_FUNCTION__._Z35paged_attention_ll4mi_reduce_kernelIDF16_hLi64ELi64ELi256ELi5EEvPT0_PKfS3_PKT_PKiS8_iS3_
__PRETTY_FUNCTION__._Z35paged_attention_ll4mi_reduce_kernelIDF16_hLi64ELi64ELi256ELi5EEvPT0_PKfS3_PKT_PKiS8_iS3_:
	.asciz	"void paged_attention_ll4mi_reduce_kernel(OUTT *__restrict, const float *__restrict, const float *__restrict, const scalar_t *__restrict, const int *__restrict, const int *__restrict, const int, const float *__restrict) [scalar_t = _Float16, OUTT = unsigned char, HEAD_SIZE = 64, NUM_THREADS = 64, PARTITION_SIZE = 256, NPAR_LOOPS = 5]"
	.size	__PRETTY_FUNCTION__._Z35paged_attention_ll4mi_reduce_kernelIDF16_hLi64ELi64ELi256ELi5EEvPT0_PKfS3_PKT_PKiS8_iS3_, 335

	.type	__PRETTY_FUNCTION__._Z35paged_attention_ll4mi_reduce_kernelIDF16_hLi64ELi64ELi256ELi6EEvPT0_PKfS3_PKT_PKiS8_iS3_,@object ; @__PRETTY_FUNCTION__._Z35paged_attention_ll4mi_reduce_kernelIDF16_hLi64ELi64ELi256ELi6EEvPT0_PKfS3_PKT_PKiS8_iS3_
__PRETTY_FUNCTION__._Z35paged_attention_ll4mi_reduce_kernelIDF16_hLi64ELi64ELi256ELi6EEvPT0_PKfS3_PKT_PKiS8_iS3_:
	.asciz	"void paged_attention_ll4mi_reduce_kernel(OUTT *__restrict, const float *__restrict, const float *__restrict, const scalar_t *__restrict, const int *__restrict, const int *__restrict, const int, const float *__restrict) [scalar_t = _Float16, OUTT = unsigned char, HEAD_SIZE = 64, NUM_THREADS = 64, PARTITION_SIZE = 256, NPAR_LOOPS = 6]"
	.size	__PRETTY_FUNCTION__._Z35paged_attention_ll4mi_reduce_kernelIDF16_hLi64ELi64ELi256ELi6EEvPT0_PKfS3_PKT_PKiS8_iS3_, 335

	.type	__PRETTY_FUNCTION__._Z35paged_attention_ll4mi_reduce_kernelIDF16_hLi64ELi64ELi256ELi7EEvPT0_PKfS3_PKT_PKiS8_iS3_,@object ; @__PRETTY_FUNCTION__._Z35paged_attention_ll4mi_reduce_kernelIDF16_hLi64ELi64ELi256ELi7EEvPT0_PKfS3_PKT_PKiS8_iS3_
__PRETTY_FUNCTION__._Z35paged_attention_ll4mi_reduce_kernelIDF16_hLi64ELi64ELi256ELi7EEvPT0_PKfS3_PKT_PKiS8_iS3_:
	.asciz	"void paged_attention_ll4mi_reduce_kernel(OUTT *__restrict, const float *__restrict, const float *__restrict, const scalar_t *__restrict, const int *__restrict, const int *__restrict, const int, const float *__restrict) [scalar_t = _Float16, OUTT = unsigned char, HEAD_SIZE = 64, NUM_THREADS = 64, PARTITION_SIZE = 256, NPAR_LOOPS = 7]"
	.size	__PRETTY_FUNCTION__._Z35paged_attention_ll4mi_reduce_kernelIDF16_hLi64ELi64ELi256ELi7EEvPT0_PKfS3_PKT_PKiS8_iS3_, 335

	.type	__PRETTY_FUNCTION__._Z35paged_attention_ll4mi_reduce_kernelIDF16_hLi64ELi64ELi256ELi8EEvPT0_PKfS3_PKT_PKiS8_iS3_,@object ; @__PRETTY_FUNCTION__._Z35paged_attention_ll4mi_reduce_kernelIDF16_hLi64ELi64ELi256ELi8EEvPT0_PKfS3_PKT_PKiS8_iS3_
__PRETTY_FUNCTION__._Z35paged_attention_ll4mi_reduce_kernelIDF16_hLi64ELi64ELi256ELi8EEvPT0_PKfS3_PKT_PKiS8_iS3_:
	.asciz	"void paged_attention_ll4mi_reduce_kernel(OUTT *__restrict, const float *__restrict, const float *__restrict, const scalar_t *__restrict, const int *__restrict, const int *__restrict, const int, const float *__restrict) [scalar_t = _Float16, OUTT = unsigned char, HEAD_SIZE = 64, NUM_THREADS = 64, PARTITION_SIZE = 256, NPAR_LOOPS = 8]"
	.size	__PRETTY_FUNCTION__._Z35paged_attention_ll4mi_reduce_kernelIDF16_hLi64ELi64ELi256ELi8EEvPT0_PKfS3_PKT_PKiS8_iS3_, 335

	.type	__PRETTY_FUNCTION__._Z39paged_attention_ll4mi_QKV_mfma16_kernelIDF16_DF16_LN4vllm18Fp8KVCacheDataTypeE0EhLi16ELi64ELi256ELb1ELi1EEvPKT_PKT0_S7_ifPKiS9_S9_iPKfiiiPfSC_PS2_PT2_iSB_SB_,@object ; @__PRETTY_FUNCTION__._Z39paged_attention_ll4mi_QKV_mfma16_kernelIDF16_DF16_LN4vllm18Fp8KVCacheDataTypeE0EhLi16ELi64ELi256ELb1ELi1EEvPKT_PKT0_S7_ifPKiS9_S9_iPKfiiiPfSC_PS2_PT2_iSB_SB_
__PRETTY_FUNCTION__._Z39paged_attention_ll4mi_QKV_mfma16_kernelIDF16_DF16_LN4vllm18Fp8KVCacheDataTypeE0EhLi16ELi64ELi256ELb1ELi1EEvPKT_PKT0_S7_ifPKiS9_S9_iPKfiiiPfSC_PS2_PT2_iSB_SB_:
	.asciz	"void paged_attention_ll4mi_QKV_mfma16_kernel(const scalar_t *__restrict, const cache_t *__restrict, const cache_t *__restrict, const int, const float, const int *__restrict, const int *__restrict, const int *__restrict, const int, const float *__restrict, const int, const int, const int, float *__restrict, float *__restrict, scalar_t *__restrict, OUTT *__restrict, int, const float *, const float *) [scalar_t = _Float16, cache_t = _Float16, KV_DTYPE = vllm::Fp8KVCacheDataType::kAuto, OUTT = unsigned char, BLOCK_SIZE = 16, HEAD_SIZE = 64, NUM_THREADS = 256, ALIBI_ENABLED = true, GQA_RATIO = 1]"
	.size	__PRETTY_FUNCTION__._Z39paged_attention_ll4mi_QKV_mfma16_kernelIDF16_DF16_LN4vllm18Fp8KVCacheDataTypeE0EhLi16ELi64ELi256ELb1ELi1EEvPKT_PKT0_S7_ifPKiS9_S9_iPKfiiiPfSC_PS2_PT2_iSB_SB_, 599

	.type	__PRETTY_FUNCTION__._Z39paged_attention_ll4mi_QKV_mfma16_kernelIDF16_DF16_LN4vllm18Fp8KVCacheDataTypeE0EhLi16ELi64ELi256ELb1ELi2EEvPKT_PKT0_S7_ifPKiS9_S9_iPKfiiiPfSC_PS2_PT2_iSB_SB_,@object ; @__PRETTY_FUNCTION__._Z39paged_attention_ll4mi_QKV_mfma16_kernelIDF16_DF16_LN4vllm18Fp8KVCacheDataTypeE0EhLi16ELi64ELi256ELb1ELi2EEvPKT_PKT0_S7_ifPKiS9_S9_iPKfiiiPfSC_PS2_PT2_iSB_SB_
__PRETTY_FUNCTION__._Z39paged_attention_ll4mi_QKV_mfma16_kernelIDF16_DF16_LN4vllm18Fp8KVCacheDataTypeE0EhLi16ELi64ELi256ELb1ELi2EEvPKT_PKT0_S7_ifPKiS9_S9_iPKfiiiPfSC_PS2_PT2_iSB_SB_:
	.asciz	"void paged_attention_ll4mi_QKV_mfma16_kernel(const scalar_t *__restrict, const cache_t *__restrict, const cache_t *__restrict, const int, const float, const int *__restrict, const int *__restrict, const int *__restrict, const int, const float *__restrict, const int, const int, const int, float *__restrict, float *__restrict, scalar_t *__restrict, OUTT *__restrict, int, const float *, const float *) [scalar_t = _Float16, cache_t = _Float16, KV_DTYPE = vllm::Fp8KVCacheDataType::kAuto, OUTT = unsigned char, BLOCK_SIZE = 16, HEAD_SIZE = 64, NUM_THREADS = 256, ALIBI_ENABLED = true, GQA_RATIO = 2]"
	.size	__PRETTY_FUNCTION__._Z39paged_attention_ll4mi_QKV_mfma16_kernelIDF16_DF16_LN4vllm18Fp8KVCacheDataTypeE0EhLi16ELi64ELi256ELb1ELi2EEvPKT_PKT0_S7_ifPKiS9_S9_iPKfiiiPfSC_PS2_PT2_iSB_SB_, 599

	.type	__PRETTY_FUNCTION__._Z39paged_attention_ll4mi_QKV_mfma16_kernelIDF16_DF16_LN4vllm18Fp8KVCacheDataTypeE0EhLi16ELi64ELi256ELb1ELi3EEvPKT_PKT0_S7_ifPKiS9_S9_iPKfiiiPfSC_PS2_PT2_iSB_SB_,@object ; @__PRETTY_FUNCTION__._Z39paged_attention_ll4mi_QKV_mfma16_kernelIDF16_DF16_LN4vllm18Fp8KVCacheDataTypeE0EhLi16ELi64ELi256ELb1ELi3EEvPKT_PKT0_S7_ifPKiS9_S9_iPKfiiiPfSC_PS2_PT2_iSB_SB_
__PRETTY_FUNCTION__._Z39paged_attention_ll4mi_QKV_mfma16_kernelIDF16_DF16_LN4vllm18Fp8KVCacheDataTypeE0EhLi16ELi64ELi256ELb1ELi3EEvPKT_PKT0_S7_ifPKiS9_S9_iPKfiiiPfSC_PS2_PT2_iSB_SB_:
	.asciz	"void paged_attention_ll4mi_QKV_mfma16_kernel(const scalar_t *__restrict, const cache_t *__restrict, const cache_t *__restrict, const int, const float, const int *__restrict, const int *__restrict, const int *__restrict, const int, const float *__restrict, const int, const int, const int, float *__restrict, float *__restrict, scalar_t *__restrict, OUTT *__restrict, int, const float *, const float *) [scalar_t = _Float16, cache_t = _Float16, KV_DTYPE = vllm::Fp8KVCacheDataType::kAuto, OUTT = unsigned char, BLOCK_SIZE = 16, HEAD_SIZE = 64, NUM_THREADS = 256, ALIBI_ENABLED = true, GQA_RATIO = 3]"
	.size	__PRETTY_FUNCTION__._Z39paged_attention_ll4mi_QKV_mfma16_kernelIDF16_DF16_LN4vllm18Fp8KVCacheDataTypeE0EhLi16ELi64ELi256ELb1ELi3EEvPKT_PKT0_S7_ifPKiS9_S9_iPKfiiiPfSC_PS2_PT2_iSB_SB_, 599

	.type	__PRETTY_FUNCTION__._Z39paged_attention_ll4mi_QKV_mfma16_kernelIDF16_DF16_LN4vllm18Fp8KVCacheDataTypeE0EhLi16ELi64ELi256ELb1ELi4EEvPKT_PKT0_S7_ifPKiS9_S9_iPKfiiiPfSC_PS2_PT2_iSB_SB_,@object ; @__PRETTY_FUNCTION__._Z39paged_attention_ll4mi_QKV_mfma16_kernelIDF16_DF16_LN4vllm18Fp8KVCacheDataTypeE0EhLi16ELi64ELi256ELb1ELi4EEvPKT_PKT0_S7_ifPKiS9_S9_iPKfiiiPfSC_PS2_PT2_iSB_SB_
__PRETTY_FUNCTION__._Z39paged_attention_ll4mi_QKV_mfma16_kernelIDF16_DF16_LN4vllm18Fp8KVCacheDataTypeE0EhLi16ELi64ELi256ELb1ELi4EEvPKT_PKT0_S7_ifPKiS9_S9_iPKfiiiPfSC_PS2_PT2_iSB_SB_:
	.asciz	"void paged_attention_ll4mi_QKV_mfma16_kernel(const scalar_t *__restrict, const cache_t *__restrict, const cache_t *__restrict, const int, const float, const int *__restrict, const int *__restrict, const int *__restrict, const int, const float *__restrict, const int, const int, const int, float *__restrict, float *__restrict, scalar_t *__restrict, OUTT *__restrict, int, const float *, const float *) [scalar_t = _Float16, cache_t = _Float16, KV_DTYPE = vllm::Fp8KVCacheDataType::kAuto, OUTT = unsigned char, BLOCK_SIZE = 16, HEAD_SIZE = 64, NUM_THREADS = 256, ALIBI_ENABLED = true, GQA_RATIO = 4]"
	.size	__PRETTY_FUNCTION__._Z39paged_attention_ll4mi_QKV_mfma16_kernelIDF16_DF16_LN4vllm18Fp8KVCacheDataTypeE0EhLi16ELi64ELi256ELb1ELi4EEvPKT_PKT0_S7_ifPKiS9_S9_iPKfiiiPfSC_PS2_PT2_iSB_SB_, 599

	.type	__PRETTY_FUNCTION__._Z35paged_attention_ll4mi_reduce_kernelIDF16_hLi64ELi64ELi256ELi9EEvPT0_PKfS3_PKT_PKiS8_iS3_,@object ; @__PRETTY_FUNCTION__._Z35paged_attention_ll4mi_reduce_kernelIDF16_hLi64ELi64ELi256ELi9EEvPT0_PKfS3_PKT_PKiS8_iS3_
__PRETTY_FUNCTION__._Z35paged_attention_ll4mi_reduce_kernelIDF16_hLi64ELi64ELi256ELi9EEvPT0_PKfS3_PKT_PKiS8_iS3_:
	.asciz	"void paged_attention_ll4mi_reduce_kernel(OUTT *__restrict, const float *__restrict, const float *__restrict, const scalar_t *__restrict, const int *__restrict, const int *__restrict, const int, const float *__restrict) [scalar_t = _Float16, OUTT = unsigned char, HEAD_SIZE = 64, NUM_THREADS = 64, PARTITION_SIZE = 256, NPAR_LOOPS = 9]"
	.size	__PRETTY_FUNCTION__._Z35paged_attention_ll4mi_reduce_kernelIDF16_hLi64ELi64ELi256ELi9EEvPT0_PKfS3_PKT_PKiS8_iS3_, 335

	.type	__PRETTY_FUNCTION__._Z35paged_attention_ll4mi_reduce_kernelIDF16_hLi64ELi64ELi256ELi10EEvPT0_PKfS3_PKT_PKiS8_iS3_,@object ; @__PRETTY_FUNCTION__._Z35paged_attention_ll4mi_reduce_kernelIDF16_hLi64ELi64ELi256ELi10EEvPT0_PKfS3_PKT_PKiS8_iS3_
__PRETTY_FUNCTION__._Z35paged_attention_ll4mi_reduce_kernelIDF16_hLi64ELi64ELi256ELi10EEvPT0_PKfS3_PKT_PKiS8_iS3_:
	.asciz	"void paged_attention_ll4mi_reduce_kernel(OUTT *__restrict, const float *__restrict, const float *__restrict, const scalar_t *__restrict, const int *__restrict, const int *__restrict, const int, const float *__restrict) [scalar_t = _Float16, OUTT = unsigned char, HEAD_SIZE = 64, NUM_THREADS = 64, PARTITION_SIZE = 256, NPAR_LOOPS = 10]"
	.size	__PRETTY_FUNCTION__._Z35paged_attention_ll4mi_reduce_kernelIDF16_hLi64ELi64ELi256ELi10EEvPT0_PKfS3_PKT_PKiS8_iS3_, 336

	.type	__PRETTY_FUNCTION__._Z35paged_attention_ll4mi_reduce_kernelIDF16_hLi64ELi64ELi256ELi11EEvPT0_PKfS3_PKT_PKiS8_iS3_,@object ; @__PRETTY_FUNCTION__._Z35paged_attention_ll4mi_reduce_kernelIDF16_hLi64ELi64ELi256ELi11EEvPT0_PKfS3_PKT_PKiS8_iS3_
__PRETTY_FUNCTION__._Z35paged_attention_ll4mi_reduce_kernelIDF16_hLi64ELi64ELi256ELi11EEvPT0_PKfS3_PKT_PKiS8_iS3_:
	.asciz	"void paged_attention_ll4mi_reduce_kernel(OUTT *__restrict, const float *__restrict, const float *__restrict, const scalar_t *__restrict, const int *__restrict, const int *__restrict, const int, const float *__restrict) [scalar_t = _Float16, OUTT = unsigned char, HEAD_SIZE = 64, NUM_THREADS = 64, PARTITION_SIZE = 256, NPAR_LOOPS = 11]"
	.size	__PRETTY_FUNCTION__._Z35paged_attention_ll4mi_reduce_kernelIDF16_hLi64ELi64ELi256ELi11EEvPT0_PKfS3_PKT_PKiS8_iS3_, 336

	.type	__PRETTY_FUNCTION__._Z35paged_attention_ll4mi_reduce_kernelIDF16_hLi64ELi64ELi256ELi12EEvPT0_PKfS3_PKT_PKiS8_iS3_,@object ; @__PRETTY_FUNCTION__._Z35paged_attention_ll4mi_reduce_kernelIDF16_hLi64ELi64ELi256ELi12EEvPT0_PKfS3_PKT_PKiS8_iS3_
__PRETTY_FUNCTION__._Z35paged_attention_ll4mi_reduce_kernelIDF16_hLi64ELi64ELi256ELi12EEvPT0_PKfS3_PKT_PKiS8_iS3_:
	.asciz	"void paged_attention_ll4mi_reduce_kernel(OUTT *__restrict, const float *__restrict, const float *__restrict, const scalar_t *__restrict, const int *__restrict, const int *__restrict, const int, const float *__restrict) [scalar_t = _Float16, OUTT = unsigned char, HEAD_SIZE = 64, NUM_THREADS = 64, PARTITION_SIZE = 256, NPAR_LOOPS = 12]"
	.size	__PRETTY_FUNCTION__._Z35paged_attention_ll4mi_reduce_kernelIDF16_hLi64ELi64ELi256ELi12EEvPT0_PKfS3_PKT_PKiS8_iS3_, 336

	.type	__PRETTY_FUNCTION__._Z35paged_attention_ll4mi_reduce_kernelIDF16_hLi64ELi64ELi256ELi13EEvPT0_PKfS3_PKT_PKiS8_iS3_,@object ; @__PRETTY_FUNCTION__._Z35paged_attention_ll4mi_reduce_kernelIDF16_hLi64ELi64ELi256ELi13EEvPT0_PKfS3_PKT_PKiS8_iS3_
__PRETTY_FUNCTION__._Z35paged_attention_ll4mi_reduce_kernelIDF16_hLi64ELi64ELi256ELi13EEvPT0_PKfS3_PKT_PKiS8_iS3_:
	.asciz	"void paged_attention_ll4mi_reduce_kernel(OUTT *__restrict, const float *__restrict, const float *__restrict, const scalar_t *__restrict, const int *__restrict, const int *__restrict, const int, const float *__restrict) [scalar_t = _Float16, OUTT = unsigned char, HEAD_SIZE = 64, NUM_THREADS = 64, PARTITION_SIZE = 256, NPAR_LOOPS = 13]"
	.size	__PRETTY_FUNCTION__._Z35paged_attention_ll4mi_reduce_kernelIDF16_hLi64ELi64ELi256ELi13EEvPT0_PKfS3_PKT_PKiS8_iS3_, 336

	.type	__PRETTY_FUNCTION__._Z35paged_attention_ll4mi_reduce_kernelIDF16_hLi64ELi64ELi256ELi14EEvPT0_PKfS3_PKT_PKiS8_iS3_,@object ; @__PRETTY_FUNCTION__._Z35paged_attention_ll4mi_reduce_kernelIDF16_hLi64ELi64ELi256ELi14EEvPT0_PKfS3_PKT_PKiS8_iS3_
__PRETTY_FUNCTION__._Z35paged_attention_ll4mi_reduce_kernelIDF16_hLi64ELi64ELi256ELi14EEvPT0_PKfS3_PKT_PKiS8_iS3_:
	.asciz	"void paged_attention_ll4mi_reduce_kernel(OUTT *__restrict, const float *__restrict, const float *__restrict, const scalar_t *__restrict, const int *__restrict, const int *__restrict, const int, const float *__restrict) [scalar_t = _Float16, OUTT = unsigned char, HEAD_SIZE = 64, NUM_THREADS = 64, PARTITION_SIZE = 256, NPAR_LOOPS = 14]"
	.size	__PRETTY_FUNCTION__._Z35paged_attention_ll4mi_reduce_kernelIDF16_hLi64ELi64ELi256ELi14EEvPT0_PKfS3_PKT_PKiS8_iS3_, 336

	.type	__PRETTY_FUNCTION__._Z35paged_attention_ll4mi_reduce_kernelIDF16_hLi64ELi64ELi256ELi15EEvPT0_PKfS3_PKT_PKiS8_iS3_,@object ; @__PRETTY_FUNCTION__._Z35paged_attention_ll4mi_reduce_kernelIDF16_hLi64ELi64ELi256ELi15EEvPT0_PKfS3_PKT_PKiS8_iS3_
__PRETTY_FUNCTION__._Z35paged_attention_ll4mi_reduce_kernelIDF16_hLi64ELi64ELi256ELi15EEvPT0_PKfS3_PKT_PKiS8_iS3_:
	.asciz	"void paged_attention_ll4mi_reduce_kernel(OUTT *__restrict, const float *__restrict, const float *__restrict, const scalar_t *__restrict, const int *__restrict, const int *__restrict, const int, const float *__restrict) [scalar_t = _Float16, OUTT = unsigned char, HEAD_SIZE = 64, NUM_THREADS = 64, PARTITION_SIZE = 256, NPAR_LOOPS = 15]"
	.size	__PRETTY_FUNCTION__._Z35paged_attention_ll4mi_reduce_kernelIDF16_hLi64ELi64ELi256ELi15EEvPT0_PKfS3_PKT_PKiS8_iS3_, 336

	.type	__PRETTY_FUNCTION__._Z35paged_attention_ll4mi_reduce_kernelIDF16_hLi64ELi64ELi256ELi16EEvPT0_PKfS3_PKT_PKiS8_iS3_,@object ; @__PRETTY_FUNCTION__._Z35paged_attention_ll4mi_reduce_kernelIDF16_hLi64ELi64ELi256ELi16EEvPT0_PKfS3_PKT_PKiS8_iS3_
__PRETTY_FUNCTION__._Z35paged_attention_ll4mi_reduce_kernelIDF16_hLi64ELi64ELi256ELi16EEvPT0_PKfS3_PKT_PKiS8_iS3_:
	.asciz	"void paged_attention_ll4mi_reduce_kernel(OUTT *__restrict, const float *__restrict, const float *__restrict, const scalar_t *__restrict, const int *__restrict, const int *__restrict, const int, const float *__restrict) [scalar_t = _Float16, OUTT = unsigned char, HEAD_SIZE = 64, NUM_THREADS = 64, PARTITION_SIZE = 256, NPAR_LOOPS = 16]"
	.size	__PRETTY_FUNCTION__._Z35paged_attention_ll4mi_reduce_kernelIDF16_hLi64ELi64ELi256ELi16EEvPT0_PKfS3_PKT_PKiS8_iS3_, 336

	.type	__PRETTY_FUNCTION__._Z38paged_attention_ll4mi_QKV_mfma4_kernelIDF16_DF16_LN4vllm18Fp8KVCacheDataTypeE0EhLi16ELi64ELi256ELb0ELi1EEvPKT_PKT0_S7_ifPKiS9_S9_iPKfiiiPfSC_PS2_PT2_iSB_SB_,@object ; @__PRETTY_FUNCTION__._Z38paged_attention_ll4mi_QKV_mfma4_kernelIDF16_DF16_LN4vllm18Fp8KVCacheDataTypeE0EhLi16ELi64ELi256ELb0ELi1EEvPKT_PKT0_S7_ifPKiS9_S9_iPKfiiiPfSC_PS2_PT2_iSB_SB_
__PRETTY_FUNCTION__._Z38paged_attention_ll4mi_QKV_mfma4_kernelIDF16_DF16_LN4vllm18Fp8KVCacheDataTypeE0EhLi16ELi64ELi256ELb0ELi1EEvPKT_PKT0_S7_ifPKiS9_S9_iPKfiiiPfSC_PS2_PT2_iSB_SB_:
	.asciz	"void paged_attention_ll4mi_QKV_mfma4_kernel(const scalar_t *__restrict, const cache_t *__restrict, const cache_t *__restrict, const int, const float, const int *__restrict, const int *__restrict, const int *__restrict, const int, const float *__restrict, const int, const int, const int, float *__restrict, float *__restrict, scalar_t *__restrict, OUTT *__restrict, int, const float *, const float *) [scalar_t = _Float16, cache_t = _Float16, KV_DTYPE = vllm::Fp8KVCacheDataType::kAuto, OUTT = unsigned char, BLOCK_SIZE = 16, HEAD_SIZE = 64, NUM_THREADS = 256, ALIBI_ENABLED = false, GQA_RATIO = 1]"
	.size	__PRETTY_FUNCTION__._Z38paged_attention_ll4mi_QKV_mfma4_kernelIDF16_DF16_LN4vllm18Fp8KVCacheDataTypeE0EhLi16ELi64ELi256ELb0ELi1EEvPKT_PKT0_S7_ifPKiS9_S9_iPKfiiiPfSC_PS2_PT2_iSB_SB_, 599

	.type	__PRETTY_FUNCTION__._Z38paged_attention_ll4mi_QKV_mfma4_kernelIDF16_DF16_LN4vllm18Fp8KVCacheDataTypeE0EhLi16ELi64ELi256ELb0ELi2EEvPKT_PKT0_S7_ifPKiS9_S9_iPKfiiiPfSC_PS2_PT2_iSB_SB_,@object ; @__PRETTY_FUNCTION__._Z38paged_attention_ll4mi_QKV_mfma4_kernelIDF16_DF16_LN4vllm18Fp8KVCacheDataTypeE0EhLi16ELi64ELi256ELb0ELi2EEvPKT_PKT0_S7_ifPKiS9_S9_iPKfiiiPfSC_PS2_PT2_iSB_SB_
__PRETTY_FUNCTION__._Z38paged_attention_ll4mi_QKV_mfma4_kernelIDF16_DF16_LN4vllm18Fp8KVCacheDataTypeE0EhLi16ELi64ELi256ELb0ELi2EEvPKT_PKT0_S7_ifPKiS9_S9_iPKfiiiPfSC_PS2_PT2_iSB_SB_:
	.asciz	"void paged_attention_ll4mi_QKV_mfma4_kernel(const scalar_t *__restrict, const cache_t *__restrict, const cache_t *__restrict, const int, const float, const int *__restrict, const int *__restrict, const int *__restrict, const int, const float *__restrict, const int, const int, const int, float *__restrict, float *__restrict, scalar_t *__restrict, OUTT *__restrict, int, const float *, const float *) [scalar_t = _Float16, cache_t = _Float16, KV_DTYPE = vllm::Fp8KVCacheDataType::kAuto, OUTT = unsigned char, BLOCK_SIZE = 16, HEAD_SIZE = 64, NUM_THREADS = 256, ALIBI_ENABLED = false, GQA_RATIO = 2]"
	.size	__PRETTY_FUNCTION__._Z38paged_attention_ll4mi_QKV_mfma4_kernelIDF16_DF16_LN4vllm18Fp8KVCacheDataTypeE0EhLi16ELi64ELi256ELb0ELi2EEvPKT_PKT0_S7_ifPKiS9_S9_iPKfiiiPfSC_PS2_PT2_iSB_SB_, 599

	.type	__PRETTY_FUNCTION__._Z38paged_attention_ll4mi_QKV_mfma4_kernelIDF16_DF16_LN4vllm18Fp8KVCacheDataTypeE0EhLi16ELi64ELi256ELb0ELi3EEvPKT_PKT0_S7_ifPKiS9_S9_iPKfiiiPfSC_PS2_PT2_iSB_SB_,@object ; @__PRETTY_FUNCTION__._Z38paged_attention_ll4mi_QKV_mfma4_kernelIDF16_DF16_LN4vllm18Fp8KVCacheDataTypeE0EhLi16ELi64ELi256ELb0ELi3EEvPKT_PKT0_S7_ifPKiS9_S9_iPKfiiiPfSC_PS2_PT2_iSB_SB_
__PRETTY_FUNCTION__._Z38paged_attention_ll4mi_QKV_mfma4_kernelIDF16_DF16_LN4vllm18Fp8KVCacheDataTypeE0EhLi16ELi64ELi256ELb0ELi3EEvPKT_PKT0_S7_ifPKiS9_S9_iPKfiiiPfSC_PS2_PT2_iSB_SB_:
	.asciz	"void paged_attention_ll4mi_QKV_mfma4_kernel(const scalar_t *__restrict, const cache_t *__restrict, const cache_t *__restrict, const int, const float, const int *__restrict, const int *__restrict, const int *__restrict, const int, const float *__restrict, const int, const int, const int, float *__restrict, float *__restrict, scalar_t *__restrict, OUTT *__restrict, int, const float *, const float *) [scalar_t = _Float16, cache_t = _Float16, KV_DTYPE = vllm::Fp8KVCacheDataType::kAuto, OUTT = unsigned char, BLOCK_SIZE = 16, HEAD_SIZE = 64, NUM_THREADS = 256, ALIBI_ENABLED = false, GQA_RATIO = 3]"
	.size	__PRETTY_FUNCTION__._Z38paged_attention_ll4mi_QKV_mfma4_kernelIDF16_DF16_LN4vllm18Fp8KVCacheDataTypeE0EhLi16ELi64ELi256ELb0ELi3EEvPKT_PKT0_S7_ifPKiS9_S9_iPKfiiiPfSC_PS2_PT2_iSB_SB_, 599

	.type	__PRETTY_FUNCTION__._Z38paged_attention_ll4mi_QKV_mfma4_kernelIDF16_DF16_LN4vllm18Fp8KVCacheDataTypeE0EhLi16ELi64ELi256ELb0ELi4EEvPKT_PKT0_S7_ifPKiS9_S9_iPKfiiiPfSC_PS2_PT2_iSB_SB_,@object ; @__PRETTY_FUNCTION__._Z38paged_attention_ll4mi_QKV_mfma4_kernelIDF16_DF16_LN4vllm18Fp8KVCacheDataTypeE0EhLi16ELi64ELi256ELb0ELi4EEvPKT_PKT0_S7_ifPKiS9_S9_iPKfiiiPfSC_PS2_PT2_iSB_SB_
__PRETTY_FUNCTION__._Z38paged_attention_ll4mi_QKV_mfma4_kernelIDF16_DF16_LN4vllm18Fp8KVCacheDataTypeE0EhLi16ELi64ELi256ELb0ELi4EEvPKT_PKT0_S7_ifPKiS9_S9_iPKfiiiPfSC_PS2_PT2_iSB_SB_:
	.asciz	"void paged_attention_ll4mi_QKV_mfma4_kernel(const scalar_t *__restrict, const cache_t *__restrict, const cache_t *__restrict, const int, const float, const int *__restrict, const int *__restrict, const int *__restrict, const int, const float *__restrict, const int, const int, const int, float *__restrict, float *__restrict, scalar_t *__restrict, OUTT *__restrict, int, const float *, const float *) [scalar_t = _Float16, cache_t = _Float16, KV_DTYPE = vllm::Fp8KVCacheDataType::kAuto, OUTT = unsigned char, BLOCK_SIZE = 16, HEAD_SIZE = 64, NUM_THREADS = 256, ALIBI_ENABLED = false, GQA_RATIO = 4]"
	.size	__PRETTY_FUNCTION__._Z38paged_attention_ll4mi_QKV_mfma4_kernelIDF16_DF16_LN4vllm18Fp8KVCacheDataTypeE0EhLi16ELi64ELi256ELb0ELi4EEvPKT_PKT0_S7_ifPKiS9_S9_iPKfiiiPfSC_PS2_PT2_iSB_SB_, 599

	.type	__PRETTY_FUNCTION__._Z39paged_attention_ll4mi_QKV_mfma16_kernelIDF16_DF16_LN4vllm18Fp8KVCacheDataTypeE0EhLi16ELi64ELi256ELb0ELi5EEvPKT_PKT0_S7_ifPKiS9_S9_iPKfiiiPfSC_PS2_PT2_iSB_SB_,@object ; @__PRETTY_FUNCTION__._Z39paged_attention_ll4mi_QKV_mfma16_kernelIDF16_DF16_LN4vllm18Fp8KVCacheDataTypeE0EhLi16ELi64ELi256ELb0ELi5EEvPKT_PKT0_S7_ifPKiS9_S9_iPKfiiiPfSC_PS2_PT2_iSB_SB_
__PRETTY_FUNCTION__._Z39paged_attention_ll4mi_QKV_mfma16_kernelIDF16_DF16_LN4vllm18Fp8KVCacheDataTypeE0EhLi16ELi64ELi256ELb0ELi5EEvPKT_PKT0_S7_ifPKiS9_S9_iPKfiiiPfSC_PS2_PT2_iSB_SB_:
	.asciz	"void paged_attention_ll4mi_QKV_mfma16_kernel(const scalar_t *__restrict, const cache_t *__restrict, const cache_t *__restrict, const int, const float, const int *__restrict, const int *__restrict, const int *__restrict, const int, const float *__restrict, const int, const int, const int, float *__restrict, float *__restrict, scalar_t *__restrict, OUTT *__restrict, int, const float *, const float *) [scalar_t = _Float16, cache_t = _Float16, KV_DTYPE = vllm::Fp8KVCacheDataType::kAuto, OUTT = unsigned char, BLOCK_SIZE = 16, HEAD_SIZE = 64, NUM_THREADS = 256, ALIBI_ENABLED = false, GQA_RATIO = 5]"
	.size	__PRETTY_FUNCTION__._Z39paged_attention_ll4mi_QKV_mfma16_kernelIDF16_DF16_LN4vllm18Fp8KVCacheDataTypeE0EhLi16ELi64ELi256ELb0ELi5EEvPKT_PKT0_S7_ifPKiS9_S9_iPKfiiiPfSC_PS2_PT2_iSB_SB_, 600

	.type	__PRETTY_FUNCTION__._Z39paged_attention_ll4mi_QKV_mfma16_kernelIDF16_DF16_LN4vllm18Fp8KVCacheDataTypeE0EhLi16ELi64ELi256ELb0ELi6EEvPKT_PKT0_S7_ifPKiS9_S9_iPKfiiiPfSC_PS2_PT2_iSB_SB_,@object ; @__PRETTY_FUNCTION__._Z39paged_attention_ll4mi_QKV_mfma16_kernelIDF16_DF16_LN4vllm18Fp8KVCacheDataTypeE0EhLi16ELi64ELi256ELb0ELi6EEvPKT_PKT0_S7_ifPKiS9_S9_iPKfiiiPfSC_PS2_PT2_iSB_SB_
__PRETTY_FUNCTION__._Z39paged_attention_ll4mi_QKV_mfma16_kernelIDF16_DF16_LN4vllm18Fp8KVCacheDataTypeE0EhLi16ELi64ELi256ELb0ELi6EEvPKT_PKT0_S7_ifPKiS9_S9_iPKfiiiPfSC_PS2_PT2_iSB_SB_:
	.asciz	"void paged_attention_ll4mi_QKV_mfma16_kernel(const scalar_t *__restrict, const cache_t *__restrict, const cache_t *__restrict, const int, const float, const int *__restrict, const int *__restrict, const int *__restrict, const int, const float *__restrict, const int, const int, const int, float *__restrict, float *__restrict, scalar_t *__restrict, OUTT *__restrict, int, const float *, const float *) [scalar_t = _Float16, cache_t = _Float16, KV_DTYPE = vllm::Fp8KVCacheDataType::kAuto, OUTT = unsigned char, BLOCK_SIZE = 16, HEAD_SIZE = 64, NUM_THREADS = 256, ALIBI_ENABLED = false, GQA_RATIO = 6]"
	.size	__PRETTY_FUNCTION__._Z39paged_attention_ll4mi_QKV_mfma16_kernelIDF16_DF16_LN4vllm18Fp8KVCacheDataTypeE0EhLi16ELi64ELi256ELb0ELi6EEvPKT_PKT0_S7_ifPKiS9_S9_iPKfiiiPfSC_PS2_PT2_iSB_SB_, 600

	.type	__PRETTY_FUNCTION__._Z39paged_attention_ll4mi_QKV_mfma16_kernelIDF16_DF16_LN4vllm18Fp8KVCacheDataTypeE0EhLi16ELi64ELi256ELb0ELi7EEvPKT_PKT0_S7_ifPKiS9_S9_iPKfiiiPfSC_PS2_PT2_iSB_SB_,@object ; @__PRETTY_FUNCTION__._Z39paged_attention_ll4mi_QKV_mfma16_kernelIDF16_DF16_LN4vllm18Fp8KVCacheDataTypeE0EhLi16ELi64ELi256ELb0ELi7EEvPKT_PKT0_S7_ifPKiS9_S9_iPKfiiiPfSC_PS2_PT2_iSB_SB_
__PRETTY_FUNCTION__._Z39paged_attention_ll4mi_QKV_mfma16_kernelIDF16_DF16_LN4vllm18Fp8KVCacheDataTypeE0EhLi16ELi64ELi256ELb0ELi7EEvPKT_PKT0_S7_ifPKiS9_S9_iPKfiiiPfSC_PS2_PT2_iSB_SB_:
	.asciz	"void paged_attention_ll4mi_QKV_mfma16_kernel(const scalar_t *__restrict, const cache_t *__restrict, const cache_t *__restrict, const int, const float, const int *__restrict, const int *__restrict, const int *__restrict, const int, const float *__restrict, const int, const int, const int, float *__restrict, float *__restrict, scalar_t *__restrict, OUTT *__restrict, int, const float *, const float *) [scalar_t = _Float16, cache_t = _Float16, KV_DTYPE = vllm::Fp8KVCacheDataType::kAuto, OUTT = unsigned char, BLOCK_SIZE = 16, HEAD_SIZE = 64, NUM_THREADS = 256, ALIBI_ENABLED = false, GQA_RATIO = 7]"
	.size	__PRETTY_FUNCTION__._Z39paged_attention_ll4mi_QKV_mfma16_kernelIDF16_DF16_LN4vllm18Fp8KVCacheDataTypeE0EhLi16ELi64ELi256ELb0ELi7EEvPKT_PKT0_S7_ifPKiS9_S9_iPKfiiiPfSC_PS2_PT2_iSB_SB_, 600

	.type	__PRETTY_FUNCTION__._Z39paged_attention_ll4mi_QKV_mfma16_kernelIDF16_DF16_LN4vllm18Fp8KVCacheDataTypeE0EhLi16ELi64ELi256ELb0ELi8EEvPKT_PKT0_S7_ifPKiS9_S9_iPKfiiiPfSC_PS2_PT2_iSB_SB_,@object ; @__PRETTY_FUNCTION__._Z39paged_attention_ll4mi_QKV_mfma16_kernelIDF16_DF16_LN4vllm18Fp8KVCacheDataTypeE0EhLi16ELi64ELi256ELb0ELi8EEvPKT_PKT0_S7_ifPKiS9_S9_iPKfiiiPfSC_PS2_PT2_iSB_SB_
__PRETTY_FUNCTION__._Z39paged_attention_ll4mi_QKV_mfma16_kernelIDF16_DF16_LN4vllm18Fp8KVCacheDataTypeE0EhLi16ELi64ELi256ELb0ELi8EEvPKT_PKT0_S7_ifPKiS9_S9_iPKfiiiPfSC_PS2_PT2_iSB_SB_:
	.asciz	"void paged_attention_ll4mi_QKV_mfma16_kernel(const scalar_t *__restrict, const cache_t *__restrict, const cache_t *__restrict, const int, const float, const int *__restrict, const int *__restrict, const int *__restrict, const int, const float *__restrict, const int, const int, const int, float *__restrict, float *__restrict, scalar_t *__restrict, OUTT *__restrict, int, const float *, const float *) [scalar_t = _Float16, cache_t = _Float16, KV_DTYPE = vllm::Fp8KVCacheDataType::kAuto, OUTT = unsigned char, BLOCK_SIZE = 16, HEAD_SIZE = 64, NUM_THREADS = 256, ALIBI_ENABLED = false, GQA_RATIO = 8]"
	.size	__PRETTY_FUNCTION__._Z39paged_attention_ll4mi_QKV_mfma16_kernelIDF16_DF16_LN4vllm18Fp8KVCacheDataTypeE0EhLi16ELi64ELi256ELb0ELi8EEvPKT_PKT0_S7_ifPKiS9_S9_iPKfiiiPfSC_PS2_PT2_iSB_SB_, 600

	.type	__PRETTY_FUNCTION__._Z39paged_attention_ll4mi_QKV_mfma16_kernelIDF16_DF16_LN4vllm18Fp8KVCacheDataTypeE0EhLi16ELi64ELi256ELb0ELi9EEvPKT_PKT0_S7_ifPKiS9_S9_iPKfiiiPfSC_PS2_PT2_iSB_SB_,@object ; @__PRETTY_FUNCTION__._Z39paged_attention_ll4mi_QKV_mfma16_kernelIDF16_DF16_LN4vllm18Fp8KVCacheDataTypeE0EhLi16ELi64ELi256ELb0ELi9EEvPKT_PKT0_S7_ifPKiS9_S9_iPKfiiiPfSC_PS2_PT2_iSB_SB_
__PRETTY_FUNCTION__._Z39paged_attention_ll4mi_QKV_mfma16_kernelIDF16_DF16_LN4vllm18Fp8KVCacheDataTypeE0EhLi16ELi64ELi256ELb0ELi9EEvPKT_PKT0_S7_ifPKiS9_S9_iPKfiiiPfSC_PS2_PT2_iSB_SB_:
	.asciz	"void paged_attention_ll4mi_QKV_mfma16_kernel(const scalar_t *__restrict, const cache_t *__restrict, const cache_t *__restrict, const int, const float, const int *__restrict, const int *__restrict, const int *__restrict, const int, const float *__restrict, const int, const int, const int, float *__restrict, float *__restrict, scalar_t *__restrict, OUTT *__restrict, int, const float *, const float *) [scalar_t = _Float16, cache_t = _Float16, KV_DTYPE = vllm::Fp8KVCacheDataType::kAuto, OUTT = unsigned char, BLOCK_SIZE = 16, HEAD_SIZE = 64, NUM_THREADS = 256, ALIBI_ENABLED = false, GQA_RATIO = 9]"
	.size	__PRETTY_FUNCTION__._Z39paged_attention_ll4mi_QKV_mfma16_kernelIDF16_DF16_LN4vllm18Fp8KVCacheDataTypeE0EhLi16ELi64ELi256ELb0ELi9EEvPKT_PKT0_S7_ifPKiS9_S9_iPKfiiiPfSC_PS2_PT2_iSB_SB_, 600

	.type	__PRETTY_FUNCTION__._Z39paged_attention_ll4mi_QKV_mfma16_kernelIDF16_DF16_LN4vllm18Fp8KVCacheDataTypeE0EhLi16ELi64ELi256ELb0ELi10EEvPKT_PKT0_S7_ifPKiS9_S9_iPKfiiiPfSC_PS2_PT2_iSB_SB_,@object ; @__PRETTY_FUNCTION__._Z39paged_attention_ll4mi_QKV_mfma16_kernelIDF16_DF16_LN4vllm18Fp8KVCacheDataTypeE0EhLi16ELi64ELi256ELb0ELi10EEvPKT_PKT0_S7_ifPKiS9_S9_iPKfiiiPfSC_PS2_PT2_iSB_SB_
__PRETTY_FUNCTION__._Z39paged_attention_ll4mi_QKV_mfma16_kernelIDF16_DF16_LN4vllm18Fp8KVCacheDataTypeE0EhLi16ELi64ELi256ELb0ELi10EEvPKT_PKT0_S7_ifPKiS9_S9_iPKfiiiPfSC_PS2_PT2_iSB_SB_:
	.asciz	"void paged_attention_ll4mi_QKV_mfma16_kernel(const scalar_t *__restrict, const cache_t *__restrict, const cache_t *__restrict, const int, const float, const int *__restrict, const int *__restrict, const int *__restrict, const int, const float *__restrict, const int, const int, const int, float *__restrict, float *__restrict, scalar_t *__restrict, OUTT *__restrict, int, const float *, const float *) [scalar_t = _Float16, cache_t = _Float16, KV_DTYPE = vllm::Fp8KVCacheDataType::kAuto, OUTT = unsigned char, BLOCK_SIZE = 16, HEAD_SIZE = 64, NUM_THREADS = 256, ALIBI_ENABLED = false, GQA_RATIO = 10]"
	.size	__PRETTY_FUNCTION__._Z39paged_attention_ll4mi_QKV_mfma16_kernelIDF16_DF16_LN4vllm18Fp8KVCacheDataTypeE0EhLi16ELi64ELi256ELb0ELi10EEvPKT_PKT0_S7_ifPKiS9_S9_iPKfiiiPfSC_PS2_PT2_iSB_SB_, 601

	.type	__PRETTY_FUNCTION__._Z39paged_attention_ll4mi_QKV_mfma16_kernelIDF16_DF16_LN4vllm18Fp8KVCacheDataTypeE0EhLi16ELi64ELi256ELb0ELi11EEvPKT_PKT0_S7_ifPKiS9_S9_iPKfiiiPfSC_PS2_PT2_iSB_SB_,@object ; @__PRETTY_FUNCTION__._Z39paged_attention_ll4mi_QKV_mfma16_kernelIDF16_DF16_LN4vllm18Fp8KVCacheDataTypeE0EhLi16ELi64ELi256ELb0ELi11EEvPKT_PKT0_S7_ifPKiS9_S9_iPKfiiiPfSC_PS2_PT2_iSB_SB_
__PRETTY_FUNCTION__._Z39paged_attention_ll4mi_QKV_mfma16_kernelIDF16_DF16_LN4vllm18Fp8KVCacheDataTypeE0EhLi16ELi64ELi256ELb0ELi11EEvPKT_PKT0_S7_ifPKiS9_S9_iPKfiiiPfSC_PS2_PT2_iSB_SB_:
	.asciz	"void paged_attention_ll4mi_QKV_mfma16_kernel(const scalar_t *__restrict, const cache_t *__restrict, const cache_t *__restrict, const int, const float, const int *__restrict, const int *__restrict, const int *__restrict, const int, const float *__restrict, const int, const int, const int, float *__restrict, float *__restrict, scalar_t *__restrict, OUTT *__restrict, int, const float *, const float *) [scalar_t = _Float16, cache_t = _Float16, KV_DTYPE = vllm::Fp8KVCacheDataType::kAuto, OUTT = unsigned char, BLOCK_SIZE = 16, HEAD_SIZE = 64, NUM_THREADS = 256, ALIBI_ENABLED = false, GQA_RATIO = 11]"
	.size	__PRETTY_FUNCTION__._Z39paged_attention_ll4mi_QKV_mfma16_kernelIDF16_DF16_LN4vllm18Fp8KVCacheDataTypeE0EhLi16ELi64ELi256ELb0ELi11EEvPKT_PKT0_S7_ifPKiS9_S9_iPKfiiiPfSC_PS2_PT2_iSB_SB_, 601

	.type	__PRETTY_FUNCTION__._Z39paged_attention_ll4mi_QKV_mfma16_kernelIDF16_DF16_LN4vllm18Fp8KVCacheDataTypeE0EhLi16ELi64ELi256ELb0ELi12EEvPKT_PKT0_S7_ifPKiS9_S9_iPKfiiiPfSC_PS2_PT2_iSB_SB_,@object ; @__PRETTY_FUNCTION__._Z39paged_attention_ll4mi_QKV_mfma16_kernelIDF16_DF16_LN4vllm18Fp8KVCacheDataTypeE0EhLi16ELi64ELi256ELb0ELi12EEvPKT_PKT0_S7_ifPKiS9_S9_iPKfiiiPfSC_PS2_PT2_iSB_SB_
__PRETTY_FUNCTION__._Z39paged_attention_ll4mi_QKV_mfma16_kernelIDF16_DF16_LN4vllm18Fp8KVCacheDataTypeE0EhLi16ELi64ELi256ELb0ELi12EEvPKT_PKT0_S7_ifPKiS9_S9_iPKfiiiPfSC_PS2_PT2_iSB_SB_:
	.asciz	"void paged_attention_ll4mi_QKV_mfma16_kernel(const scalar_t *__restrict, const cache_t *__restrict, const cache_t *__restrict, const int, const float, const int *__restrict, const int *__restrict, const int *__restrict, const int, const float *__restrict, const int, const int, const int, float *__restrict, float *__restrict, scalar_t *__restrict, OUTT *__restrict, int, const float *, const float *) [scalar_t = _Float16, cache_t = _Float16, KV_DTYPE = vllm::Fp8KVCacheDataType::kAuto, OUTT = unsigned char, BLOCK_SIZE = 16, HEAD_SIZE = 64, NUM_THREADS = 256, ALIBI_ENABLED = false, GQA_RATIO = 12]"
	.size	__PRETTY_FUNCTION__._Z39paged_attention_ll4mi_QKV_mfma16_kernelIDF16_DF16_LN4vllm18Fp8KVCacheDataTypeE0EhLi16ELi64ELi256ELb0ELi12EEvPKT_PKT0_S7_ifPKiS9_S9_iPKfiiiPfSC_PS2_PT2_iSB_SB_, 601

	.type	__PRETTY_FUNCTION__._Z39paged_attention_ll4mi_QKV_mfma16_kernelIDF16_DF16_LN4vllm18Fp8KVCacheDataTypeE0EhLi16ELi64ELi256ELb0ELi13EEvPKT_PKT0_S7_ifPKiS9_S9_iPKfiiiPfSC_PS2_PT2_iSB_SB_,@object ; @__PRETTY_FUNCTION__._Z39paged_attention_ll4mi_QKV_mfma16_kernelIDF16_DF16_LN4vllm18Fp8KVCacheDataTypeE0EhLi16ELi64ELi256ELb0ELi13EEvPKT_PKT0_S7_ifPKiS9_S9_iPKfiiiPfSC_PS2_PT2_iSB_SB_
__PRETTY_FUNCTION__._Z39paged_attention_ll4mi_QKV_mfma16_kernelIDF16_DF16_LN4vllm18Fp8KVCacheDataTypeE0EhLi16ELi64ELi256ELb0ELi13EEvPKT_PKT0_S7_ifPKiS9_S9_iPKfiiiPfSC_PS2_PT2_iSB_SB_:
	.asciz	"void paged_attention_ll4mi_QKV_mfma16_kernel(const scalar_t *__restrict, const cache_t *__restrict, const cache_t *__restrict, const int, const float, const int *__restrict, const int *__restrict, const int *__restrict, const int, const float *__restrict, const int, const int, const int, float *__restrict, float *__restrict, scalar_t *__restrict, OUTT *__restrict, int, const float *, const float *) [scalar_t = _Float16, cache_t = _Float16, KV_DTYPE = vllm::Fp8KVCacheDataType::kAuto, OUTT = unsigned char, BLOCK_SIZE = 16, HEAD_SIZE = 64, NUM_THREADS = 256, ALIBI_ENABLED = false, GQA_RATIO = 13]"
	.size	__PRETTY_FUNCTION__._Z39paged_attention_ll4mi_QKV_mfma16_kernelIDF16_DF16_LN4vllm18Fp8KVCacheDataTypeE0EhLi16ELi64ELi256ELb0ELi13EEvPKT_PKT0_S7_ifPKiS9_S9_iPKfiiiPfSC_PS2_PT2_iSB_SB_, 601

	.type	__PRETTY_FUNCTION__._Z39paged_attention_ll4mi_QKV_mfma16_kernelIDF16_DF16_LN4vllm18Fp8KVCacheDataTypeE0EhLi16ELi64ELi256ELb0ELi14EEvPKT_PKT0_S7_ifPKiS9_S9_iPKfiiiPfSC_PS2_PT2_iSB_SB_,@object ; @__PRETTY_FUNCTION__._Z39paged_attention_ll4mi_QKV_mfma16_kernelIDF16_DF16_LN4vllm18Fp8KVCacheDataTypeE0EhLi16ELi64ELi256ELb0ELi14EEvPKT_PKT0_S7_ifPKiS9_S9_iPKfiiiPfSC_PS2_PT2_iSB_SB_
__PRETTY_FUNCTION__._Z39paged_attention_ll4mi_QKV_mfma16_kernelIDF16_DF16_LN4vllm18Fp8KVCacheDataTypeE0EhLi16ELi64ELi256ELb0ELi14EEvPKT_PKT0_S7_ifPKiS9_S9_iPKfiiiPfSC_PS2_PT2_iSB_SB_:
	.asciz	"void paged_attention_ll4mi_QKV_mfma16_kernel(const scalar_t *__restrict, const cache_t *__restrict, const cache_t *__restrict, const int, const float, const int *__restrict, const int *__restrict, const int *__restrict, const int, const float *__restrict, const int, const int, const int, float *__restrict, float *__restrict, scalar_t *__restrict, OUTT *__restrict, int, const float *, const float *) [scalar_t = _Float16, cache_t = _Float16, KV_DTYPE = vllm::Fp8KVCacheDataType::kAuto, OUTT = unsigned char, BLOCK_SIZE = 16, HEAD_SIZE = 64, NUM_THREADS = 256, ALIBI_ENABLED = false, GQA_RATIO = 14]"
	.size	__PRETTY_FUNCTION__._Z39paged_attention_ll4mi_QKV_mfma16_kernelIDF16_DF16_LN4vllm18Fp8KVCacheDataTypeE0EhLi16ELi64ELi256ELb0ELi14EEvPKT_PKT0_S7_ifPKiS9_S9_iPKfiiiPfSC_PS2_PT2_iSB_SB_, 601

	.type	__PRETTY_FUNCTION__._Z39paged_attention_ll4mi_QKV_mfma16_kernelIDF16_DF16_LN4vllm18Fp8KVCacheDataTypeE0EhLi16ELi64ELi256ELb0ELi15EEvPKT_PKT0_S7_ifPKiS9_S9_iPKfiiiPfSC_PS2_PT2_iSB_SB_,@object ; @__PRETTY_FUNCTION__._Z39paged_attention_ll4mi_QKV_mfma16_kernelIDF16_DF16_LN4vllm18Fp8KVCacheDataTypeE0EhLi16ELi64ELi256ELb0ELi15EEvPKT_PKT0_S7_ifPKiS9_S9_iPKfiiiPfSC_PS2_PT2_iSB_SB_
__PRETTY_FUNCTION__._Z39paged_attention_ll4mi_QKV_mfma16_kernelIDF16_DF16_LN4vllm18Fp8KVCacheDataTypeE0EhLi16ELi64ELi256ELb0ELi15EEvPKT_PKT0_S7_ifPKiS9_S9_iPKfiiiPfSC_PS2_PT2_iSB_SB_:
	.asciz	"void paged_attention_ll4mi_QKV_mfma16_kernel(const scalar_t *__restrict, const cache_t *__restrict, const cache_t *__restrict, const int, const float, const int *__restrict, const int *__restrict, const int *__restrict, const int, const float *__restrict, const int, const int, const int, float *__restrict, float *__restrict, scalar_t *__restrict, OUTT *__restrict, int, const float *, const float *) [scalar_t = _Float16, cache_t = _Float16, KV_DTYPE = vllm::Fp8KVCacheDataType::kAuto, OUTT = unsigned char, BLOCK_SIZE = 16, HEAD_SIZE = 64, NUM_THREADS = 256, ALIBI_ENABLED = false, GQA_RATIO = 15]"
	.size	__PRETTY_FUNCTION__._Z39paged_attention_ll4mi_QKV_mfma16_kernelIDF16_DF16_LN4vllm18Fp8KVCacheDataTypeE0EhLi16ELi64ELi256ELb0ELi15EEvPKT_PKT0_S7_ifPKiS9_S9_iPKfiiiPfSC_PS2_PT2_iSB_SB_, 601

	.type	__PRETTY_FUNCTION__._Z39paged_attention_ll4mi_QKV_mfma16_kernelIDF16_DF16_LN4vllm18Fp8KVCacheDataTypeE0EhLi16ELi64ELi256ELb0ELi16EEvPKT_PKT0_S7_ifPKiS9_S9_iPKfiiiPfSC_PS2_PT2_iSB_SB_,@object ; @__PRETTY_FUNCTION__._Z39paged_attention_ll4mi_QKV_mfma16_kernelIDF16_DF16_LN4vllm18Fp8KVCacheDataTypeE0EhLi16ELi64ELi256ELb0ELi16EEvPKT_PKT0_S7_ifPKiS9_S9_iPKfiiiPfSC_PS2_PT2_iSB_SB_
__PRETTY_FUNCTION__._Z39paged_attention_ll4mi_QKV_mfma16_kernelIDF16_DF16_LN4vllm18Fp8KVCacheDataTypeE0EhLi16ELi64ELi256ELb0ELi16EEvPKT_PKT0_S7_ifPKiS9_S9_iPKfiiiPfSC_PS2_PT2_iSB_SB_:
	.asciz	"void paged_attention_ll4mi_QKV_mfma16_kernel(const scalar_t *__restrict, const cache_t *__restrict, const cache_t *__restrict, const int, const float, const int *__restrict, const int *__restrict, const int *__restrict, const int, const float *__restrict, const int, const int, const int, float *__restrict, float *__restrict, scalar_t *__restrict, OUTT *__restrict, int, const float *, const float *) [scalar_t = _Float16, cache_t = _Float16, KV_DTYPE = vllm::Fp8KVCacheDataType::kAuto, OUTT = unsigned char, BLOCK_SIZE = 16, HEAD_SIZE = 64, NUM_THREADS = 256, ALIBI_ENABLED = false, GQA_RATIO = 16]"
	.size	__PRETTY_FUNCTION__._Z39paged_attention_ll4mi_QKV_mfma16_kernelIDF16_DF16_LN4vllm18Fp8KVCacheDataTypeE0EhLi16ELi64ELi256ELb0ELi16EEvPKT_PKT0_S7_ifPKiS9_S9_iPKfiiiPfSC_PS2_PT2_iSB_SB_, 601

	.type	__PRETTY_FUNCTION__._Z39paged_attention_ll4mi_QKV_mfma16_kernelIDF16_DF16_LN4vllm18Fp8KVCacheDataTypeE0EhLi16ELi64ELi256ELb0ELi1EEvPKT_PKT0_S7_ifPKiS9_S9_iPKfiiiPfSC_PS2_PT2_iSB_SB_,@object ; @__PRETTY_FUNCTION__._Z39paged_attention_ll4mi_QKV_mfma16_kernelIDF16_DF16_LN4vllm18Fp8KVCacheDataTypeE0EhLi16ELi64ELi256ELb0ELi1EEvPKT_PKT0_S7_ifPKiS9_S9_iPKfiiiPfSC_PS2_PT2_iSB_SB_
__PRETTY_FUNCTION__._Z39paged_attention_ll4mi_QKV_mfma16_kernelIDF16_DF16_LN4vllm18Fp8KVCacheDataTypeE0EhLi16ELi64ELi256ELb0ELi1EEvPKT_PKT0_S7_ifPKiS9_S9_iPKfiiiPfSC_PS2_PT2_iSB_SB_:
	.asciz	"void paged_attention_ll4mi_QKV_mfma16_kernel(const scalar_t *__restrict, const cache_t *__restrict, const cache_t *__restrict, const int, const float, const int *__restrict, const int *__restrict, const int *__restrict, const int, const float *__restrict, const int, const int, const int, float *__restrict, float *__restrict, scalar_t *__restrict, OUTT *__restrict, int, const float *, const float *) [scalar_t = _Float16, cache_t = _Float16, KV_DTYPE = vllm::Fp8KVCacheDataType::kAuto, OUTT = unsigned char, BLOCK_SIZE = 16, HEAD_SIZE = 64, NUM_THREADS = 256, ALIBI_ENABLED = false, GQA_RATIO = 1]"
	.size	__PRETTY_FUNCTION__._Z39paged_attention_ll4mi_QKV_mfma16_kernelIDF16_DF16_LN4vllm18Fp8KVCacheDataTypeE0EhLi16ELi64ELi256ELb0ELi1EEvPKT_PKT0_S7_ifPKiS9_S9_iPKfiiiPfSC_PS2_PT2_iSB_SB_, 600

	.type	__PRETTY_FUNCTION__._Z39paged_attention_ll4mi_QKV_mfma16_kernelIDF16_DF16_LN4vllm18Fp8KVCacheDataTypeE0EhLi16ELi64ELi256ELb0ELi2EEvPKT_PKT0_S7_ifPKiS9_S9_iPKfiiiPfSC_PS2_PT2_iSB_SB_,@object ; @__PRETTY_FUNCTION__._Z39paged_attention_ll4mi_QKV_mfma16_kernelIDF16_DF16_LN4vllm18Fp8KVCacheDataTypeE0EhLi16ELi64ELi256ELb0ELi2EEvPKT_PKT0_S7_ifPKiS9_S9_iPKfiiiPfSC_PS2_PT2_iSB_SB_
__PRETTY_FUNCTION__._Z39paged_attention_ll4mi_QKV_mfma16_kernelIDF16_DF16_LN4vllm18Fp8KVCacheDataTypeE0EhLi16ELi64ELi256ELb0ELi2EEvPKT_PKT0_S7_ifPKiS9_S9_iPKfiiiPfSC_PS2_PT2_iSB_SB_:
	.asciz	"void paged_attention_ll4mi_QKV_mfma16_kernel(const scalar_t *__restrict, const cache_t *__restrict, const cache_t *__restrict, const int, const float, const int *__restrict, const int *__restrict, const int *__restrict, const int, const float *__restrict, const int, const int, const int, float *__restrict, float *__restrict, scalar_t *__restrict, OUTT *__restrict, int, const float *, const float *) [scalar_t = _Float16, cache_t = _Float16, KV_DTYPE = vllm::Fp8KVCacheDataType::kAuto, OUTT = unsigned char, BLOCK_SIZE = 16, HEAD_SIZE = 64, NUM_THREADS = 256, ALIBI_ENABLED = false, GQA_RATIO = 2]"
	.size	__PRETTY_FUNCTION__._Z39paged_attention_ll4mi_QKV_mfma16_kernelIDF16_DF16_LN4vllm18Fp8KVCacheDataTypeE0EhLi16ELi64ELi256ELb0ELi2EEvPKT_PKT0_S7_ifPKiS9_S9_iPKfiiiPfSC_PS2_PT2_iSB_SB_, 600

	.type	__PRETTY_FUNCTION__._Z39paged_attention_ll4mi_QKV_mfma16_kernelIDF16_DF16_LN4vllm18Fp8KVCacheDataTypeE0EhLi16ELi64ELi256ELb0ELi3EEvPKT_PKT0_S7_ifPKiS9_S9_iPKfiiiPfSC_PS2_PT2_iSB_SB_,@object ; @__PRETTY_FUNCTION__._Z39paged_attention_ll4mi_QKV_mfma16_kernelIDF16_DF16_LN4vllm18Fp8KVCacheDataTypeE0EhLi16ELi64ELi256ELb0ELi3EEvPKT_PKT0_S7_ifPKiS9_S9_iPKfiiiPfSC_PS2_PT2_iSB_SB_
__PRETTY_FUNCTION__._Z39paged_attention_ll4mi_QKV_mfma16_kernelIDF16_DF16_LN4vllm18Fp8KVCacheDataTypeE0EhLi16ELi64ELi256ELb0ELi3EEvPKT_PKT0_S7_ifPKiS9_S9_iPKfiiiPfSC_PS2_PT2_iSB_SB_:
	.asciz	"void paged_attention_ll4mi_QKV_mfma16_kernel(const scalar_t *__restrict, const cache_t *__restrict, const cache_t *__restrict, const int, const float, const int *__restrict, const int *__restrict, const int *__restrict, const int, const float *__restrict, const int, const int, const int, float *__restrict, float *__restrict, scalar_t *__restrict, OUTT *__restrict, int, const float *, const float *) [scalar_t = _Float16, cache_t = _Float16, KV_DTYPE = vllm::Fp8KVCacheDataType::kAuto, OUTT = unsigned char, BLOCK_SIZE = 16, HEAD_SIZE = 64, NUM_THREADS = 256, ALIBI_ENABLED = false, GQA_RATIO = 3]"
	.size	__PRETTY_FUNCTION__._Z39paged_attention_ll4mi_QKV_mfma16_kernelIDF16_DF16_LN4vllm18Fp8KVCacheDataTypeE0EhLi16ELi64ELi256ELb0ELi3EEvPKT_PKT0_S7_ifPKiS9_S9_iPKfiiiPfSC_PS2_PT2_iSB_SB_, 600

	.type	__PRETTY_FUNCTION__._Z39paged_attention_ll4mi_QKV_mfma16_kernelIDF16_DF16_LN4vllm18Fp8KVCacheDataTypeE0EhLi16ELi64ELi256ELb0ELi4EEvPKT_PKT0_S7_ifPKiS9_S9_iPKfiiiPfSC_PS2_PT2_iSB_SB_,@object ; @__PRETTY_FUNCTION__._Z39paged_attention_ll4mi_QKV_mfma16_kernelIDF16_DF16_LN4vllm18Fp8KVCacheDataTypeE0EhLi16ELi64ELi256ELb0ELi4EEvPKT_PKT0_S7_ifPKiS9_S9_iPKfiiiPfSC_PS2_PT2_iSB_SB_
__PRETTY_FUNCTION__._Z39paged_attention_ll4mi_QKV_mfma16_kernelIDF16_DF16_LN4vllm18Fp8KVCacheDataTypeE0EhLi16ELi64ELi256ELb0ELi4EEvPKT_PKT0_S7_ifPKiS9_S9_iPKfiiiPfSC_PS2_PT2_iSB_SB_:
	.asciz	"void paged_attention_ll4mi_QKV_mfma16_kernel(const scalar_t *__restrict, const cache_t *__restrict, const cache_t *__restrict, const int, const float, const int *__restrict, const int *__restrict, const int *__restrict, const int, const float *__restrict, const int, const int, const int, float *__restrict, float *__restrict, scalar_t *__restrict, OUTT *__restrict, int, const float *, const float *) [scalar_t = _Float16, cache_t = _Float16, KV_DTYPE = vllm::Fp8KVCacheDataType::kAuto, OUTT = unsigned char, BLOCK_SIZE = 16, HEAD_SIZE = 64, NUM_THREADS = 256, ALIBI_ENABLED = false, GQA_RATIO = 4]"
	.size	__PRETTY_FUNCTION__._Z39paged_attention_ll4mi_QKV_mfma16_kernelIDF16_DF16_LN4vllm18Fp8KVCacheDataTypeE0EhLi16ELi64ELi256ELb0ELi4EEvPKT_PKT0_S7_ifPKiS9_S9_iPKfiiiPfSC_PS2_PT2_iSB_SB_, 600

	.type	__PRETTY_FUNCTION__._Z38paged_attention_ll4mi_QKV_mfma4_kernelIDF16_DF16_LN4vllm18Fp8KVCacheDataTypeE0EDF16_Li16ELi64ELi256ELb1ELi1EEvPKT_PKT0_S7_ifPKiS9_S9_iPKfiiiPfSC_PS2_PT2_iSB_SB_,@object ; @__PRETTY_FUNCTION__._Z38paged_attention_ll4mi_QKV_mfma4_kernelIDF16_DF16_LN4vllm18Fp8KVCacheDataTypeE0EDF16_Li16ELi64ELi256ELb1ELi1EEvPKT_PKT0_S7_ifPKiS9_S9_iPKfiiiPfSC_PS2_PT2_iSB_SB_
__PRETTY_FUNCTION__._Z38paged_attention_ll4mi_QKV_mfma4_kernelIDF16_DF16_LN4vllm18Fp8KVCacheDataTypeE0EDF16_Li16ELi64ELi256ELb1ELi1EEvPKT_PKT0_S7_ifPKiS9_S9_iPKfiiiPfSC_PS2_PT2_iSB_SB_:
	.asciz	"void paged_attention_ll4mi_QKV_mfma4_kernel(const scalar_t *__restrict, const cache_t *__restrict, const cache_t *__restrict, const int, const float, const int *__restrict, const int *__restrict, const int *__restrict, const int, const float *__restrict, const int, const int, const int, float *__restrict, float *__restrict, scalar_t *__restrict, OUTT *__restrict, int, const float *, const float *) [scalar_t = _Float16, cache_t = _Float16, KV_DTYPE = vllm::Fp8KVCacheDataType::kAuto, OUTT = _Float16, BLOCK_SIZE = 16, HEAD_SIZE = 64, NUM_THREADS = 256, ALIBI_ENABLED = true, GQA_RATIO = 1]"
	.size	__PRETTY_FUNCTION__._Z38paged_attention_ll4mi_QKV_mfma4_kernelIDF16_DF16_LN4vllm18Fp8KVCacheDataTypeE0EDF16_Li16ELi64ELi256ELb1ELi1EEvPKT_PKT0_S7_ifPKiS9_S9_iPKfiiiPfSC_PS2_PT2_iSB_SB_, 593

	.type	__PRETTY_FUNCTION__._Z38paged_attention_ll4mi_QKV_mfma4_kernelIDF16_DF16_LN4vllm18Fp8KVCacheDataTypeE0EDF16_Li16ELi64ELi256ELb1ELi2EEvPKT_PKT0_S7_ifPKiS9_S9_iPKfiiiPfSC_PS2_PT2_iSB_SB_,@object ; @__PRETTY_FUNCTION__._Z38paged_attention_ll4mi_QKV_mfma4_kernelIDF16_DF16_LN4vllm18Fp8KVCacheDataTypeE0EDF16_Li16ELi64ELi256ELb1ELi2EEvPKT_PKT0_S7_ifPKiS9_S9_iPKfiiiPfSC_PS2_PT2_iSB_SB_
__PRETTY_FUNCTION__._Z38paged_attention_ll4mi_QKV_mfma4_kernelIDF16_DF16_LN4vllm18Fp8KVCacheDataTypeE0EDF16_Li16ELi64ELi256ELb1ELi2EEvPKT_PKT0_S7_ifPKiS9_S9_iPKfiiiPfSC_PS2_PT2_iSB_SB_:
	.asciz	"void paged_attention_ll4mi_QKV_mfma4_kernel(const scalar_t *__restrict, const cache_t *__restrict, const cache_t *__restrict, const int, const float, const int *__restrict, const int *__restrict, const int *__restrict, const int, const float *__restrict, const int, const int, const int, float *__restrict, float *__restrict, scalar_t *__restrict, OUTT *__restrict, int, const float *, const float *) [scalar_t = _Float16, cache_t = _Float16, KV_DTYPE = vllm::Fp8KVCacheDataType::kAuto, OUTT = _Float16, BLOCK_SIZE = 16, HEAD_SIZE = 64, NUM_THREADS = 256, ALIBI_ENABLED = true, GQA_RATIO = 2]"
	.size	__PRETTY_FUNCTION__._Z38paged_attention_ll4mi_QKV_mfma4_kernelIDF16_DF16_LN4vllm18Fp8KVCacheDataTypeE0EDF16_Li16ELi64ELi256ELb1ELi2EEvPKT_PKT0_S7_ifPKiS9_S9_iPKfiiiPfSC_PS2_PT2_iSB_SB_, 593

	.type	__PRETTY_FUNCTION__._Z38paged_attention_ll4mi_QKV_mfma4_kernelIDF16_DF16_LN4vllm18Fp8KVCacheDataTypeE0EDF16_Li16ELi64ELi256ELb1ELi3EEvPKT_PKT0_S7_ifPKiS9_S9_iPKfiiiPfSC_PS2_PT2_iSB_SB_,@object ; @__PRETTY_FUNCTION__._Z38paged_attention_ll4mi_QKV_mfma4_kernelIDF16_DF16_LN4vllm18Fp8KVCacheDataTypeE0EDF16_Li16ELi64ELi256ELb1ELi3EEvPKT_PKT0_S7_ifPKiS9_S9_iPKfiiiPfSC_PS2_PT2_iSB_SB_
__PRETTY_FUNCTION__._Z38paged_attention_ll4mi_QKV_mfma4_kernelIDF16_DF16_LN4vllm18Fp8KVCacheDataTypeE0EDF16_Li16ELi64ELi256ELb1ELi3EEvPKT_PKT0_S7_ifPKiS9_S9_iPKfiiiPfSC_PS2_PT2_iSB_SB_:
	.asciz	"void paged_attention_ll4mi_QKV_mfma4_kernel(const scalar_t *__restrict, const cache_t *__restrict, const cache_t *__restrict, const int, const float, const int *__restrict, const int *__restrict, const int *__restrict, const int, const float *__restrict, const int, const int, const int, float *__restrict, float *__restrict, scalar_t *__restrict, OUTT *__restrict, int, const float *, const float *) [scalar_t = _Float16, cache_t = _Float16, KV_DTYPE = vllm::Fp8KVCacheDataType::kAuto, OUTT = _Float16, BLOCK_SIZE = 16, HEAD_SIZE = 64, NUM_THREADS = 256, ALIBI_ENABLED = true, GQA_RATIO = 3]"
	.size	__PRETTY_FUNCTION__._Z38paged_attention_ll4mi_QKV_mfma4_kernelIDF16_DF16_LN4vllm18Fp8KVCacheDataTypeE0EDF16_Li16ELi64ELi256ELb1ELi3EEvPKT_PKT0_S7_ifPKiS9_S9_iPKfiiiPfSC_PS2_PT2_iSB_SB_, 593

	.type	__PRETTY_FUNCTION__._Z38paged_attention_ll4mi_QKV_mfma4_kernelIDF16_DF16_LN4vllm18Fp8KVCacheDataTypeE0EDF16_Li16ELi64ELi256ELb1ELi4EEvPKT_PKT0_S7_ifPKiS9_S9_iPKfiiiPfSC_PS2_PT2_iSB_SB_,@object ; @__PRETTY_FUNCTION__._Z38paged_attention_ll4mi_QKV_mfma4_kernelIDF16_DF16_LN4vllm18Fp8KVCacheDataTypeE0EDF16_Li16ELi64ELi256ELb1ELi4EEvPKT_PKT0_S7_ifPKiS9_S9_iPKfiiiPfSC_PS2_PT2_iSB_SB_
__PRETTY_FUNCTION__._Z38paged_attention_ll4mi_QKV_mfma4_kernelIDF16_DF16_LN4vllm18Fp8KVCacheDataTypeE0EDF16_Li16ELi64ELi256ELb1ELi4EEvPKT_PKT0_S7_ifPKiS9_S9_iPKfiiiPfSC_PS2_PT2_iSB_SB_:
	.asciz	"void paged_attention_ll4mi_QKV_mfma4_kernel(const scalar_t *__restrict, const cache_t *__restrict, const cache_t *__restrict, const int, const float, const int *__restrict, const int *__restrict, const int *__restrict, const int, const float *__restrict, const int, const int, const int, float *__restrict, float *__restrict, scalar_t *__restrict, OUTT *__restrict, int, const float *, const float *) [scalar_t = _Float16, cache_t = _Float16, KV_DTYPE = vllm::Fp8KVCacheDataType::kAuto, OUTT = _Float16, BLOCK_SIZE = 16, HEAD_SIZE = 64, NUM_THREADS = 256, ALIBI_ENABLED = true, GQA_RATIO = 4]"
	.size	__PRETTY_FUNCTION__._Z38paged_attention_ll4mi_QKV_mfma4_kernelIDF16_DF16_LN4vllm18Fp8KVCacheDataTypeE0EDF16_Li16ELi64ELi256ELb1ELi4EEvPKT_PKT0_S7_ifPKiS9_S9_iPKfiiiPfSC_PS2_PT2_iSB_SB_, 593

	.type	__PRETTY_FUNCTION__._Z39paged_attention_ll4mi_QKV_mfma16_kernelIDF16_DF16_LN4vllm18Fp8KVCacheDataTypeE0EDF16_Li16ELi64ELi256ELb1ELi5EEvPKT_PKT0_S7_ifPKiS9_S9_iPKfiiiPfSC_PS2_PT2_iSB_SB_,@object ; @__PRETTY_FUNCTION__._Z39paged_attention_ll4mi_QKV_mfma16_kernelIDF16_DF16_LN4vllm18Fp8KVCacheDataTypeE0EDF16_Li16ELi64ELi256ELb1ELi5EEvPKT_PKT0_S7_ifPKiS9_S9_iPKfiiiPfSC_PS2_PT2_iSB_SB_
__PRETTY_FUNCTION__._Z39paged_attention_ll4mi_QKV_mfma16_kernelIDF16_DF16_LN4vllm18Fp8KVCacheDataTypeE0EDF16_Li16ELi64ELi256ELb1ELi5EEvPKT_PKT0_S7_ifPKiS9_S9_iPKfiiiPfSC_PS2_PT2_iSB_SB_:
	.asciz	"void paged_attention_ll4mi_QKV_mfma16_kernel(const scalar_t *__restrict, const cache_t *__restrict, const cache_t *__restrict, const int, const float, const int *__restrict, const int *__restrict, const int *__restrict, const int, const float *__restrict, const int, const int, const int, float *__restrict, float *__restrict, scalar_t *__restrict, OUTT *__restrict, int, const float *, const float *) [scalar_t = _Float16, cache_t = _Float16, KV_DTYPE = vllm::Fp8KVCacheDataType::kAuto, OUTT = _Float16, BLOCK_SIZE = 16, HEAD_SIZE = 64, NUM_THREADS = 256, ALIBI_ENABLED = true, GQA_RATIO = 5]"
	.size	__PRETTY_FUNCTION__._Z39paged_attention_ll4mi_QKV_mfma16_kernelIDF16_DF16_LN4vllm18Fp8KVCacheDataTypeE0EDF16_Li16ELi64ELi256ELb1ELi5EEvPKT_PKT0_S7_ifPKiS9_S9_iPKfiiiPfSC_PS2_PT2_iSB_SB_, 594

	.type	__PRETTY_FUNCTION__._Z39paged_attention_ll4mi_QKV_mfma16_kernelIDF16_DF16_LN4vllm18Fp8KVCacheDataTypeE0EDF16_Li16ELi64ELi256ELb1ELi6EEvPKT_PKT0_S7_ifPKiS9_S9_iPKfiiiPfSC_PS2_PT2_iSB_SB_,@object ; @__PRETTY_FUNCTION__._Z39paged_attention_ll4mi_QKV_mfma16_kernelIDF16_DF16_LN4vllm18Fp8KVCacheDataTypeE0EDF16_Li16ELi64ELi256ELb1ELi6EEvPKT_PKT0_S7_ifPKiS9_S9_iPKfiiiPfSC_PS2_PT2_iSB_SB_
__PRETTY_FUNCTION__._Z39paged_attention_ll4mi_QKV_mfma16_kernelIDF16_DF16_LN4vllm18Fp8KVCacheDataTypeE0EDF16_Li16ELi64ELi256ELb1ELi6EEvPKT_PKT0_S7_ifPKiS9_S9_iPKfiiiPfSC_PS2_PT2_iSB_SB_:
	.asciz	"void paged_attention_ll4mi_QKV_mfma16_kernel(const scalar_t *__restrict, const cache_t *__restrict, const cache_t *__restrict, const int, const float, const int *__restrict, const int *__restrict, const int *__restrict, const int, const float *__restrict, const int, const int, const int, float *__restrict, float *__restrict, scalar_t *__restrict, OUTT *__restrict, int, const float *, const float *) [scalar_t = _Float16, cache_t = _Float16, KV_DTYPE = vllm::Fp8KVCacheDataType::kAuto, OUTT = _Float16, BLOCK_SIZE = 16, HEAD_SIZE = 64, NUM_THREADS = 256, ALIBI_ENABLED = true, GQA_RATIO = 6]"
	.size	__PRETTY_FUNCTION__._Z39paged_attention_ll4mi_QKV_mfma16_kernelIDF16_DF16_LN4vllm18Fp8KVCacheDataTypeE0EDF16_Li16ELi64ELi256ELb1ELi6EEvPKT_PKT0_S7_ifPKiS9_S9_iPKfiiiPfSC_PS2_PT2_iSB_SB_, 594

	.type	__PRETTY_FUNCTION__._Z39paged_attention_ll4mi_QKV_mfma16_kernelIDF16_DF16_LN4vllm18Fp8KVCacheDataTypeE0EDF16_Li16ELi64ELi256ELb1ELi7EEvPKT_PKT0_S7_ifPKiS9_S9_iPKfiiiPfSC_PS2_PT2_iSB_SB_,@object ; @__PRETTY_FUNCTION__._Z39paged_attention_ll4mi_QKV_mfma16_kernelIDF16_DF16_LN4vllm18Fp8KVCacheDataTypeE0EDF16_Li16ELi64ELi256ELb1ELi7EEvPKT_PKT0_S7_ifPKiS9_S9_iPKfiiiPfSC_PS2_PT2_iSB_SB_
__PRETTY_FUNCTION__._Z39paged_attention_ll4mi_QKV_mfma16_kernelIDF16_DF16_LN4vllm18Fp8KVCacheDataTypeE0EDF16_Li16ELi64ELi256ELb1ELi7EEvPKT_PKT0_S7_ifPKiS9_S9_iPKfiiiPfSC_PS2_PT2_iSB_SB_:
	.asciz	"void paged_attention_ll4mi_QKV_mfma16_kernel(const scalar_t *__restrict, const cache_t *__restrict, const cache_t *__restrict, const int, const float, const int *__restrict, const int *__restrict, const int *__restrict, const int, const float *__restrict, const int, const int, const int, float *__restrict, float *__restrict, scalar_t *__restrict, OUTT *__restrict, int, const float *, const float *) [scalar_t = _Float16, cache_t = _Float16, KV_DTYPE = vllm::Fp8KVCacheDataType::kAuto, OUTT = _Float16, BLOCK_SIZE = 16, HEAD_SIZE = 64, NUM_THREADS = 256, ALIBI_ENABLED = true, GQA_RATIO = 7]"
	.size	__PRETTY_FUNCTION__._Z39paged_attention_ll4mi_QKV_mfma16_kernelIDF16_DF16_LN4vllm18Fp8KVCacheDataTypeE0EDF16_Li16ELi64ELi256ELb1ELi7EEvPKT_PKT0_S7_ifPKiS9_S9_iPKfiiiPfSC_PS2_PT2_iSB_SB_, 594

	.type	__PRETTY_FUNCTION__._Z39paged_attention_ll4mi_QKV_mfma16_kernelIDF16_DF16_LN4vllm18Fp8KVCacheDataTypeE0EDF16_Li16ELi64ELi256ELb1ELi8EEvPKT_PKT0_S7_ifPKiS9_S9_iPKfiiiPfSC_PS2_PT2_iSB_SB_,@object ; @__PRETTY_FUNCTION__._Z39paged_attention_ll4mi_QKV_mfma16_kernelIDF16_DF16_LN4vllm18Fp8KVCacheDataTypeE0EDF16_Li16ELi64ELi256ELb1ELi8EEvPKT_PKT0_S7_ifPKiS9_S9_iPKfiiiPfSC_PS2_PT2_iSB_SB_
__PRETTY_FUNCTION__._Z39paged_attention_ll4mi_QKV_mfma16_kernelIDF16_DF16_LN4vllm18Fp8KVCacheDataTypeE0EDF16_Li16ELi64ELi256ELb1ELi8EEvPKT_PKT0_S7_ifPKiS9_S9_iPKfiiiPfSC_PS2_PT2_iSB_SB_:
	.asciz	"void paged_attention_ll4mi_QKV_mfma16_kernel(const scalar_t *__restrict, const cache_t *__restrict, const cache_t *__restrict, const int, const float, const int *__restrict, const int *__restrict, const int *__restrict, const int, const float *__restrict, const int, const int, const int, float *__restrict, float *__restrict, scalar_t *__restrict, OUTT *__restrict, int, const float *, const float *) [scalar_t = _Float16, cache_t = _Float16, KV_DTYPE = vllm::Fp8KVCacheDataType::kAuto, OUTT = _Float16, BLOCK_SIZE = 16, HEAD_SIZE = 64, NUM_THREADS = 256, ALIBI_ENABLED = true, GQA_RATIO = 8]"
	.size	__PRETTY_FUNCTION__._Z39paged_attention_ll4mi_QKV_mfma16_kernelIDF16_DF16_LN4vllm18Fp8KVCacheDataTypeE0EDF16_Li16ELi64ELi256ELb1ELi8EEvPKT_PKT0_S7_ifPKiS9_S9_iPKfiiiPfSC_PS2_PT2_iSB_SB_, 594

	.type	__PRETTY_FUNCTION__._Z39paged_attention_ll4mi_QKV_mfma16_kernelIDF16_DF16_LN4vllm18Fp8KVCacheDataTypeE0EDF16_Li16ELi64ELi256ELb1ELi9EEvPKT_PKT0_S7_ifPKiS9_S9_iPKfiiiPfSC_PS2_PT2_iSB_SB_,@object ; @__PRETTY_FUNCTION__._Z39paged_attention_ll4mi_QKV_mfma16_kernelIDF16_DF16_LN4vllm18Fp8KVCacheDataTypeE0EDF16_Li16ELi64ELi256ELb1ELi9EEvPKT_PKT0_S7_ifPKiS9_S9_iPKfiiiPfSC_PS2_PT2_iSB_SB_
__PRETTY_FUNCTION__._Z39paged_attention_ll4mi_QKV_mfma16_kernelIDF16_DF16_LN4vllm18Fp8KVCacheDataTypeE0EDF16_Li16ELi64ELi256ELb1ELi9EEvPKT_PKT0_S7_ifPKiS9_S9_iPKfiiiPfSC_PS2_PT2_iSB_SB_:
	.asciz	"void paged_attention_ll4mi_QKV_mfma16_kernel(const scalar_t *__restrict, const cache_t *__restrict, const cache_t *__restrict, const int, const float, const int *__restrict, const int *__restrict, const int *__restrict, const int, const float *__restrict, const int, const int, const int, float *__restrict, float *__restrict, scalar_t *__restrict, OUTT *__restrict, int, const float *, const float *) [scalar_t = _Float16, cache_t = _Float16, KV_DTYPE = vllm::Fp8KVCacheDataType::kAuto, OUTT = _Float16, BLOCK_SIZE = 16, HEAD_SIZE = 64, NUM_THREADS = 256, ALIBI_ENABLED = true, GQA_RATIO = 9]"
	.size	__PRETTY_FUNCTION__._Z39paged_attention_ll4mi_QKV_mfma16_kernelIDF16_DF16_LN4vllm18Fp8KVCacheDataTypeE0EDF16_Li16ELi64ELi256ELb1ELi9EEvPKT_PKT0_S7_ifPKiS9_S9_iPKfiiiPfSC_PS2_PT2_iSB_SB_, 594

	.type	__PRETTY_FUNCTION__._Z39paged_attention_ll4mi_QKV_mfma16_kernelIDF16_DF16_LN4vllm18Fp8KVCacheDataTypeE0EDF16_Li16ELi64ELi256ELb1ELi10EEvPKT_PKT0_S7_ifPKiS9_S9_iPKfiiiPfSC_PS2_PT2_iSB_SB_,@object ; @__PRETTY_FUNCTION__._Z39paged_attention_ll4mi_QKV_mfma16_kernelIDF16_DF16_LN4vllm18Fp8KVCacheDataTypeE0EDF16_Li16ELi64ELi256ELb1ELi10EEvPKT_PKT0_S7_ifPKiS9_S9_iPKfiiiPfSC_PS2_PT2_iSB_SB_
__PRETTY_FUNCTION__._Z39paged_attention_ll4mi_QKV_mfma16_kernelIDF16_DF16_LN4vllm18Fp8KVCacheDataTypeE0EDF16_Li16ELi64ELi256ELb1ELi10EEvPKT_PKT0_S7_ifPKiS9_S9_iPKfiiiPfSC_PS2_PT2_iSB_SB_:
	.asciz	"void paged_attention_ll4mi_QKV_mfma16_kernel(const scalar_t *__restrict, const cache_t *__restrict, const cache_t *__restrict, const int, const float, const int *__restrict, const int *__restrict, const int *__restrict, const int, const float *__restrict, const int, const int, const int, float *__restrict, float *__restrict, scalar_t *__restrict, OUTT *__restrict, int, const float *, const float *) [scalar_t = _Float16, cache_t = _Float16, KV_DTYPE = vllm::Fp8KVCacheDataType::kAuto, OUTT = _Float16, BLOCK_SIZE = 16, HEAD_SIZE = 64, NUM_THREADS = 256, ALIBI_ENABLED = true, GQA_RATIO = 10]"
	.size	__PRETTY_FUNCTION__._Z39paged_attention_ll4mi_QKV_mfma16_kernelIDF16_DF16_LN4vllm18Fp8KVCacheDataTypeE0EDF16_Li16ELi64ELi256ELb1ELi10EEvPKT_PKT0_S7_ifPKiS9_S9_iPKfiiiPfSC_PS2_PT2_iSB_SB_, 595

	.type	__PRETTY_FUNCTION__._Z39paged_attention_ll4mi_QKV_mfma16_kernelIDF16_DF16_LN4vllm18Fp8KVCacheDataTypeE0EDF16_Li16ELi64ELi256ELb1ELi11EEvPKT_PKT0_S7_ifPKiS9_S9_iPKfiiiPfSC_PS2_PT2_iSB_SB_,@object ; @__PRETTY_FUNCTION__._Z39paged_attention_ll4mi_QKV_mfma16_kernelIDF16_DF16_LN4vllm18Fp8KVCacheDataTypeE0EDF16_Li16ELi64ELi256ELb1ELi11EEvPKT_PKT0_S7_ifPKiS9_S9_iPKfiiiPfSC_PS2_PT2_iSB_SB_
__PRETTY_FUNCTION__._Z39paged_attention_ll4mi_QKV_mfma16_kernelIDF16_DF16_LN4vllm18Fp8KVCacheDataTypeE0EDF16_Li16ELi64ELi256ELb1ELi11EEvPKT_PKT0_S7_ifPKiS9_S9_iPKfiiiPfSC_PS2_PT2_iSB_SB_:
	.asciz	"void paged_attention_ll4mi_QKV_mfma16_kernel(const scalar_t *__restrict, const cache_t *__restrict, const cache_t *__restrict, const int, const float, const int *__restrict, const int *__restrict, const int *__restrict, const int, const float *__restrict, const int, const int, const int, float *__restrict, float *__restrict, scalar_t *__restrict, OUTT *__restrict, int, const float *, const float *) [scalar_t = _Float16, cache_t = _Float16, KV_DTYPE = vllm::Fp8KVCacheDataType::kAuto, OUTT = _Float16, BLOCK_SIZE = 16, HEAD_SIZE = 64, NUM_THREADS = 256, ALIBI_ENABLED = true, GQA_RATIO = 11]"
	.size	__PRETTY_FUNCTION__._Z39paged_attention_ll4mi_QKV_mfma16_kernelIDF16_DF16_LN4vllm18Fp8KVCacheDataTypeE0EDF16_Li16ELi64ELi256ELb1ELi11EEvPKT_PKT0_S7_ifPKiS9_S9_iPKfiiiPfSC_PS2_PT2_iSB_SB_, 595

	.type	__PRETTY_FUNCTION__._Z39paged_attention_ll4mi_QKV_mfma16_kernelIDF16_DF16_LN4vllm18Fp8KVCacheDataTypeE0EDF16_Li16ELi64ELi256ELb1ELi12EEvPKT_PKT0_S7_ifPKiS9_S9_iPKfiiiPfSC_PS2_PT2_iSB_SB_,@object ; @__PRETTY_FUNCTION__._Z39paged_attention_ll4mi_QKV_mfma16_kernelIDF16_DF16_LN4vllm18Fp8KVCacheDataTypeE0EDF16_Li16ELi64ELi256ELb1ELi12EEvPKT_PKT0_S7_ifPKiS9_S9_iPKfiiiPfSC_PS2_PT2_iSB_SB_
__PRETTY_FUNCTION__._Z39paged_attention_ll4mi_QKV_mfma16_kernelIDF16_DF16_LN4vllm18Fp8KVCacheDataTypeE0EDF16_Li16ELi64ELi256ELb1ELi12EEvPKT_PKT0_S7_ifPKiS9_S9_iPKfiiiPfSC_PS2_PT2_iSB_SB_:
	.asciz	"void paged_attention_ll4mi_QKV_mfma16_kernel(const scalar_t *__restrict, const cache_t *__restrict, const cache_t *__restrict, const int, const float, const int *__restrict, const int *__restrict, const int *__restrict, const int, const float *__restrict, const int, const int, const int, float *__restrict, float *__restrict, scalar_t *__restrict, OUTT *__restrict, int, const float *, const float *) [scalar_t = _Float16, cache_t = _Float16, KV_DTYPE = vllm::Fp8KVCacheDataType::kAuto, OUTT = _Float16, BLOCK_SIZE = 16, HEAD_SIZE = 64, NUM_THREADS = 256, ALIBI_ENABLED = true, GQA_RATIO = 12]"
	.size	__PRETTY_FUNCTION__._Z39paged_attention_ll4mi_QKV_mfma16_kernelIDF16_DF16_LN4vllm18Fp8KVCacheDataTypeE0EDF16_Li16ELi64ELi256ELb1ELi12EEvPKT_PKT0_S7_ifPKiS9_S9_iPKfiiiPfSC_PS2_PT2_iSB_SB_, 595

	.type	__PRETTY_FUNCTION__._Z39paged_attention_ll4mi_QKV_mfma16_kernelIDF16_DF16_LN4vllm18Fp8KVCacheDataTypeE0EDF16_Li16ELi64ELi256ELb1ELi13EEvPKT_PKT0_S7_ifPKiS9_S9_iPKfiiiPfSC_PS2_PT2_iSB_SB_,@object ; @__PRETTY_FUNCTION__._Z39paged_attention_ll4mi_QKV_mfma16_kernelIDF16_DF16_LN4vllm18Fp8KVCacheDataTypeE0EDF16_Li16ELi64ELi256ELb1ELi13EEvPKT_PKT0_S7_ifPKiS9_S9_iPKfiiiPfSC_PS2_PT2_iSB_SB_
__PRETTY_FUNCTION__._Z39paged_attention_ll4mi_QKV_mfma16_kernelIDF16_DF16_LN4vllm18Fp8KVCacheDataTypeE0EDF16_Li16ELi64ELi256ELb1ELi13EEvPKT_PKT0_S7_ifPKiS9_S9_iPKfiiiPfSC_PS2_PT2_iSB_SB_:
	.asciz	"void paged_attention_ll4mi_QKV_mfma16_kernel(const scalar_t *__restrict, const cache_t *__restrict, const cache_t *__restrict, const int, const float, const int *__restrict, const int *__restrict, const int *__restrict, const int, const float *__restrict, const int, const int, const int, float *__restrict, float *__restrict, scalar_t *__restrict, OUTT *__restrict, int, const float *, const float *) [scalar_t = _Float16, cache_t = _Float16, KV_DTYPE = vllm::Fp8KVCacheDataType::kAuto, OUTT = _Float16, BLOCK_SIZE = 16, HEAD_SIZE = 64, NUM_THREADS = 256, ALIBI_ENABLED = true, GQA_RATIO = 13]"
	.size	__PRETTY_FUNCTION__._Z39paged_attention_ll4mi_QKV_mfma16_kernelIDF16_DF16_LN4vllm18Fp8KVCacheDataTypeE0EDF16_Li16ELi64ELi256ELb1ELi13EEvPKT_PKT0_S7_ifPKiS9_S9_iPKfiiiPfSC_PS2_PT2_iSB_SB_, 595

	.type	__PRETTY_FUNCTION__._Z39paged_attention_ll4mi_QKV_mfma16_kernelIDF16_DF16_LN4vllm18Fp8KVCacheDataTypeE0EDF16_Li16ELi64ELi256ELb1ELi14EEvPKT_PKT0_S7_ifPKiS9_S9_iPKfiiiPfSC_PS2_PT2_iSB_SB_,@object ; @__PRETTY_FUNCTION__._Z39paged_attention_ll4mi_QKV_mfma16_kernelIDF16_DF16_LN4vllm18Fp8KVCacheDataTypeE0EDF16_Li16ELi64ELi256ELb1ELi14EEvPKT_PKT0_S7_ifPKiS9_S9_iPKfiiiPfSC_PS2_PT2_iSB_SB_
__PRETTY_FUNCTION__._Z39paged_attention_ll4mi_QKV_mfma16_kernelIDF16_DF16_LN4vllm18Fp8KVCacheDataTypeE0EDF16_Li16ELi64ELi256ELb1ELi14EEvPKT_PKT0_S7_ifPKiS9_S9_iPKfiiiPfSC_PS2_PT2_iSB_SB_:
	.asciz	"void paged_attention_ll4mi_QKV_mfma16_kernel(const scalar_t *__restrict, const cache_t *__restrict, const cache_t *__restrict, const int, const float, const int *__restrict, const int *__restrict, const int *__restrict, const int, const float *__restrict, const int, const int, const int, float *__restrict, float *__restrict, scalar_t *__restrict, OUTT *__restrict, int, const float *, const float *) [scalar_t = _Float16, cache_t = _Float16, KV_DTYPE = vllm::Fp8KVCacheDataType::kAuto, OUTT = _Float16, BLOCK_SIZE = 16, HEAD_SIZE = 64, NUM_THREADS = 256, ALIBI_ENABLED = true, GQA_RATIO = 14]"
	.size	__PRETTY_FUNCTION__._Z39paged_attention_ll4mi_QKV_mfma16_kernelIDF16_DF16_LN4vllm18Fp8KVCacheDataTypeE0EDF16_Li16ELi64ELi256ELb1ELi14EEvPKT_PKT0_S7_ifPKiS9_S9_iPKfiiiPfSC_PS2_PT2_iSB_SB_, 595

	.type	__PRETTY_FUNCTION__._Z39paged_attention_ll4mi_QKV_mfma16_kernelIDF16_DF16_LN4vllm18Fp8KVCacheDataTypeE0EDF16_Li16ELi64ELi256ELb1ELi15EEvPKT_PKT0_S7_ifPKiS9_S9_iPKfiiiPfSC_PS2_PT2_iSB_SB_,@object ; @__PRETTY_FUNCTION__._Z39paged_attention_ll4mi_QKV_mfma16_kernelIDF16_DF16_LN4vllm18Fp8KVCacheDataTypeE0EDF16_Li16ELi64ELi256ELb1ELi15EEvPKT_PKT0_S7_ifPKiS9_S9_iPKfiiiPfSC_PS2_PT2_iSB_SB_
__PRETTY_FUNCTION__._Z39paged_attention_ll4mi_QKV_mfma16_kernelIDF16_DF16_LN4vllm18Fp8KVCacheDataTypeE0EDF16_Li16ELi64ELi256ELb1ELi15EEvPKT_PKT0_S7_ifPKiS9_S9_iPKfiiiPfSC_PS2_PT2_iSB_SB_:
	.asciz	"void paged_attention_ll4mi_QKV_mfma16_kernel(const scalar_t *__restrict, const cache_t *__restrict, const cache_t *__restrict, const int, const float, const int *__restrict, const int *__restrict, const int *__restrict, const int, const float *__restrict, const int, const int, const int, float *__restrict, float *__restrict, scalar_t *__restrict, OUTT *__restrict, int, const float *, const float *) [scalar_t = _Float16, cache_t = _Float16, KV_DTYPE = vllm::Fp8KVCacheDataType::kAuto, OUTT = _Float16, BLOCK_SIZE = 16, HEAD_SIZE = 64, NUM_THREADS = 256, ALIBI_ENABLED = true, GQA_RATIO = 15]"
	.size	__PRETTY_FUNCTION__._Z39paged_attention_ll4mi_QKV_mfma16_kernelIDF16_DF16_LN4vllm18Fp8KVCacheDataTypeE0EDF16_Li16ELi64ELi256ELb1ELi15EEvPKT_PKT0_S7_ifPKiS9_S9_iPKfiiiPfSC_PS2_PT2_iSB_SB_, 595

	.type	__PRETTY_FUNCTION__._Z39paged_attention_ll4mi_QKV_mfma16_kernelIDF16_DF16_LN4vllm18Fp8KVCacheDataTypeE0EDF16_Li16ELi64ELi256ELb1ELi16EEvPKT_PKT0_S7_ifPKiS9_S9_iPKfiiiPfSC_PS2_PT2_iSB_SB_,@object ; @__PRETTY_FUNCTION__._Z39paged_attention_ll4mi_QKV_mfma16_kernelIDF16_DF16_LN4vllm18Fp8KVCacheDataTypeE0EDF16_Li16ELi64ELi256ELb1ELi16EEvPKT_PKT0_S7_ifPKiS9_S9_iPKfiiiPfSC_PS2_PT2_iSB_SB_
__PRETTY_FUNCTION__._Z39paged_attention_ll4mi_QKV_mfma16_kernelIDF16_DF16_LN4vllm18Fp8KVCacheDataTypeE0EDF16_Li16ELi64ELi256ELb1ELi16EEvPKT_PKT0_S7_ifPKiS9_S9_iPKfiiiPfSC_PS2_PT2_iSB_SB_:
	.asciz	"void paged_attention_ll4mi_QKV_mfma16_kernel(const scalar_t *__restrict, const cache_t *__restrict, const cache_t *__restrict, const int, const float, const int *__restrict, const int *__restrict, const int *__restrict, const int, const float *__restrict, const int, const int, const int, float *__restrict, float *__restrict, scalar_t *__restrict, OUTT *__restrict, int, const float *, const float *) [scalar_t = _Float16, cache_t = _Float16, KV_DTYPE = vllm::Fp8KVCacheDataType::kAuto, OUTT = _Float16, BLOCK_SIZE = 16, HEAD_SIZE = 64, NUM_THREADS = 256, ALIBI_ENABLED = true, GQA_RATIO = 16]"
	.size	__PRETTY_FUNCTION__._Z39paged_attention_ll4mi_QKV_mfma16_kernelIDF16_DF16_LN4vllm18Fp8KVCacheDataTypeE0EDF16_Li16ELi64ELi256ELb1ELi16EEvPKT_PKT0_S7_ifPKiS9_S9_iPKfiiiPfSC_PS2_PT2_iSB_SB_, 595

	.type	__PRETTY_FUNCTION__._Z35paged_attention_ll4mi_reduce_kernelIDF16_DF16_Li64ELi64ELi256ELi1EEvPT0_PKfS3_PKT_PKiS8_iS3_,@object ; @__PRETTY_FUNCTION__._Z35paged_attention_ll4mi_reduce_kernelIDF16_DF16_Li64ELi64ELi256ELi1EEvPT0_PKfS3_PKT_PKiS8_iS3_
__PRETTY_FUNCTION__._Z35paged_attention_ll4mi_reduce_kernelIDF16_DF16_Li64ELi64ELi256ELi1EEvPT0_PKfS3_PKT_PKiS8_iS3_:
	.asciz	"void paged_attention_ll4mi_reduce_kernel(OUTT *__restrict, const float *__restrict, const float *__restrict, const scalar_t *__restrict, const int *__restrict, const int *__restrict, const int, const float *__restrict) [scalar_t = _Float16, OUTT = _Float16, HEAD_SIZE = 64, NUM_THREADS = 64, PARTITION_SIZE = 256, NPAR_LOOPS = 1]"
	.size	__PRETTY_FUNCTION__._Z35paged_attention_ll4mi_reduce_kernelIDF16_DF16_Li64ELi64ELi256ELi1EEvPT0_PKfS3_PKT_PKiS8_iS3_, 330

	.type	__PRETTY_FUNCTION__._Z35paged_attention_ll4mi_reduce_kernelIDF16_DF16_Li64ELi64ELi256ELi2EEvPT0_PKfS3_PKT_PKiS8_iS3_,@object ; @__PRETTY_FUNCTION__._Z35paged_attention_ll4mi_reduce_kernelIDF16_DF16_Li64ELi64ELi256ELi2EEvPT0_PKfS3_PKT_PKiS8_iS3_
__PRETTY_FUNCTION__._Z35paged_attention_ll4mi_reduce_kernelIDF16_DF16_Li64ELi64ELi256ELi2EEvPT0_PKfS3_PKT_PKiS8_iS3_:
	.asciz	"void paged_attention_ll4mi_reduce_kernel(OUTT *__restrict, const float *__restrict, const float *__restrict, const scalar_t *__restrict, const int *__restrict, const int *__restrict, const int, const float *__restrict) [scalar_t = _Float16, OUTT = _Float16, HEAD_SIZE = 64, NUM_THREADS = 64, PARTITION_SIZE = 256, NPAR_LOOPS = 2]"
	.size	__PRETTY_FUNCTION__._Z35paged_attention_ll4mi_reduce_kernelIDF16_DF16_Li64ELi64ELi256ELi2EEvPT0_PKfS3_PKT_PKiS8_iS3_, 330

	.type	__PRETTY_FUNCTION__._Z35paged_attention_ll4mi_reduce_kernelIDF16_DF16_Li64ELi64ELi256ELi3EEvPT0_PKfS3_PKT_PKiS8_iS3_,@object ; @__PRETTY_FUNCTION__._Z35paged_attention_ll4mi_reduce_kernelIDF16_DF16_Li64ELi64ELi256ELi3EEvPT0_PKfS3_PKT_PKiS8_iS3_
__PRETTY_FUNCTION__._Z35paged_attention_ll4mi_reduce_kernelIDF16_DF16_Li64ELi64ELi256ELi3EEvPT0_PKfS3_PKT_PKiS8_iS3_:
	.asciz	"void paged_attention_ll4mi_reduce_kernel(OUTT *__restrict, const float *__restrict, const float *__restrict, const scalar_t *__restrict, const int *__restrict, const int *__restrict, const int, const float *__restrict) [scalar_t = _Float16, OUTT = _Float16, HEAD_SIZE = 64, NUM_THREADS = 64, PARTITION_SIZE = 256, NPAR_LOOPS = 3]"
	.size	__PRETTY_FUNCTION__._Z35paged_attention_ll4mi_reduce_kernelIDF16_DF16_Li64ELi64ELi256ELi3EEvPT0_PKfS3_PKT_PKiS8_iS3_, 330

	.type	__PRETTY_FUNCTION__._Z35paged_attention_ll4mi_reduce_kernelIDF16_DF16_Li64ELi64ELi256ELi4EEvPT0_PKfS3_PKT_PKiS8_iS3_,@object ; @__PRETTY_FUNCTION__._Z35paged_attention_ll4mi_reduce_kernelIDF16_DF16_Li64ELi64ELi256ELi4EEvPT0_PKfS3_PKT_PKiS8_iS3_
__PRETTY_FUNCTION__._Z35paged_attention_ll4mi_reduce_kernelIDF16_DF16_Li64ELi64ELi256ELi4EEvPT0_PKfS3_PKT_PKiS8_iS3_:
	.asciz	"void paged_attention_ll4mi_reduce_kernel(OUTT *__restrict, const float *__restrict, const float *__restrict, const scalar_t *__restrict, const int *__restrict, const int *__restrict, const int, const float *__restrict) [scalar_t = _Float16, OUTT = _Float16, HEAD_SIZE = 64, NUM_THREADS = 64, PARTITION_SIZE = 256, NPAR_LOOPS = 4]"
	.size	__PRETTY_FUNCTION__._Z35paged_attention_ll4mi_reduce_kernelIDF16_DF16_Li64ELi64ELi256ELi4EEvPT0_PKfS3_PKT_PKiS8_iS3_, 330

	.type	__PRETTY_FUNCTION__._Z35paged_attention_ll4mi_reduce_kernelIDF16_DF16_Li64ELi64ELi256ELi5EEvPT0_PKfS3_PKT_PKiS8_iS3_,@object ; @__PRETTY_FUNCTION__._Z35paged_attention_ll4mi_reduce_kernelIDF16_DF16_Li64ELi64ELi256ELi5EEvPT0_PKfS3_PKT_PKiS8_iS3_
__PRETTY_FUNCTION__._Z35paged_attention_ll4mi_reduce_kernelIDF16_DF16_Li64ELi64ELi256ELi5EEvPT0_PKfS3_PKT_PKiS8_iS3_:
	.asciz	"void paged_attention_ll4mi_reduce_kernel(OUTT *__restrict, const float *__restrict, const float *__restrict, const scalar_t *__restrict, const int *__restrict, const int *__restrict, const int, const float *__restrict) [scalar_t = _Float16, OUTT = _Float16, HEAD_SIZE = 64, NUM_THREADS = 64, PARTITION_SIZE = 256, NPAR_LOOPS = 5]"
	.size	__PRETTY_FUNCTION__._Z35paged_attention_ll4mi_reduce_kernelIDF16_DF16_Li64ELi64ELi256ELi5EEvPT0_PKfS3_PKT_PKiS8_iS3_, 330

	.type	__PRETTY_FUNCTION__._Z35paged_attention_ll4mi_reduce_kernelIDF16_DF16_Li64ELi64ELi256ELi6EEvPT0_PKfS3_PKT_PKiS8_iS3_,@object ; @__PRETTY_FUNCTION__._Z35paged_attention_ll4mi_reduce_kernelIDF16_DF16_Li64ELi64ELi256ELi6EEvPT0_PKfS3_PKT_PKiS8_iS3_
__PRETTY_FUNCTION__._Z35paged_attention_ll4mi_reduce_kernelIDF16_DF16_Li64ELi64ELi256ELi6EEvPT0_PKfS3_PKT_PKiS8_iS3_:
	.asciz	"void paged_attention_ll4mi_reduce_kernel(OUTT *__restrict, const float *__restrict, const float *__restrict, const scalar_t *__restrict, const int *__restrict, const int *__restrict, const int, const float *__restrict) [scalar_t = _Float16, OUTT = _Float16, HEAD_SIZE = 64, NUM_THREADS = 64, PARTITION_SIZE = 256, NPAR_LOOPS = 6]"
	.size	__PRETTY_FUNCTION__._Z35paged_attention_ll4mi_reduce_kernelIDF16_DF16_Li64ELi64ELi256ELi6EEvPT0_PKfS3_PKT_PKiS8_iS3_, 330

	.type	__PRETTY_FUNCTION__._Z35paged_attention_ll4mi_reduce_kernelIDF16_DF16_Li64ELi64ELi256ELi7EEvPT0_PKfS3_PKT_PKiS8_iS3_,@object ; @__PRETTY_FUNCTION__._Z35paged_attention_ll4mi_reduce_kernelIDF16_DF16_Li64ELi64ELi256ELi7EEvPT0_PKfS3_PKT_PKiS8_iS3_
__PRETTY_FUNCTION__._Z35paged_attention_ll4mi_reduce_kernelIDF16_DF16_Li64ELi64ELi256ELi7EEvPT0_PKfS3_PKT_PKiS8_iS3_:
	.asciz	"void paged_attention_ll4mi_reduce_kernel(OUTT *__restrict, const float *__restrict, const float *__restrict, const scalar_t *__restrict, const int *__restrict, const int *__restrict, const int, const float *__restrict) [scalar_t = _Float16, OUTT = _Float16, HEAD_SIZE = 64, NUM_THREADS = 64, PARTITION_SIZE = 256, NPAR_LOOPS = 7]"
	.size	__PRETTY_FUNCTION__._Z35paged_attention_ll4mi_reduce_kernelIDF16_DF16_Li64ELi64ELi256ELi7EEvPT0_PKfS3_PKT_PKiS8_iS3_, 330

	.type	__PRETTY_FUNCTION__._Z35paged_attention_ll4mi_reduce_kernelIDF16_DF16_Li64ELi64ELi256ELi8EEvPT0_PKfS3_PKT_PKiS8_iS3_,@object ; @__PRETTY_FUNCTION__._Z35paged_attention_ll4mi_reduce_kernelIDF16_DF16_Li64ELi64ELi256ELi8EEvPT0_PKfS3_PKT_PKiS8_iS3_
__PRETTY_FUNCTION__._Z35paged_attention_ll4mi_reduce_kernelIDF16_DF16_Li64ELi64ELi256ELi8EEvPT0_PKfS3_PKT_PKiS8_iS3_:
	.asciz	"void paged_attention_ll4mi_reduce_kernel(OUTT *__restrict, const float *__restrict, const float *__restrict, const scalar_t *__restrict, const int *__restrict, const int *__restrict, const int, const float *__restrict) [scalar_t = _Float16, OUTT = _Float16, HEAD_SIZE = 64, NUM_THREADS = 64, PARTITION_SIZE = 256, NPAR_LOOPS = 8]"
	.size	__PRETTY_FUNCTION__._Z35paged_attention_ll4mi_reduce_kernelIDF16_DF16_Li64ELi64ELi256ELi8EEvPT0_PKfS3_PKT_PKiS8_iS3_, 330

	.type	__PRETTY_FUNCTION__._Z39paged_attention_ll4mi_QKV_mfma16_kernelIDF16_DF16_LN4vllm18Fp8KVCacheDataTypeE0EDF16_Li16ELi64ELi256ELb1ELi1EEvPKT_PKT0_S7_ifPKiS9_S9_iPKfiiiPfSC_PS2_PT2_iSB_SB_,@object ; @__PRETTY_FUNCTION__._Z39paged_attention_ll4mi_QKV_mfma16_kernelIDF16_DF16_LN4vllm18Fp8KVCacheDataTypeE0EDF16_Li16ELi64ELi256ELb1ELi1EEvPKT_PKT0_S7_ifPKiS9_S9_iPKfiiiPfSC_PS2_PT2_iSB_SB_
__PRETTY_FUNCTION__._Z39paged_attention_ll4mi_QKV_mfma16_kernelIDF16_DF16_LN4vllm18Fp8KVCacheDataTypeE0EDF16_Li16ELi64ELi256ELb1ELi1EEvPKT_PKT0_S7_ifPKiS9_S9_iPKfiiiPfSC_PS2_PT2_iSB_SB_:
	.asciz	"void paged_attention_ll4mi_QKV_mfma16_kernel(const scalar_t *__restrict, const cache_t *__restrict, const cache_t *__restrict, const int, const float, const int *__restrict, const int *__restrict, const int *__restrict, const int, const float *__restrict, const int, const int, const int, float *__restrict, float *__restrict, scalar_t *__restrict, OUTT *__restrict, int, const float *, const float *) [scalar_t = _Float16, cache_t = _Float16, KV_DTYPE = vllm::Fp8KVCacheDataType::kAuto, OUTT = _Float16, BLOCK_SIZE = 16, HEAD_SIZE = 64, NUM_THREADS = 256, ALIBI_ENABLED = true, GQA_RATIO = 1]"
	.size	__PRETTY_FUNCTION__._Z39paged_attention_ll4mi_QKV_mfma16_kernelIDF16_DF16_LN4vllm18Fp8KVCacheDataTypeE0EDF16_Li16ELi64ELi256ELb1ELi1EEvPKT_PKT0_S7_ifPKiS9_S9_iPKfiiiPfSC_PS2_PT2_iSB_SB_, 594

	.type	__PRETTY_FUNCTION__._Z39paged_attention_ll4mi_QKV_mfma16_kernelIDF16_DF16_LN4vllm18Fp8KVCacheDataTypeE0EDF16_Li16ELi64ELi256ELb1ELi2EEvPKT_PKT0_S7_ifPKiS9_S9_iPKfiiiPfSC_PS2_PT2_iSB_SB_,@object ; @__PRETTY_FUNCTION__._Z39paged_attention_ll4mi_QKV_mfma16_kernelIDF16_DF16_LN4vllm18Fp8KVCacheDataTypeE0EDF16_Li16ELi64ELi256ELb1ELi2EEvPKT_PKT0_S7_ifPKiS9_S9_iPKfiiiPfSC_PS2_PT2_iSB_SB_
__PRETTY_FUNCTION__._Z39paged_attention_ll4mi_QKV_mfma16_kernelIDF16_DF16_LN4vllm18Fp8KVCacheDataTypeE0EDF16_Li16ELi64ELi256ELb1ELi2EEvPKT_PKT0_S7_ifPKiS9_S9_iPKfiiiPfSC_PS2_PT2_iSB_SB_:
	.asciz	"void paged_attention_ll4mi_QKV_mfma16_kernel(const scalar_t *__restrict, const cache_t *__restrict, const cache_t *__restrict, const int, const float, const int *__restrict, const int *__restrict, const int *__restrict, const int, const float *__restrict, const int, const int, const int, float *__restrict, float *__restrict, scalar_t *__restrict, OUTT *__restrict, int, const float *, const float *) [scalar_t = _Float16, cache_t = _Float16, KV_DTYPE = vllm::Fp8KVCacheDataType::kAuto, OUTT = _Float16, BLOCK_SIZE = 16, HEAD_SIZE = 64, NUM_THREADS = 256, ALIBI_ENABLED = true, GQA_RATIO = 2]"
	.size	__PRETTY_FUNCTION__._Z39paged_attention_ll4mi_QKV_mfma16_kernelIDF16_DF16_LN4vllm18Fp8KVCacheDataTypeE0EDF16_Li16ELi64ELi256ELb1ELi2EEvPKT_PKT0_S7_ifPKiS9_S9_iPKfiiiPfSC_PS2_PT2_iSB_SB_, 594

	.type	__PRETTY_FUNCTION__._Z39paged_attention_ll4mi_QKV_mfma16_kernelIDF16_DF16_LN4vllm18Fp8KVCacheDataTypeE0EDF16_Li16ELi64ELi256ELb1ELi3EEvPKT_PKT0_S7_ifPKiS9_S9_iPKfiiiPfSC_PS2_PT2_iSB_SB_,@object ; @__PRETTY_FUNCTION__._Z39paged_attention_ll4mi_QKV_mfma16_kernelIDF16_DF16_LN4vllm18Fp8KVCacheDataTypeE0EDF16_Li16ELi64ELi256ELb1ELi3EEvPKT_PKT0_S7_ifPKiS9_S9_iPKfiiiPfSC_PS2_PT2_iSB_SB_
__PRETTY_FUNCTION__._Z39paged_attention_ll4mi_QKV_mfma16_kernelIDF16_DF16_LN4vllm18Fp8KVCacheDataTypeE0EDF16_Li16ELi64ELi256ELb1ELi3EEvPKT_PKT0_S7_ifPKiS9_S9_iPKfiiiPfSC_PS2_PT2_iSB_SB_:
	.asciz	"void paged_attention_ll4mi_QKV_mfma16_kernel(const scalar_t *__restrict, const cache_t *__restrict, const cache_t *__restrict, const int, const float, const int *__restrict, const int *__restrict, const int *__restrict, const int, const float *__restrict, const int, const int, const int, float *__restrict, float *__restrict, scalar_t *__restrict, OUTT *__restrict, int, const float *, const float *) [scalar_t = _Float16, cache_t = _Float16, KV_DTYPE = vllm::Fp8KVCacheDataType::kAuto, OUTT = _Float16, BLOCK_SIZE = 16, HEAD_SIZE = 64, NUM_THREADS = 256, ALIBI_ENABLED = true, GQA_RATIO = 3]"
	.size	__PRETTY_FUNCTION__._Z39paged_attention_ll4mi_QKV_mfma16_kernelIDF16_DF16_LN4vllm18Fp8KVCacheDataTypeE0EDF16_Li16ELi64ELi256ELb1ELi3EEvPKT_PKT0_S7_ifPKiS9_S9_iPKfiiiPfSC_PS2_PT2_iSB_SB_, 594

	.type	__PRETTY_FUNCTION__._Z39paged_attention_ll4mi_QKV_mfma16_kernelIDF16_DF16_LN4vllm18Fp8KVCacheDataTypeE0EDF16_Li16ELi64ELi256ELb1ELi4EEvPKT_PKT0_S7_ifPKiS9_S9_iPKfiiiPfSC_PS2_PT2_iSB_SB_,@object ; @__PRETTY_FUNCTION__._Z39paged_attention_ll4mi_QKV_mfma16_kernelIDF16_DF16_LN4vllm18Fp8KVCacheDataTypeE0EDF16_Li16ELi64ELi256ELb1ELi4EEvPKT_PKT0_S7_ifPKiS9_S9_iPKfiiiPfSC_PS2_PT2_iSB_SB_
__PRETTY_FUNCTION__._Z39paged_attention_ll4mi_QKV_mfma16_kernelIDF16_DF16_LN4vllm18Fp8KVCacheDataTypeE0EDF16_Li16ELi64ELi256ELb1ELi4EEvPKT_PKT0_S7_ifPKiS9_S9_iPKfiiiPfSC_PS2_PT2_iSB_SB_:
	.asciz	"void paged_attention_ll4mi_QKV_mfma16_kernel(const scalar_t *__restrict, const cache_t *__restrict, const cache_t *__restrict, const int, const float, const int *__restrict, const int *__restrict, const int *__restrict, const int, const float *__restrict, const int, const int, const int, float *__restrict, float *__restrict, scalar_t *__restrict, OUTT *__restrict, int, const float *, const float *) [scalar_t = _Float16, cache_t = _Float16, KV_DTYPE = vllm::Fp8KVCacheDataType::kAuto, OUTT = _Float16, BLOCK_SIZE = 16, HEAD_SIZE = 64, NUM_THREADS = 256, ALIBI_ENABLED = true, GQA_RATIO = 4]"
	.size	__PRETTY_FUNCTION__._Z39paged_attention_ll4mi_QKV_mfma16_kernelIDF16_DF16_LN4vllm18Fp8KVCacheDataTypeE0EDF16_Li16ELi64ELi256ELb1ELi4EEvPKT_PKT0_S7_ifPKiS9_S9_iPKfiiiPfSC_PS2_PT2_iSB_SB_, 594

	.type	__PRETTY_FUNCTION__._Z35paged_attention_ll4mi_reduce_kernelIDF16_DF16_Li64ELi64ELi256ELi9EEvPT0_PKfS3_PKT_PKiS8_iS3_,@object ; @__PRETTY_FUNCTION__._Z35paged_attention_ll4mi_reduce_kernelIDF16_DF16_Li64ELi64ELi256ELi9EEvPT0_PKfS3_PKT_PKiS8_iS3_
__PRETTY_FUNCTION__._Z35paged_attention_ll4mi_reduce_kernelIDF16_DF16_Li64ELi64ELi256ELi9EEvPT0_PKfS3_PKT_PKiS8_iS3_:
	.asciz	"void paged_attention_ll4mi_reduce_kernel(OUTT *__restrict, const float *__restrict, const float *__restrict, const scalar_t *__restrict, const int *__restrict, const int *__restrict, const int, const float *__restrict) [scalar_t = _Float16, OUTT = _Float16, HEAD_SIZE = 64, NUM_THREADS = 64, PARTITION_SIZE = 256, NPAR_LOOPS = 9]"
	.size	__PRETTY_FUNCTION__._Z35paged_attention_ll4mi_reduce_kernelIDF16_DF16_Li64ELi64ELi256ELi9EEvPT0_PKfS3_PKT_PKiS8_iS3_, 330

	.type	__PRETTY_FUNCTION__._Z35paged_attention_ll4mi_reduce_kernelIDF16_DF16_Li64ELi64ELi256ELi10EEvPT0_PKfS3_PKT_PKiS8_iS3_,@object ; @__PRETTY_FUNCTION__._Z35paged_attention_ll4mi_reduce_kernelIDF16_DF16_Li64ELi64ELi256ELi10EEvPT0_PKfS3_PKT_PKiS8_iS3_
__PRETTY_FUNCTION__._Z35paged_attention_ll4mi_reduce_kernelIDF16_DF16_Li64ELi64ELi256ELi10EEvPT0_PKfS3_PKT_PKiS8_iS3_:
	.asciz	"void paged_attention_ll4mi_reduce_kernel(OUTT *__restrict, const float *__restrict, const float *__restrict, const scalar_t *__restrict, const int *__restrict, const int *__restrict, const int, const float *__restrict) [scalar_t = _Float16, OUTT = _Float16, HEAD_SIZE = 64, NUM_THREADS = 64, PARTITION_SIZE = 256, NPAR_LOOPS = 10]"
	.size	__PRETTY_FUNCTION__._Z35paged_attention_ll4mi_reduce_kernelIDF16_DF16_Li64ELi64ELi256ELi10EEvPT0_PKfS3_PKT_PKiS8_iS3_, 331

	.type	__PRETTY_FUNCTION__._Z35paged_attention_ll4mi_reduce_kernelIDF16_DF16_Li64ELi64ELi256ELi11EEvPT0_PKfS3_PKT_PKiS8_iS3_,@object ; @__PRETTY_FUNCTION__._Z35paged_attention_ll4mi_reduce_kernelIDF16_DF16_Li64ELi64ELi256ELi11EEvPT0_PKfS3_PKT_PKiS8_iS3_
__PRETTY_FUNCTION__._Z35paged_attention_ll4mi_reduce_kernelIDF16_DF16_Li64ELi64ELi256ELi11EEvPT0_PKfS3_PKT_PKiS8_iS3_:
	.asciz	"void paged_attention_ll4mi_reduce_kernel(OUTT *__restrict, const float *__restrict, const float *__restrict, const scalar_t *__restrict, const int *__restrict, const int *__restrict, const int, const float *__restrict) [scalar_t = _Float16, OUTT = _Float16, HEAD_SIZE = 64, NUM_THREADS = 64, PARTITION_SIZE = 256, NPAR_LOOPS = 11]"
	.size	__PRETTY_FUNCTION__._Z35paged_attention_ll4mi_reduce_kernelIDF16_DF16_Li64ELi64ELi256ELi11EEvPT0_PKfS3_PKT_PKiS8_iS3_, 331

	.type	__PRETTY_FUNCTION__._Z35paged_attention_ll4mi_reduce_kernelIDF16_DF16_Li64ELi64ELi256ELi12EEvPT0_PKfS3_PKT_PKiS8_iS3_,@object ; @__PRETTY_FUNCTION__._Z35paged_attention_ll4mi_reduce_kernelIDF16_DF16_Li64ELi64ELi256ELi12EEvPT0_PKfS3_PKT_PKiS8_iS3_
__PRETTY_FUNCTION__._Z35paged_attention_ll4mi_reduce_kernelIDF16_DF16_Li64ELi64ELi256ELi12EEvPT0_PKfS3_PKT_PKiS8_iS3_:
	.asciz	"void paged_attention_ll4mi_reduce_kernel(OUTT *__restrict, const float *__restrict, const float *__restrict, const scalar_t *__restrict, const int *__restrict, const int *__restrict, const int, const float *__restrict) [scalar_t = _Float16, OUTT = _Float16, HEAD_SIZE = 64, NUM_THREADS = 64, PARTITION_SIZE = 256, NPAR_LOOPS = 12]"
	.size	__PRETTY_FUNCTION__._Z35paged_attention_ll4mi_reduce_kernelIDF16_DF16_Li64ELi64ELi256ELi12EEvPT0_PKfS3_PKT_PKiS8_iS3_, 331

	.type	__PRETTY_FUNCTION__._Z35paged_attention_ll4mi_reduce_kernelIDF16_DF16_Li64ELi64ELi256ELi13EEvPT0_PKfS3_PKT_PKiS8_iS3_,@object ; @__PRETTY_FUNCTION__._Z35paged_attention_ll4mi_reduce_kernelIDF16_DF16_Li64ELi64ELi256ELi13EEvPT0_PKfS3_PKT_PKiS8_iS3_
__PRETTY_FUNCTION__._Z35paged_attention_ll4mi_reduce_kernelIDF16_DF16_Li64ELi64ELi256ELi13EEvPT0_PKfS3_PKT_PKiS8_iS3_:
	.asciz	"void paged_attention_ll4mi_reduce_kernel(OUTT *__restrict, const float *__restrict, const float *__restrict, const scalar_t *__restrict, const int *__restrict, const int *__restrict, const int, const float *__restrict) [scalar_t = _Float16, OUTT = _Float16, HEAD_SIZE = 64, NUM_THREADS = 64, PARTITION_SIZE = 256, NPAR_LOOPS = 13]"
	.size	__PRETTY_FUNCTION__._Z35paged_attention_ll4mi_reduce_kernelIDF16_DF16_Li64ELi64ELi256ELi13EEvPT0_PKfS3_PKT_PKiS8_iS3_, 331

	.type	__PRETTY_FUNCTION__._Z35paged_attention_ll4mi_reduce_kernelIDF16_DF16_Li64ELi64ELi256ELi14EEvPT0_PKfS3_PKT_PKiS8_iS3_,@object ; @__PRETTY_FUNCTION__._Z35paged_attention_ll4mi_reduce_kernelIDF16_DF16_Li64ELi64ELi256ELi14EEvPT0_PKfS3_PKT_PKiS8_iS3_
__PRETTY_FUNCTION__._Z35paged_attention_ll4mi_reduce_kernelIDF16_DF16_Li64ELi64ELi256ELi14EEvPT0_PKfS3_PKT_PKiS8_iS3_:
	.asciz	"void paged_attention_ll4mi_reduce_kernel(OUTT *__restrict, const float *__restrict, const float *__restrict, const scalar_t *__restrict, const int *__restrict, const int *__restrict, const int, const float *__restrict) [scalar_t = _Float16, OUTT = _Float16, HEAD_SIZE = 64, NUM_THREADS = 64, PARTITION_SIZE = 256, NPAR_LOOPS = 14]"
	.size	__PRETTY_FUNCTION__._Z35paged_attention_ll4mi_reduce_kernelIDF16_DF16_Li64ELi64ELi256ELi14EEvPT0_PKfS3_PKT_PKiS8_iS3_, 331

	.type	__PRETTY_FUNCTION__._Z35paged_attention_ll4mi_reduce_kernelIDF16_DF16_Li64ELi64ELi256ELi15EEvPT0_PKfS3_PKT_PKiS8_iS3_,@object ; @__PRETTY_FUNCTION__._Z35paged_attention_ll4mi_reduce_kernelIDF16_DF16_Li64ELi64ELi256ELi15EEvPT0_PKfS3_PKT_PKiS8_iS3_
__PRETTY_FUNCTION__._Z35paged_attention_ll4mi_reduce_kernelIDF16_DF16_Li64ELi64ELi256ELi15EEvPT0_PKfS3_PKT_PKiS8_iS3_:
	.asciz	"void paged_attention_ll4mi_reduce_kernel(OUTT *__restrict, const float *__restrict, const float *__restrict, const scalar_t *__restrict, const int *__restrict, const int *__restrict, const int, const float *__restrict) [scalar_t = _Float16, OUTT = _Float16, HEAD_SIZE = 64, NUM_THREADS = 64, PARTITION_SIZE = 256, NPAR_LOOPS = 15]"
	.size	__PRETTY_FUNCTION__._Z35paged_attention_ll4mi_reduce_kernelIDF16_DF16_Li64ELi64ELi256ELi15EEvPT0_PKfS3_PKT_PKiS8_iS3_, 331

	.type	__PRETTY_FUNCTION__._Z35paged_attention_ll4mi_reduce_kernelIDF16_DF16_Li64ELi64ELi256ELi16EEvPT0_PKfS3_PKT_PKiS8_iS3_,@object ; @__PRETTY_FUNCTION__._Z35paged_attention_ll4mi_reduce_kernelIDF16_DF16_Li64ELi64ELi256ELi16EEvPT0_PKfS3_PKT_PKiS8_iS3_
__PRETTY_FUNCTION__._Z35paged_attention_ll4mi_reduce_kernelIDF16_DF16_Li64ELi64ELi256ELi16EEvPT0_PKfS3_PKT_PKiS8_iS3_:
	.asciz	"void paged_attention_ll4mi_reduce_kernel(OUTT *__restrict, const float *__restrict, const float *__restrict, const scalar_t *__restrict, const int *__restrict, const int *__restrict, const int, const float *__restrict) [scalar_t = _Float16, OUTT = _Float16, HEAD_SIZE = 64, NUM_THREADS = 64, PARTITION_SIZE = 256, NPAR_LOOPS = 16]"
	.size	__PRETTY_FUNCTION__._Z35paged_attention_ll4mi_reduce_kernelIDF16_DF16_Li64ELi64ELi256ELi16EEvPT0_PKfS3_PKT_PKiS8_iS3_, 331

	.type	__PRETTY_FUNCTION__._Z38paged_attention_ll4mi_QKV_mfma4_kernelIDF16_DF16_LN4vllm18Fp8KVCacheDataTypeE0EDF16_Li16ELi64ELi256ELb0ELi1EEvPKT_PKT0_S7_ifPKiS9_S9_iPKfiiiPfSC_PS2_PT2_iSB_SB_,@object ; @__PRETTY_FUNCTION__._Z38paged_attention_ll4mi_QKV_mfma4_kernelIDF16_DF16_LN4vllm18Fp8KVCacheDataTypeE0EDF16_Li16ELi64ELi256ELb0ELi1EEvPKT_PKT0_S7_ifPKiS9_S9_iPKfiiiPfSC_PS2_PT2_iSB_SB_
__PRETTY_FUNCTION__._Z38paged_attention_ll4mi_QKV_mfma4_kernelIDF16_DF16_LN4vllm18Fp8KVCacheDataTypeE0EDF16_Li16ELi64ELi256ELb0ELi1EEvPKT_PKT0_S7_ifPKiS9_S9_iPKfiiiPfSC_PS2_PT2_iSB_SB_:
	.asciz	"void paged_attention_ll4mi_QKV_mfma4_kernel(const scalar_t *__restrict, const cache_t *__restrict, const cache_t *__restrict, const int, const float, const int *__restrict, const int *__restrict, const int *__restrict, const int, const float *__restrict, const int, const int, const int, float *__restrict, float *__restrict, scalar_t *__restrict, OUTT *__restrict, int, const float *, const float *) [scalar_t = _Float16, cache_t = _Float16, KV_DTYPE = vllm::Fp8KVCacheDataType::kAuto, OUTT = _Float16, BLOCK_SIZE = 16, HEAD_SIZE = 64, NUM_THREADS = 256, ALIBI_ENABLED = false, GQA_RATIO = 1]"
	.size	__PRETTY_FUNCTION__._Z38paged_attention_ll4mi_QKV_mfma4_kernelIDF16_DF16_LN4vllm18Fp8KVCacheDataTypeE0EDF16_Li16ELi64ELi256ELb0ELi1EEvPKT_PKT0_S7_ifPKiS9_S9_iPKfiiiPfSC_PS2_PT2_iSB_SB_, 594

	.type	__PRETTY_FUNCTION__._Z38paged_attention_ll4mi_QKV_mfma4_kernelIDF16_DF16_LN4vllm18Fp8KVCacheDataTypeE0EDF16_Li16ELi64ELi256ELb0ELi2EEvPKT_PKT0_S7_ifPKiS9_S9_iPKfiiiPfSC_PS2_PT2_iSB_SB_,@object ; @__PRETTY_FUNCTION__._Z38paged_attention_ll4mi_QKV_mfma4_kernelIDF16_DF16_LN4vllm18Fp8KVCacheDataTypeE0EDF16_Li16ELi64ELi256ELb0ELi2EEvPKT_PKT0_S7_ifPKiS9_S9_iPKfiiiPfSC_PS2_PT2_iSB_SB_
__PRETTY_FUNCTION__._Z38paged_attention_ll4mi_QKV_mfma4_kernelIDF16_DF16_LN4vllm18Fp8KVCacheDataTypeE0EDF16_Li16ELi64ELi256ELb0ELi2EEvPKT_PKT0_S7_ifPKiS9_S9_iPKfiiiPfSC_PS2_PT2_iSB_SB_:
	.asciz	"void paged_attention_ll4mi_QKV_mfma4_kernel(const scalar_t *__restrict, const cache_t *__restrict, const cache_t *__restrict, const int, const float, const int *__restrict, const int *__restrict, const int *__restrict, const int, const float *__restrict, const int, const int, const int, float *__restrict, float *__restrict, scalar_t *__restrict, OUTT *__restrict, int, const float *, const float *) [scalar_t = _Float16, cache_t = _Float16, KV_DTYPE = vllm::Fp8KVCacheDataType::kAuto, OUTT = _Float16, BLOCK_SIZE = 16, HEAD_SIZE = 64, NUM_THREADS = 256, ALIBI_ENABLED = false, GQA_RATIO = 2]"
	.size	__PRETTY_FUNCTION__._Z38paged_attention_ll4mi_QKV_mfma4_kernelIDF16_DF16_LN4vllm18Fp8KVCacheDataTypeE0EDF16_Li16ELi64ELi256ELb0ELi2EEvPKT_PKT0_S7_ifPKiS9_S9_iPKfiiiPfSC_PS2_PT2_iSB_SB_, 594

	.type	__PRETTY_FUNCTION__._Z38paged_attention_ll4mi_QKV_mfma4_kernelIDF16_DF16_LN4vllm18Fp8KVCacheDataTypeE0EDF16_Li16ELi64ELi256ELb0ELi3EEvPKT_PKT0_S7_ifPKiS9_S9_iPKfiiiPfSC_PS2_PT2_iSB_SB_,@object ; @__PRETTY_FUNCTION__._Z38paged_attention_ll4mi_QKV_mfma4_kernelIDF16_DF16_LN4vllm18Fp8KVCacheDataTypeE0EDF16_Li16ELi64ELi256ELb0ELi3EEvPKT_PKT0_S7_ifPKiS9_S9_iPKfiiiPfSC_PS2_PT2_iSB_SB_
__PRETTY_FUNCTION__._Z38paged_attention_ll4mi_QKV_mfma4_kernelIDF16_DF16_LN4vllm18Fp8KVCacheDataTypeE0EDF16_Li16ELi64ELi256ELb0ELi3EEvPKT_PKT0_S7_ifPKiS9_S9_iPKfiiiPfSC_PS2_PT2_iSB_SB_:
	.asciz	"void paged_attention_ll4mi_QKV_mfma4_kernel(const scalar_t *__restrict, const cache_t *__restrict, const cache_t *__restrict, const int, const float, const int *__restrict, const int *__restrict, const int *__restrict, const int, const float *__restrict, const int, const int, const int, float *__restrict, float *__restrict, scalar_t *__restrict, OUTT *__restrict, int, const float *, const float *) [scalar_t = _Float16, cache_t = _Float16, KV_DTYPE = vllm::Fp8KVCacheDataType::kAuto, OUTT = _Float16, BLOCK_SIZE = 16, HEAD_SIZE = 64, NUM_THREADS = 256, ALIBI_ENABLED = false, GQA_RATIO = 3]"
	.size	__PRETTY_FUNCTION__._Z38paged_attention_ll4mi_QKV_mfma4_kernelIDF16_DF16_LN4vllm18Fp8KVCacheDataTypeE0EDF16_Li16ELi64ELi256ELb0ELi3EEvPKT_PKT0_S7_ifPKiS9_S9_iPKfiiiPfSC_PS2_PT2_iSB_SB_, 594

	.type	__PRETTY_FUNCTION__._Z38paged_attention_ll4mi_QKV_mfma4_kernelIDF16_DF16_LN4vllm18Fp8KVCacheDataTypeE0EDF16_Li16ELi64ELi256ELb0ELi4EEvPKT_PKT0_S7_ifPKiS9_S9_iPKfiiiPfSC_PS2_PT2_iSB_SB_,@object ; @__PRETTY_FUNCTION__._Z38paged_attention_ll4mi_QKV_mfma4_kernelIDF16_DF16_LN4vllm18Fp8KVCacheDataTypeE0EDF16_Li16ELi64ELi256ELb0ELi4EEvPKT_PKT0_S7_ifPKiS9_S9_iPKfiiiPfSC_PS2_PT2_iSB_SB_
__PRETTY_FUNCTION__._Z38paged_attention_ll4mi_QKV_mfma4_kernelIDF16_DF16_LN4vllm18Fp8KVCacheDataTypeE0EDF16_Li16ELi64ELi256ELb0ELi4EEvPKT_PKT0_S7_ifPKiS9_S9_iPKfiiiPfSC_PS2_PT2_iSB_SB_:
	.asciz	"void paged_attention_ll4mi_QKV_mfma4_kernel(const scalar_t *__restrict, const cache_t *__restrict, const cache_t *__restrict, const int, const float, const int *__restrict, const int *__restrict, const int *__restrict, const int, const float *__restrict, const int, const int, const int, float *__restrict, float *__restrict, scalar_t *__restrict, OUTT *__restrict, int, const float *, const float *) [scalar_t = _Float16, cache_t = _Float16, KV_DTYPE = vllm::Fp8KVCacheDataType::kAuto, OUTT = _Float16, BLOCK_SIZE = 16, HEAD_SIZE = 64, NUM_THREADS = 256, ALIBI_ENABLED = false, GQA_RATIO = 4]"
	.size	__PRETTY_FUNCTION__._Z38paged_attention_ll4mi_QKV_mfma4_kernelIDF16_DF16_LN4vllm18Fp8KVCacheDataTypeE0EDF16_Li16ELi64ELi256ELb0ELi4EEvPKT_PKT0_S7_ifPKiS9_S9_iPKfiiiPfSC_PS2_PT2_iSB_SB_, 594

	.type	__PRETTY_FUNCTION__._Z39paged_attention_ll4mi_QKV_mfma16_kernelIDF16_DF16_LN4vllm18Fp8KVCacheDataTypeE0EDF16_Li16ELi64ELi256ELb0ELi5EEvPKT_PKT0_S7_ifPKiS9_S9_iPKfiiiPfSC_PS2_PT2_iSB_SB_,@object ; @__PRETTY_FUNCTION__._Z39paged_attention_ll4mi_QKV_mfma16_kernelIDF16_DF16_LN4vllm18Fp8KVCacheDataTypeE0EDF16_Li16ELi64ELi256ELb0ELi5EEvPKT_PKT0_S7_ifPKiS9_S9_iPKfiiiPfSC_PS2_PT2_iSB_SB_
__PRETTY_FUNCTION__._Z39paged_attention_ll4mi_QKV_mfma16_kernelIDF16_DF16_LN4vllm18Fp8KVCacheDataTypeE0EDF16_Li16ELi64ELi256ELb0ELi5EEvPKT_PKT0_S7_ifPKiS9_S9_iPKfiiiPfSC_PS2_PT2_iSB_SB_:
	.asciz	"void paged_attention_ll4mi_QKV_mfma16_kernel(const scalar_t *__restrict, const cache_t *__restrict, const cache_t *__restrict, const int, const float, const int *__restrict, const int *__restrict, const int *__restrict, const int, const float *__restrict, const int, const int, const int, float *__restrict, float *__restrict, scalar_t *__restrict, OUTT *__restrict, int, const float *, const float *) [scalar_t = _Float16, cache_t = _Float16, KV_DTYPE = vllm::Fp8KVCacheDataType::kAuto, OUTT = _Float16, BLOCK_SIZE = 16, HEAD_SIZE = 64, NUM_THREADS = 256, ALIBI_ENABLED = false, GQA_RATIO = 5]"
	.size	__PRETTY_FUNCTION__._Z39paged_attention_ll4mi_QKV_mfma16_kernelIDF16_DF16_LN4vllm18Fp8KVCacheDataTypeE0EDF16_Li16ELi64ELi256ELb0ELi5EEvPKT_PKT0_S7_ifPKiS9_S9_iPKfiiiPfSC_PS2_PT2_iSB_SB_, 595

	.type	__PRETTY_FUNCTION__._Z39paged_attention_ll4mi_QKV_mfma16_kernelIDF16_DF16_LN4vllm18Fp8KVCacheDataTypeE0EDF16_Li16ELi64ELi256ELb0ELi6EEvPKT_PKT0_S7_ifPKiS9_S9_iPKfiiiPfSC_PS2_PT2_iSB_SB_,@object ; @__PRETTY_FUNCTION__._Z39paged_attention_ll4mi_QKV_mfma16_kernelIDF16_DF16_LN4vllm18Fp8KVCacheDataTypeE0EDF16_Li16ELi64ELi256ELb0ELi6EEvPKT_PKT0_S7_ifPKiS9_S9_iPKfiiiPfSC_PS2_PT2_iSB_SB_
__PRETTY_FUNCTION__._Z39paged_attention_ll4mi_QKV_mfma16_kernelIDF16_DF16_LN4vllm18Fp8KVCacheDataTypeE0EDF16_Li16ELi64ELi256ELb0ELi6EEvPKT_PKT0_S7_ifPKiS9_S9_iPKfiiiPfSC_PS2_PT2_iSB_SB_:
	.asciz	"void paged_attention_ll4mi_QKV_mfma16_kernel(const scalar_t *__restrict, const cache_t *__restrict, const cache_t *__restrict, const int, const float, const int *__restrict, const int *__restrict, const int *__restrict, const int, const float *__restrict, const int, const int, const int, float *__restrict, float *__restrict, scalar_t *__restrict, OUTT *__restrict, int, const float *, const float *) [scalar_t = _Float16, cache_t = _Float16, KV_DTYPE = vllm::Fp8KVCacheDataType::kAuto, OUTT = _Float16, BLOCK_SIZE = 16, HEAD_SIZE = 64, NUM_THREADS = 256, ALIBI_ENABLED = false, GQA_RATIO = 6]"
	.size	__PRETTY_FUNCTION__._Z39paged_attention_ll4mi_QKV_mfma16_kernelIDF16_DF16_LN4vllm18Fp8KVCacheDataTypeE0EDF16_Li16ELi64ELi256ELb0ELi6EEvPKT_PKT0_S7_ifPKiS9_S9_iPKfiiiPfSC_PS2_PT2_iSB_SB_, 595

	.type	__PRETTY_FUNCTION__._Z39paged_attention_ll4mi_QKV_mfma16_kernelIDF16_DF16_LN4vllm18Fp8KVCacheDataTypeE0EDF16_Li16ELi64ELi256ELb0ELi7EEvPKT_PKT0_S7_ifPKiS9_S9_iPKfiiiPfSC_PS2_PT2_iSB_SB_,@object ; @__PRETTY_FUNCTION__._Z39paged_attention_ll4mi_QKV_mfma16_kernelIDF16_DF16_LN4vllm18Fp8KVCacheDataTypeE0EDF16_Li16ELi64ELi256ELb0ELi7EEvPKT_PKT0_S7_ifPKiS9_S9_iPKfiiiPfSC_PS2_PT2_iSB_SB_
__PRETTY_FUNCTION__._Z39paged_attention_ll4mi_QKV_mfma16_kernelIDF16_DF16_LN4vllm18Fp8KVCacheDataTypeE0EDF16_Li16ELi64ELi256ELb0ELi7EEvPKT_PKT0_S7_ifPKiS9_S9_iPKfiiiPfSC_PS2_PT2_iSB_SB_:
	.asciz	"void paged_attention_ll4mi_QKV_mfma16_kernel(const scalar_t *__restrict, const cache_t *__restrict, const cache_t *__restrict, const int, const float, const int *__restrict, const int *__restrict, const int *__restrict, const int, const float *__restrict, const int, const int, const int, float *__restrict, float *__restrict, scalar_t *__restrict, OUTT *__restrict, int, const float *, const float *) [scalar_t = _Float16, cache_t = _Float16, KV_DTYPE = vllm::Fp8KVCacheDataType::kAuto, OUTT = _Float16, BLOCK_SIZE = 16, HEAD_SIZE = 64, NUM_THREADS = 256, ALIBI_ENABLED = false, GQA_RATIO = 7]"
	.size	__PRETTY_FUNCTION__._Z39paged_attention_ll4mi_QKV_mfma16_kernelIDF16_DF16_LN4vllm18Fp8KVCacheDataTypeE0EDF16_Li16ELi64ELi256ELb0ELi7EEvPKT_PKT0_S7_ifPKiS9_S9_iPKfiiiPfSC_PS2_PT2_iSB_SB_, 595

	.type	__PRETTY_FUNCTION__._Z39paged_attention_ll4mi_QKV_mfma16_kernelIDF16_DF16_LN4vllm18Fp8KVCacheDataTypeE0EDF16_Li16ELi64ELi256ELb0ELi8EEvPKT_PKT0_S7_ifPKiS9_S9_iPKfiiiPfSC_PS2_PT2_iSB_SB_,@object ; @__PRETTY_FUNCTION__._Z39paged_attention_ll4mi_QKV_mfma16_kernelIDF16_DF16_LN4vllm18Fp8KVCacheDataTypeE0EDF16_Li16ELi64ELi256ELb0ELi8EEvPKT_PKT0_S7_ifPKiS9_S9_iPKfiiiPfSC_PS2_PT2_iSB_SB_
__PRETTY_FUNCTION__._Z39paged_attention_ll4mi_QKV_mfma16_kernelIDF16_DF16_LN4vllm18Fp8KVCacheDataTypeE0EDF16_Li16ELi64ELi256ELb0ELi8EEvPKT_PKT0_S7_ifPKiS9_S9_iPKfiiiPfSC_PS2_PT2_iSB_SB_:
	.asciz	"void paged_attention_ll4mi_QKV_mfma16_kernel(const scalar_t *__restrict, const cache_t *__restrict, const cache_t *__restrict, const int, const float, const int *__restrict, const int *__restrict, const int *__restrict, const int, const float *__restrict, const int, const int, const int, float *__restrict, float *__restrict, scalar_t *__restrict, OUTT *__restrict, int, const float *, const float *) [scalar_t = _Float16, cache_t = _Float16, KV_DTYPE = vllm::Fp8KVCacheDataType::kAuto, OUTT = _Float16, BLOCK_SIZE = 16, HEAD_SIZE = 64, NUM_THREADS = 256, ALIBI_ENABLED = false, GQA_RATIO = 8]"
	.size	__PRETTY_FUNCTION__._Z39paged_attention_ll4mi_QKV_mfma16_kernelIDF16_DF16_LN4vllm18Fp8KVCacheDataTypeE0EDF16_Li16ELi64ELi256ELb0ELi8EEvPKT_PKT0_S7_ifPKiS9_S9_iPKfiiiPfSC_PS2_PT2_iSB_SB_, 595

	.type	__PRETTY_FUNCTION__._Z39paged_attention_ll4mi_QKV_mfma16_kernelIDF16_DF16_LN4vllm18Fp8KVCacheDataTypeE0EDF16_Li16ELi64ELi256ELb0ELi9EEvPKT_PKT0_S7_ifPKiS9_S9_iPKfiiiPfSC_PS2_PT2_iSB_SB_,@object ; @__PRETTY_FUNCTION__._Z39paged_attention_ll4mi_QKV_mfma16_kernelIDF16_DF16_LN4vllm18Fp8KVCacheDataTypeE0EDF16_Li16ELi64ELi256ELb0ELi9EEvPKT_PKT0_S7_ifPKiS9_S9_iPKfiiiPfSC_PS2_PT2_iSB_SB_
__PRETTY_FUNCTION__._Z39paged_attention_ll4mi_QKV_mfma16_kernelIDF16_DF16_LN4vllm18Fp8KVCacheDataTypeE0EDF16_Li16ELi64ELi256ELb0ELi9EEvPKT_PKT0_S7_ifPKiS9_S9_iPKfiiiPfSC_PS2_PT2_iSB_SB_:
	.asciz	"void paged_attention_ll4mi_QKV_mfma16_kernel(const scalar_t *__restrict, const cache_t *__restrict, const cache_t *__restrict, const int, const float, const int *__restrict, const int *__restrict, const int *__restrict, const int, const float *__restrict, const int, const int, const int, float *__restrict, float *__restrict, scalar_t *__restrict, OUTT *__restrict, int, const float *, const float *) [scalar_t = _Float16, cache_t = _Float16, KV_DTYPE = vllm::Fp8KVCacheDataType::kAuto, OUTT = _Float16, BLOCK_SIZE = 16, HEAD_SIZE = 64, NUM_THREADS = 256, ALIBI_ENABLED = false, GQA_RATIO = 9]"
	.size	__PRETTY_FUNCTION__._Z39paged_attention_ll4mi_QKV_mfma16_kernelIDF16_DF16_LN4vllm18Fp8KVCacheDataTypeE0EDF16_Li16ELi64ELi256ELb0ELi9EEvPKT_PKT0_S7_ifPKiS9_S9_iPKfiiiPfSC_PS2_PT2_iSB_SB_, 595

	.type	__PRETTY_FUNCTION__._Z39paged_attention_ll4mi_QKV_mfma16_kernelIDF16_DF16_LN4vllm18Fp8KVCacheDataTypeE0EDF16_Li16ELi64ELi256ELb0ELi10EEvPKT_PKT0_S7_ifPKiS9_S9_iPKfiiiPfSC_PS2_PT2_iSB_SB_,@object ; @__PRETTY_FUNCTION__._Z39paged_attention_ll4mi_QKV_mfma16_kernelIDF16_DF16_LN4vllm18Fp8KVCacheDataTypeE0EDF16_Li16ELi64ELi256ELb0ELi10EEvPKT_PKT0_S7_ifPKiS9_S9_iPKfiiiPfSC_PS2_PT2_iSB_SB_
__PRETTY_FUNCTION__._Z39paged_attention_ll4mi_QKV_mfma16_kernelIDF16_DF16_LN4vllm18Fp8KVCacheDataTypeE0EDF16_Li16ELi64ELi256ELb0ELi10EEvPKT_PKT0_S7_ifPKiS9_S9_iPKfiiiPfSC_PS2_PT2_iSB_SB_:
	.asciz	"void paged_attention_ll4mi_QKV_mfma16_kernel(const scalar_t *__restrict, const cache_t *__restrict, const cache_t *__restrict, const int, const float, const int *__restrict, const int *__restrict, const int *__restrict, const int, const float *__restrict, const int, const int, const int, float *__restrict, float *__restrict, scalar_t *__restrict, OUTT *__restrict, int, const float *, const float *) [scalar_t = _Float16, cache_t = _Float16, KV_DTYPE = vllm::Fp8KVCacheDataType::kAuto, OUTT = _Float16, BLOCK_SIZE = 16, HEAD_SIZE = 64, NUM_THREADS = 256, ALIBI_ENABLED = false, GQA_RATIO = 10]"
	.size	__PRETTY_FUNCTION__._Z39paged_attention_ll4mi_QKV_mfma16_kernelIDF16_DF16_LN4vllm18Fp8KVCacheDataTypeE0EDF16_Li16ELi64ELi256ELb0ELi10EEvPKT_PKT0_S7_ifPKiS9_S9_iPKfiiiPfSC_PS2_PT2_iSB_SB_, 596

	.type	__PRETTY_FUNCTION__._Z39paged_attention_ll4mi_QKV_mfma16_kernelIDF16_DF16_LN4vllm18Fp8KVCacheDataTypeE0EDF16_Li16ELi64ELi256ELb0ELi11EEvPKT_PKT0_S7_ifPKiS9_S9_iPKfiiiPfSC_PS2_PT2_iSB_SB_,@object ; @__PRETTY_FUNCTION__._Z39paged_attention_ll4mi_QKV_mfma16_kernelIDF16_DF16_LN4vllm18Fp8KVCacheDataTypeE0EDF16_Li16ELi64ELi256ELb0ELi11EEvPKT_PKT0_S7_ifPKiS9_S9_iPKfiiiPfSC_PS2_PT2_iSB_SB_
__PRETTY_FUNCTION__._Z39paged_attention_ll4mi_QKV_mfma16_kernelIDF16_DF16_LN4vllm18Fp8KVCacheDataTypeE0EDF16_Li16ELi64ELi256ELb0ELi11EEvPKT_PKT0_S7_ifPKiS9_S9_iPKfiiiPfSC_PS2_PT2_iSB_SB_:
	.asciz	"void paged_attention_ll4mi_QKV_mfma16_kernel(const scalar_t *__restrict, const cache_t *__restrict, const cache_t *__restrict, const int, const float, const int *__restrict, const int *__restrict, const int *__restrict, const int, const float *__restrict, const int, const int, const int, float *__restrict, float *__restrict, scalar_t *__restrict, OUTT *__restrict, int, const float *, const float *) [scalar_t = _Float16, cache_t = _Float16, KV_DTYPE = vllm::Fp8KVCacheDataType::kAuto, OUTT = _Float16, BLOCK_SIZE = 16, HEAD_SIZE = 64, NUM_THREADS = 256, ALIBI_ENABLED = false, GQA_RATIO = 11]"
	.size	__PRETTY_FUNCTION__._Z39paged_attention_ll4mi_QKV_mfma16_kernelIDF16_DF16_LN4vllm18Fp8KVCacheDataTypeE0EDF16_Li16ELi64ELi256ELb0ELi11EEvPKT_PKT0_S7_ifPKiS9_S9_iPKfiiiPfSC_PS2_PT2_iSB_SB_, 596

	.type	__PRETTY_FUNCTION__._Z39paged_attention_ll4mi_QKV_mfma16_kernelIDF16_DF16_LN4vllm18Fp8KVCacheDataTypeE0EDF16_Li16ELi64ELi256ELb0ELi12EEvPKT_PKT0_S7_ifPKiS9_S9_iPKfiiiPfSC_PS2_PT2_iSB_SB_,@object ; @__PRETTY_FUNCTION__._Z39paged_attention_ll4mi_QKV_mfma16_kernelIDF16_DF16_LN4vllm18Fp8KVCacheDataTypeE0EDF16_Li16ELi64ELi256ELb0ELi12EEvPKT_PKT0_S7_ifPKiS9_S9_iPKfiiiPfSC_PS2_PT2_iSB_SB_
__PRETTY_FUNCTION__._Z39paged_attention_ll4mi_QKV_mfma16_kernelIDF16_DF16_LN4vllm18Fp8KVCacheDataTypeE0EDF16_Li16ELi64ELi256ELb0ELi12EEvPKT_PKT0_S7_ifPKiS9_S9_iPKfiiiPfSC_PS2_PT2_iSB_SB_:
	.asciz	"void paged_attention_ll4mi_QKV_mfma16_kernel(const scalar_t *__restrict, const cache_t *__restrict, const cache_t *__restrict, const int, const float, const int *__restrict, const int *__restrict, const int *__restrict, const int, const float *__restrict, const int, const int, const int, float *__restrict, float *__restrict, scalar_t *__restrict, OUTT *__restrict, int, const float *, const float *) [scalar_t = _Float16, cache_t = _Float16, KV_DTYPE = vllm::Fp8KVCacheDataType::kAuto, OUTT = _Float16, BLOCK_SIZE = 16, HEAD_SIZE = 64, NUM_THREADS = 256, ALIBI_ENABLED = false, GQA_RATIO = 12]"
	.size	__PRETTY_FUNCTION__._Z39paged_attention_ll4mi_QKV_mfma16_kernelIDF16_DF16_LN4vllm18Fp8KVCacheDataTypeE0EDF16_Li16ELi64ELi256ELb0ELi12EEvPKT_PKT0_S7_ifPKiS9_S9_iPKfiiiPfSC_PS2_PT2_iSB_SB_, 596

	.type	__PRETTY_FUNCTION__._Z39paged_attention_ll4mi_QKV_mfma16_kernelIDF16_DF16_LN4vllm18Fp8KVCacheDataTypeE0EDF16_Li16ELi64ELi256ELb0ELi13EEvPKT_PKT0_S7_ifPKiS9_S9_iPKfiiiPfSC_PS2_PT2_iSB_SB_,@object ; @__PRETTY_FUNCTION__._Z39paged_attention_ll4mi_QKV_mfma16_kernelIDF16_DF16_LN4vllm18Fp8KVCacheDataTypeE0EDF16_Li16ELi64ELi256ELb0ELi13EEvPKT_PKT0_S7_ifPKiS9_S9_iPKfiiiPfSC_PS2_PT2_iSB_SB_
__PRETTY_FUNCTION__._Z39paged_attention_ll4mi_QKV_mfma16_kernelIDF16_DF16_LN4vllm18Fp8KVCacheDataTypeE0EDF16_Li16ELi64ELi256ELb0ELi13EEvPKT_PKT0_S7_ifPKiS9_S9_iPKfiiiPfSC_PS2_PT2_iSB_SB_:
	.asciz	"void paged_attention_ll4mi_QKV_mfma16_kernel(const scalar_t *__restrict, const cache_t *__restrict, const cache_t *__restrict, const int, const float, const int *__restrict, const int *__restrict, const int *__restrict, const int, const float *__restrict, const int, const int, const int, float *__restrict, float *__restrict, scalar_t *__restrict, OUTT *__restrict, int, const float *, const float *) [scalar_t = _Float16, cache_t = _Float16, KV_DTYPE = vllm::Fp8KVCacheDataType::kAuto, OUTT = _Float16, BLOCK_SIZE = 16, HEAD_SIZE = 64, NUM_THREADS = 256, ALIBI_ENABLED = false, GQA_RATIO = 13]"
	.size	__PRETTY_FUNCTION__._Z39paged_attention_ll4mi_QKV_mfma16_kernelIDF16_DF16_LN4vllm18Fp8KVCacheDataTypeE0EDF16_Li16ELi64ELi256ELb0ELi13EEvPKT_PKT0_S7_ifPKiS9_S9_iPKfiiiPfSC_PS2_PT2_iSB_SB_, 596

	.type	__PRETTY_FUNCTION__._Z39paged_attention_ll4mi_QKV_mfma16_kernelIDF16_DF16_LN4vllm18Fp8KVCacheDataTypeE0EDF16_Li16ELi64ELi256ELb0ELi14EEvPKT_PKT0_S7_ifPKiS9_S9_iPKfiiiPfSC_PS2_PT2_iSB_SB_,@object ; @__PRETTY_FUNCTION__._Z39paged_attention_ll4mi_QKV_mfma16_kernelIDF16_DF16_LN4vllm18Fp8KVCacheDataTypeE0EDF16_Li16ELi64ELi256ELb0ELi14EEvPKT_PKT0_S7_ifPKiS9_S9_iPKfiiiPfSC_PS2_PT2_iSB_SB_
__PRETTY_FUNCTION__._Z39paged_attention_ll4mi_QKV_mfma16_kernelIDF16_DF16_LN4vllm18Fp8KVCacheDataTypeE0EDF16_Li16ELi64ELi256ELb0ELi14EEvPKT_PKT0_S7_ifPKiS9_S9_iPKfiiiPfSC_PS2_PT2_iSB_SB_:
	.asciz	"void paged_attention_ll4mi_QKV_mfma16_kernel(const scalar_t *__restrict, const cache_t *__restrict, const cache_t *__restrict, const int, const float, const int *__restrict, const int *__restrict, const int *__restrict, const int, const float *__restrict, const int, const int, const int, float *__restrict, float *__restrict, scalar_t *__restrict, OUTT *__restrict, int, const float *, const float *) [scalar_t = _Float16, cache_t = _Float16, KV_DTYPE = vllm::Fp8KVCacheDataType::kAuto, OUTT = _Float16, BLOCK_SIZE = 16, HEAD_SIZE = 64, NUM_THREADS = 256, ALIBI_ENABLED = false, GQA_RATIO = 14]"
	.size	__PRETTY_FUNCTION__._Z39paged_attention_ll4mi_QKV_mfma16_kernelIDF16_DF16_LN4vllm18Fp8KVCacheDataTypeE0EDF16_Li16ELi64ELi256ELb0ELi14EEvPKT_PKT0_S7_ifPKiS9_S9_iPKfiiiPfSC_PS2_PT2_iSB_SB_, 596

	.type	__PRETTY_FUNCTION__._Z39paged_attention_ll4mi_QKV_mfma16_kernelIDF16_DF16_LN4vllm18Fp8KVCacheDataTypeE0EDF16_Li16ELi64ELi256ELb0ELi15EEvPKT_PKT0_S7_ifPKiS9_S9_iPKfiiiPfSC_PS2_PT2_iSB_SB_,@object ; @__PRETTY_FUNCTION__._Z39paged_attention_ll4mi_QKV_mfma16_kernelIDF16_DF16_LN4vllm18Fp8KVCacheDataTypeE0EDF16_Li16ELi64ELi256ELb0ELi15EEvPKT_PKT0_S7_ifPKiS9_S9_iPKfiiiPfSC_PS2_PT2_iSB_SB_
__PRETTY_FUNCTION__._Z39paged_attention_ll4mi_QKV_mfma16_kernelIDF16_DF16_LN4vllm18Fp8KVCacheDataTypeE0EDF16_Li16ELi64ELi256ELb0ELi15EEvPKT_PKT0_S7_ifPKiS9_S9_iPKfiiiPfSC_PS2_PT2_iSB_SB_:
	.asciz	"void paged_attention_ll4mi_QKV_mfma16_kernel(const scalar_t *__restrict, const cache_t *__restrict, const cache_t *__restrict, const int, const float, const int *__restrict, const int *__restrict, const int *__restrict, const int, const float *__restrict, const int, const int, const int, float *__restrict, float *__restrict, scalar_t *__restrict, OUTT *__restrict, int, const float *, const float *) [scalar_t = _Float16, cache_t = _Float16, KV_DTYPE = vllm::Fp8KVCacheDataType::kAuto, OUTT = _Float16, BLOCK_SIZE = 16, HEAD_SIZE = 64, NUM_THREADS = 256, ALIBI_ENABLED = false, GQA_RATIO = 15]"
	.size	__PRETTY_FUNCTION__._Z39paged_attention_ll4mi_QKV_mfma16_kernelIDF16_DF16_LN4vllm18Fp8KVCacheDataTypeE0EDF16_Li16ELi64ELi256ELb0ELi15EEvPKT_PKT0_S7_ifPKiS9_S9_iPKfiiiPfSC_PS2_PT2_iSB_SB_, 596

	.type	__PRETTY_FUNCTION__._Z39paged_attention_ll4mi_QKV_mfma16_kernelIDF16_DF16_LN4vllm18Fp8KVCacheDataTypeE0EDF16_Li16ELi64ELi256ELb0ELi16EEvPKT_PKT0_S7_ifPKiS9_S9_iPKfiiiPfSC_PS2_PT2_iSB_SB_,@object ; @__PRETTY_FUNCTION__._Z39paged_attention_ll4mi_QKV_mfma16_kernelIDF16_DF16_LN4vllm18Fp8KVCacheDataTypeE0EDF16_Li16ELi64ELi256ELb0ELi16EEvPKT_PKT0_S7_ifPKiS9_S9_iPKfiiiPfSC_PS2_PT2_iSB_SB_
__PRETTY_FUNCTION__._Z39paged_attention_ll4mi_QKV_mfma16_kernelIDF16_DF16_LN4vllm18Fp8KVCacheDataTypeE0EDF16_Li16ELi64ELi256ELb0ELi16EEvPKT_PKT0_S7_ifPKiS9_S9_iPKfiiiPfSC_PS2_PT2_iSB_SB_:
	.asciz	"void paged_attention_ll4mi_QKV_mfma16_kernel(const scalar_t *__restrict, const cache_t *__restrict, const cache_t *__restrict, const int, const float, const int *__restrict, const int *__restrict, const int *__restrict, const int, const float *__restrict, const int, const int, const int, float *__restrict, float *__restrict, scalar_t *__restrict, OUTT *__restrict, int, const float *, const float *) [scalar_t = _Float16, cache_t = _Float16, KV_DTYPE = vllm::Fp8KVCacheDataType::kAuto, OUTT = _Float16, BLOCK_SIZE = 16, HEAD_SIZE = 64, NUM_THREADS = 256, ALIBI_ENABLED = false, GQA_RATIO = 16]"
	.size	__PRETTY_FUNCTION__._Z39paged_attention_ll4mi_QKV_mfma16_kernelIDF16_DF16_LN4vllm18Fp8KVCacheDataTypeE0EDF16_Li16ELi64ELi256ELb0ELi16EEvPKT_PKT0_S7_ifPKiS9_S9_iPKfiiiPfSC_PS2_PT2_iSB_SB_, 596

	.type	__PRETTY_FUNCTION__._Z39paged_attention_ll4mi_QKV_mfma16_kernelIDF16_DF16_LN4vllm18Fp8KVCacheDataTypeE0EDF16_Li16ELi64ELi256ELb0ELi1EEvPKT_PKT0_S7_ifPKiS9_S9_iPKfiiiPfSC_PS2_PT2_iSB_SB_,@object ; @__PRETTY_FUNCTION__._Z39paged_attention_ll4mi_QKV_mfma16_kernelIDF16_DF16_LN4vllm18Fp8KVCacheDataTypeE0EDF16_Li16ELi64ELi256ELb0ELi1EEvPKT_PKT0_S7_ifPKiS9_S9_iPKfiiiPfSC_PS2_PT2_iSB_SB_
__PRETTY_FUNCTION__._Z39paged_attention_ll4mi_QKV_mfma16_kernelIDF16_DF16_LN4vllm18Fp8KVCacheDataTypeE0EDF16_Li16ELi64ELi256ELb0ELi1EEvPKT_PKT0_S7_ifPKiS9_S9_iPKfiiiPfSC_PS2_PT2_iSB_SB_:
	.asciz	"void paged_attention_ll4mi_QKV_mfma16_kernel(const scalar_t *__restrict, const cache_t *__restrict, const cache_t *__restrict, const int, const float, const int *__restrict, const int *__restrict, const int *__restrict, const int, const float *__restrict, const int, const int, const int, float *__restrict, float *__restrict, scalar_t *__restrict, OUTT *__restrict, int, const float *, const float *) [scalar_t = _Float16, cache_t = _Float16, KV_DTYPE = vllm::Fp8KVCacheDataType::kAuto, OUTT = _Float16, BLOCK_SIZE = 16, HEAD_SIZE = 64, NUM_THREADS = 256, ALIBI_ENABLED = false, GQA_RATIO = 1]"
	.size	__PRETTY_FUNCTION__._Z39paged_attention_ll4mi_QKV_mfma16_kernelIDF16_DF16_LN4vllm18Fp8KVCacheDataTypeE0EDF16_Li16ELi64ELi256ELb0ELi1EEvPKT_PKT0_S7_ifPKiS9_S9_iPKfiiiPfSC_PS2_PT2_iSB_SB_, 595

	.type	__PRETTY_FUNCTION__._Z39paged_attention_ll4mi_QKV_mfma16_kernelIDF16_DF16_LN4vllm18Fp8KVCacheDataTypeE0EDF16_Li16ELi64ELi256ELb0ELi2EEvPKT_PKT0_S7_ifPKiS9_S9_iPKfiiiPfSC_PS2_PT2_iSB_SB_,@object ; @__PRETTY_FUNCTION__._Z39paged_attention_ll4mi_QKV_mfma16_kernelIDF16_DF16_LN4vllm18Fp8KVCacheDataTypeE0EDF16_Li16ELi64ELi256ELb0ELi2EEvPKT_PKT0_S7_ifPKiS9_S9_iPKfiiiPfSC_PS2_PT2_iSB_SB_
__PRETTY_FUNCTION__._Z39paged_attention_ll4mi_QKV_mfma16_kernelIDF16_DF16_LN4vllm18Fp8KVCacheDataTypeE0EDF16_Li16ELi64ELi256ELb0ELi2EEvPKT_PKT0_S7_ifPKiS9_S9_iPKfiiiPfSC_PS2_PT2_iSB_SB_:
	.asciz	"void paged_attention_ll4mi_QKV_mfma16_kernel(const scalar_t *__restrict, const cache_t *__restrict, const cache_t *__restrict, const int, const float, const int *__restrict, const int *__restrict, const int *__restrict, const int, const float *__restrict, const int, const int, const int, float *__restrict, float *__restrict, scalar_t *__restrict, OUTT *__restrict, int, const float *, const float *) [scalar_t = _Float16, cache_t = _Float16, KV_DTYPE = vllm::Fp8KVCacheDataType::kAuto, OUTT = _Float16, BLOCK_SIZE = 16, HEAD_SIZE = 64, NUM_THREADS = 256, ALIBI_ENABLED = false, GQA_RATIO = 2]"
	.size	__PRETTY_FUNCTION__._Z39paged_attention_ll4mi_QKV_mfma16_kernelIDF16_DF16_LN4vllm18Fp8KVCacheDataTypeE0EDF16_Li16ELi64ELi256ELb0ELi2EEvPKT_PKT0_S7_ifPKiS9_S9_iPKfiiiPfSC_PS2_PT2_iSB_SB_, 595

	.type	__PRETTY_FUNCTION__._Z39paged_attention_ll4mi_QKV_mfma16_kernelIDF16_DF16_LN4vllm18Fp8KVCacheDataTypeE0EDF16_Li16ELi64ELi256ELb0ELi3EEvPKT_PKT0_S7_ifPKiS9_S9_iPKfiiiPfSC_PS2_PT2_iSB_SB_,@object ; @__PRETTY_FUNCTION__._Z39paged_attention_ll4mi_QKV_mfma16_kernelIDF16_DF16_LN4vllm18Fp8KVCacheDataTypeE0EDF16_Li16ELi64ELi256ELb0ELi3EEvPKT_PKT0_S7_ifPKiS9_S9_iPKfiiiPfSC_PS2_PT2_iSB_SB_
__PRETTY_FUNCTION__._Z39paged_attention_ll4mi_QKV_mfma16_kernelIDF16_DF16_LN4vllm18Fp8KVCacheDataTypeE0EDF16_Li16ELi64ELi256ELb0ELi3EEvPKT_PKT0_S7_ifPKiS9_S9_iPKfiiiPfSC_PS2_PT2_iSB_SB_:
	.asciz	"void paged_attention_ll4mi_QKV_mfma16_kernel(const scalar_t *__restrict, const cache_t *__restrict, const cache_t *__restrict, const int, const float, const int *__restrict, const int *__restrict, const int *__restrict, const int, const float *__restrict, const int, const int, const int, float *__restrict, float *__restrict, scalar_t *__restrict, OUTT *__restrict, int, const float *, const float *) [scalar_t = _Float16, cache_t = _Float16, KV_DTYPE = vllm::Fp8KVCacheDataType::kAuto, OUTT = _Float16, BLOCK_SIZE = 16, HEAD_SIZE = 64, NUM_THREADS = 256, ALIBI_ENABLED = false, GQA_RATIO = 3]"
	.size	__PRETTY_FUNCTION__._Z39paged_attention_ll4mi_QKV_mfma16_kernelIDF16_DF16_LN4vllm18Fp8KVCacheDataTypeE0EDF16_Li16ELi64ELi256ELb0ELi3EEvPKT_PKT0_S7_ifPKiS9_S9_iPKfiiiPfSC_PS2_PT2_iSB_SB_, 595

	.type	__PRETTY_FUNCTION__._Z39paged_attention_ll4mi_QKV_mfma16_kernelIDF16_DF16_LN4vllm18Fp8KVCacheDataTypeE0EDF16_Li16ELi64ELi256ELb0ELi4EEvPKT_PKT0_S7_ifPKiS9_S9_iPKfiiiPfSC_PS2_PT2_iSB_SB_,@object ; @__PRETTY_FUNCTION__._Z39paged_attention_ll4mi_QKV_mfma16_kernelIDF16_DF16_LN4vllm18Fp8KVCacheDataTypeE0EDF16_Li16ELi64ELi256ELb0ELi4EEvPKT_PKT0_S7_ifPKiS9_S9_iPKfiiiPfSC_PS2_PT2_iSB_SB_
__PRETTY_FUNCTION__._Z39paged_attention_ll4mi_QKV_mfma16_kernelIDF16_DF16_LN4vllm18Fp8KVCacheDataTypeE0EDF16_Li16ELi64ELi256ELb0ELi4EEvPKT_PKT0_S7_ifPKiS9_S9_iPKfiiiPfSC_PS2_PT2_iSB_SB_:
	.asciz	"void paged_attention_ll4mi_QKV_mfma16_kernel(const scalar_t *__restrict, const cache_t *__restrict, const cache_t *__restrict, const int, const float, const int *__restrict, const int *__restrict, const int *__restrict, const int, const float *__restrict, const int, const int, const int, float *__restrict, float *__restrict, scalar_t *__restrict, OUTT *__restrict, int, const float *, const float *) [scalar_t = _Float16, cache_t = _Float16, KV_DTYPE = vllm::Fp8KVCacheDataType::kAuto, OUTT = _Float16, BLOCK_SIZE = 16, HEAD_SIZE = 64, NUM_THREADS = 256, ALIBI_ENABLED = false, GQA_RATIO = 4]"
	.size	__PRETTY_FUNCTION__._Z39paged_attention_ll4mi_QKV_mfma16_kernelIDF16_DF16_LN4vllm18Fp8KVCacheDataTypeE0EDF16_Li16ELi64ELi256ELb0ELi4EEvPKT_PKT0_S7_ifPKiS9_S9_iPKfiiiPfSC_PS2_PT2_iSB_SB_, 595

	.type	__PRETTY_FUNCTION__._Z38paged_attention_ll4mi_QKV_mfma4_kernelIDF16_DF16_LN4vllm18Fp8KVCacheDataTypeE0EhLi32ELi64ELi256ELb1ELi1EEvPKT_PKT0_S7_ifPKiS9_S9_iPKfiiiPfSC_PS2_PT2_iSB_SB_,@object ; @__PRETTY_FUNCTION__._Z38paged_attention_ll4mi_QKV_mfma4_kernelIDF16_DF16_LN4vllm18Fp8KVCacheDataTypeE0EhLi32ELi64ELi256ELb1ELi1EEvPKT_PKT0_S7_ifPKiS9_S9_iPKfiiiPfSC_PS2_PT2_iSB_SB_
__PRETTY_FUNCTION__._Z38paged_attention_ll4mi_QKV_mfma4_kernelIDF16_DF16_LN4vllm18Fp8KVCacheDataTypeE0EhLi32ELi64ELi256ELb1ELi1EEvPKT_PKT0_S7_ifPKiS9_S9_iPKfiiiPfSC_PS2_PT2_iSB_SB_:
	.asciz	"void paged_attention_ll4mi_QKV_mfma4_kernel(const scalar_t *__restrict, const cache_t *__restrict, const cache_t *__restrict, const int, const float, const int *__restrict, const int *__restrict, const int *__restrict, const int, const float *__restrict, const int, const int, const int, float *__restrict, float *__restrict, scalar_t *__restrict, OUTT *__restrict, int, const float *, const float *) [scalar_t = _Float16, cache_t = _Float16, KV_DTYPE = vllm::Fp8KVCacheDataType::kAuto, OUTT = unsigned char, BLOCK_SIZE = 32, HEAD_SIZE = 64, NUM_THREADS = 256, ALIBI_ENABLED = true, GQA_RATIO = 1]"
	.size	__PRETTY_FUNCTION__._Z38paged_attention_ll4mi_QKV_mfma4_kernelIDF16_DF16_LN4vllm18Fp8KVCacheDataTypeE0EhLi32ELi64ELi256ELb1ELi1EEvPKT_PKT0_S7_ifPKiS9_S9_iPKfiiiPfSC_PS2_PT2_iSB_SB_, 598

	.type	__PRETTY_FUNCTION__._Z38paged_attention_ll4mi_QKV_mfma4_kernelIDF16_DF16_LN4vllm18Fp8KVCacheDataTypeE0EhLi32ELi64ELi256ELb1ELi2EEvPKT_PKT0_S7_ifPKiS9_S9_iPKfiiiPfSC_PS2_PT2_iSB_SB_,@object ; @__PRETTY_FUNCTION__._Z38paged_attention_ll4mi_QKV_mfma4_kernelIDF16_DF16_LN4vllm18Fp8KVCacheDataTypeE0EhLi32ELi64ELi256ELb1ELi2EEvPKT_PKT0_S7_ifPKiS9_S9_iPKfiiiPfSC_PS2_PT2_iSB_SB_
__PRETTY_FUNCTION__._Z38paged_attention_ll4mi_QKV_mfma4_kernelIDF16_DF16_LN4vllm18Fp8KVCacheDataTypeE0EhLi32ELi64ELi256ELb1ELi2EEvPKT_PKT0_S7_ifPKiS9_S9_iPKfiiiPfSC_PS2_PT2_iSB_SB_:
	.asciz	"void paged_attention_ll4mi_QKV_mfma4_kernel(const scalar_t *__restrict, const cache_t *__restrict, const cache_t *__restrict, const int, const float, const int *__restrict, const int *__restrict, const int *__restrict, const int, const float *__restrict, const int, const int, const int, float *__restrict, float *__restrict, scalar_t *__restrict, OUTT *__restrict, int, const float *, const float *) [scalar_t = _Float16, cache_t = _Float16, KV_DTYPE = vllm::Fp8KVCacheDataType::kAuto, OUTT = unsigned char, BLOCK_SIZE = 32, HEAD_SIZE = 64, NUM_THREADS = 256, ALIBI_ENABLED = true, GQA_RATIO = 2]"
	.size	__PRETTY_FUNCTION__._Z38paged_attention_ll4mi_QKV_mfma4_kernelIDF16_DF16_LN4vllm18Fp8KVCacheDataTypeE0EhLi32ELi64ELi256ELb1ELi2EEvPKT_PKT0_S7_ifPKiS9_S9_iPKfiiiPfSC_PS2_PT2_iSB_SB_, 598

	.type	__PRETTY_FUNCTION__._Z38paged_attention_ll4mi_QKV_mfma4_kernelIDF16_DF16_LN4vllm18Fp8KVCacheDataTypeE0EhLi32ELi64ELi256ELb1ELi3EEvPKT_PKT0_S7_ifPKiS9_S9_iPKfiiiPfSC_PS2_PT2_iSB_SB_,@object ; @__PRETTY_FUNCTION__._Z38paged_attention_ll4mi_QKV_mfma4_kernelIDF16_DF16_LN4vllm18Fp8KVCacheDataTypeE0EhLi32ELi64ELi256ELb1ELi3EEvPKT_PKT0_S7_ifPKiS9_S9_iPKfiiiPfSC_PS2_PT2_iSB_SB_
__PRETTY_FUNCTION__._Z38paged_attention_ll4mi_QKV_mfma4_kernelIDF16_DF16_LN4vllm18Fp8KVCacheDataTypeE0EhLi32ELi64ELi256ELb1ELi3EEvPKT_PKT0_S7_ifPKiS9_S9_iPKfiiiPfSC_PS2_PT2_iSB_SB_:
	.asciz	"void paged_attention_ll4mi_QKV_mfma4_kernel(const scalar_t *__restrict, const cache_t *__restrict, const cache_t *__restrict, const int, const float, const int *__restrict, const int *__restrict, const int *__restrict, const int, const float *__restrict, const int, const int, const int, float *__restrict, float *__restrict, scalar_t *__restrict, OUTT *__restrict, int, const float *, const float *) [scalar_t = _Float16, cache_t = _Float16, KV_DTYPE = vllm::Fp8KVCacheDataType::kAuto, OUTT = unsigned char, BLOCK_SIZE = 32, HEAD_SIZE = 64, NUM_THREADS = 256, ALIBI_ENABLED = true, GQA_RATIO = 3]"
	.size	__PRETTY_FUNCTION__._Z38paged_attention_ll4mi_QKV_mfma4_kernelIDF16_DF16_LN4vllm18Fp8KVCacheDataTypeE0EhLi32ELi64ELi256ELb1ELi3EEvPKT_PKT0_S7_ifPKiS9_S9_iPKfiiiPfSC_PS2_PT2_iSB_SB_, 598

	.type	__PRETTY_FUNCTION__._Z38paged_attention_ll4mi_QKV_mfma4_kernelIDF16_DF16_LN4vllm18Fp8KVCacheDataTypeE0EhLi32ELi64ELi256ELb1ELi4EEvPKT_PKT0_S7_ifPKiS9_S9_iPKfiiiPfSC_PS2_PT2_iSB_SB_,@object ; @__PRETTY_FUNCTION__._Z38paged_attention_ll4mi_QKV_mfma4_kernelIDF16_DF16_LN4vllm18Fp8KVCacheDataTypeE0EhLi32ELi64ELi256ELb1ELi4EEvPKT_PKT0_S7_ifPKiS9_S9_iPKfiiiPfSC_PS2_PT2_iSB_SB_
__PRETTY_FUNCTION__._Z38paged_attention_ll4mi_QKV_mfma4_kernelIDF16_DF16_LN4vllm18Fp8KVCacheDataTypeE0EhLi32ELi64ELi256ELb1ELi4EEvPKT_PKT0_S7_ifPKiS9_S9_iPKfiiiPfSC_PS2_PT2_iSB_SB_:
	.asciz	"void paged_attention_ll4mi_QKV_mfma4_kernel(const scalar_t *__restrict, const cache_t *__restrict, const cache_t *__restrict, const int, const float, const int *__restrict, const int *__restrict, const int *__restrict, const int, const float *__restrict, const int, const int, const int, float *__restrict, float *__restrict, scalar_t *__restrict, OUTT *__restrict, int, const float *, const float *) [scalar_t = _Float16, cache_t = _Float16, KV_DTYPE = vllm::Fp8KVCacheDataType::kAuto, OUTT = unsigned char, BLOCK_SIZE = 32, HEAD_SIZE = 64, NUM_THREADS = 256, ALIBI_ENABLED = true, GQA_RATIO = 4]"
	.size	__PRETTY_FUNCTION__._Z38paged_attention_ll4mi_QKV_mfma4_kernelIDF16_DF16_LN4vllm18Fp8KVCacheDataTypeE0EhLi32ELi64ELi256ELb1ELi4EEvPKT_PKT0_S7_ifPKiS9_S9_iPKfiiiPfSC_PS2_PT2_iSB_SB_, 598

	.type	__PRETTY_FUNCTION__._Z39paged_attention_ll4mi_QKV_mfma16_kernelIDF16_DF16_LN4vllm18Fp8KVCacheDataTypeE0EhLi32ELi64ELi256ELb1ELi5EEvPKT_PKT0_S7_ifPKiS9_S9_iPKfiiiPfSC_PS2_PT2_iSB_SB_,@object ; @__PRETTY_FUNCTION__._Z39paged_attention_ll4mi_QKV_mfma16_kernelIDF16_DF16_LN4vllm18Fp8KVCacheDataTypeE0EhLi32ELi64ELi256ELb1ELi5EEvPKT_PKT0_S7_ifPKiS9_S9_iPKfiiiPfSC_PS2_PT2_iSB_SB_
__PRETTY_FUNCTION__._Z39paged_attention_ll4mi_QKV_mfma16_kernelIDF16_DF16_LN4vllm18Fp8KVCacheDataTypeE0EhLi32ELi64ELi256ELb1ELi5EEvPKT_PKT0_S7_ifPKiS9_S9_iPKfiiiPfSC_PS2_PT2_iSB_SB_:
	.asciz	"void paged_attention_ll4mi_QKV_mfma16_kernel(const scalar_t *__restrict, const cache_t *__restrict, const cache_t *__restrict, const int, const float, const int *__restrict, const int *__restrict, const int *__restrict, const int, const float *__restrict, const int, const int, const int, float *__restrict, float *__restrict, scalar_t *__restrict, OUTT *__restrict, int, const float *, const float *) [scalar_t = _Float16, cache_t = _Float16, KV_DTYPE = vllm::Fp8KVCacheDataType::kAuto, OUTT = unsigned char, BLOCK_SIZE = 32, HEAD_SIZE = 64, NUM_THREADS = 256, ALIBI_ENABLED = true, GQA_RATIO = 5]"
	.size	__PRETTY_FUNCTION__._Z39paged_attention_ll4mi_QKV_mfma16_kernelIDF16_DF16_LN4vllm18Fp8KVCacheDataTypeE0EhLi32ELi64ELi256ELb1ELi5EEvPKT_PKT0_S7_ifPKiS9_S9_iPKfiiiPfSC_PS2_PT2_iSB_SB_, 599

	.type	__PRETTY_FUNCTION__._Z39paged_attention_ll4mi_QKV_mfma16_kernelIDF16_DF16_LN4vllm18Fp8KVCacheDataTypeE0EhLi32ELi64ELi256ELb1ELi6EEvPKT_PKT0_S7_ifPKiS9_S9_iPKfiiiPfSC_PS2_PT2_iSB_SB_,@object ; @__PRETTY_FUNCTION__._Z39paged_attention_ll4mi_QKV_mfma16_kernelIDF16_DF16_LN4vllm18Fp8KVCacheDataTypeE0EhLi32ELi64ELi256ELb1ELi6EEvPKT_PKT0_S7_ifPKiS9_S9_iPKfiiiPfSC_PS2_PT2_iSB_SB_
__PRETTY_FUNCTION__._Z39paged_attention_ll4mi_QKV_mfma16_kernelIDF16_DF16_LN4vllm18Fp8KVCacheDataTypeE0EhLi32ELi64ELi256ELb1ELi6EEvPKT_PKT0_S7_ifPKiS9_S9_iPKfiiiPfSC_PS2_PT2_iSB_SB_:
	.asciz	"void paged_attention_ll4mi_QKV_mfma16_kernel(const scalar_t *__restrict, const cache_t *__restrict, const cache_t *__restrict, const int, const float, const int *__restrict, const int *__restrict, const int *__restrict, const int, const float *__restrict, const int, const int, const int, float *__restrict, float *__restrict, scalar_t *__restrict, OUTT *__restrict, int, const float *, const float *) [scalar_t = _Float16, cache_t = _Float16, KV_DTYPE = vllm::Fp8KVCacheDataType::kAuto, OUTT = unsigned char, BLOCK_SIZE = 32, HEAD_SIZE = 64, NUM_THREADS = 256, ALIBI_ENABLED = true, GQA_RATIO = 6]"
	.size	__PRETTY_FUNCTION__._Z39paged_attention_ll4mi_QKV_mfma16_kernelIDF16_DF16_LN4vllm18Fp8KVCacheDataTypeE0EhLi32ELi64ELi256ELb1ELi6EEvPKT_PKT0_S7_ifPKiS9_S9_iPKfiiiPfSC_PS2_PT2_iSB_SB_, 599

	.type	__PRETTY_FUNCTION__._Z39paged_attention_ll4mi_QKV_mfma16_kernelIDF16_DF16_LN4vllm18Fp8KVCacheDataTypeE0EhLi32ELi64ELi256ELb1ELi7EEvPKT_PKT0_S7_ifPKiS9_S9_iPKfiiiPfSC_PS2_PT2_iSB_SB_,@object ; @__PRETTY_FUNCTION__._Z39paged_attention_ll4mi_QKV_mfma16_kernelIDF16_DF16_LN4vllm18Fp8KVCacheDataTypeE0EhLi32ELi64ELi256ELb1ELi7EEvPKT_PKT0_S7_ifPKiS9_S9_iPKfiiiPfSC_PS2_PT2_iSB_SB_
__PRETTY_FUNCTION__._Z39paged_attention_ll4mi_QKV_mfma16_kernelIDF16_DF16_LN4vllm18Fp8KVCacheDataTypeE0EhLi32ELi64ELi256ELb1ELi7EEvPKT_PKT0_S7_ifPKiS9_S9_iPKfiiiPfSC_PS2_PT2_iSB_SB_:
	.asciz	"void paged_attention_ll4mi_QKV_mfma16_kernel(const scalar_t *__restrict, const cache_t *__restrict, const cache_t *__restrict, const int, const float, const int *__restrict, const int *__restrict, const int *__restrict, const int, const float *__restrict, const int, const int, const int, float *__restrict, float *__restrict, scalar_t *__restrict, OUTT *__restrict, int, const float *, const float *) [scalar_t = _Float16, cache_t = _Float16, KV_DTYPE = vllm::Fp8KVCacheDataType::kAuto, OUTT = unsigned char, BLOCK_SIZE = 32, HEAD_SIZE = 64, NUM_THREADS = 256, ALIBI_ENABLED = true, GQA_RATIO = 7]"
	.size	__PRETTY_FUNCTION__._Z39paged_attention_ll4mi_QKV_mfma16_kernelIDF16_DF16_LN4vllm18Fp8KVCacheDataTypeE0EhLi32ELi64ELi256ELb1ELi7EEvPKT_PKT0_S7_ifPKiS9_S9_iPKfiiiPfSC_PS2_PT2_iSB_SB_, 599

	.type	__PRETTY_FUNCTION__._Z39paged_attention_ll4mi_QKV_mfma16_kernelIDF16_DF16_LN4vllm18Fp8KVCacheDataTypeE0EhLi32ELi64ELi256ELb1ELi8EEvPKT_PKT0_S7_ifPKiS9_S9_iPKfiiiPfSC_PS2_PT2_iSB_SB_,@object ; @__PRETTY_FUNCTION__._Z39paged_attention_ll4mi_QKV_mfma16_kernelIDF16_DF16_LN4vllm18Fp8KVCacheDataTypeE0EhLi32ELi64ELi256ELb1ELi8EEvPKT_PKT0_S7_ifPKiS9_S9_iPKfiiiPfSC_PS2_PT2_iSB_SB_
__PRETTY_FUNCTION__._Z39paged_attention_ll4mi_QKV_mfma16_kernelIDF16_DF16_LN4vllm18Fp8KVCacheDataTypeE0EhLi32ELi64ELi256ELb1ELi8EEvPKT_PKT0_S7_ifPKiS9_S9_iPKfiiiPfSC_PS2_PT2_iSB_SB_:
	.asciz	"void paged_attention_ll4mi_QKV_mfma16_kernel(const scalar_t *__restrict, const cache_t *__restrict, const cache_t *__restrict, const int, const float, const int *__restrict, const int *__restrict, const int *__restrict, const int, const float *__restrict, const int, const int, const int, float *__restrict, float *__restrict, scalar_t *__restrict, OUTT *__restrict, int, const float *, const float *) [scalar_t = _Float16, cache_t = _Float16, KV_DTYPE = vllm::Fp8KVCacheDataType::kAuto, OUTT = unsigned char, BLOCK_SIZE = 32, HEAD_SIZE = 64, NUM_THREADS = 256, ALIBI_ENABLED = true, GQA_RATIO = 8]"
	.size	__PRETTY_FUNCTION__._Z39paged_attention_ll4mi_QKV_mfma16_kernelIDF16_DF16_LN4vllm18Fp8KVCacheDataTypeE0EhLi32ELi64ELi256ELb1ELi8EEvPKT_PKT0_S7_ifPKiS9_S9_iPKfiiiPfSC_PS2_PT2_iSB_SB_, 599

	.type	__PRETTY_FUNCTION__._Z39paged_attention_ll4mi_QKV_mfma16_kernelIDF16_DF16_LN4vllm18Fp8KVCacheDataTypeE0EhLi32ELi64ELi256ELb1ELi9EEvPKT_PKT0_S7_ifPKiS9_S9_iPKfiiiPfSC_PS2_PT2_iSB_SB_,@object ; @__PRETTY_FUNCTION__._Z39paged_attention_ll4mi_QKV_mfma16_kernelIDF16_DF16_LN4vllm18Fp8KVCacheDataTypeE0EhLi32ELi64ELi256ELb1ELi9EEvPKT_PKT0_S7_ifPKiS9_S9_iPKfiiiPfSC_PS2_PT2_iSB_SB_
__PRETTY_FUNCTION__._Z39paged_attention_ll4mi_QKV_mfma16_kernelIDF16_DF16_LN4vllm18Fp8KVCacheDataTypeE0EhLi32ELi64ELi256ELb1ELi9EEvPKT_PKT0_S7_ifPKiS9_S9_iPKfiiiPfSC_PS2_PT2_iSB_SB_:
	.asciz	"void paged_attention_ll4mi_QKV_mfma16_kernel(const scalar_t *__restrict, const cache_t *__restrict, const cache_t *__restrict, const int, const float, const int *__restrict, const int *__restrict, const int *__restrict, const int, const float *__restrict, const int, const int, const int, float *__restrict, float *__restrict, scalar_t *__restrict, OUTT *__restrict, int, const float *, const float *) [scalar_t = _Float16, cache_t = _Float16, KV_DTYPE = vllm::Fp8KVCacheDataType::kAuto, OUTT = unsigned char, BLOCK_SIZE = 32, HEAD_SIZE = 64, NUM_THREADS = 256, ALIBI_ENABLED = true, GQA_RATIO = 9]"
	.size	__PRETTY_FUNCTION__._Z39paged_attention_ll4mi_QKV_mfma16_kernelIDF16_DF16_LN4vllm18Fp8KVCacheDataTypeE0EhLi32ELi64ELi256ELb1ELi9EEvPKT_PKT0_S7_ifPKiS9_S9_iPKfiiiPfSC_PS2_PT2_iSB_SB_, 599

	.type	__PRETTY_FUNCTION__._Z39paged_attention_ll4mi_QKV_mfma16_kernelIDF16_DF16_LN4vllm18Fp8KVCacheDataTypeE0EhLi32ELi64ELi256ELb1ELi10EEvPKT_PKT0_S7_ifPKiS9_S9_iPKfiiiPfSC_PS2_PT2_iSB_SB_,@object ; @__PRETTY_FUNCTION__._Z39paged_attention_ll4mi_QKV_mfma16_kernelIDF16_DF16_LN4vllm18Fp8KVCacheDataTypeE0EhLi32ELi64ELi256ELb1ELi10EEvPKT_PKT0_S7_ifPKiS9_S9_iPKfiiiPfSC_PS2_PT2_iSB_SB_
__PRETTY_FUNCTION__._Z39paged_attention_ll4mi_QKV_mfma16_kernelIDF16_DF16_LN4vllm18Fp8KVCacheDataTypeE0EhLi32ELi64ELi256ELb1ELi10EEvPKT_PKT0_S7_ifPKiS9_S9_iPKfiiiPfSC_PS2_PT2_iSB_SB_:
	.asciz	"void paged_attention_ll4mi_QKV_mfma16_kernel(const scalar_t *__restrict, const cache_t *__restrict, const cache_t *__restrict, const int, const float, const int *__restrict, const int *__restrict, const int *__restrict, const int, const float *__restrict, const int, const int, const int, float *__restrict, float *__restrict, scalar_t *__restrict, OUTT *__restrict, int, const float *, const float *) [scalar_t = _Float16, cache_t = _Float16, KV_DTYPE = vllm::Fp8KVCacheDataType::kAuto, OUTT = unsigned char, BLOCK_SIZE = 32, HEAD_SIZE = 64, NUM_THREADS = 256, ALIBI_ENABLED = true, GQA_RATIO = 10]"
	.size	__PRETTY_FUNCTION__._Z39paged_attention_ll4mi_QKV_mfma16_kernelIDF16_DF16_LN4vllm18Fp8KVCacheDataTypeE0EhLi32ELi64ELi256ELb1ELi10EEvPKT_PKT0_S7_ifPKiS9_S9_iPKfiiiPfSC_PS2_PT2_iSB_SB_, 600

	.type	__PRETTY_FUNCTION__._Z39paged_attention_ll4mi_QKV_mfma16_kernelIDF16_DF16_LN4vllm18Fp8KVCacheDataTypeE0EhLi32ELi64ELi256ELb1ELi11EEvPKT_PKT0_S7_ifPKiS9_S9_iPKfiiiPfSC_PS2_PT2_iSB_SB_,@object ; @__PRETTY_FUNCTION__._Z39paged_attention_ll4mi_QKV_mfma16_kernelIDF16_DF16_LN4vllm18Fp8KVCacheDataTypeE0EhLi32ELi64ELi256ELb1ELi11EEvPKT_PKT0_S7_ifPKiS9_S9_iPKfiiiPfSC_PS2_PT2_iSB_SB_
__PRETTY_FUNCTION__._Z39paged_attention_ll4mi_QKV_mfma16_kernelIDF16_DF16_LN4vllm18Fp8KVCacheDataTypeE0EhLi32ELi64ELi256ELb1ELi11EEvPKT_PKT0_S7_ifPKiS9_S9_iPKfiiiPfSC_PS2_PT2_iSB_SB_:
	.asciz	"void paged_attention_ll4mi_QKV_mfma16_kernel(const scalar_t *__restrict, const cache_t *__restrict, const cache_t *__restrict, const int, const float, const int *__restrict, const int *__restrict, const int *__restrict, const int, const float *__restrict, const int, const int, const int, float *__restrict, float *__restrict, scalar_t *__restrict, OUTT *__restrict, int, const float *, const float *) [scalar_t = _Float16, cache_t = _Float16, KV_DTYPE = vllm::Fp8KVCacheDataType::kAuto, OUTT = unsigned char, BLOCK_SIZE = 32, HEAD_SIZE = 64, NUM_THREADS = 256, ALIBI_ENABLED = true, GQA_RATIO = 11]"
	.size	__PRETTY_FUNCTION__._Z39paged_attention_ll4mi_QKV_mfma16_kernelIDF16_DF16_LN4vllm18Fp8KVCacheDataTypeE0EhLi32ELi64ELi256ELb1ELi11EEvPKT_PKT0_S7_ifPKiS9_S9_iPKfiiiPfSC_PS2_PT2_iSB_SB_, 600

	.type	__PRETTY_FUNCTION__._Z39paged_attention_ll4mi_QKV_mfma16_kernelIDF16_DF16_LN4vllm18Fp8KVCacheDataTypeE0EhLi32ELi64ELi256ELb1ELi12EEvPKT_PKT0_S7_ifPKiS9_S9_iPKfiiiPfSC_PS2_PT2_iSB_SB_,@object ; @__PRETTY_FUNCTION__._Z39paged_attention_ll4mi_QKV_mfma16_kernelIDF16_DF16_LN4vllm18Fp8KVCacheDataTypeE0EhLi32ELi64ELi256ELb1ELi12EEvPKT_PKT0_S7_ifPKiS9_S9_iPKfiiiPfSC_PS2_PT2_iSB_SB_
__PRETTY_FUNCTION__._Z39paged_attention_ll4mi_QKV_mfma16_kernelIDF16_DF16_LN4vllm18Fp8KVCacheDataTypeE0EhLi32ELi64ELi256ELb1ELi12EEvPKT_PKT0_S7_ifPKiS9_S9_iPKfiiiPfSC_PS2_PT2_iSB_SB_:
	.asciz	"void paged_attention_ll4mi_QKV_mfma16_kernel(const scalar_t *__restrict, const cache_t *__restrict, const cache_t *__restrict, const int, const float, const int *__restrict, const int *__restrict, const int *__restrict, const int, const float *__restrict, const int, const int, const int, float *__restrict, float *__restrict, scalar_t *__restrict, OUTT *__restrict, int, const float *, const float *) [scalar_t = _Float16, cache_t = _Float16, KV_DTYPE = vllm::Fp8KVCacheDataType::kAuto, OUTT = unsigned char, BLOCK_SIZE = 32, HEAD_SIZE = 64, NUM_THREADS = 256, ALIBI_ENABLED = true, GQA_RATIO = 12]"
	.size	__PRETTY_FUNCTION__._Z39paged_attention_ll4mi_QKV_mfma16_kernelIDF16_DF16_LN4vllm18Fp8KVCacheDataTypeE0EhLi32ELi64ELi256ELb1ELi12EEvPKT_PKT0_S7_ifPKiS9_S9_iPKfiiiPfSC_PS2_PT2_iSB_SB_, 600

	.type	__PRETTY_FUNCTION__._Z39paged_attention_ll4mi_QKV_mfma16_kernelIDF16_DF16_LN4vllm18Fp8KVCacheDataTypeE0EhLi32ELi64ELi256ELb1ELi13EEvPKT_PKT0_S7_ifPKiS9_S9_iPKfiiiPfSC_PS2_PT2_iSB_SB_,@object ; @__PRETTY_FUNCTION__._Z39paged_attention_ll4mi_QKV_mfma16_kernelIDF16_DF16_LN4vllm18Fp8KVCacheDataTypeE0EhLi32ELi64ELi256ELb1ELi13EEvPKT_PKT0_S7_ifPKiS9_S9_iPKfiiiPfSC_PS2_PT2_iSB_SB_
__PRETTY_FUNCTION__._Z39paged_attention_ll4mi_QKV_mfma16_kernelIDF16_DF16_LN4vllm18Fp8KVCacheDataTypeE0EhLi32ELi64ELi256ELb1ELi13EEvPKT_PKT0_S7_ifPKiS9_S9_iPKfiiiPfSC_PS2_PT2_iSB_SB_:
	.asciz	"void paged_attention_ll4mi_QKV_mfma16_kernel(const scalar_t *__restrict, const cache_t *__restrict, const cache_t *__restrict, const int, const float, const int *__restrict, const int *__restrict, const int *__restrict, const int, const float *__restrict, const int, const int, const int, float *__restrict, float *__restrict, scalar_t *__restrict, OUTT *__restrict, int, const float *, const float *) [scalar_t = _Float16, cache_t = _Float16, KV_DTYPE = vllm::Fp8KVCacheDataType::kAuto, OUTT = unsigned char, BLOCK_SIZE = 32, HEAD_SIZE = 64, NUM_THREADS = 256, ALIBI_ENABLED = true, GQA_RATIO = 13]"
	.size	__PRETTY_FUNCTION__._Z39paged_attention_ll4mi_QKV_mfma16_kernelIDF16_DF16_LN4vllm18Fp8KVCacheDataTypeE0EhLi32ELi64ELi256ELb1ELi13EEvPKT_PKT0_S7_ifPKiS9_S9_iPKfiiiPfSC_PS2_PT2_iSB_SB_, 600

	.type	__PRETTY_FUNCTION__._Z39paged_attention_ll4mi_QKV_mfma16_kernelIDF16_DF16_LN4vllm18Fp8KVCacheDataTypeE0EhLi32ELi64ELi256ELb1ELi14EEvPKT_PKT0_S7_ifPKiS9_S9_iPKfiiiPfSC_PS2_PT2_iSB_SB_,@object ; @__PRETTY_FUNCTION__._Z39paged_attention_ll4mi_QKV_mfma16_kernelIDF16_DF16_LN4vllm18Fp8KVCacheDataTypeE0EhLi32ELi64ELi256ELb1ELi14EEvPKT_PKT0_S7_ifPKiS9_S9_iPKfiiiPfSC_PS2_PT2_iSB_SB_
__PRETTY_FUNCTION__._Z39paged_attention_ll4mi_QKV_mfma16_kernelIDF16_DF16_LN4vllm18Fp8KVCacheDataTypeE0EhLi32ELi64ELi256ELb1ELi14EEvPKT_PKT0_S7_ifPKiS9_S9_iPKfiiiPfSC_PS2_PT2_iSB_SB_:
	.asciz	"void paged_attention_ll4mi_QKV_mfma16_kernel(const scalar_t *__restrict, const cache_t *__restrict, const cache_t *__restrict, const int, const float, const int *__restrict, const int *__restrict, const int *__restrict, const int, const float *__restrict, const int, const int, const int, float *__restrict, float *__restrict, scalar_t *__restrict, OUTT *__restrict, int, const float *, const float *) [scalar_t = _Float16, cache_t = _Float16, KV_DTYPE = vllm::Fp8KVCacheDataType::kAuto, OUTT = unsigned char, BLOCK_SIZE = 32, HEAD_SIZE = 64, NUM_THREADS = 256, ALIBI_ENABLED = true, GQA_RATIO = 14]"
	.size	__PRETTY_FUNCTION__._Z39paged_attention_ll4mi_QKV_mfma16_kernelIDF16_DF16_LN4vllm18Fp8KVCacheDataTypeE0EhLi32ELi64ELi256ELb1ELi14EEvPKT_PKT0_S7_ifPKiS9_S9_iPKfiiiPfSC_PS2_PT2_iSB_SB_, 600

	.type	__PRETTY_FUNCTION__._Z39paged_attention_ll4mi_QKV_mfma16_kernelIDF16_DF16_LN4vllm18Fp8KVCacheDataTypeE0EhLi32ELi64ELi256ELb1ELi15EEvPKT_PKT0_S7_ifPKiS9_S9_iPKfiiiPfSC_PS2_PT2_iSB_SB_,@object ; @__PRETTY_FUNCTION__._Z39paged_attention_ll4mi_QKV_mfma16_kernelIDF16_DF16_LN4vllm18Fp8KVCacheDataTypeE0EhLi32ELi64ELi256ELb1ELi15EEvPKT_PKT0_S7_ifPKiS9_S9_iPKfiiiPfSC_PS2_PT2_iSB_SB_
__PRETTY_FUNCTION__._Z39paged_attention_ll4mi_QKV_mfma16_kernelIDF16_DF16_LN4vllm18Fp8KVCacheDataTypeE0EhLi32ELi64ELi256ELb1ELi15EEvPKT_PKT0_S7_ifPKiS9_S9_iPKfiiiPfSC_PS2_PT2_iSB_SB_:
	.asciz	"void paged_attention_ll4mi_QKV_mfma16_kernel(const scalar_t *__restrict, const cache_t *__restrict, const cache_t *__restrict, const int, const float, const int *__restrict, const int *__restrict, const int *__restrict, const int, const float *__restrict, const int, const int, const int, float *__restrict, float *__restrict, scalar_t *__restrict, OUTT *__restrict, int, const float *, const float *) [scalar_t = _Float16, cache_t = _Float16, KV_DTYPE = vllm::Fp8KVCacheDataType::kAuto, OUTT = unsigned char, BLOCK_SIZE = 32, HEAD_SIZE = 64, NUM_THREADS = 256, ALIBI_ENABLED = true, GQA_RATIO = 15]"
	.size	__PRETTY_FUNCTION__._Z39paged_attention_ll4mi_QKV_mfma16_kernelIDF16_DF16_LN4vllm18Fp8KVCacheDataTypeE0EhLi32ELi64ELi256ELb1ELi15EEvPKT_PKT0_S7_ifPKiS9_S9_iPKfiiiPfSC_PS2_PT2_iSB_SB_, 600

	.type	__PRETTY_FUNCTION__._Z39paged_attention_ll4mi_QKV_mfma16_kernelIDF16_DF16_LN4vllm18Fp8KVCacheDataTypeE0EhLi32ELi64ELi256ELb1ELi16EEvPKT_PKT0_S7_ifPKiS9_S9_iPKfiiiPfSC_PS2_PT2_iSB_SB_,@object ; @__PRETTY_FUNCTION__._Z39paged_attention_ll4mi_QKV_mfma16_kernelIDF16_DF16_LN4vllm18Fp8KVCacheDataTypeE0EhLi32ELi64ELi256ELb1ELi16EEvPKT_PKT0_S7_ifPKiS9_S9_iPKfiiiPfSC_PS2_PT2_iSB_SB_
__PRETTY_FUNCTION__._Z39paged_attention_ll4mi_QKV_mfma16_kernelIDF16_DF16_LN4vllm18Fp8KVCacheDataTypeE0EhLi32ELi64ELi256ELb1ELi16EEvPKT_PKT0_S7_ifPKiS9_S9_iPKfiiiPfSC_PS2_PT2_iSB_SB_:
	.asciz	"void paged_attention_ll4mi_QKV_mfma16_kernel(const scalar_t *__restrict, const cache_t *__restrict, const cache_t *__restrict, const int, const float, const int *__restrict, const int *__restrict, const int *__restrict, const int, const float *__restrict, const int, const int, const int, float *__restrict, float *__restrict, scalar_t *__restrict, OUTT *__restrict, int, const float *, const float *) [scalar_t = _Float16, cache_t = _Float16, KV_DTYPE = vllm::Fp8KVCacheDataType::kAuto, OUTT = unsigned char, BLOCK_SIZE = 32, HEAD_SIZE = 64, NUM_THREADS = 256, ALIBI_ENABLED = true, GQA_RATIO = 16]"
	.size	__PRETTY_FUNCTION__._Z39paged_attention_ll4mi_QKV_mfma16_kernelIDF16_DF16_LN4vllm18Fp8KVCacheDataTypeE0EhLi32ELi64ELi256ELb1ELi16EEvPKT_PKT0_S7_ifPKiS9_S9_iPKfiiiPfSC_PS2_PT2_iSB_SB_, 600

	.type	__PRETTY_FUNCTION__._Z39paged_attention_ll4mi_QKV_mfma16_kernelIDF16_DF16_LN4vllm18Fp8KVCacheDataTypeE0EhLi32ELi64ELi256ELb1ELi1EEvPKT_PKT0_S7_ifPKiS9_S9_iPKfiiiPfSC_PS2_PT2_iSB_SB_,@object ; @__PRETTY_FUNCTION__._Z39paged_attention_ll4mi_QKV_mfma16_kernelIDF16_DF16_LN4vllm18Fp8KVCacheDataTypeE0EhLi32ELi64ELi256ELb1ELi1EEvPKT_PKT0_S7_ifPKiS9_S9_iPKfiiiPfSC_PS2_PT2_iSB_SB_
__PRETTY_FUNCTION__._Z39paged_attention_ll4mi_QKV_mfma16_kernelIDF16_DF16_LN4vllm18Fp8KVCacheDataTypeE0EhLi32ELi64ELi256ELb1ELi1EEvPKT_PKT0_S7_ifPKiS9_S9_iPKfiiiPfSC_PS2_PT2_iSB_SB_:
	.asciz	"void paged_attention_ll4mi_QKV_mfma16_kernel(const scalar_t *__restrict, const cache_t *__restrict, const cache_t *__restrict, const int, const float, const int *__restrict, const int *__restrict, const int *__restrict, const int, const float *__restrict, const int, const int, const int, float *__restrict, float *__restrict, scalar_t *__restrict, OUTT *__restrict, int, const float *, const float *) [scalar_t = _Float16, cache_t = _Float16, KV_DTYPE = vllm::Fp8KVCacheDataType::kAuto, OUTT = unsigned char, BLOCK_SIZE = 32, HEAD_SIZE = 64, NUM_THREADS = 256, ALIBI_ENABLED = true, GQA_RATIO = 1]"
	.size	__PRETTY_FUNCTION__._Z39paged_attention_ll4mi_QKV_mfma16_kernelIDF16_DF16_LN4vllm18Fp8KVCacheDataTypeE0EhLi32ELi64ELi256ELb1ELi1EEvPKT_PKT0_S7_ifPKiS9_S9_iPKfiiiPfSC_PS2_PT2_iSB_SB_, 599

	.type	__PRETTY_FUNCTION__._Z39paged_attention_ll4mi_QKV_mfma16_kernelIDF16_DF16_LN4vllm18Fp8KVCacheDataTypeE0EhLi32ELi64ELi256ELb1ELi2EEvPKT_PKT0_S7_ifPKiS9_S9_iPKfiiiPfSC_PS2_PT2_iSB_SB_,@object ; @__PRETTY_FUNCTION__._Z39paged_attention_ll4mi_QKV_mfma16_kernelIDF16_DF16_LN4vllm18Fp8KVCacheDataTypeE0EhLi32ELi64ELi256ELb1ELi2EEvPKT_PKT0_S7_ifPKiS9_S9_iPKfiiiPfSC_PS2_PT2_iSB_SB_
__PRETTY_FUNCTION__._Z39paged_attention_ll4mi_QKV_mfma16_kernelIDF16_DF16_LN4vllm18Fp8KVCacheDataTypeE0EhLi32ELi64ELi256ELb1ELi2EEvPKT_PKT0_S7_ifPKiS9_S9_iPKfiiiPfSC_PS2_PT2_iSB_SB_:
	.asciz	"void paged_attention_ll4mi_QKV_mfma16_kernel(const scalar_t *__restrict, const cache_t *__restrict, const cache_t *__restrict, const int, const float, const int *__restrict, const int *__restrict, const int *__restrict, const int, const float *__restrict, const int, const int, const int, float *__restrict, float *__restrict, scalar_t *__restrict, OUTT *__restrict, int, const float *, const float *) [scalar_t = _Float16, cache_t = _Float16, KV_DTYPE = vllm::Fp8KVCacheDataType::kAuto, OUTT = unsigned char, BLOCK_SIZE = 32, HEAD_SIZE = 64, NUM_THREADS = 256, ALIBI_ENABLED = true, GQA_RATIO = 2]"
	.size	__PRETTY_FUNCTION__._Z39paged_attention_ll4mi_QKV_mfma16_kernelIDF16_DF16_LN4vllm18Fp8KVCacheDataTypeE0EhLi32ELi64ELi256ELb1ELi2EEvPKT_PKT0_S7_ifPKiS9_S9_iPKfiiiPfSC_PS2_PT2_iSB_SB_, 599

	.type	__PRETTY_FUNCTION__._Z39paged_attention_ll4mi_QKV_mfma16_kernelIDF16_DF16_LN4vllm18Fp8KVCacheDataTypeE0EhLi32ELi64ELi256ELb1ELi3EEvPKT_PKT0_S7_ifPKiS9_S9_iPKfiiiPfSC_PS2_PT2_iSB_SB_,@object ; @__PRETTY_FUNCTION__._Z39paged_attention_ll4mi_QKV_mfma16_kernelIDF16_DF16_LN4vllm18Fp8KVCacheDataTypeE0EhLi32ELi64ELi256ELb1ELi3EEvPKT_PKT0_S7_ifPKiS9_S9_iPKfiiiPfSC_PS2_PT2_iSB_SB_
__PRETTY_FUNCTION__._Z39paged_attention_ll4mi_QKV_mfma16_kernelIDF16_DF16_LN4vllm18Fp8KVCacheDataTypeE0EhLi32ELi64ELi256ELb1ELi3EEvPKT_PKT0_S7_ifPKiS9_S9_iPKfiiiPfSC_PS2_PT2_iSB_SB_:
	.asciz	"void paged_attention_ll4mi_QKV_mfma16_kernel(const scalar_t *__restrict, const cache_t *__restrict, const cache_t *__restrict, const int, const float, const int *__restrict, const int *__restrict, const int *__restrict, const int, const float *__restrict, const int, const int, const int, float *__restrict, float *__restrict, scalar_t *__restrict, OUTT *__restrict, int, const float *, const float *) [scalar_t = _Float16, cache_t = _Float16, KV_DTYPE = vllm::Fp8KVCacheDataType::kAuto, OUTT = unsigned char, BLOCK_SIZE = 32, HEAD_SIZE = 64, NUM_THREADS = 256, ALIBI_ENABLED = true, GQA_RATIO = 3]"
	.size	__PRETTY_FUNCTION__._Z39paged_attention_ll4mi_QKV_mfma16_kernelIDF16_DF16_LN4vllm18Fp8KVCacheDataTypeE0EhLi32ELi64ELi256ELb1ELi3EEvPKT_PKT0_S7_ifPKiS9_S9_iPKfiiiPfSC_PS2_PT2_iSB_SB_, 599

	.type	__PRETTY_FUNCTION__._Z39paged_attention_ll4mi_QKV_mfma16_kernelIDF16_DF16_LN4vllm18Fp8KVCacheDataTypeE0EhLi32ELi64ELi256ELb1ELi4EEvPKT_PKT0_S7_ifPKiS9_S9_iPKfiiiPfSC_PS2_PT2_iSB_SB_,@object ; @__PRETTY_FUNCTION__._Z39paged_attention_ll4mi_QKV_mfma16_kernelIDF16_DF16_LN4vllm18Fp8KVCacheDataTypeE0EhLi32ELi64ELi256ELb1ELi4EEvPKT_PKT0_S7_ifPKiS9_S9_iPKfiiiPfSC_PS2_PT2_iSB_SB_
__PRETTY_FUNCTION__._Z39paged_attention_ll4mi_QKV_mfma16_kernelIDF16_DF16_LN4vllm18Fp8KVCacheDataTypeE0EhLi32ELi64ELi256ELb1ELi4EEvPKT_PKT0_S7_ifPKiS9_S9_iPKfiiiPfSC_PS2_PT2_iSB_SB_:
	.asciz	"void paged_attention_ll4mi_QKV_mfma16_kernel(const scalar_t *__restrict, const cache_t *__restrict, const cache_t *__restrict, const int, const float, const int *__restrict, const int *__restrict, const int *__restrict, const int, const float *__restrict, const int, const int, const int, float *__restrict, float *__restrict, scalar_t *__restrict, OUTT *__restrict, int, const float *, const float *) [scalar_t = _Float16, cache_t = _Float16, KV_DTYPE = vllm::Fp8KVCacheDataType::kAuto, OUTT = unsigned char, BLOCK_SIZE = 32, HEAD_SIZE = 64, NUM_THREADS = 256, ALIBI_ENABLED = true, GQA_RATIO = 4]"
	.size	__PRETTY_FUNCTION__._Z39paged_attention_ll4mi_QKV_mfma16_kernelIDF16_DF16_LN4vllm18Fp8KVCacheDataTypeE0EhLi32ELi64ELi256ELb1ELi4EEvPKT_PKT0_S7_ifPKiS9_S9_iPKfiiiPfSC_PS2_PT2_iSB_SB_, 599

	.type	__PRETTY_FUNCTION__._Z38paged_attention_ll4mi_QKV_mfma4_kernelIDF16_DF16_LN4vllm18Fp8KVCacheDataTypeE0EhLi32ELi64ELi256ELb0ELi1EEvPKT_PKT0_S7_ifPKiS9_S9_iPKfiiiPfSC_PS2_PT2_iSB_SB_,@object ; @__PRETTY_FUNCTION__._Z38paged_attention_ll4mi_QKV_mfma4_kernelIDF16_DF16_LN4vllm18Fp8KVCacheDataTypeE0EhLi32ELi64ELi256ELb0ELi1EEvPKT_PKT0_S7_ifPKiS9_S9_iPKfiiiPfSC_PS2_PT2_iSB_SB_
__PRETTY_FUNCTION__._Z38paged_attention_ll4mi_QKV_mfma4_kernelIDF16_DF16_LN4vllm18Fp8KVCacheDataTypeE0EhLi32ELi64ELi256ELb0ELi1EEvPKT_PKT0_S7_ifPKiS9_S9_iPKfiiiPfSC_PS2_PT2_iSB_SB_:
	.asciz	"void paged_attention_ll4mi_QKV_mfma4_kernel(const scalar_t *__restrict, const cache_t *__restrict, const cache_t *__restrict, const int, const float, const int *__restrict, const int *__restrict, const int *__restrict, const int, const float *__restrict, const int, const int, const int, float *__restrict, float *__restrict, scalar_t *__restrict, OUTT *__restrict, int, const float *, const float *) [scalar_t = _Float16, cache_t = _Float16, KV_DTYPE = vllm::Fp8KVCacheDataType::kAuto, OUTT = unsigned char, BLOCK_SIZE = 32, HEAD_SIZE = 64, NUM_THREADS = 256, ALIBI_ENABLED = false, GQA_RATIO = 1]"
	.size	__PRETTY_FUNCTION__._Z38paged_attention_ll4mi_QKV_mfma4_kernelIDF16_DF16_LN4vllm18Fp8KVCacheDataTypeE0EhLi32ELi64ELi256ELb0ELi1EEvPKT_PKT0_S7_ifPKiS9_S9_iPKfiiiPfSC_PS2_PT2_iSB_SB_, 599

	.type	__PRETTY_FUNCTION__._Z38paged_attention_ll4mi_QKV_mfma4_kernelIDF16_DF16_LN4vllm18Fp8KVCacheDataTypeE0EhLi32ELi64ELi256ELb0ELi2EEvPKT_PKT0_S7_ifPKiS9_S9_iPKfiiiPfSC_PS2_PT2_iSB_SB_,@object ; @__PRETTY_FUNCTION__._Z38paged_attention_ll4mi_QKV_mfma4_kernelIDF16_DF16_LN4vllm18Fp8KVCacheDataTypeE0EhLi32ELi64ELi256ELb0ELi2EEvPKT_PKT0_S7_ifPKiS9_S9_iPKfiiiPfSC_PS2_PT2_iSB_SB_
__PRETTY_FUNCTION__._Z38paged_attention_ll4mi_QKV_mfma4_kernelIDF16_DF16_LN4vllm18Fp8KVCacheDataTypeE0EhLi32ELi64ELi256ELb0ELi2EEvPKT_PKT0_S7_ifPKiS9_S9_iPKfiiiPfSC_PS2_PT2_iSB_SB_:
	.asciz	"void paged_attention_ll4mi_QKV_mfma4_kernel(const scalar_t *__restrict, const cache_t *__restrict, const cache_t *__restrict, const int, const float, const int *__restrict, const int *__restrict, const int *__restrict, const int, const float *__restrict, const int, const int, const int, float *__restrict, float *__restrict, scalar_t *__restrict, OUTT *__restrict, int, const float *, const float *) [scalar_t = _Float16, cache_t = _Float16, KV_DTYPE = vllm::Fp8KVCacheDataType::kAuto, OUTT = unsigned char, BLOCK_SIZE = 32, HEAD_SIZE = 64, NUM_THREADS = 256, ALIBI_ENABLED = false, GQA_RATIO = 2]"
	.size	__PRETTY_FUNCTION__._Z38paged_attention_ll4mi_QKV_mfma4_kernelIDF16_DF16_LN4vllm18Fp8KVCacheDataTypeE0EhLi32ELi64ELi256ELb0ELi2EEvPKT_PKT0_S7_ifPKiS9_S9_iPKfiiiPfSC_PS2_PT2_iSB_SB_, 599

	.type	__PRETTY_FUNCTION__._Z38paged_attention_ll4mi_QKV_mfma4_kernelIDF16_DF16_LN4vllm18Fp8KVCacheDataTypeE0EhLi32ELi64ELi256ELb0ELi3EEvPKT_PKT0_S7_ifPKiS9_S9_iPKfiiiPfSC_PS2_PT2_iSB_SB_,@object ; @__PRETTY_FUNCTION__._Z38paged_attention_ll4mi_QKV_mfma4_kernelIDF16_DF16_LN4vllm18Fp8KVCacheDataTypeE0EhLi32ELi64ELi256ELb0ELi3EEvPKT_PKT0_S7_ifPKiS9_S9_iPKfiiiPfSC_PS2_PT2_iSB_SB_
__PRETTY_FUNCTION__._Z38paged_attention_ll4mi_QKV_mfma4_kernelIDF16_DF16_LN4vllm18Fp8KVCacheDataTypeE0EhLi32ELi64ELi256ELb0ELi3EEvPKT_PKT0_S7_ifPKiS9_S9_iPKfiiiPfSC_PS2_PT2_iSB_SB_:
	.asciz	"void paged_attention_ll4mi_QKV_mfma4_kernel(const scalar_t *__restrict, const cache_t *__restrict, const cache_t *__restrict, const int, const float, const int *__restrict, const int *__restrict, const int *__restrict, const int, const float *__restrict, const int, const int, const int, float *__restrict, float *__restrict, scalar_t *__restrict, OUTT *__restrict, int, const float *, const float *) [scalar_t = _Float16, cache_t = _Float16, KV_DTYPE = vllm::Fp8KVCacheDataType::kAuto, OUTT = unsigned char, BLOCK_SIZE = 32, HEAD_SIZE = 64, NUM_THREADS = 256, ALIBI_ENABLED = false, GQA_RATIO = 3]"
	.size	__PRETTY_FUNCTION__._Z38paged_attention_ll4mi_QKV_mfma4_kernelIDF16_DF16_LN4vllm18Fp8KVCacheDataTypeE0EhLi32ELi64ELi256ELb0ELi3EEvPKT_PKT0_S7_ifPKiS9_S9_iPKfiiiPfSC_PS2_PT2_iSB_SB_, 599

	.type	__PRETTY_FUNCTION__._Z38paged_attention_ll4mi_QKV_mfma4_kernelIDF16_DF16_LN4vllm18Fp8KVCacheDataTypeE0EhLi32ELi64ELi256ELb0ELi4EEvPKT_PKT0_S7_ifPKiS9_S9_iPKfiiiPfSC_PS2_PT2_iSB_SB_,@object ; @__PRETTY_FUNCTION__._Z38paged_attention_ll4mi_QKV_mfma4_kernelIDF16_DF16_LN4vllm18Fp8KVCacheDataTypeE0EhLi32ELi64ELi256ELb0ELi4EEvPKT_PKT0_S7_ifPKiS9_S9_iPKfiiiPfSC_PS2_PT2_iSB_SB_
__PRETTY_FUNCTION__._Z38paged_attention_ll4mi_QKV_mfma4_kernelIDF16_DF16_LN4vllm18Fp8KVCacheDataTypeE0EhLi32ELi64ELi256ELb0ELi4EEvPKT_PKT0_S7_ifPKiS9_S9_iPKfiiiPfSC_PS2_PT2_iSB_SB_:
	.asciz	"void paged_attention_ll4mi_QKV_mfma4_kernel(const scalar_t *__restrict, const cache_t *__restrict, const cache_t *__restrict, const int, const float, const int *__restrict, const int *__restrict, const int *__restrict, const int, const float *__restrict, const int, const int, const int, float *__restrict, float *__restrict, scalar_t *__restrict, OUTT *__restrict, int, const float *, const float *) [scalar_t = _Float16, cache_t = _Float16, KV_DTYPE = vllm::Fp8KVCacheDataType::kAuto, OUTT = unsigned char, BLOCK_SIZE = 32, HEAD_SIZE = 64, NUM_THREADS = 256, ALIBI_ENABLED = false, GQA_RATIO = 4]"
	.size	__PRETTY_FUNCTION__._Z38paged_attention_ll4mi_QKV_mfma4_kernelIDF16_DF16_LN4vllm18Fp8KVCacheDataTypeE0EhLi32ELi64ELi256ELb0ELi4EEvPKT_PKT0_S7_ifPKiS9_S9_iPKfiiiPfSC_PS2_PT2_iSB_SB_, 599

	.type	__PRETTY_FUNCTION__._Z39paged_attention_ll4mi_QKV_mfma16_kernelIDF16_DF16_LN4vllm18Fp8KVCacheDataTypeE0EhLi32ELi64ELi256ELb0ELi5EEvPKT_PKT0_S7_ifPKiS9_S9_iPKfiiiPfSC_PS2_PT2_iSB_SB_,@object ; @__PRETTY_FUNCTION__._Z39paged_attention_ll4mi_QKV_mfma16_kernelIDF16_DF16_LN4vllm18Fp8KVCacheDataTypeE0EhLi32ELi64ELi256ELb0ELi5EEvPKT_PKT0_S7_ifPKiS9_S9_iPKfiiiPfSC_PS2_PT2_iSB_SB_
__PRETTY_FUNCTION__._Z39paged_attention_ll4mi_QKV_mfma16_kernelIDF16_DF16_LN4vllm18Fp8KVCacheDataTypeE0EhLi32ELi64ELi256ELb0ELi5EEvPKT_PKT0_S7_ifPKiS9_S9_iPKfiiiPfSC_PS2_PT2_iSB_SB_:
	.asciz	"void paged_attention_ll4mi_QKV_mfma16_kernel(const scalar_t *__restrict, const cache_t *__restrict, const cache_t *__restrict, const int, const float, const int *__restrict, const int *__restrict, const int *__restrict, const int, const float *__restrict, const int, const int, const int, float *__restrict, float *__restrict, scalar_t *__restrict, OUTT *__restrict, int, const float *, const float *) [scalar_t = _Float16, cache_t = _Float16, KV_DTYPE = vllm::Fp8KVCacheDataType::kAuto, OUTT = unsigned char, BLOCK_SIZE = 32, HEAD_SIZE = 64, NUM_THREADS = 256, ALIBI_ENABLED = false, GQA_RATIO = 5]"
	.size	__PRETTY_FUNCTION__._Z39paged_attention_ll4mi_QKV_mfma16_kernelIDF16_DF16_LN4vllm18Fp8KVCacheDataTypeE0EhLi32ELi64ELi256ELb0ELi5EEvPKT_PKT0_S7_ifPKiS9_S9_iPKfiiiPfSC_PS2_PT2_iSB_SB_, 600

	.type	__PRETTY_FUNCTION__._Z39paged_attention_ll4mi_QKV_mfma16_kernelIDF16_DF16_LN4vllm18Fp8KVCacheDataTypeE0EhLi32ELi64ELi256ELb0ELi6EEvPKT_PKT0_S7_ifPKiS9_S9_iPKfiiiPfSC_PS2_PT2_iSB_SB_,@object ; @__PRETTY_FUNCTION__._Z39paged_attention_ll4mi_QKV_mfma16_kernelIDF16_DF16_LN4vllm18Fp8KVCacheDataTypeE0EhLi32ELi64ELi256ELb0ELi6EEvPKT_PKT0_S7_ifPKiS9_S9_iPKfiiiPfSC_PS2_PT2_iSB_SB_
__PRETTY_FUNCTION__._Z39paged_attention_ll4mi_QKV_mfma16_kernelIDF16_DF16_LN4vllm18Fp8KVCacheDataTypeE0EhLi32ELi64ELi256ELb0ELi6EEvPKT_PKT0_S7_ifPKiS9_S9_iPKfiiiPfSC_PS2_PT2_iSB_SB_:
	.asciz	"void paged_attention_ll4mi_QKV_mfma16_kernel(const scalar_t *__restrict, const cache_t *__restrict, const cache_t *__restrict, const int, const float, const int *__restrict, const int *__restrict, const int *__restrict, const int, const float *__restrict, const int, const int, const int, float *__restrict, float *__restrict, scalar_t *__restrict, OUTT *__restrict, int, const float *, const float *) [scalar_t = _Float16, cache_t = _Float16, KV_DTYPE = vllm::Fp8KVCacheDataType::kAuto, OUTT = unsigned char, BLOCK_SIZE = 32, HEAD_SIZE = 64, NUM_THREADS = 256, ALIBI_ENABLED = false, GQA_RATIO = 6]"
	.size	__PRETTY_FUNCTION__._Z39paged_attention_ll4mi_QKV_mfma16_kernelIDF16_DF16_LN4vllm18Fp8KVCacheDataTypeE0EhLi32ELi64ELi256ELb0ELi6EEvPKT_PKT0_S7_ifPKiS9_S9_iPKfiiiPfSC_PS2_PT2_iSB_SB_, 600

	.type	__PRETTY_FUNCTION__._Z39paged_attention_ll4mi_QKV_mfma16_kernelIDF16_DF16_LN4vllm18Fp8KVCacheDataTypeE0EhLi32ELi64ELi256ELb0ELi7EEvPKT_PKT0_S7_ifPKiS9_S9_iPKfiiiPfSC_PS2_PT2_iSB_SB_,@object ; @__PRETTY_FUNCTION__._Z39paged_attention_ll4mi_QKV_mfma16_kernelIDF16_DF16_LN4vllm18Fp8KVCacheDataTypeE0EhLi32ELi64ELi256ELb0ELi7EEvPKT_PKT0_S7_ifPKiS9_S9_iPKfiiiPfSC_PS2_PT2_iSB_SB_
__PRETTY_FUNCTION__._Z39paged_attention_ll4mi_QKV_mfma16_kernelIDF16_DF16_LN4vllm18Fp8KVCacheDataTypeE0EhLi32ELi64ELi256ELb0ELi7EEvPKT_PKT0_S7_ifPKiS9_S9_iPKfiiiPfSC_PS2_PT2_iSB_SB_:
	.asciz	"void paged_attention_ll4mi_QKV_mfma16_kernel(const scalar_t *__restrict, const cache_t *__restrict, const cache_t *__restrict, const int, const float, const int *__restrict, const int *__restrict, const int *__restrict, const int, const float *__restrict, const int, const int, const int, float *__restrict, float *__restrict, scalar_t *__restrict, OUTT *__restrict, int, const float *, const float *) [scalar_t = _Float16, cache_t = _Float16, KV_DTYPE = vllm::Fp8KVCacheDataType::kAuto, OUTT = unsigned char, BLOCK_SIZE = 32, HEAD_SIZE = 64, NUM_THREADS = 256, ALIBI_ENABLED = false, GQA_RATIO = 7]"
	.size	__PRETTY_FUNCTION__._Z39paged_attention_ll4mi_QKV_mfma16_kernelIDF16_DF16_LN4vllm18Fp8KVCacheDataTypeE0EhLi32ELi64ELi256ELb0ELi7EEvPKT_PKT0_S7_ifPKiS9_S9_iPKfiiiPfSC_PS2_PT2_iSB_SB_, 600

	.type	__PRETTY_FUNCTION__._Z39paged_attention_ll4mi_QKV_mfma16_kernelIDF16_DF16_LN4vllm18Fp8KVCacheDataTypeE0EhLi32ELi64ELi256ELb0ELi8EEvPKT_PKT0_S7_ifPKiS9_S9_iPKfiiiPfSC_PS2_PT2_iSB_SB_,@object ; @__PRETTY_FUNCTION__._Z39paged_attention_ll4mi_QKV_mfma16_kernelIDF16_DF16_LN4vllm18Fp8KVCacheDataTypeE0EhLi32ELi64ELi256ELb0ELi8EEvPKT_PKT0_S7_ifPKiS9_S9_iPKfiiiPfSC_PS2_PT2_iSB_SB_
__PRETTY_FUNCTION__._Z39paged_attention_ll4mi_QKV_mfma16_kernelIDF16_DF16_LN4vllm18Fp8KVCacheDataTypeE0EhLi32ELi64ELi256ELb0ELi8EEvPKT_PKT0_S7_ifPKiS9_S9_iPKfiiiPfSC_PS2_PT2_iSB_SB_:
	.asciz	"void paged_attention_ll4mi_QKV_mfma16_kernel(const scalar_t *__restrict, const cache_t *__restrict, const cache_t *__restrict, const int, const float, const int *__restrict, const int *__restrict, const int *__restrict, const int, const float *__restrict, const int, const int, const int, float *__restrict, float *__restrict, scalar_t *__restrict, OUTT *__restrict, int, const float *, const float *) [scalar_t = _Float16, cache_t = _Float16, KV_DTYPE = vllm::Fp8KVCacheDataType::kAuto, OUTT = unsigned char, BLOCK_SIZE = 32, HEAD_SIZE = 64, NUM_THREADS = 256, ALIBI_ENABLED = false, GQA_RATIO = 8]"
	.size	__PRETTY_FUNCTION__._Z39paged_attention_ll4mi_QKV_mfma16_kernelIDF16_DF16_LN4vllm18Fp8KVCacheDataTypeE0EhLi32ELi64ELi256ELb0ELi8EEvPKT_PKT0_S7_ifPKiS9_S9_iPKfiiiPfSC_PS2_PT2_iSB_SB_, 600

	.type	__PRETTY_FUNCTION__._Z39paged_attention_ll4mi_QKV_mfma16_kernelIDF16_DF16_LN4vllm18Fp8KVCacheDataTypeE0EhLi32ELi64ELi256ELb0ELi9EEvPKT_PKT0_S7_ifPKiS9_S9_iPKfiiiPfSC_PS2_PT2_iSB_SB_,@object ; @__PRETTY_FUNCTION__._Z39paged_attention_ll4mi_QKV_mfma16_kernelIDF16_DF16_LN4vllm18Fp8KVCacheDataTypeE0EhLi32ELi64ELi256ELb0ELi9EEvPKT_PKT0_S7_ifPKiS9_S9_iPKfiiiPfSC_PS2_PT2_iSB_SB_
__PRETTY_FUNCTION__._Z39paged_attention_ll4mi_QKV_mfma16_kernelIDF16_DF16_LN4vllm18Fp8KVCacheDataTypeE0EhLi32ELi64ELi256ELb0ELi9EEvPKT_PKT0_S7_ifPKiS9_S9_iPKfiiiPfSC_PS2_PT2_iSB_SB_:
	.asciz	"void paged_attention_ll4mi_QKV_mfma16_kernel(const scalar_t *__restrict, const cache_t *__restrict, const cache_t *__restrict, const int, const float, const int *__restrict, const int *__restrict, const int *__restrict, const int, const float *__restrict, const int, const int, const int, float *__restrict, float *__restrict, scalar_t *__restrict, OUTT *__restrict, int, const float *, const float *) [scalar_t = _Float16, cache_t = _Float16, KV_DTYPE = vllm::Fp8KVCacheDataType::kAuto, OUTT = unsigned char, BLOCK_SIZE = 32, HEAD_SIZE = 64, NUM_THREADS = 256, ALIBI_ENABLED = false, GQA_RATIO = 9]"
	.size	__PRETTY_FUNCTION__._Z39paged_attention_ll4mi_QKV_mfma16_kernelIDF16_DF16_LN4vllm18Fp8KVCacheDataTypeE0EhLi32ELi64ELi256ELb0ELi9EEvPKT_PKT0_S7_ifPKiS9_S9_iPKfiiiPfSC_PS2_PT2_iSB_SB_, 600

	.type	__PRETTY_FUNCTION__._Z39paged_attention_ll4mi_QKV_mfma16_kernelIDF16_DF16_LN4vllm18Fp8KVCacheDataTypeE0EhLi32ELi64ELi256ELb0ELi10EEvPKT_PKT0_S7_ifPKiS9_S9_iPKfiiiPfSC_PS2_PT2_iSB_SB_,@object ; @__PRETTY_FUNCTION__._Z39paged_attention_ll4mi_QKV_mfma16_kernelIDF16_DF16_LN4vllm18Fp8KVCacheDataTypeE0EhLi32ELi64ELi256ELb0ELi10EEvPKT_PKT0_S7_ifPKiS9_S9_iPKfiiiPfSC_PS2_PT2_iSB_SB_
__PRETTY_FUNCTION__._Z39paged_attention_ll4mi_QKV_mfma16_kernelIDF16_DF16_LN4vllm18Fp8KVCacheDataTypeE0EhLi32ELi64ELi256ELb0ELi10EEvPKT_PKT0_S7_ifPKiS9_S9_iPKfiiiPfSC_PS2_PT2_iSB_SB_:
	.asciz	"void paged_attention_ll4mi_QKV_mfma16_kernel(const scalar_t *__restrict, const cache_t *__restrict, const cache_t *__restrict, const int, const float, const int *__restrict, const int *__restrict, const int *__restrict, const int, const float *__restrict, const int, const int, const int, float *__restrict, float *__restrict, scalar_t *__restrict, OUTT *__restrict, int, const float *, const float *) [scalar_t = _Float16, cache_t = _Float16, KV_DTYPE = vllm::Fp8KVCacheDataType::kAuto, OUTT = unsigned char, BLOCK_SIZE = 32, HEAD_SIZE = 64, NUM_THREADS = 256, ALIBI_ENABLED = false, GQA_RATIO = 10]"
	.size	__PRETTY_FUNCTION__._Z39paged_attention_ll4mi_QKV_mfma16_kernelIDF16_DF16_LN4vllm18Fp8KVCacheDataTypeE0EhLi32ELi64ELi256ELb0ELi10EEvPKT_PKT0_S7_ifPKiS9_S9_iPKfiiiPfSC_PS2_PT2_iSB_SB_, 601

	.type	__PRETTY_FUNCTION__._Z39paged_attention_ll4mi_QKV_mfma16_kernelIDF16_DF16_LN4vllm18Fp8KVCacheDataTypeE0EhLi32ELi64ELi256ELb0ELi11EEvPKT_PKT0_S7_ifPKiS9_S9_iPKfiiiPfSC_PS2_PT2_iSB_SB_,@object ; @__PRETTY_FUNCTION__._Z39paged_attention_ll4mi_QKV_mfma16_kernelIDF16_DF16_LN4vllm18Fp8KVCacheDataTypeE0EhLi32ELi64ELi256ELb0ELi11EEvPKT_PKT0_S7_ifPKiS9_S9_iPKfiiiPfSC_PS2_PT2_iSB_SB_
__PRETTY_FUNCTION__._Z39paged_attention_ll4mi_QKV_mfma16_kernelIDF16_DF16_LN4vllm18Fp8KVCacheDataTypeE0EhLi32ELi64ELi256ELb0ELi11EEvPKT_PKT0_S7_ifPKiS9_S9_iPKfiiiPfSC_PS2_PT2_iSB_SB_:
	.asciz	"void paged_attention_ll4mi_QKV_mfma16_kernel(const scalar_t *__restrict, const cache_t *__restrict, const cache_t *__restrict, const int, const float, const int *__restrict, const int *__restrict, const int *__restrict, const int, const float *__restrict, const int, const int, const int, float *__restrict, float *__restrict, scalar_t *__restrict, OUTT *__restrict, int, const float *, const float *) [scalar_t = _Float16, cache_t = _Float16, KV_DTYPE = vllm::Fp8KVCacheDataType::kAuto, OUTT = unsigned char, BLOCK_SIZE = 32, HEAD_SIZE = 64, NUM_THREADS = 256, ALIBI_ENABLED = false, GQA_RATIO = 11]"
	.size	__PRETTY_FUNCTION__._Z39paged_attention_ll4mi_QKV_mfma16_kernelIDF16_DF16_LN4vllm18Fp8KVCacheDataTypeE0EhLi32ELi64ELi256ELb0ELi11EEvPKT_PKT0_S7_ifPKiS9_S9_iPKfiiiPfSC_PS2_PT2_iSB_SB_, 601

	.type	__PRETTY_FUNCTION__._Z39paged_attention_ll4mi_QKV_mfma16_kernelIDF16_DF16_LN4vllm18Fp8KVCacheDataTypeE0EhLi32ELi64ELi256ELb0ELi12EEvPKT_PKT0_S7_ifPKiS9_S9_iPKfiiiPfSC_PS2_PT2_iSB_SB_,@object ; @__PRETTY_FUNCTION__._Z39paged_attention_ll4mi_QKV_mfma16_kernelIDF16_DF16_LN4vllm18Fp8KVCacheDataTypeE0EhLi32ELi64ELi256ELb0ELi12EEvPKT_PKT0_S7_ifPKiS9_S9_iPKfiiiPfSC_PS2_PT2_iSB_SB_
__PRETTY_FUNCTION__._Z39paged_attention_ll4mi_QKV_mfma16_kernelIDF16_DF16_LN4vllm18Fp8KVCacheDataTypeE0EhLi32ELi64ELi256ELb0ELi12EEvPKT_PKT0_S7_ifPKiS9_S9_iPKfiiiPfSC_PS2_PT2_iSB_SB_:
	.asciz	"void paged_attention_ll4mi_QKV_mfma16_kernel(const scalar_t *__restrict, const cache_t *__restrict, const cache_t *__restrict, const int, const float, const int *__restrict, const int *__restrict, const int *__restrict, const int, const float *__restrict, const int, const int, const int, float *__restrict, float *__restrict, scalar_t *__restrict, OUTT *__restrict, int, const float *, const float *) [scalar_t = _Float16, cache_t = _Float16, KV_DTYPE = vllm::Fp8KVCacheDataType::kAuto, OUTT = unsigned char, BLOCK_SIZE = 32, HEAD_SIZE = 64, NUM_THREADS = 256, ALIBI_ENABLED = false, GQA_RATIO = 12]"
	.size	__PRETTY_FUNCTION__._Z39paged_attention_ll4mi_QKV_mfma16_kernelIDF16_DF16_LN4vllm18Fp8KVCacheDataTypeE0EhLi32ELi64ELi256ELb0ELi12EEvPKT_PKT0_S7_ifPKiS9_S9_iPKfiiiPfSC_PS2_PT2_iSB_SB_, 601

	.type	__PRETTY_FUNCTION__._Z39paged_attention_ll4mi_QKV_mfma16_kernelIDF16_DF16_LN4vllm18Fp8KVCacheDataTypeE0EhLi32ELi64ELi256ELb0ELi13EEvPKT_PKT0_S7_ifPKiS9_S9_iPKfiiiPfSC_PS2_PT2_iSB_SB_,@object ; @__PRETTY_FUNCTION__._Z39paged_attention_ll4mi_QKV_mfma16_kernelIDF16_DF16_LN4vllm18Fp8KVCacheDataTypeE0EhLi32ELi64ELi256ELb0ELi13EEvPKT_PKT0_S7_ifPKiS9_S9_iPKfiiiPfSC_PS2_PT2_iSB_SB_
__PRETTY_FUNCTION__._Z39paged_attention_ll4mi_QKV_mfma16_kernelIDF16_DF16_LN4vllm18Fp8KVCacheDataTypeE0EhLi32ELi64ELi256ELb0ELi13EEvPKT_PKT0_S7_ifPKiS9_S9_iPKfiiiPfSC_PS2_PT2_iSB_SB_:
	.asciz	"void paged_attention_ll4mi_QKV_mfma16_kernel(const scalar_t *__restrict, const cache_t *__restrict, const cache_t *__restrict, const int, const float, const int *__restrict, const int *__restrict, const int *__restrict, const int, const float *__restrict, const int, const int, const int, float *__restrict, float *__restrict, scalar_t *__restrict, OUTT *__restrict, int, const float *, const float *) [scalar_t = _Float16, cache_t = _Float16, KV_DTYPE = vllm::Fp8KVCacheDataType::kAuto, OUTT = unsigned char, BLOCK_SIZE = 32, HEAD_SIZE = 64, NUM_THREADS = 256, ALIBI_ENABLED = false, GQA_RATIO = 13]"
	.size	__PRETTY_FUNCTION__._Z39paged_attention_ll4mi_QKV_mfma16_kernelIDF16_DF16_LN4vllm18Fp8KVCacheDataTypeE0EhLi32ELi64ELi256ELb0ELi13EEvPKT_PKT0_S7_ifPKiS9_S9_iPKfiiiPfSC_PS2_PT2_iSB_SB_, 601

	.type	__PRETTY_FUNCTION__._Z39paged_attention_ll4mi_QKV_mfma16_kernelIDF16_DF16_LN4vllm18Fp8KVCacheDataTypeE0EhLi32ELi64ELi256ELb0ELi14EEvPKT_PKT0_S7_ifPKiS9_S9_iPKfiiiPfSC_PS2_PT2_iSB_SB_,@object ; @__PRETTY_FUNCTION__._Z39paged_attention_ll4mi_QKV_mfma16_kernelIDF16_DF16_LN4vllm18Fp8KVCacheDataTypeE0EhLi32ELi64ELi256ELb0ELi14EEvPKT_PKT0_S7_ifPKiS9_S9_iPKfiiiPfSC_PS2_PT2_iSB_SB_
__PRETTY_FUNCTION__._Z39paged_attention_ll4mi_QKV_mfma16_kernelIDF16_DF16_LN4vllm18Fp8KVCacheDataTypeE0EhLi32ELi64ELi256ELb0ELi14EEvPKT_PKT0_S7_ifPKiS9_S9_iPKfiiiPfSC_PS2_PT2_iSB_SB_:
	.asciz	"void paged_attention_ll4mi_QKV_mfma16_kernel(const scalar_t *__restrict, const cache_t *__restrict, const cache_t *__restrict, const int, const float, const int *__restrict, const int *__restrict, const int *__restrict, const int, const float *__restrict, const int, const int, const int, float *__restrict, float *__restrict, scalar_t *__restrict, OUTT *__restrict, int, const float *, const float *) [scalar_t = _Float16, cache_t = _Float16, KV_DTYPE = vllm::Fp8KVCacheDataType::kAuto, OUTT = unsigned char, BLOCK_SIZE = 32, HEAD_SIZE = 64, NUM_THREADS = 256, ALIBI_ENABLED = false, GQA_RATIO = 14]"
	.size	__PRETTY_FUNCTION__._Z39paged_attention_ll4mi_QKV_mfma16_kernelIDF16_DF16_LN4vllm18Fp8KVCacheDataTypeE0EhLi32ELi64ELi256ELb0ELi14EEvPKT_PKT0_S7_ifPKiS9_S9_iPKfiiiPfSC_PS2_PT2_iSB_SB_, 601

	.type	__PRETTY_FUNCTION__._Z39paged_attention_ll4mi_QKV_mfma16_kernelIDF16_DF16_LN4vllm18Fp8KVCacheDataTypeE0EhLi32ELi64ELi256ELb0ELi15EEvPKT_PKT0_S7_ifPKiS9_S9_iPKfiiiPfSC_PS2_PT2_iSB_SB_,@object ; @__PRETTY_FUNCTION__._Z39paged_attention_ll4mi_QKV_mfma16_kernelIDF16_DF16_LN4vllm18Fp8KVCacheDataTypeE0EhLi32ELi64ELi256ELb0ELi15EEvPKT_PKT0_S7_ifPKiS9_S9_iPKfiiiPfSC_PS2_PT2_iSB_SB_
__PRETTY_FUNCTION__._Z39paged_attention_ll4mi_QKV_mfma16_kernelIDF16_DF16_LN4vllm18Fp8KVCacheDataTypeE0EhLi32ELi64ELi256ELb0ELi15EEvPKT_PKT0_S7_ifPKiS9_S9_iPKfiiiPfSC_PS2_PT2_iSB_SB_:
	.asciz	"void paged_attention_ll4mi_QKV_mfma16_kernel(const scalar_t *__restrict, const cache_t *__restrict, const cache_t *__restrict, const int, const float, const int *__restrict, const int *__restrict, const int *__restrict, const int, const float *__restrict, const int, const int, const int, float *__restrict, float *__restrict, scalar_t *__restrict, OUTT *__restrict, int, const float *, const float *) [scalar_t = _Float16, cache_t = _Float16, KV_DTYPE = vllm::Fp8KVCacheDataType::kAuto, OUTT = unsigned char, BLOCK_SIZE = 32, HEAD_SIZE = 64, NUM_THREADS = 256, ALIBI_ENABLED = false, GQA_RATIO = 15]"
	.size	__PRETTY_FUNCTION__._Z39paged_attention_ll4mi_QKV_mfma16_kernelIDF16_DF16_LN4vllm18Fp8KVCacheDataTypeE0EhLi32ELi64ELi256ELb0ELi15EEvPKT_PKT0_S7_ifPKiS9_S9_iPKfiiiPfSC_PS2_PT2_iSB_SB_, 601

	.type	__PRETTY_FUNCTION__._Z39paged_attention_ll4mi_QKV_mfma16_kernelIDF16_DF16_LN4vllm18Fp8KVCacheDataTypeE0EhLi32ELi64ELi256ELb0ELi16EEvPKT_PKT0_S7_ifPKiS9_S9_iPKfiiiPfSC_PS2_PT2_iSB_SB_,@object ; @__PRETTY_FUNCTION__._Z39paged_attention_ll4mi_QKV_mfma16_kernelIDF16_DF16_LN4vllm18Fp8KVCacheDataTypeE0EhLi32ELi64ELi256ELb0ELi16EEvPKT_PKT0_S7_ifPKiS9_S9_iPKfiiiPfSC_PS2_PT2_iSB_SB_
__PRETTY_FUNCTION__._Z39paged_attention_ll4mi_QKV_mfma16_kernelIDF16_DF16_LN4vllm18Fp8KVCacheDataTypeE0EhLi32ELi64ELi256ELb0ELi16EEvPKT_PKT0_S7_ifPKiS9_S9_iPKfiiiPfSC_PS2_PT2_iSB_SB_:
	.asciz	"void paged_attention_ll4mi_QKV_mfma16_kernel(const scalar_t *__restrict, const cache_t *__restrict, const cache_t *__restrict, const int, const float, const int *__restrict, const int *__restrict, const int *__restrict, const int, const float *__restrict, const int, const int, const int, float *__restrict, float *__restrict, scalar_t *__restrict, OUTT *__restrict, int, const float *, const float *) [scalar_t = _Float16, cache_t = _Float16, KV_DTYPE = vllm::Fp8KVCacheDataType::kAuto, OUTT = unsigned char, BLOCK_SIZE = 32, HEAD_SIZE = 64, NUM_THREADS = 256, ALIBI_ENABLED = false, GQA_RATIO = 16]"
	.size	__PRETTY_FUNCTION__._Z39paged_attention_ll4mi_QKV_mfma16_kernelIDF16_DF16_LN4vllm18Fp8KVCacheDataTypeE0EhLi32ELi64ELi256ELb0ELi16EEvPKT_PKT0_S7_ifPKiS9_S9_iPKfiiiPfSC_PS2_PT2_iSB_SB_, 601

	.type	__PRETTY_FUNCTION__._Z39paged_attention_ll4mi_QKV_mfma16_kernelIDF16_DF16_LN4vllm18Fp8KVCacheDataTypeE0EhLi32ELi64ELi256ELb0ELi1EEvPKT_PKT0_S7_ifPKiS9_S9_iPKfiiiPfSC_PS2_PT2_iSB_SB_,@object ; @__PRETTY_FUNCTION__._Z39paged_attention_ll4mi_QKV_mfma16_kernelIDF16_DF16_LN4vllm18Fp8KVCacheDataTypeE0EhLi32ELi64ELi256ELb0ELi1EEvPKT_PKT0_S7_ifPKiS9_S9_iPKfiiiPfSC_PS2_PT2_iSB_SB_
__PRETTY_FUNCTION__._Z39paged_attention_ll4mi_QKV_mfma16_kernelIDF16_DF16_LN4vllm18Fp8KVCacheDataTypeE0EhLi32ELi64ELi256ELb0ELi1EEvPKT_PKT0_S7_ifPKiS9_S9_iPKfiiiPfSC_PS2_PT2_iSB_SB_:
	.asciz	"void paged_attention_ll4mi_QKV_mfma16_kernel(const scalar_t *__restrict, const cache_t *__restrict, const cache_t *__restrict, const int, const float, const int *__restrict, const int *__restrict, const int *__restrict, const int, const float *__restrict, const int, const int, const int, float *__restrict, float *__restrict, scalar_t *__restrict, OUTT *__restrict, int, const float *, const float *) [scalar_t = _Float16, cache_t = _Float16, KV_DTYPE = vllm::Fp8KVCacheDataType::kAuto, OUTT = unsigned char, BLOCK_SIZE = 32, HEAD_SIZE = 64, NUM_THREADS = 256, ALIBI_ENABLED = false, GQA_RATIO = 1]"
	.size	__PRETTY_FUNCTION__._Z39paged_attention_ll4mi_QKV_mfma16_kernelIDF16_DF16_LN4vllm18Fp8KVCacheDataTypeE0EhLi32ELi64ELi256ELb0ELi1EEvPKT_PKT0_S7_ifPKiS9_S9_iPKfiiiPfSC_PS2_PT2_iSB_SB_, 600

	.type	__PRETTY_FUNCTION__._Z39paged_attention_ll4mi_QKV_mfma16_kernelIDF16_DF16_LN4vllm18Fp8KVCacheDataTypeE0EhLi32ELi64ELi256ELb0ELi2EEvPKT_PKT0_S7_ifPKiS9_S9_iPKfiiiPfSC_PS2_PT2_iSB_SB_,@object ; @__PRETTY_FUNCTION__._Z39paged_attention_ll4mi_QKV_mfma16_kernelIDF16_DF16_LN4vllm18Fp8KVCacheDataTypeE0EhLi32ELi64ELi256ELb0ELi2EEvPKT_PKT0_S7_ifPKiS9_S9_iPKfiiiPfSC_PS2_PT2_iSB_SB_
__PRETTY_FUNCTION__._Z39paged_attention_ll4mi_QKV_mfma16_kernelIDF16_DF16_LN4vllm18Fp8KVCacheDataTypeE0EhLi32ELi64ELi256ELb0ELi2EEvPKT_PKT0_S7_ifPKiS9_S9_iPKfiiiPfSC_PS2_PT2_iSB_SB_:
	.asciz	"void paged_attention_ll4mi_QKV_mfma16_kernel(const scalar_t *__restrict, const cache_t *__restrict, const cache_t *__restrict, const int, const float, const int *__restrict, const int *__restrict, const int *__restrict, const int, const float *__restrict, const int, const int, const int, float *__restrict, float *__restrict, scalar_t *__restrict, OUTT *__restrict, int, const float *, const float *) [scalar_t = _Float16, cache_t = _Float16, KV_DTYPE = vllm::Fp8KVCacheDataType::kAuto, OUTT = unsigned char, BLOCK_SIZE = 32, HEAD_SIZE = 64, NUM_THREADS = 256, ALIBI_ENABLED = false, GQA_RATIO = 2]"
	.size	__PRETTY_FUNCTION__._Z39paged_attention_ll4mi_QKV_mfma16_kernelIDF16_DF16_LN4vllm18Fp8KVCacheDataTypeE0EhLi32ELi64ELi256ELb0ELi2EEvPKT_PKT0_S7_ifPKiS9_S9_iPKfiiiPfSC_PS2_PT2_iSB_SB_, 600

	.type	__PRETTY_FUNCTION__._Z39paged_attention_ll4mi_QKV_mfma16_kernelIDF16_DF16_LN4vllm18Fp8KVCacheDataTypeE0EhLi32ELi64ELi256ELb0ELi3EEvPKT_PKT0_S7_ifPKiS9_S9_iPKfiiiPfSC_PS2_PT2_iSB_SB_,@object ; @__PRETTY_FUNCTION__._Z39paged_attention_ll4mi_QKV_mfma16_kernelIDF16_DF16_LN4vllm18Fp8KVCacheDataTypeE0EhLi32ELi64ELi256ELb0ELi3EEvPKT_PKT0_S7_ifPKiS9_S9_iPKfiiiPfSC_PS2_PT2_iSB_SB_
__PRETTY_FUNCTION__._Z39paged_attention_ll4mi_QKV_mfma16_kernelIDF16_DF16_LN4vllm18Fp8KVCacheDataTypeE0EhLi32ELi64ELi256ELb0ELi3EEvPKT_PKT0_S7_ifPKiS9_S9_iPKfiiiPfSC_PS2_PT2_iSB_SB_:
	.asciz	"void paged_attention_ll4mi_QKV_mfma16_kernel(const scalar_t *__restrict, const cache_t *__restrict, const cache_t *__restrict, const int, const float, const int *__restrict, const int *__restrict, const int *__restrict, const int, const float *__restrict, const int, const int, const int, float *__restrict, float *__restrict, scalar_t *__restrict, OUTT *__restrict, int, const float *, const float *) [scalar_t = _Float16, cache_t = _Float16, KV_DTYPE = vllm::Fp8KVCacheDataType::kAuto, OUTT = unsigned char, BLOCK_SIZE = 32, HEAD_SIZE = 64, NUM_THREADS = 256, ALIBI_ENABLED = false, GQA_RATIO = 3]"
	.size	__PRETTY_FUNCTION__._Z39paged_attention_ll4mi_QKV_mfma16_kernelIDF16_DF16_LN4vllm18Fp8KVCacheDataTypeE0EhLi32ELi64ELi256ELb0ELi3EEvPKT_PKT0_S7_ifPKiS9_S9_iPKfiiiPfSC_PS2_PT2_iSB_SB_, 600

	.type	__PRETTY_FUNCTION__._Z39paged_attention_ll4mi_QKV_mfma16_kernelIDF16_DF16_LN4vllm18Fp8KVCacheDataTypeE0EhLi32ELi64ELi256ELb0ELi4EEvPKT_PKT0_S7_ifPKiS9_S9_iPKfiiiPfSC_PS2_PT2_iSB_SB_,@object ; @__PRETTY_FUNCTION__._Z39paged_attention_ll4mi_QKV_mfma16_kernelIDF16_DF16_LN4vllm18Fp8KVCacheDataTypeE0EhLi32ELi64ELi256ELb0ELi4EEvPKT_PKT0_S7_ifPKiS9_S9_iPKfiiiPfSC_PS2_PT2_iSB_SB_
__PRETTY_FUNCTION__._Z39paged_attention_ll4mi_QKV_mfma16_kernelIDF16_DF16_LN4vllm18Fp8KVCacheDataTypeE0EhLi32ELi64ELi256ELb0ELi4EEvPKT_PKT0_S7_ifPKiS9_S9_iPKfiiiPfSC_PS2_PT2_iSB_SB_:
	.asciz	"void paged_attention_ll4mi_QKV_mfma16_kernel(const scalar_t *__restrict, const cache_t *__restrict, const cache_t *__restrict, const int, const float, const int *__restrict, const int *__restrict, const int *__restrict, const int, const float *__restrict, const int, const int, const int, float *__restrict, float *__restrict, scalar_t *__restrict, OUTT *__restrict, int, const float *, const float *) [scalar_t = _Float16, cache_t = _Float16, KV_DTYPE = vllm::Fp8KVCacheDataType::kAuto, OUTT = unsigned char, BLOCK_SIZE = 32, HEAD_SIZE = 64, NUM_THREADS = 256, ALIBI_ENABLED = false, GQA_RATIO = 4]"
	.size	__PRETTY_FUNCTION__._Z39paged_attention_ll4mi_QKV_mfma16_kernelIDF16_DF16_LN4vllm18Fp8KVCacheDataTypeE0EhLi32ELi64ELi256ELb0ELi4EEvPKT_PKT0_S7_ifPKiS9_S9_iPKfiiiPfSC_PS2_PT2_iSB_SB_, 600

	.type	__PRETTY_FUNCTION__._Z38paged_attention_ll4mi_QKV_mfma4_kernelIDF16_DF16_LN4vllm18Fp8KVCacheDataTypeE0EDF16_Li32ELi64ELi256ELb1ELi1EEvPKT_PKT0_S7_ifPKiS9_S9_iPKfiiiPfSC_PS2_PT2_iSB_SB_,@object ; @__PRETTY_FUNCTION__._Z38paged_attention_ll4mi_QKV_mfma4_kernelIDF16_DF16_LN4vllm18Fp8KVCacheDataTypeE0EDF16_Li32ELi64ELi256ELb1ELi1EEvPKT_PKT0_S7_ifPKiS9_S9_iPKfiiiPfSC_PS2_PT2_iSB_SB_
__PRETTY_FUNCTION__._Z38paged_attention_ll4mi_QKV_mfma4_kernelIDF16_DF16_LN4vllm18Fp8KVCacheDataTypeE0EDF16_Li32ELi64ELi256ELb1ELi1EEvPKT_PKT0_S7_ifPKiS9_S9_iPKfiiiPfSC_PS2_PT2_iSB_SB_:
	.asciz	"void paged_attention_ll4mi_QKV_mfma4_kernel(const scalar_t *__restrict, const cache_t *__restrict, const cache_t *__restrict, const int, const float, const int *__restrict, const int *__restrict, const int *__restrict, const int, const float *__restrict, const int, const int, const int, float *__restrict, float *__restrict, scalar_t *__restrict, OUTT *__restrict, int, const float *, const float *) [scalar_t = _Float16, cache_t = _Float16, KV_DTYPE = vllm::Fp8KVCacheDataType::kAuto, OUTT = _Float16, BLOCK_SIZE = 32, HEAD_SIZE = 64, NUM_THREADS = 256, ALIBI_ENABLED = true, GQA_RATIO = 1]"
	.size	__PRETTY_FUNCTION__._Z38paged_attention_ll4mi_QKV_mfma4_kernelIDF16_DF16_LN4vllm18Fp8KVCacheDataTypeE0EDF16_Li32ELi64ELi256ELb1ELi1EEvPKT_PKT0_S7_ifPKiS9_S9_iPKfiiiPfSC_PS2_PT2_iSB_SB_, 593

	.type	__PRETTY_FUNCTION__._Z38paged_attention_ll4mi_QKV_mfma4_kernelIDF16_DF16_LN4vllm18Fp8KVCacheDataTypeE0EDF16_Li32ELi64ELi256ELb1ELi2EEvPKT_PKT0_S7_ifPKiS9_S9_iPKfiiiPfSC_PS2_PT2_iSB_SB_,@object ; @__PRETTY_FUNCTION__._Z38paged_attention_ll4mi_QKV_mfma4_kernelIDF16_DF16_LN4vllm18Fp8KVCacheDataTypeE0EDF16_Li32ELi64ELi256ELb1ELi2EEvPKT_PKT0_S7_ifPKiS9_S9_iPKfiiiPfSC_PS2_PT2_iSB_SB_
__PRETTY_FUNCTION__._Z38paged_attention_ll4mi_QKV_mfma4_kernelIDF16_DF16_LN4vllm18Fp8KVCacheDataTypeE0EDF16_Li32ELi64ELi256ELb1ELi2EEvPKT_PKT0_S7_ifPKiS9_S9_iPKfiiiPfSC_PS2_PT2_iSB_SB_:
	.asciz	"void paged_attention_ll4mi_QKV_mfma4_kernel(const scalar_t *__restrict, const cache_t *__restrict, const cache_t *__restrict, const int, const float, const int *__restrict, const int *__restrict, const int *__restrict, const int, const float *__restrict, const int, const int, const int, float *__restrict, float *__restrict, scalar_t *__restrict, OUTT *__restrict, int, const float *, const float *) [scalar_t = _Float16, cache_t = _Float16, KV_DTYPE = vllm::Fp8KVCacheDataType::kAuto, OUTT = _Float16, BLOCK_SIZE = 32, HEAD_SIZE = 64, NUM_THREADS = 256, ALIBI_ENABLED = true, GQA_RATIO = 2]"
	.size	__PRETTY_FUNCTION__._Z38paged_attention_ll4mi_QKV_mfma4_kernelIDF16_DF16_LN4vllm18Fp8KVCacheDataTypeE0EDF16_Li32ELi64ELi256ELb1ELi2EEvPKT_PKT0_S7_ifPKiS9_S9_iPKfiiiPfSC_PS2_PT2_iSB_SB_, 593

	.type	__PRETTY_FUNCTION__._Z38paged_attention_ll4mi_QKV_mfma4_kernelIDF16_DF16_LN4vllm18Fp8KVCacheDataTypeE0EDF16_Li32ELi64ELi256ELb1ELi3EEvPKT_PKT0_S7_ifPKiS9_S9_iPKfiiiPfSC_PS2_PT2_iSB_SB_,@object ; @__PRETTY_FUNCTION__._Z38paged_attention_ll4mi_QKV_mfma4_kernelIDF16_DF16_LN4vllm18Fp8KVCacheDataTypeE0EDF16_Li32ELi64ELi256ELb1ELi3EEvPKT_PKT0_S7_ifPKiS9_S9_iPKfiiiPfSC_PS2_PT2_iSB_SB_
__PRETTY_FUNCTION__._Z38paged_attention_ll4mi_QKV_mfma4_kernelIDF16_DF16_LN4vllm18Fp8KVCacheDataTypeE0EDF16_Li32ELi64ELi256ELb1ELi3EEvPKT_PKT0_S7_ifPKiS9_S9_iPKfiiiPfSC_PS2_PT2_iSB_SB_:
	.asciz	"void paged_attention_ll4mi_QKV_mfma4_kernel(const scalar_t *__restrict, const cache_t *__restrict, const cache_t *__restrict, const int, const float, const int *__restrict, const int *__restrict, const int *__restrict, const int, const float *__restrict, const int, const int, const int, float *__restrict, float *__restrict, scalar_t *__restrict, OUTT *__restrict, int, const float *, const float *) [scalar_t = _Float16, cache_t = _Float16, KV_DTYPE = vllm::Fp8KVCacheDataType::kAuto, OUTT = _Float16, BLOCK_SIZE = 32, HEAD_SIZE = 64, NUM_THREADS = 256, ALIBI_ENABLED = true, GQA_RATIO = 3]"
	.size	__PRETTY_FUNCTION__._Z38paged_attention_ll4mi_QKV_mfma4_kernelIDF16_DF16_LN4vllm18Fp8KVCacheDataTypeE0EDF16_Li32ELi64ELi256ELb1ELi3EEvPKT_PKT0_S7_ifPKiS9_S9_iPKfiiiPfSC_PS2_PT2_iSB_SB_, 593

	.type	__PRETTY_FUNCTION__._Z38paged_attention_ll4mi_QKV_mfma4_kernelIDF16_DF16_LN4vllm18Fp8KVCacheDataTypeE0EDF16_Li32ELi64ELi256ELb1ELi4EEvPKT_PKT0_S7_ifPKiS9_S9_iPKfiiiPfSC_PS2_PT2_iSB_SB_,@object ; @__PRETTY_FUNCTION__._Z38paged_attention_ll4mi_QKV_mfma4_kernelIDF16_DF16_LN4vllm18Fp8KVCacheDataTypeE0EDF16_Li32ELi64ELi256ELb1ELi4EEvPKT_PKT0_S7_ifPKiS9_S9_iPKfiiiPfSC_PS2_PT2_iSB_SB_
__PRETTY_FUNCTION__._Z38paged_attention_ll4mi_QKV_mfma4_kernelIDF16_DF16_LN4vllm18Fp8KVCacheDataTypeE0EDF16_Li32ELi64ELi256ELb1ELi4EEvPKT_PKT0_S7_ifPKiS9_S9_iPKfiiiPfSC_PS2_PT2_iSB_SB_:
	.asciz	"void paged_attention_ll4mi_QKV_mfma4_kernel(const scalar_t *__restrict, const cache_t *__restrict, const cache_t *__restrict, const int, const float, const int *__restrict, const int *__restrict, const int *__restrict, const int, const float *__restrict, const int, const int, const int, float *__restrict, float *__restrict, scalar_t *__restrict, OUTT *__restrict, int, const float *, const float *) [scalar_t = _Float16, cache_t = _Float16, KV_DTYPE = vllm::Fp8KVCacheDataType::kAuto, OUTT = _Float16, BLOCK_SIZE = 32, HEAD_SIZE = 64, NUM_THREADS = 256, ALIBI_ENABLED = true, GQA_RATIO = 4]"
	.size	__PRETTY_FUNCTION__._Z38paged_attention_ll4mi_QKV_mfma4_kernelIDF16_DF16_LN4vllm18Fp8KVCacheDataTypeE0EDF16_Li32ELi64ELi256ELb1ELi4EEvPKT_PKT0_S7_ifPKiS9_S9_iPKfiiiPfSC_PS2_PT2_iSB_SB_, 593

	.type	__PRETTY_FUNCTION__._Z39paged_attention_ll4mi_QKV_mfma16_kernelIDF16_DF16_LN4vllm18Fp8KVCacheDataTypeE0EDF16_Li32ELi64ELi256ELb1ELi5EEvPKT_PKT0_S7_ifPKiS9_S9_iPKfiiiPfSC_PS2_PT2_iSB_SB_,@object ; @__PRETTY_FUNCTION__._Z39paged_attention_ll4mi_QKV_mfma16_kernelIDF16_DF16_LN4vllm18Fp8KVCacheDataTypeE0EDF16_Li32ELi64ELi256ELb1ELi5EEvPKT_PKT0_S7_ifPKiS9_S9_iPKfiiiPfSC_PS2_PT2_iSB_SB_
__PRETTY_FUNCTION__._Z39paged_attention_ll4mi_QKV_mfma16_kernelIDF16_DF16_LN4vllm18Fp8KVCacheDataTypeE0EDF16_Li32ELi64ELi256ELb1ELi5EEvPKT_PKT0_S7_ifPKiS9_S9_iPKfiiiPfSC_PS2_PT2_iSB_SB_:
	.asciz	"void paged_attention_ll4mi_QKV_mfma16_kernel(const scalar_t *__restrict, const cache_t *__restrict, const cache_t *__restrict, const int, const float, const int *__restrict, const int *__restrict, const int *__restrict, const int, const float *__restrict, const int, const int, const int, float *__restrict, float *__restrict, scalar_t *__restrict, OUTT *__restrict, int, const float *, const float *) [scalar_t = _Float16, cache_t = _Float16, KV_DTYPE = vllm::Fp8KVCacheDataType::kAuto, OUTT = _Float16, BLOCK_SIZE = 32, HEAD_SIZE = 64, NUM_THREADS = 256, ALIBI_ENABLED = true, GQA_RATIO = 5]"
	.size	__PRETTY_FUNCTION__._Z39paged_attention_ll4mi_QKV_mfma16_kernelIDF16_DF16_LN4vllm18Fp8KVCacheDataTypeE0EDF16_Li32ELi64ELi256ELb1ELi5EEvPKT_PKT0_S7_ifPKiS9_S9_iPKfiiiPfSC_PS2_PT2_iSB_SB_, 594

	.type	__PRETTY_FUNCTION__._Z39paged_attention_ll4mi_QKV_mfma16_kernelIDF16_DF16_LN4vllm18Fp8KVCacheDataTypeE0EDF16_Li32ELi64ELi256ELb1ELi6EEvPKT_PKT0_S7_ifPKiS9_S9_iPKfiiiPfSC_PS2_PT2_iSB_SB_,@object ; @__PRETTY_FUNCTION__._Z39paged_attention_ll4mi_QKV_mfma16_kernelIDF16_DF16_LN4vllm18Fp8KVCacheDataTypeE0EDF16_Li32ELi64ELi256ELb1ELi6EEvPKT_PKT0_S7_ifPKiS9_S9_iPKfiiiPfSC_PS2_PT2_iSB_SB_
__PRETTY_FUNCTION__._Z39paged_attention_ll4mi_QKV_mfma16_kernelIDF16_DF16_LN4vllm18Fp8KVCacheDataTypeE0EDF16_Li32ELi64ELi256ELb1ELi6EEvPKT_PKT0_S7_ifPKiS9_S9_iPKfiiiPfSC_PS2_PT2_iSB_SB_:
	.asciz	"void paged_attention_ll4mi_QKV_mfma16_kernel(const scalar_t *__restrict, const cache_t *__restrict, const cache_t *__restrict, const int, const float, const int *__restrict, const int *__restrict, const int *__restrict, const int, const float *__restrict, const int, const int, const int, float *__restrict, float *__restrict, scalar_t *__restrict, OUTT *__restrict, int, const float *, const float *) [scalar_t = _Float16, cache_t = _Float16, KV_DTYPE = vllm::Fp8KVCacheDataType::kAuto, OUTT = _Float16, BLOCK_SIZE = 32, HEAD_SIZE = 64, NUM_THREADS = 256, ALIBI_ENABLED = true, GQA_RATIO = 6]"
	.size	__PRETTY_FUNCTION__._Z39paged_attention_ll4mi_QKV_mfma16_kernelIDF16_DF16_LN4vllm18Fp8KVCacheDataTypeE0EDF16_Li32ELi64ELi256ELb1ELi6EEvPKT_PKT0_S7_ifPKiS9_S9_iPKfiiiPfSC_PS2_PT2_iSB_SB_, 594

	.type	__PRETTY_FUNCTION__._Z39paged_attention_ll4mi_QKV_mfma16_kernelIDF16_DF16_LN4vllm18Fp8KVCacheDataTypeE0EDF16_Li32ELi64ELi256ELb1ELi7EEvPKT_PKT0_S7_ifPKiS9_S9_iPKfiiiPfSC_PS2_PT2_iSB_SB_,@object ; @__PRETTY_FUNCTION__._Z39paged_attention_ll4mi_QKV_mfma16_kernelIDF16_DF16_LN4vllm18Fp8KVCacheDataTypeE0EDF16_Li32ELi64ELi256ELb1ELi7EEvPKT_PKT0_S7_ifPKiS9_S9_iPKfiiiPfSC_PS2_PT2_iSB_SB_
__PRETTY_FUNCTION__._Z39paged_attention_ll4mi_QKV_mfma16_kernelIDF16_DF16_LN4vllm18Fp8KVCacheDataTypeE0EDF16_Li32ELi64ELi256ELb1ELi7EEvPKT_PKT0_S7_ifPKiS9_S9_iPKfiiiPfSC_PS2_PT2_iSB_SB_:
	.asciz	"void paged_attention_ll4mi_QKV_mfma16_kernel(const scalar_t *__restrict, const cache_t *__restrict, const cache_t *__restrict, const int, const float, const int *__restrict, const int *__restrict, const int *__restrict, const int, const float *__restrict, const int, const int, const int, float *__restrict, float *__restrict, scalar_t *__restrict, OUTT *__restrict, int, const float *, const float *) [scalar_t = _Float16, cache_t = _Float16, KV_DTYPE = vllm::Fp8KVCacheDataType::kAuto, OUTT = _Float16, BLOCK_SIZE = 32, HEAD_SIZE = 64, NUM_THREADS = 256, ALIBI_ENABLED = true, GQA_RATIO = 7]"
	.size	__PRETTY_FUNCTION__._Z39paged_attention_ll4mi_QKV_mfma16_kernelIDF16_DF16_LN4vllm18Fp8KVCacheDataTypeE0EDF16_Li32ELi64ELi256ELb1ELi7EEvPKT_PKT0_S7_ifPKiS9_S9_iPKfiiiPfSC_PS2_PT2_iSB_SB_, 594

	.type	__PRETTY_FUNCTION__._Z39paged_attention_ll4mi_QKV_mfma16_kernelIDF16_DF16_LN4vllm18Fp8KVCacheDataTypeE0EDF16_Li32ELi64ELi256ELb1ELi8EEvPKT_PKT0_S7_ifPKiS9_S9_iPKfiiiPfSC_PS2_PT2_iSB_SB_,@object ; @__PRETTY_FUNCTION__._Z39paged_attention_ll4mi_QKV_mfma16_kernelIDF16_DF16_LN4vllm18Fp8KVCacheDataTypeE0EDF16_Li32ELi64ELi256ELb1ELi8EEvPKT_PKT0_S7_ifPKiS9_S9_iPKfiiiPfSC_PS2_PT2_iSB_SB_
__PRETTY_FUNCTION__._Z39paged_attention_ll4mi_QKV_mfma16_kernelIDF16_DF16_LN4vllm18Fp8KVCacheDataTypeE0EDF16_Li32ELi64ELi256ELb1ELi8EEvPKT_PKT0_S7_ifPKiS9_S9_iPKfiiiPfSC_PS2_PT2_iSB_SB_:
	.asciz	"void paged_attention_ll4mi_QKV_mfma16_kernel(const scalar_t *__restrict, const cache_t *__restrict, const cache_t *__restrict, const int, const float, const int *__restrict, const int *__restrict, const int *__restrict, const int, const float *__restrict, const int, const int, const int, float *__restrict, float *__restrict, scalar_t *__restrict, OUTT *__restrict, int, const float *, const float *) [scalar_t = _Float16, cache_t = _Float16, KV_DTYPE = vllm::Fp8KVCacheDataType::kAuto, OUTT = _Float16, BLOCK_SIZE = 32, HEAD_SIZE = 64, NUM_THREADS = 256, ALIBI_ENABLED = true, GQA_RATIO = 8]"
	.size	__PRETTY_FUNCTION__._Z39paged_attention_ll4mi_QKV_mfma16_kernelIDF16_DF16_LN4vllm18Fp8KVCacheDataTypeE0EDF16_Li32ELi64ELi256ELb1ELi8EEvPKT_PKT0_S7_ifPKiS9_S9_iPKfiiiPfSC_PS2_PT2_iSB_SB_, 594

	.type	__PRETTY_FUNCTION__._Z39paged_attention_ll4mi_QKV_mfma16_kernelIDF16_DF16_LN4vllm18Fp8KVCacheDataTypeE0EDF16_Li32ELi64ELi256ELb1ELi9EEvPKT_PKT0_S7_ifPKiS9_S9_iPKfiiiPfSC_PS2_PT2_iSB_SB_,@object ; @__PRETTY_FUNCTION__._Z39paged_attention_ll4mi_QKV_mfma16_kernelIDF16_DF16_LN4vllm18Fp8KVCacheDataTypeE0EDF16_Li32ELi64ELi256ELb1ELi9EEvPKT_PKT0_S7_ifPKiS9_S9_iPKfiiiPfSC_PS2_PT2_iSB_SB_
__PRETTY_FUNCTION__._Z39paged_attention_ll4mi_QKV_mfma16_kernelIDF16_DF16_LN4vllm18Fp8KVCacheDataTypeE0EDF16_Li32ELi64ELi256ELb1ELi9EEvPKT_PKT0_S7_ifPKiS9_S9_iPKfiiiPfSC_PS2_PT2_iSB_SB_:
	.asciz	"void paged_attention_ll4mi_QKV_mfma16_kernel(const scalar_t *__restrict, const cache_t *__restrict, const cache_t *__restrict, const int, const float, const int *__restrict, const int *__restrict, const int *__restrict, const int, const float *__restrict, const int, const int, const int, float *__restrict, float *__restrict, scalar_t *__restrict, OUTT *__restrict, int, const float *, const float *) [scalar_t = _Float16, cache_t = _Float16, KV_DTYPE = vllm::Fp8KVCacheDataType::kAuto, OUTT = _Float16, BLOCK_SIZE = 32, HEAD_SIZE = 64, NUM_THREADS = 256, ALIBI_ENABLED = true, GQA_RATIO = 9]"
	.size	__PRETTY_FUNCTION__._Z39paged_attention_ll4mi_QKV_mfma16_kernelIDF16_DF16_LN4vllm18Fp8KVCacheDataTypeE0EDF16_Li32ELi64ELi256ELb1ELi9EEvPKT_PKT0_S7_ifPKiS9_S9_iPKfiiiPfSC_PS2_PT2_iSB_SB_, 594

	.type	__PRETTY_FUNCTION__._Z39paged_attention_ll4mi_QKV_mfma16_kernelIDF16_DF16_LN4vllm18Fp8KVCacheDataTypeE0EDF16_Li32ELi64ELi256ELb1ELi10EEvPKT_PKT0_S7_ifPKiS9_S9_iPKfiiiPfSC_PS2_PT2_iSB_SB_,@object ; @__PRETTY_FUNCTION__._Z39paged_attention_ll4mi_QKV_mfma16_kernelIDF16_DF16_LN4vllm18Fp8KVCacheDataTypeE0EDF16_Li32ELi64ELi256ELb1ELi10EEvPKT_PKT0_S7_ifPKiS9_S9_iPKfiiiPfSC_PS2_PT2_iSB_SB_
__PRETTY_FUNCTION__._Z39paged_attention_ll4mi_QKV_mfma16_kernelIDF16_DF16_LN4vllm18Fp8KVCacheDataTypeE0EDF16_Li32ELi64ELi256ELb1ELi10EEvPKT_PKT0_S7_ifPKiS9_S9_iPKfiiiPfSC_PS2_PT2_iSB_SB_:
	.asciz	"void paged_attention_ll4mi_QKV_mfma16_kernel(const scalar_t *__restrict, const cache_t *__restrict, const cache_t *__restrict, const int, const float, const int *__restrict, const int *__restrict, const int *__restrict, const int, const float *__restrict, const int, const int, const int, float *__restrict, float *__restrict, scalar_t *__restrict, OUTT *__restrict, int, const float *, const float *) [scalar_t = _Float16, cache_t = _Float16, KV_DTYPE = vllm::Fp8KVCacheDataType::kAuto, OUTT = _Float16, BLOCK_SIZE = 32, HEAD_SIZE = 64, NUM_THREADS = 256, ALIBI_ENABLED = true, GQA_RATIO = 10]"
	.size	__PRETTY_FUNCTION__._Z39paged_attention_ll4mi_QKV_mfma16_kernelIDF16_DF16_LN4vllm18Fp8KVCacheDataTypeE0EDF16_Li32ELi64ELi256ELb1ELi10EEvPKT_PKT0_S7_ifPKiS9_S9_iPKfiiiPfSC_PS2_PT2_iSB_SB_, 595

	.type	__PRETTY_FUNCTION__._Z39paged_attention_ll4mi_QKV_mfma16_kernelIDF16_DF16_LN4vllm18Fp8KVCacheDataTypeE0EDF16_Li32ELi64ELi256ELb1ELi11EEvPKT_PKT0_S7_ifPKiS9_S9_iPKfiiiPfSC_PS2_PT2_iSB_SB_,@object ; @__PRETTY_FUNCTION__._Z39paged_attention_ll4mi_QKV_mfma16_kernelIDF16_DF16_LN4vllm18Fp8KVCacheDataTypeE0EDF16_Li32ELi64ELi256ELb1ELi11EEvPKT_PKT0_S7_ifPKiS9_S9_iPKfiiiPfSC_PS2_PT2_iSB_SB_
__PRETTY_FUNCTION__._Z39paged_attention_ll4mi_QKV_mfma16_kernelIDF16_DF16_LN4vllm18Fp8KVCacheDataTypeE0EDF16_Li32ELi64ELi256ELb1ELi11EEvPKT_PKT0_S7_ifPKiS9_S9_iPKfiiiPfSC_PS2_PT2_iSB_SB_:
	.asciz	"void paged_attention_ll4mi_QKV_mfma16_kernel(const scalar_t *__restrict, const cache_t *__restrict, const cache_t *__restrict, const int, const float, const int *__restrict, const int *__restrict, const int *__restrict, const int, const float *__restrict, const int, const int, const int, float *__restrict, float *__restrict, scalar_t *__restrict, OUTT *__restrict, int, const float *, const float *) [scalar_t = _Float16, cache_t = _Float16, KV_DTYPE = vllm::Fp8KVCacheDataType::kAuto, OUTT = _Float16, BLOCK_SIZE = 32, HEAD_SIZE = 64, NUM_THREADS = 256, ALIBI_ENABLED = true, GQA_RATIO = 11]"
	.size	__PRETTY_FUNCTION__._Z39paged_attention_ll4mi_QKV_mfma16_kernelIDF16_DF16_LN4vllm18Fp8KVCacheDataTypeE0EDF16_Li32ELi64ELi256ELb1ELi11EEvPKT_PKT0_S7_ifPKiS9_S9_iPKfiiiPfSC_PS2_PT2_iSB_SB_, 595

	.type	__PRETTY_FUNCTION__._Z39paged_attention_ll4mi_QKV_mfma16_kernelIDF16_DF16_LN4vllm18Fp8KVCacheDataTypeE0EDF16_Li32ELi64ELi256ELb1ELi12EEvPKT_PKT0_S7_ifPKiS9_S9_iPKfiiiPfSC_PS2_PT2_iSB_SB_,@object ; @__PRETTY_FUNCTION__._Z39paged_attention_ll4mi_QKV_mfma16_kernelIDF16_DF16_LN4vllm18Fp8KVCacheDataTypeE0EDF16_Li32ELi64ELi256ELb1ELi12EEvPKT_PKT0_S7_ifPKiS9_S9_iPKfiiiPfSC_PS2_PT2_iSB_SB_
__PRETTY_FUNCTION__._Z39paged_attention_ll4mi_QKV_mfma16_kernelIDF16_DF16_LN4vllm18Fp8KVCacheDataTypeE0EDF16_Li32ELi64ELi256ELb1ELi12EEvPKT_PKT0_S7_ifPKiS9_S9_iPKfiiiPfSC_PS2_PT2_iSB_SB_:
	.asciz	"void paged_attention_ll4mi_QKV_mfma16_kernel(const scalar_t *__restrict, const cache_t *__restrict, const cache_t *__restrict, const int, const float, const int *__restrict, const int *__restrict, const int *__restrict, const int, const float *__restrict, const int, const int, const int, float *__restrict, float *__restrict, scalar_t *__restrict, OUTT *__restrict, int, const float *, const float *) [scalar_t = _Float16, cache_t = _Float16, KV_DTYPE = vllm::Fp8KVCacheDataType::kAuto, OUTT = _Float16, BLOCK_SIZE = 32, HEAD_SIZE = 64, NUM_THREADS = 256, ALIBI_ENABLED = true, GQA_RATIO = 12]"
	.size	__PRETTY_FUNCTION__._Z39paged_attention_ll4mi_QKV_mfma16_kernelIDF16_DF16_LN4vllm18Fp8KVCacheDataTypeE0EDF16_Li32ELi64ELi256ELb1ELi12EEvPKT_PKT0_S7_ifPKiS9_S9_iPKfiiiPfSC_PS2_PT2_iSB_SB_, 595

	.type	__PRETTY_FUNCTION__._Z39paged_attention_ll4mi_QKV_mfma16_kernelIDF16_DF16_LN4vllm18Fp8KVCacheDataTypeE0EDF16_Li32ELi64ELi256ELb1ELi13EEvPKT_PKT0_S7_ifPKiS9_S9_iPKfiiiPfSC_PS2_PT2_iSB_SB_,@object ; @__PRETTY_FUNCTION__._Z39paged_attention_ll4mi_QKV_mfma16_kernelIDF16_DF16_LN4vllm18Fp8KVCacheDataTypeE0EDF16_Li32ELi64ELi256ELb1ELi13EEvPKT_PKT0_S7_ifPKiS9_S9_iPKfiiiPfSC_PS2_PT2_iSB_SB_
__PRETTY_FUNCTION__._Z39paged_attention_ll4mi_QKV_mfma16_kernelIDF16_DF16_LN4vllm18Fp8KVCacheDataTypeE0EDF16_Li32ELi64ELi256ELb1ELi13EEvPKT_PKT0_S7_ifPKiS9_S9_iPKfiiiPfSC_PS2_PT2_iSB_SB_:
	.asciz	"void paged_attention_ll4mi_QKV_mfma16_kernel(const scalar_t *__restrict, const cache_t *__restrict, const cache_t *__restrict, const int, const float, const int *__restrict, const int *__restrict, const int *__restrict, const int, const float *__restrict, const int, const int, const int, float *__restrict, float *__restrict, scalar_t *__restrict, OUTT *__restrict, int, const float *, const float *) [scalar_t = _Float16, cache_t = _Float16, KV_DTYPE = vllm::Fp8KVCacheDataType::kAuto, OUTT = _Float16, BLOCK_SIZE = 32, HEAD_SIZE = 64, NUM_THREADS = 256, ALIBI_ENABLED = true, GQA_RATIO = 13]"
	.size	__PRETTY_FUNCTION__._Z39paged_attention_ll4mi_QKV_mfma16_kernelIDF16_DF16_LN4vllm18Fp8KVCacheDataTypeE0EDF16_Li32ELi64ELi256ELb1ELi13EEvPKT_PKT0_S7_ifPKiS9_S9_iPKfiiiPfSC_PS2_PT2_iSB_SB_, 595

	.type	__PRETTY_FUNCTION__._Z39paged_attention_ll4mi_QKV_mfma16_kernelIDF16_DF16_LN4vllm18Fp8KVCacheDataTypeE0EDF16_Li32ELi64ELi256ELb1ELi14EEvPKT_PKT0_S7_ifPKiS9_S9_iPKfiiiPfSC_PS2_PT2_iSB_SB_,@object ; @__PRETTY_FUNCTION__._Z39paged_attention_ll4mi_QKV_mfma16_kernelIDF16_DF16_LN4vllm18Fp8KVCacheDataTypeE0EDF16_Li32ELi64ELi256ELb1ELi14EEvPKT_PKT0_S7_ifPKiS9_S9_iPKfiiiPfSC_PS2_PT2_iSB_SB_
__PRETTY_FUNCTION__._Z39paged_attention_ll4mi_QKV_mfma16_kernelIDF16_DF16_LN4vllm18Fp8KVCacheDataTypeE0EDF16_Li32ELi64ELi256ELb1ELi14EEvPKT_PKT0_S7_ifPKiS9_S9_iPKfiiiPfSC_PS2_PT2_iSB_SB_:
	.asciz	"void paged_attention_ll4mi_QKV_mfma16_kernel(const scalar_t *__restrict, const cache_t *__restrict, const cache_t *__restrict, const int, const float, const int *__restrict, const int *__restrict, const int *__restrict, const int, const float *__restrict, const int, const int, const int, float *__restrict, float *__restrict, scalar_t *__restrict, OUTT *__restrict, int, const float *, const float *) [scalar_t = _Float16, cache_t = _Float16, KV_DTYPE = vllm::Fp8KVCacheDataType::kAuto, OUTT = _Float16, BLOCK_SIZE = 32, HEAD_SIZE = 64, NUM_THREADS = 256, ALIBI_ENABLED = true, GQA_RATIO = 14]"
	.size	__PRETTY_FUNCTION__._Z39paged_attention_ll4mi_QKV_mfma16_kernelIDF16_DF16_LN4vllm18Fp8KVCacheDataTypeE0EDF16_Li32ELi64ELi256ELb1ELi14EEvPKT_PKT0_S7_ifPKiS9_S9_iPKfiiiPfSC_PS2_PT2_iSB_SB_, 595

	.type	__PRETTY_FUNCTION__._Z39paged_attention_ll4mi_QKV_mfma16_kernelIDF16_DF16_LN4vllm18Fp8KVCacheDataTypeE0EDF16_Li32ELi64ELi256ELb1ELi15EEvPKT_PKT0_S7_ifPKiS9_S9_iPKfiiiPfSC_PS2_PT2_iSB_SB_,@object ; @__PRETTY_FUNCTION__._Z39paged_attention_ll4mi_QKV_mfma16_kernelIDF16_DF16_LN4vllm18Fp8KVCacheDataTypeE0EDF16_Li32ELi64ELi256ELb1ELi15EEvPKT_PKT0_S7_ifPKiS9_S9_iPKfiiiPfSC_PS2_PT2_iSB_SB_
__PRETTY_FUNCTION__._Z39paged_attention_ll4mi_QKV_mfma16_kernelIDF16_DF16_LN4vllm18Fp8KVCacheDataTypeE0EDF16_Li32ELi64ELi256ELb1ELi15EEvPKT_PKT0_S7_ifPKiS9_S9_iPKfiiiPfSC_PS2_PT2_iSB_SB_:
	.asciz	"void paged_attention_ll4mi_QKV_mfma16_kernel(const scalar_t *__restrict, const cache_t *__restrict, const cache_t *__restrict, const int, const float, const int *__restrict, const int *__restrict, const int *__restrict, const int, const float *__restrict, const int, const int, const int, float *__restrict, float *__restrict, scalar_t *__restrict, OUTT *__restrict, int, const float *, const float *) [scalar_t = _Float16, cache_t = _Float16, KV_DTYPE = vllm::Fp8KVCacheDataType::kAuto, OUTT = _Float16, BLOCK_SIZE = 32, HEAD_SIZE = 64, NUM_THREADS = 256, ALIBI_ENABLED = true, GQA_RATIO = 15]"
	.size	__PRETTY_FUNCTION__._Z39paged_attention_ll4mi_QKV_mfma16_kernelIDF16_DF16_LN4vllm18Fp8KVCacheDataTypeE0EDF16_Li32ELi64ELi256ELb1ELi15EEvPKT_PKT0_S7_ifPKiS9_S9_iPKfiiiPfSC_PS2_PT2_iSB_SB_, 595

	.type	__PRETTY_FUNCTION__._Z39paged_attention_ll4mi_QKV_mfma16_kernelIDF16_DF16_LN4vllm18Fp8KVCacheDataTypeE0EDF16_Li32ELi64ELi256ELb1ELi16EEvPKT_PKT0_S7_ifPKiS9_S9_iPKfiiiPfSC_PS2_PT2_iSB_SB_,@object ; @__PRETTY_FUNCTION__._Z39paged_attention_ll4mi_QKV_mfma16_kernelIDF16_DF16_LN4vllm18Fp8KVCacheDataTypeE0EDF16_Li32ELi64ELi256ELb1ELi16EEvPKT_PKT0_S7_ifPKiS9_S9_iPKfiiiPfSC_PS2_PT2_iSB_SB_
__PRETTY_FUNCTION__._Z39paged_attention_ll4mi_QKV_mfma16_kernelIDF16_DF16_LN4vllm18Fp8KVCacheDataTypeE0EDF16_Li32ELi64ELi256ELb1ELi16EEvPKT_PKT0_S7_ifPKiS9_S9_iPKfiiiPfSC_PS2_PT2_iSB_SB_:
	.asciz	"void paged_attention_ll4mi_QKV_mfma16_kernel(const scalar_t *__restrict, const cache_t *__restrict, const cache_t *__restrict, const int, const float, const int *__restrict, const int *__restrict, const int *__restrict, const int, const float *__restrict, const int, const int, const int, float *__restrict, float *__restrict, scalar_t *__restrict, OUTT *__restrict, int, const float *, const float *) [scalar_t = _Float16, cache_t = _Float16, KV_DTYPE = vllm::Fp8KVCacheDataType::kAuto, OUTT = _Float16, BLOCK_SIZE = 32, HEAD_SIZE = 64, NUM_THREADS = 256, ALIBI_ENABLED = true, GQA_RATIO = 16]"
	.size	__PRETTY_FUNCTION__._Z39paged_attention_ll4mi_QKV_mfma16_kernelIDF16_DF16_LN4vllm18Fp8KVCacheDataTypeE0EDF16_Li32ELi64ELi256ELb1ELi16EEvPKT_PKT0_S7_ifPKiS9_S9_iPKfiiiPfSC_PS2_PT2_iSB_SB_, 595

	.type	__PRETTY_FUNCTION__._Z39paged_attention_ll4mi_QKV_mfma16_kernelIDF16_DF16_LN4vllm18Fp8KVCacheDataTypeE0EDF16_Li32ELi64ELi256ELb1ELi1EEvPKT_PKT0_S7_ifPKiS9_S9_iPKfiiiPfSC_PS2_PT2_iSB_SB_,@object ; @__PRETTY_FUNCTION__._Z39paged_attention_ll4mi_QKV_mfma16_kernelIDF16_DF16_LN4vllm18Fp8KVCacheDataTypeE0EDF16_Li32ELi64ELi256ELb1ELi1EEvPKT_PKT0_S7_ifPKiS9_S9_iPKfiiiPfSC_PS2_PT2_iSB_SB_
__PRETTY_FUNCTION__._Z39paged_attention_ll4mi_QKV_mfma16_kernelIDF16_DF16_LN4vllm18Fp8KVCacheDataTypeE0EDF16_Li32ELi64ELi256ELb1ELi1EEvPKT_PKT0_S7_ifPKiS9_S9_iPKfiiiPfSC_PS2_PT2_iSB_SB_:
	.asciz	"void paged_attention_ll4mi_QKV_mfma16_kernel(const scalar_t *__restrict, const cache_t *__restrict, const cache_t *__restrict, const int, const float, const int *__restrict, const int *__restrict, const int *__restrict, const int, const float *__restrict, const int, const int, const int, float *__restrict, float *__restrict, scalar_t *__restrict, OUTT *__restrict, int, const float *, const float *) [scalar_t = _Float16, cache_t = _Float16, KV_DTYPE = vllm::Fp8KVCacheDataType::kAuto, OUTT = _Float16, BLOCK_SIZE = 32, HEAD_SIZE = 64, NUM_THREADS = 256, ALIBI_ENABLED = true, GQA_RATIO = 1]"
	.size	__PRETTY_FUNCTION__._Z39paged_attention_ll4mi_QKV_mfma16_kernelIDF16_DF16_LN4vllm18Fp8KVCacheDataTypeE0EDF16_Li32ELi64ELi256ELb1ELi1EEvPKT_PKT0_S7_ifPKiS9_S9_iPKfiiiPfSC_PS2_PT2_iSB_SB_, 594

	.type	__PRETTY_FUNCTION__._Z39paged_attention_ll4mi_QKV_mfma16_kernelIDF16_DF16_LN4vllm18Fp8KVCacheDataTypeE0EDF16_Li32ELi64ELi256ELb1ELi2EEvPKT_PKT0_S7_ifPKiS9_S9_iPKfiiiPfSC_PS2_PT2_iSB_SB_,@object ; @__PRETTY_FUNCTION__._Z39paged_attention_ll4mi_QKV_mfma16_kernelIDF16_DF16_LN4vllm18Fp8KVCacheDataTypeE0EDF16_Li32ELi64ELi256ELb1ELi2EEvPKT_PKT0_S7_ifPKiS9_S9_iPKfiiiPfSC_PS2_PT2_iSB_SB_
__PRETTY_FUNCTION__._Z39paged_attention_ll4mi_QKV_mfma16_kernelIDF16_DF16_LN4vllm18Fp8KVCacheDataTypeE0EDF16_Li32ELi64ELi256ELb1ELi2EEvPKT_PKT0_S7_ifPKiS9_S9_iPKfiiiPfSC_PS2_PT2_iSB_SB_:
	.asciz	"void paged_attention_ll4mi_QKV_mfma16_kernel(const scalar_t *__restrict, const cache_t *__restrict, const cache_t *__restrict, const int, const float, const int *__restrict, const int *__restrict, const int *__restrict, const int, const float *__restrict, const int, const int, const int, float *__restrict, float *__restrict, scalar_t *__restrict, OUTT *__restrict, int, const float *, const float *) [scalar_t = _Float16, cache_t = _Float16, KV_DTYPE = vllm::Fp8KVCacheDataType::kAuto, OUTT = _Float16, BLOCK_SIZE = 32, HEAD_SIZE = 64, NUM_THREADS = 256, ALIBI_ENABLED = true, GQA_RATIO = 2]"
	.size	__PRETTY_FUNCTION__._Z39paged_attention_ll4mi_QKV_mfma16_kernelIDF16_DF16_LN4vllm18Fp8KVCacheDataTypeE0EDF16_Li32ELi64ELi256ELb1ELi2EEvPKT_PKT0_S7_ifPKiS9_S9_iPKfiiiPfSC_PS2_PT2_iSB_SB_, 594

	.type	__PRETTY_FUNCTION__._Z39paged_attention_ll4mi_QKV_mfma16_kernelIDF16_DF16_LN4vllm18Fp8KVCacheDataTypeE0EDF16_Li32ELi64ELi256ELb1ELi3EEvPKT_PKT0_S7_ifPKiS9_S9_iPKfiiiPfSC_PS2_PT2_iSB_SB_,@object ; @__PRETTY_FUNCTION__._Z39paged_attention_ll4mi_QKV_mfma16_kernelIDF16_DF16_LN4vllm18Fp8KVCacheDataTypeE0EDF16_Li32ELi64ELi256ELb1ELi3EEvPKT_PKT0_S7_ifPKiS9_S9_iPKfiiiPfSC_PS2_PT2_iSB_SB_
__PRETTY_FUNCTION__._Z39paged_attention_ll4mi_QKV_mfma16_kernelIDF16_DF16_LN4vllm18Fp8KVCacheDataTypeE0EDF16_Li32ELi64ELi256ELb1ELi3EEvPKT_PKT0_S7_ifPKiS9_S9_iPKfiiiPfSC_PS2_PT2_iSB_SB_:
	.asciz	"void paged_attention_ll4mi_QKV_mfma16_kernel(const scalar_t *__restrict, const cache_t *__restrict, const cache_t *__restrict, const int, const float, const int *__restrict, const int *__restrict, const int *__restrict, const int, const float *__restrict, const int, const int, const int, float *__restrict, float *__restrict, scalar_t *__restrict, OUTT *__restrict, int, const float *, const float *) [scalar_t = _Float16, cache_t = _Float16, KV_DTYPE = vllm::Fp8KVCacheDataType::kAuto, OUTT = _Float16, BLOCK_SIZE = 32, HEAD_SIZE = 64, NUM_THREADS = 256, ALIBI_ENABLED = true, GQA_RATIO = 3]"
	.size	__PRETTY_FUNCTION__._Z39paged_attention_ll4mi_QKV_mfma16_kernelIDF16_DF16_LN4vllm18Fp8KVCacheDataTypeE0EDF16_Li32ELi64ELi256ELb1ELi3EEvPKT_PKT0_S7_ifPKiS9_S9_iPKfiiiPfSC_PS2_PT2_iSB_SB_, 594

	.type	__PRETTY_FUNCTION__._Z39paged_attention_ll4mi_QKV_mfma16_kernelIDF16_DF16_LN4vllm18Fp8KVCacheDataTypeE0EDF16_Li32ELi64ELi256ELb1ELi4EEvPKT_PKT0_S7_ifPKiS9_S9_iPKfiiiPfSC_PS2_PT2_iSB_SB_,@object ; @__PRETTY_FUNCTION__._Z39paged_attention_ll4mi_QKV_mfma16_kernelIDF16_DF16_LN4vllm18Fp8KVCacheDataTypeE0EDF16_Li32ELi64ELi256ELb1ELi4EEvPKT_PKT0_S7_ifPKiS9_S9_iPKfiiiPfSC_PS2_PT2_iSB_SB_
__PRETTY_FUNCTION__._Z39paged_attention_ll4mi_QKV_mfma16_kernelIDF16_DF16_LN4vllm18Fp8KVCacheDataTypeE0EDF16_Li32ELi64ELi256ELb1ELi4EEvPKT_PKT0_S7_ifPKiS9_S9_iPKfiiiPfSC_PS2_PT2_iSB_SB_:
	.asciz	"void paged_attention_ll4mi_QKV_mfma16_kernel(const scalar_t *__restrict, const cache_t *__restrict, const cache_t *__restrict, const int, const float, const int *__restrict, const int *__restrict, const int *__restrict, const int, const float *__restrict, const int, const int, const int, float *__restrict, float *__restrict, scalar_t *__restrict, OUTT *__restrict, int, const float *, const float *) [scalar_t = _Float16, cache_t = _Float16, KV_DTYPE = vllm::Fp8KVCacheDataType::kAuto, OUTT = _Float16, BLOCK_SIZE = 32, HEAD_SIZE = 64, NUM_THREADS = 256, ALIBI_ENABLED = true, GQA_RATIO = 4]"
	.size	__PRETTY_FUNCTION__._Z39paged_attention_ll4mi_QKV_mfma16_kernelIDF16_DF16_LN4vllm18Fp8KVCacheDataTypeE0EDF16_Li32ELi64ELi256ELb1ELi4EEvPKT_PKT0_S7_ifPKiS9_S9_iPKfiiiPfSC_PS2_PT2_iSB_SB_, 594

	.type	__PRETTY_FUNCTION__._Z38paged_attention_ll4mi_QKV_mfma4_kernelIDF16_DF16_LN4vllm18Fp8KVCacheDataTypeE0EDF16_Li32ELi64ELi256ELb0ELi1EEvPKT_PKT0_S7_ifPKiS9_S9_iPKfiiiPfSC_PS2_PT2_iSB_SB_,@object ; @__PRETTY_FUNCTION__._Z38paged_attention_ll4mi_QKV_mfma4_kernelIDF16_DF16_LN4vllm18Fp8KVCacheDataTypeE0EDF16_Li32ELi64ELi256ELb0ELi1EEvPKT_PKT0_S7_ifPKiS9_S9_iPKfiiiPfSC_PS2_PT2_iSB_SB_
__PRETTY_FUNCTION__._Z38paged_attention_ll4mi_QKV_mfma4_kernelIDF16_DF16_LN4vllm18Fp8KVCacheDataTypeE0EDF16_Li32ELi64ELi256ELb0ELi1EEvPKT_PKT0_S7_ifPKiS9_S9_iPKfiiiPfSC_PS2_PT2_iSB_SB_:
	.asciz	"void paged_attention_ll4mi_QKV_mfma4_kernel(const scalar_t *__restrict, const cache_t *__restrict, const cache_t *__restrict, const int, const float, const int *__restrict, const int *__restrict, const int *__restrict, const int, const float *__restrict, const int, const int, const int, float *__restrict, float *__restrict, scalar_t *__restrict, OUTT *__restrict, int, const float *, const float *) [scalar_t = _Float16, cache_t = _Float16, KV_DTYPE = vllm::Fp8KVCacheDataType::kAuto, OUTT = _Float16, BLOCK_SIZE = 32, HEAD_SIZE = 64, NUM_THREADS = 256, ALIBI_ENABLED = false, GQA_RATIO = 1]"
	.size	__PRETTY_FUNCTION__._Z38paged_attention_ll4mi_QKV_mfma4_kernelIDF16_DF16_LN4vllm18Fp8KVCacheDataTypeE0EDF16_Li32ELi64ELi256ELb0ELi1EEvPKT_PKT0_S7_ifPKiS9_S9_iPKfiiiPfSC_PS2_PT2_iSB_SB_, 594

	.type	__PRETTY_FUNCTION__._Z38paged_attention_ll4mi_QKV_mfma4_kernelIDF16_DF16_LN4vllm18Fp8KVCacheDataTypeE0EDF16_Li32ELi64ELi256ELb0ELi2EEvPKT_PKT0_S7_ifPKiS9_S9_iPKfiiiPfSC_PS2_PT2_iSB_SB_,@object ; @__PRETTY_FUNCTION__._Z38paged_attention_ll4mi_QKV_mfma4_kernelIDF16_DF16_LN4vllm18Fp8KVCacheDataTypeE0EDF16_Li32ELi64ELi256ELb0ELi2EEvPKT_PKT0_S7_ifPKiS9_S9_iPKfiiiPfSC_PS2_PT2_iSB_SB_
__PRETTY_FUNCTION__._Z38paged_attention_ll4mi_QKV_mfma4_kernelIDF16_DF16_LN4vllm18Fp8KVCacheDataTypeE0EDF16_Li32ELi64ELi256ELb0ELi2EEvPKT_PKT0_S7_ifPKiS9_S9_iPKfiiiPfSC_PS2_PT2_iSB_SB_:
	.asciz	"void paged_attention_ll4mi_QKV_mfma4_kernel(const scalar_t *__restrict, const cache_t *__restrict, const cache_t *__restrict, const int, const float, const int *__restrict, const int *__restrict, const int *__restrict, const int, const float *__restrict, const int, const int, const int, float *__restrict, float *__restrict, scalar_t *__restrict, OUTT *__restrict, int, const float *, const float *) [scalar_t = _Float16, cache_t = _Float16, KV_DTYPE = vllm::Fp8KVCacheDataType::kAuto, OUTT = _Float16, BLOCK_SIZE = 32, HEAD_SIZE = 64, NUM_THREADS = 256, ALIBI_ENABLED = false, GQA_RATIO = 2]"
	.size	__PRETTY_FUNCTION__._Z38paged_attention_ll4mi_QKV_mfma4_kernelIDF16_DF16_LN4vllm18Fp8KVCacheDataTypeE0EDF16_Li32ELi64ELi256ELb0ELi2EEvPKT_PKT0_S7_ifPKiS9_S9_iPKfiiiPfSC_PS2_PT2_iSB_SB_, 594

	.type	__PRETTY_FUNCTION__._Z38paged_attention_ll4mi_QKV_mfma4_kernelIDF16_DF16_LN4vllm18Fp8KVCacheDataTypeE0EDF16_Li32ELi64ELi256ELb0ELi3EEvPKT_PKT0_S7_ifPKiS9_S9_iPKfiiiPfSC_PS2_PT2_iSB_SB_,@object ; @__PRETTY_FUNCTION__._Z38paged_attention_ll4mi_QKV_mfma4_kernelIDF16_DF16_LN4vllm18Fp8KVCacheDataTypeE0EDF16_Li32ELi64ELi256ELb0ELi3EEvPKT_PKT0_S7_ifPKiS9_S9_iPKfiiiPfSC_PS2_PT2_iSB_SB_
__PRETTY_FUNCTION__._Z38paged_attention_ll4mi_QKV_mfma4_kernelIDF16_DF16_LN4vllm18Fp8KVCacheDataTypeE0EDF16_Li32ELi64ELi256ELb0ELi3EEvPKT_PKT0_S7_ifPKiS9_S9_iPKfiiiPfSC_PS2_PT2_iSB_SB_:
	.asciz	"void paged_attention_ll4mi_QKV_mfma4_kernel(const scalar_t *__restrict, const cache_t *__restrict, const cache_t *__restrict, const int, const float, const int *__restrict, const int *__restrict, const int *__restrict, const int, const float *__restrict, const int, const int, const int, float *__restrict, float *__restrict, scalar_t *__restrict, OUTT *__restrict, int, const float *, const float *) [scalar_t = _Float16, cache_t = _Float16, KV_DTYPE = vllm::Fp8KVCacheDataType::kAuto, OUTT = _Float16, BLOCK_SIZE = 32, HEAD_SIZE = 64, NUM_THREADS = 256, ALIBI_ENABLED = false, GQA_RATIO = 3]"
	.size	__PRETTY_FUNCTION__._Z38paged_attention_ll4mi_QKV_mfma4_kernelIDF16_DF16_LN4vllm18Fp8KVCacheDataTypeE0EDF16_Li32ELi64ELi256ELb0ELi3EEvPKT_PKT0_S7_ifPKiS9_S9_iPKfiiiPfSC_PS2_PT2_iSB_SB_, 594

	.type	__PRETTY_FUNCTION__._Z38paged_attention_ll4mi_QKV_mfma4_kernelIDF16_DF16_LN4vllm18Fp8KVCacheDataTypeE0EDF16_Li32ELi64ELi256ELb0ELi4EEvPKT_PKT0_S7_ifPKiS9_S9_iPKfiiiPfSC_PS2_PT2_iSB_SB_,@object ; @__PRETTY_FUNCTION__._Z38paged_attention_ll4mi_QKV_mfma4_kernelIDF16_DF16_LN4vllm18Fp8KVCacheDataTypeE0EDF16_Li32ELi64ELi256ELb0ELi4EEvPKT_PKT0_S7_ifPKiS9_S9_iPKfiiiPfSC_PS2_PT2_iSB_SB_
__PRETTY_FUNCTION__._Z38paged_attention_ll4mi_QKV_mfma4_kernelIDF16_DF16_LN4vllm18Fp8KVCacheDataTypeE0EDF16_Li32ELi64ELi256ELb0ELi4EEvPKT_PKT0_S7_ifPKiS9_S9_iPKfiiiPfSC_PS2_PT2_iSB_SB_:
	.asciz	"void paged_attention_ll4mi_QKV_mfma4_kernel(const scalar_t *__restrict, const cache_t *__restrict, const cache_t *__restrict, const int, const float, const int *__restrict, const int *__restrict, const int *__restrict, const int, const float *__restrict, const int, const int, const int, float *__restrict, float *__restrict, scalar_t *__restrict, OUTT *__restrict, int, const float *, const float *) [scalar_t = _Float16, cache_t = _Float16, KV_DTYPE = vllm::Fp8KVCacheDataType::kAuto, OUTT = _Float16, BLOCK_SIZE = 32, HEAD_SIZE = 64, NUM_THREADS = 256, ALIBI_ENABLED = false, GQA_RATIO = 4]"
	.size	__PRETTY_FUNCTION__._Z38paged_attention_ll4mi_QKV_mfma4_kernelIDF16_DF16_LN4vllm18Fp8KVCacheDataTypeE0EDF16_Li32ELi64ELi256ELb0ELi4EEvPKT_PKT0_S7_ifPKiS9_S9_iPKfiiiPfSC_PS2_PT2_iSB_SB_, 594

	.type	__PRETTY_FUNCTION__._Z39paged_attention_ll4mi_QKV_mfma16_kernelIDF16_DF16_LN4vllm18Fp8KVCacheDataTypeE0EDF16_Li32ELi64ELi256ELb0ELi5EEvPKT_PKT0_S7_ifPKiS9_S9_iPKfiiiPfSC_PS2_PT2_iSB_SB_,@object ; @__PRETTY_FUNCTION__._Z39paged_attention_ll4mi_QKV_mfma16_kernelIDF16_DF16_LN4vllm18Fp8KVCacheDataTypeE0EDF16_Li32ELi64ELi256ELb0ELi5EEvPKT_PKT0_S7_ifPKiS9_S9_iPKfiiiPfSC_PS2_PT2_iSB_SB_
__PRETTY_FUNCTION__._Z39paged_attention_ll4mi_QKV_mfma16_kernelIDF16_DF16_LN4vllm18Fp8KVCacheDataTypeE0EDF16_Li32ELi64ELi256ELb0ELi5EEvPKT_PKT0_S7_ifPKiS9_S9_iPKfiiiPfSC_PS2_PT2_iSB_SB_:
	.asciz	"void paged_attention_ll4mi_QKV_mfma16_kernel(const scalar_t *__restrict, const cache_t *__restrict, const cache_t *__restrict, const int, const float, const int *__restrict, const int *__restrict, const int *__restrict, const int, const float *__restrict, const int, const int, const int, float *__restrict, float *__restrict, scalar_t *__restrict, OUTT *__restrict, int, const float *, const float *) [scalar_t = _Float16, cache_t = _Float16, KV_DTYPE = vllm::Fp8KVCacheDataType::kAuto, OUTT = _Float16, BLOCK_SIZE = 32, HEAD_SIZE = 64, NUM_THREADS = 256, ALIBI_ENABLED = false, GQA_RATIO = 5]"
	.size	__PRETTY_FUNCTION__._Z39paged_attention_ll4mi_QKV_mfma16_kernelIDF16_DF16_LN4vllm18Fp8KVCacheDataTypeE0EDF16_Li32ELi64ELi256ELb0ELi5EEvPKT_PKT0_S7_ifPKiS9_S9_iPKfiiiPfSC_PS2_PT2_iSB_SB_, 595

	.type	__PRETTY_FUNCTION__._Z39paged_attention_ll4mi_QKV_mfma16_kernelIDF16_DF16_LN4vllm18Fp8KVCacheDataTypeE0EDF16_Li32ELi64ELi256ELb0ELi6EEvPKT_PKT0_S7_ifPKiS9_S9_iPKfiiiPfSC_PS2_PT2_iSB_SB_,@object ; @__PRETTY_FUNCTION__._Z39paged_attention_ll4mi_QKV_mfma16_kernelIDF16_DF16_LN4vllm18Fp8KVCacheDataTypeE0EDF16_Li32ELi64ELi256ELb0ELi6EEvPKT_PKT0_S7_ifPKiS9_S9_iPKfiiiPfSC_PS2_PT2_iSB_SB_
__PRETTY_FUNCTION__._Z39paged_attention_ll4mi_QKV_mfma16_kernelIDF16_DF16_LN4vllm18Fp8KVCacheDataTypeE0EDF16_Li32ELi64ELi256ELb0ELi6EEvPKT_PKT0_S7_ifPKiS9_S9_iPKfiiiPfSC_PS2_PT2_iSB_SB_:
	.asciz	"void paged_attention_ll4mi_QKV_mfma16_kernel(const scalar_t *__restrict, const cache_t *__restrict, const cache_t *__restrict, const int, const float, const int *__restrict, const int *__restrict, const int *__restrict, const int, const float *__restrict, const int, const int, const int, float *__restrict, float *__restrict, scalar_t *__restrict, OUTT *__restrict, int, const float *, const float *) [scalar_t = _Float16, cache_t = _Float16, KV_DTYPE = vllm::Fp8KVCacheDataType::kAuto, OUTT = _Float16, BLOCK_SIZE = 32, HEAD_SIZE = 64, NUM_THREADS = 256, ALIBI_ENABLED = false, GQA_RATIO = 6]"
	.size	__PRETTY_FUNCTION__._Z39paged_attention_ll4mi_QKV_mfma16_kernelIDF16_DF16_LN4vllm18Fp8KVCacheDataTypeE0EDF16_Li32ELi64ELi256ELb0ELi6EEvPKT_PKT0_S7_ifPKiS9_S9_iPKfiiiPfSC_PS2_PT2_iSB_SB_, 595

	.type	__PRETTY_FUNCTION__._Z39paged_attention_ll4mi_QKV_mfma16_kernelIDF16_DF16_LN4vllm18Fp8KVCacheDataTypeE0EDF16_Li32ELi64ELi256ELb0ELi7EEvPKT_PKT0_S7_ifPKiS9_S9_iPKfiiiPfSC_PS2_PT2_iSB_SB_,@object ; @__PRETTY_FUNCTION__._Z39paged_attention_ll4mi_QKV_mfma16_kernelIDF16_DF16_LN4vllm18Fp8KVCacheDataTypeE0EDF16_Li32ELi64ELi256ELb0ELi7EEvPKT_PKT0_S7_ifPKiS9_S9_iPKfiiiPfSC_PS2_PT2_iSB_SB_
__PRETTY_FUNCTION__._Z39paged_attention_ll4mi_QKV_mfma16_kernelIDF16_DF16_LN4vllm18Fp8KVCacheDataTypeE0EDF16_Li32ELi64ELi256ELb0ELi7EEvPKT_PKT0_S7_ifPKiS9_S9_iPKfiiiPfSC_PS2_PT2_iSB_SB_:
	.asciz	"void paged_attention_ll4mi_QKV_mfma16_kernel(const scalar_t *__restrict, const cache_t *__restrict, const cache_t *__restrict, const int, const float, const int *__restrict, const int *__restrict, const int *__restrict, const int, const float *__restrict, const int, const int, const int, float *__restrict, float *__restrict, scalar_t *__restrict, OUTT *__restrict, int, const float *, const float *) [scalar_t = _Float16, cache_t = _Float16, KV_DTYPE = vllm::Fp8KVCacheDataType::kAuto, OUTT = _Float16, BLOCK_SIZE = 32, HEAD_SIZE = 64, NUM_THREADS = 256, ALIBI_ENABLED = false, GQA_RATIO = 7]"
	.size	__PRETTY_FUNCTION__._Z39paged_attention_ll4mi_QKV_mfma16_kernelIDF16_DF16_LN4vllm18Fp8KVCacheDataTypeE0EDF16_Li32ELi64ELi256ELb0ELi7EEvPKT_PKT0_S7_ifPKiS9_S9_iPKfiiiPfSC_PS2_PT2_iSB_SB_, 595

	.type	__PRETTY_FUNCTION__._Z39paged_attention_ll4mi_QKV_mfma16_kernelIDF16_DF16_LN4vllm18Fp8KVCacheDataTypeE0EDF16_Li32ELi64ELi256ELb0ELi8EEvPKT_PKT0_S7_ifPKiS9_S9_iPKfiiiPfSC_PS2_PT2_iSB_SB_,@object ; @__PRETTY_FUNCTION__._Z39paged_attention_ll4mi_QKV_mfma16_kernelIDF16_DF16_LN4vllm18Fp8KVCacheDataTypeE0EDF16_Li32ELi64ELi256ELb0ELi8EEvPKT_PKT0_S7_ifPKiS9_S9_iPKfiiiPfSC_PS2_PT2_iSB_SB_
__PRETTY_FUNCTION__._Z39paged_attention_ll4mi_QKV_mfma16_kernelIDF16_DF16_LN4vllm18Fp8KVCacheDataTypeE0EDF16_Li32ELi64ELi256ELb0ELi8EEvPKT_PKT0_S7_ifPKiS9_S9_iPKfiiiPfSC_PS2_PT2_iSB_SB_:
	.asciz	"void paged_attention_ll4mi_QKV_mfma16_kernel(const scalar_t *__restrict, const cache_t *__restrict, const cache_t *__restrict, const int, const float, const int *__restrict, const int *__restrict, const int *__restrict, const int, const float *__restrict, const int, const int, const int, float *__restrict, float *__restrict, scalar_t *__restrict, OUTT *__restrict, int, const float *, const float *) [scalar_t = _Float16, cache_t = _Float16, KV_DTYPE = vllm::Fp8KVCacheDataType::kAuto, OUTT = _Float16, BLOCK_SIZE = 32, HEAD_SIZE = 64, NUM_THREADS = 256, ALIBI_ENABLED = false, GQA_RATIO = 8]"
	.size	__PRETTY_FUNCTION__._Z39paged_attention_ll4mi_QKV_mfma16_kernelIDF16_DF16_LN4vllm18Fp8KVCacheDataTypeE0EDF16_Li32ELi64ELi256ELb0ELi8EEvPKT_PKT0_S7_ifPKiS9_S9_iPKfiiiPfSC_PS2_PT2_iSB_SB_, 595

	.type	__PRETTY_FUNCTION__._Z39paged_attention_ll4mi_QKV_mfma16_kernelIDF16_DF16_LN4vllm18Fp8KVCacheDataTypeE0EDF16_Li32ELi64ELi256ELb0ELi9EEvPKT_PKT0_S7_ifPKiS9_S9_iPKfiiiPfSC_PS2_PT2_iSB_SB_,@object ; @__PRETTY_FUNCTION__._Z39paged_attention_ll4mi_QKV_mfma16_kernelIDF16_DF16_LN4vllm18Fp8KVCacheDataTypeE0EDF16_Li32ELi64ELi256ELb0ELi9EEvPKT_PKT0_S7_ifPKiS9_S9_iPKfiiiPfSC_PS2_PT2_iSB_SB_
__PRETTY_FUNCTION__._Z39paged_attention_ll4mi_QKV_mfma16_kernelIDF16_DF16_LN4vllm18Fp8KVCacheDataTypeE0EDF16_Li32ELi64ELi256ELb0ELi9EEvPKT_PKT0_S7_ifPKiS9_S9_iPKfiiiPfSC_PS2_PT2_iSB_SB_:
	.asciz	"void paged_attention_ll4mi_QKV_mfma16_kernel(const scalar_t *__restrict, const cache_t *__restrict, const cache_t *__restrict, const int, const float, const int *__restrict, const int *__restrict, const int *__restrict, const int, const float *__restrict, const int, const int, const int, float *__restrict, float *__restrict, scalar_t *__restrict, OUTT *__restrict, int, const float *, const float *) [scalar_t = _Float16, cache_t = _Float16, KV_DTYPE = vllm::Fp8KVCacheDataType::kAuto, OUTT = _Float16, BLOCK_SIZE = 32, HEAD_SIZE = 64, NUM_THREADS = 256, ALIBI_ENABLED = false, GQA_RATIO = 9]"
	.size	__PRETTY_FUNCTION__._Z39paged_attention_ll4mi_QKV_mfma16_kernelIDF16_DF16_LN4vllm18Fp8KVCacheDataTypeE0EDF16_Li32ELi64ELi256ELb0ELi9EEvPKT_PKT0_S7_ifPKiS9_S9_iPKfiiiPfSC_PS2_PT2_iSB_SB_, 595

	.type	__PRETTY_FUNCTION__._Z39paged_attention_ll4mi_QKV_mfma16_kernelIDF16_DF16_LN4vllm18Fp8KVCacheDataTypeE0EDF16_Li32ELi64ELi256ELb0ELi10EEvPKT_PKT0_S7_ifPKiS9_S9_iPKfiiiPfSC_PS2_PT2_iSB_SB_,@object ; @__PRETTY_FUNCTION__._Z39paged_attention_ll4mi_QKV_mfma16_kernelIDF16_DF16_LN4vllm18Fp8KVCacheDataTypeE0EDF16_Li32ELi64ELi256ELb0ELi10EEvPKT_PKT0_S7_ifPKiS9_S9_iPKfiiiPfSC_PS2_PT2_iSB_SB_
__PRETTY_FUNCTION__._Z39paged_attention_ll4mi_QKV_mfma16_kernelIDF16_DF16_LN4vllm18Fp8KVCacheDataTypeE0EDF16_Li32ELi64ELi256ELb0ELi10EEvPKT_PKT0_S7_ifPKiS9_S9_iPKfiiiPfSC_PS2_PT2_iSB_SB_:
	.asciz	"void paged_attention_ll4mi_QKV_mfma16_kernel(const scalar_t *__restrict, const cache_t *__restrict, const cache_t *__restrict, const int, const float, const int *__restrict, const int *__restrict, const int *__restrict, const int, const float *__restrict, const int, const int, const int, float *__restrict, float *__restrict, scalar_t *__restrict, OUTT *__restrict, int, const float *, const float *) [scalar_t = _Float16, cache_t = _Float16, KV_DTYPE = vllm::Fp8KVCacheDataType::kAuto, OUTT = _Float16, BLOCK_SIZE = 32, HEAD_SIZE = 64, NUM_THREADS = 256, ALIBI_ENABLED = false, GQA_RATIO = 10]"
	.size	__PRETTY_FUNCTION__._Z39paged_attention_ll4mi_QKV_mfma16_kernelIDF16_DF16_LN4vllm18Fp8KVCacheDataTypeE0EDF16_Li32ELi64ELi256ELb0ELi10EEvPKT_PKT0_S7_ifPKiS9_S9_iPKfiiiPfSC_PS2_PT2_iSB_SB_, 596

	.type	__PRETTY_FUNCTION__._Z39paged_attention_ll4mi_QKV_mfma16_kernelIDF16_DF16_LN4vllm18Fp8KVCacheDataTypeE0EDF16_Li32ELi64ELi256ELb0ELi11EEvPKT_PKT0_S7_ifPKiS9_S9_iPKfiiiPfSC_PS2_PT2_iSB_SB_,@object ; @__PRETTY_FUNCTION__._Z39paged_attention_ll4mi_QKV_mfma16_kernelIDF16_DF16_LN4vllm18Fp8KVCacheDataTypeE0EDF16_Li32ELi64ELi256ELb0ELi11EEvPKT_PKT0_S7_ifPKiS9_S9_iPKfiiiPfSC_PS2_PT2_iSB_SB_
__PRETTY_FUNCTION__._Z39paged_attention_ll4mi_QKV_mfma16_kernelIDF16_DF16_LN4vllm18Fp8KVCacheDataTypeE0EDF16_Li32ELi64ELi256ELb0ELi11EEvPKT_PKT0_S7_ifPKiS9_S9_iPKfiiiPfSC_PS2_PT2_iSB_SB_:
	.asciz	"void paged_attention_ll4mi_QKV_mfma16_kernel(const scalar_t *__restrict, const cache_t *__restrict, const cache_t *__restrict, const int, const float, const int *__restrict, const int *__restrict, const int *__restrict, const int, const float *__restrict, const int, const int, const int, float *__restrict, float *__restrict, scalar_t *__restrict, OUTT *__restrict, int, const float *, const float *) [scalar_t = _Float16, cache_t = _Float16, KV_DTYPE = vllm::Fp8KVCacheDataType::kAuto, OUTT = _Float16, BLOCK_SIZE = 32, HEAD_SIZE = 64, NUM_THREADS = 256, ALIBI_ENABLED = false, GQA_RATIO = 11]"
	.size	__PRETTY_FUNCTION__._Z39paged_attention_ll4mi_QKV_mfma16_kernelIDF16_DF16_LN4vllm18Fp8KVCacheDataTypeE0EDF16_Li32ELi64ELi256ELb0ELi11EEvPKT_PKT0_S7_ifPKiS9_S9_iPKfiiiPfSC_PS2_PT2_iSB_SB_, 596

	.type	__PRETTY_FUNCTION__._Z39paged_attention_ll4mi_QKV_mfma16_kernelIDF16_DF16_LN4vllm18Fp8KVCacheDataTypeE0EDF16_Li32ELi64ELi256ELb0ELi12EEvPKT_PKT0_S7_ifPKiS9_S9_iPKfiiiPfSC_PS2_PT2_iSB_SB_,@object ; @__PRETTY_FUNCTION__._Z39paged_attention_ll4mi_QKV_mfma16_kernelIDF16_DF16_LN4vllm18Fp8KVCacheDataTypeE0EDF16_Li32ELi64ELi256ELb0ELi12EEvPKT_PKT0_S7_ifPKiS9_S9_iPKfiiiPfSC_PS2_PT2_iSB_SB_
__PRETTY_FUNCTION__._Z39paged_attention_ll4mi_QKV_mfma16_kernelIDF16_DF16_LN4vllm18Fp8KVCacheDataTypeE0EDF16_Li32ELi64ELi256ELb0ELi12EEvPKT_PKT0_S7_ifPKiS9_S9_iPKfiiiPfSC_PS2_PT2_iSB_SB_:
	.asciz	"void paged_attention_ll4mi_QKV_mfma16_kernel(const scalar_t *__restrict, const cache_t *__restrict, const cache_t *__restrict, const int, const float, const int *__restrict, const int *__restrict, const int *__restrict, const int, const float *__restrict, const int, const int, const int, float *__restrict, float *__restrict, scalar_t *__restrict, OUTT *__restrict, int, const float *, const float *) [scalar_t = _Float16, cache_t = _Float16, KV_DTYPE = vllm::Fp8KVCacheDataType::kAuto, OUTT = _Float16, BLOCK_SIZE = 32, HEAD_SIZE = 64, NUM_THREADS = 256, ALIBI_ENABLED = false, GQA_RATIO = 12]"
	.size	__PRETTY_FUNCTION__._Z39paged_attention_ll4mi_QKV_mfma16_kernelIDF16_DF16_LN4vllm18Fp8KVCacheDataTypeE0EDF16_Li32ELi64ELi256ELb0ELi12EEvPKT_PKT0_S7_ifPKiS9_S9_iPKfiiiPfSC_PS2_PT2_iSB_SB_, 596

	.type	__PRETTY_FUNCTION__._Z39paged_attention_ll4mi_QKV_mfma16_kernelIDF16_DF16_LN4vllm18Fp8KVCacheDataTypeE0EDF16_Li32ELi64ELi256ELb0ELi13EEvPKT_PKT0_S7_ifPKiS9_S9_iPKfiiiPfSC_PS2_PT2_iSB_SB_,@object ; @__PRETTY_FUNCTION__._Z39paged_attention_ll4mi_QKV_mfma16_kernelIDF16_DF16_LN4vllm18Fp8KVCacheDataTypeE0EDF16_Li32ELi64ELi256ELb0ELi13EEvPKT_PKT0_S7_ifPKiS9_S9_iPKfiiiPfSC_PS2_PT2_iSB_SB_
__PRETTY_FUNCTION__._Z39paged_attention_ll4mi_QKV_mfma16_kernelIDF16_DF16_LN4vllm18Fp8KVCacheDataTypeE0EDF16_Li32ELi64ELi256ELb0ELi13EEvPKT_PKT0_S7_ifPKiS9_S9_iPKfiiiPfSC_PS2_PT2_iSB_SB_:
	.asciz	"void paged_attention_ll4mi_QKV_mfma16_kernel(const scalar_t *__restrict, const cache_t *__restrict, const cache_t *__restrict, const int, const float, const int *__restrict, const int *__restrict, const int *__restrict, const int, const float *__restrict, const int, const int, const int, float *__restrict, float *__restrict, scalar_t *__restrict, OUTT *__restrict, int, const float *, const float *) [scalar_t = _Float16, cache_t = _Float16, KV_DTYPE = vllm::Fp8KVCacheDataType::kAuto, OUTT = _Float16, BLOCK_SIZE = 32, HEAD_SIZE = 64, NUM_THREADS = 256, ALIBI_ENABLED = false, GQA_RATIO = 13]"
	.size	__PRETTY_FUNCTION__._Z39paged_attention_ll4mi_QKV_mfma16_kernelIDF16_DF16_LN4vllm18Fp8KVCacheDataTypeE0EDF16_Li32ELi64ELi256ELb0ELi13EEvPKT_PKT0_S7_ifPKiS9_S9_iPKfiiiPfSC_PS2_PT2_iSB_SB_, 596

	.type	__PRETTY_FUNCTION__._Z39paged_attention_ll4mi_QKV_mfma16_kernelIDF16_DF16_LN4vllm18Fp8KVCacheDataTypeE0EDF16_Li32ELi64ELi256ELb0ELi14EEvPKT_PKT0_S7_ifPKiS9_S9_iPKfiiiPfSC_PS2_PT2_iSB_SB_,@object ; @__PRETTY_FUNCTION__._Z39paged_attention_ll4mi_QKV_mfma16_kernelIDF16_DF16_LN4vllm18Fp8KVCacheDataTypeE0EDF16_Li32ELi64ELi256ELb0ELi14EEvPKT_PKT0_S7_ifPKiS9_S9_iPKfiiiPfSC_PS2_PT2_iSB_SB_
__PRETTY_FUNCTION__._Z39paged_attention_ll4mi_QKV_mfma16_kernelIDF16_DF16_LN4vllm18Fp8KVCacheDataTypeE0EDF16_Li32ELi64ELi256ELb0ELi14EEvPKT_PKT0_S7_ifPKiS9_S9_iPKfiiiPfSC_PS2_PT2_iSB_SB_:
	.asciz	"void paged_attention_ll4mi_QKV_mfma16_kernel(const scalar_t *__restrict, const cache_t *__restrict, const cache_t *__restrict, const int, const float, const int *__restrict, const int *__restrict, const int *__restrict, const int, const float *__restrict, const int, const int, const int, float *__restrict, float *__restrict, scalar_t *__restrict, OUTT *__restrict, int, const float *, const float *) [scalar_t = _Float16, cache_t = _Float16, KV_DTYPE = vllm::Fp8KVCacheDataType::kAuto, OUTT = _Float16, BLOCK_SIZE = 32, HEAD_SIZE = 64, NUM_THREADS = 256, ALIBI_ENABLED = false, GQA_RATIO = 14]"
	.size	__PRETTY_FUNCTION__._Z39paged_attention_ll4mi_QKV_mfma16_kernelIDF16_DF16_LN4vllm18Fp8KVCacheDataTypeE0EDF16_Li32ELi64ELi256ELb0ELi14EEvPKT_PKT0_S7_ifPKiS9_S9_iPKfiiiPfSC_PS2_PT2_iSB_SB_, 596

	.type	__PRETTY_FUNCTION__._Z39paged_attention_ll4mi_QKV_mfma16_kernelIDF16_DF16_LN4vllm18Fp8KVCacheDataTypeE0EDF16_Li32ELi64ELi256ELb0ELi15EEvPKT_PKT0_S7_ifPKiS9_S9_iPKfiiiPfSC_PS2_PT2_iSB_SB_,@object ; @__PRETTY_FUNCTION__._Z39paged_attention_ll4mi_QKV_mfma16_kernelIDF16_DF16_LN4vllm18Fp8KVCacheDataTypeE0EDF16_Li32ELi64ELi256ELb0ELi15EEvPKT_PKT0_S7_ifPKiS9_S9_iPKfiiiPfSC_PS2_PT2_iSB_SB_
__PRETTY_FUNCTION__._Z39paged_attention_ll4mi_QKV_mfma16_kernelIDF16_DF16_LN4vllm18Fp8KVCacheDataTypeE0EDF16_Li32ELi64ELi256ELb0ELi15EEvPKT_PKT0_S7_ifPKiS9_S9_iPKfiiiPfSC_PS2_PT2_iSB_SB_:
	.asciz	"void paged_attention_ll4mi_QKV_mfma16_kernel(const scalar_t *__restrict, const cache_t *__restrict, const cache_t *__restrict, const int, const float, const int *__restrict, const int *__restrict, const int *__restrict, const int, const float *__restrict, const int, const int, const int, float *__restrict, float *__restrict, scalar_t *__restrict, OUTT *__restrict, int, const float *, const float *) [scalar_t = _Float16, cache_t = _Float16, KV_DTYPE = vllm::Fp8KVCacheDataType::kAuto, OUTT = _Float16, BLOCK_SIZE = 32, HEAD_SIZE = 64, NUM_THREADS = 256, ALIBI_ENABLED = false, GQA_RATIO = 15]"
	.size	__PRETTY_FUNCTION__._Z39paged_attention_ll4mi_QKV_mfma16_kernelIDF16_DF16_LN4vllm18Fp8KVCacheDataTypeE0EDF16_Li32ELi64ELi256ELb0ELi15EEvPKT_PKT0_S7_ifPKiS9_S9_iPKfiiiPfSC_PS2_PT2_iSB_SB_, 596

	.type	__PRETTY_FUNCTION__._Z39paged_attention_ll4mi_QKV_mfma16_kernelIDF16_DF16_LN4vllm18Fp8KVCacheDataTypeE0EDF16_Li32ELi64ELi256ELb0ELi16EEvPKT_PKT0_S7_ifPKiS9_S9_iPKfiiiPfSC_PS2_PT2_iSB_SB_,@object ; @__PRETTY_FUNCTION__._Z39paged_attention_ll4mi_QKV_mfma16_kernelIDF16_DF16_LN4vllm18Fp8KVCacheDataTypeE0EDF16_Li32ELi64ELi256ELb0ELi16EEvPKT_PKT0_S7_ifPKiS9_S9_iPKfiiiPfSC_PS2_PT2_iSB_SB_
__PRETTY_FUNCTION__._Z39paged_attention_ll4mi_QKV_mfma16_kernelIDF16_DF16_LN4vllm18Fp8KVCacheDataTypeE0EDF16_Li32ELi64ELi256ELb0ELi16EEvPKT_PKT0_S7_ifPKiS9_S9_iPKfiiiPfSC_PS2_PT2_iSB_SB_:
	.asciz	"void paged_attention_ll4mi_QKV_mfma16_kernel(const scalar_t *__restrict, const cache_t *__restrict, const cache_t *__restrict, const int, const float, const int *__restrict, const int *__restrict, const int *__restrict, const int, const float *__restrict, const int, const int, const int, float *__restrict, float *__restrict, scalar_t *__restrict, OUTT *__restrict, int, const float *, const float *) [scalar_t = _Float16, cache_t = _Float16, KV_DTYPE = vllm::Fp8KVCacheDataType::kAuto, OUTT = _Float16, BLOCK_SIZE = 32, HEAD_SIZE = 64, NUM_THREADS = 256, ALIBI_ENABLED = false, GQA_RATIO = 16]"
	.size	__PRETTY_FUNCTION__._Z39paged_attention_ll4mi_QKV_mfma16_kernelIDF16_DF16_LN4vllm18Fp8KVCacheDataTypeE0EDF16_Li32ELi64ELi256ELb0ELi16EEvPKT_PKT0_S7_ifPKiS9_S9_iPKfiiiPfSC_PS2_PT2_iSB_SB_, 596

	.type	__PRETTY_FUNCTION__._Z39paged_attention_ll4mi_QKV_mfma16_kernelIDF16_DF16_LN4vllm18Fp8KVCacheDataTypeE0EDF16_Li32ELi64ELi256ELb0ELi1EEvPKT_PKT0_S7_ifPKiS9_S9_iPKfiiiPfSC_PS2_PT2_iSB_SB_,@object ; @__PRETTY_FUNCTION__._Z39paged_attention_ll4mi_QKV_mfma16_kernelIDF16_DF16_LN4vllm18Fp8KVCacheDataTypeE0EDF16_Li32ELi64ELi256ELb0ELi1EEvPKT_PKT0_S7_ifPKiS9_S9_iPKfiiiPfSC_PS2_PT2_iSB_SB_
__PRETTY_FUNCTION__._Z39paged_attention_ll4mi_QKV_mfma16_kernelIDF16_DF16_LN4vllm18Fp8KVCacheDataTypeE0EDF16_Li32ELi64ELi256ELb0ELi1EEvPKT_PKT0_S7_ifPKiS9_S9_iPKfiiiPfSC_PS2_PT2_iSB_SB_:
	.asciz	"void paged_attention_ll4mi_QKV_mfma16_kernel(const scalar_t *__restrict, const cache_t *__restrict, const cache_t *__restrict, const int, const float, const int *__restrict, const int *__restrict, const int *__restrict, const int, const float *__restrict, const int, const int, const int, float *__restrict, float *__restrict, scalar_t *__restrict, OUTT *__restrict, int, const float *, const float *) [scalar_t = _Float16, cache_t = _Float16, KV_DTYPE = vllm::Fp8KVCacheDataType::kAuto, OUTT = _Float16, BLOCK_SIZE = 32, HEAD_SIZE = 64, NUM_THREADS = 256, ALIBI_ENABLED = false, GQA_RATIO = 1]"
	.size	__PRETTY_FUNCTION__._Z39paged_attention_ll4mi_QKV_mfma16_kernelIDF16_DF16_LN4vllm18Fp8KVCacheDataTypeE0EDF16_Li32ELi64ELi256ELb0ELi1EEvPKT_PKT0_S7_ifPKiS9_S9_iPKfiiiPfSC_PS2_PT2_iSB_SB_, 595

	.type	__PRETTY_FUNCTION__._Z39paged_attention_ll4mi_QKV_mfma16_kernelIDF16_DF16_LN4vllm18Fp8KVCacheDataTypeE0EDF16_Li32ELi64ELi256ELb0ELi2EEvPKT_PKT0_S7_ifPKiS9_S9_iPKfiiiPfSC_PS2_PT2_iSB_SB_,@object ; @__PRETTY_FUNCTION__._Z39paged_attention_ll4mi_QKV_mfma16_kernelIDF16_DF16_LN4vllm18Fp8KVCacheDataTypeE0EDF16_Li32ELi64ELi256ELb0ELi2EEvPKT_PKT0_S7_ifPKiS9_S9_iPKfiiiPfSC_PS2_PT2_iSB_SB_
__PRETTY_FUNCTION__._Z39paged_attention_ll4mi_QKV_mfma16_kernelIDF16_DF16_LN4vllm18Fp8KVCacheDataTypeE0EDF16_Li32ELi64ELi256ELb0ELi2EEvPKT_PKT0_S7_ifPKiS9_S9_iPKfiiiPfSC_PS2_PT2_iSB_SB_:
	.asciz	"void paged_attention_ll4mi_QKV_mfma16_kernel(const scalar_t *__restrict, const cache_t *__restrict, const cache_t *__restrict, const int, const float, const int *__restrict, const int *__restrict, const int *__restrict, const int, const float *__restrict, const int, const int, const int, float *__restrict, float *__restrict, scalar_t *__restrict, OUTT *__restrict, int, const float *, const float *) [scalar_t = _Float16, cache_t = _Float16, KV_DTYPE = vllm::Fp8KVCacheDataType::kAuto, OUTT = _Float16, BLOCK_SIZE = 32, HEAD_SIZE = 64, NUM_THREADS = 256, ALIBI_ENABLED = false, GQA_RATIO = 2]"
	.size	__PRETTY_FUNCTION__._Z39paged_attention_ll4mi_QKV_mfma16_kernelIDF16_DF16_LN4vllm18Fp8KVCacheDataTypeE0EDF16_Li32ELi64ELi256ELb0ELi2EEvPKT_PKT0_S7_ifPKiS9_S9_iPKfiiiPfSC_PS2_PT2_iSB_SB_, 595

	.type	__PRETTY_FUNCTION__._Z39paged_attention_ll4mi_QKV_mfma16_kernelIDF16_DF16_LN4vllm18Fp8KVCacheDataTypeE0EDF16_Li32ELi64ELi256ELb0ELi3EEvPKT_PKT0_S7_ifPKiS9_S9_iPKfiiiPfSC_PS2_PT2_iSB_SB_,@object ; @__PRETTY_FUNCTION__._Z39paged_attention_ll4mi_QKV_mfma16_kernelIDF16_DF16_LN4vllm18Fp8KVCacheDataTypeE0EDF16_Li32ELi64ELi256ELb0ELi3EEvPKT_PKT0_S7_ifPKiS9_S9_iPKfiiiPfSC_PS2_PT2_iSB_SB_
__PRETTY_FUNCTION__._Z39paged_attention_ll4mi_QKV_mfma16_kernelIDF16_DF16_LN4vllm18Fp8KVCacheDataTypeE0EDF16_Li32ELi64ELi256ELb0ELi3EEvPKT_PKT0_S7_ifPKiS9_S9_iPKfiiiPfSC_PS2_PT2_iSB_SB_:
	.asciz	"void paged_attention_ll4mi_QKV_mfma16_kernel(const scalar_t *__restrict, const cache_t *__restrict, const cache_t *__restrict, const int, const float, const int *__restrict, const int *__restrict, const int *__restrict, const int, const float *__restrict, const int, const int, const int, float *__restrict, float *__restrict, scalar_t *__restrict, OUTT *__restrict, int, const float *, const float *) [scalar_t = _Float16, cache_t = _Float16, KV_DTYPE = vllm::Fp8KVCacheDataType::kAuto, OUTT = _Float16, BLOCK_SIZE = 32, HEAD_SIZE = 64, NUM_THREADS = 256, ALIBI_ENABLED = false, GQA_RATIO = 3]"
	.size	__PRETTY_FUNCTION__._Z39paged_attention_ll4mi_QKV_mfma16_kernelIDF16_DF16_LN4vllm18Fp8KVCacheDataTypeE0EDF16_Li32ELi64ELi256ELb0ELi3EEvPKT_PKT0_S7_ifPKiS9_S9_iPKfiiiPfSC_PS2_PT2_iSB_SB_, 595

	.type	__PRETTY_FUNCTION__._Z39paged_attention_ll4mi_QKV_mfma16_kernelIDF16_DF16_LN4vllm18Fp8KVCacheDataTypeE0EDF16_Li32ELi64ELi256ELb0ELi4EEvPKT_PKT0_S7_ifPKiS9_S9_iPKfiiiPfSC_PS2_PT2_iSB_SB_,@object ; @__PRETTY_FUNCTION__._Z39paged_attention_ll4mi_QKV_mfma16_kernelIDF16_DF16_LN4vllm18Fp8KVCacheDataTypeE0EDF16_Li32ELi64ELi256ELb0ELi4EEvPKT_PKT0_S7_ifPKiS9_S9_iPKfiiiPfSC_PS2_PT2_iSB_SB_
__PRETTY_FUNCTION__._Z39paged_attention_ll4mi_QKV_mfma16_kernelIDF16_DF16_LN4vllm18Fp8KVCacheDataTypeE0EDF16_Li32ELi64ELi256ELb0ELi4EEvPKT_PKT0_S7_ifPKiS9_S9_iPKfiiiPfSC_PS2_PT2_iSB_SB_:
	.asciz	"void paged_attention_ll4mi_QKV_mfma16_kernel(const scalar_t *__restrict, const cache_t *__restrict, const cache_t *__restrict, const int, const float, const int *__restrict, const int *__restrict, const int *__restrict, const int, const float *__restrict, const int, const int, const int, float *__restrict, float *__restrict, scalar_t *__restrict, OUTT *__restrict, int, const float *, const float *) [scalar_t = _Float16, cache_t = _Float16, KV_DTYPE = vllm::Fp8KVCacheDataType::kAuto, OUTT = _Float16, BLOCK_SIZE = 32, HEAD_SIZE = 64, NUM_THREADS = 256, ALIBI_ENABLED = false, GQA_RATIO = 4]"
	.size	__PRETTY_FUNCTION__._Z39paged_attention_ll4mi_QKV_mfma16_kernelIDF16_DF16_LN4vllm18Fp8KVCacheDataTypeE0EDF16_Li32ELi64ELi256ELb0ELi4EEvPKT_PKT0_S7_ifPKiS9_S9_iPKfiiiPfSC_PS2_PT2_iSB_SB_, 595

	.type	__PRETTY_FUNCTION__._Z38paged_attention_ll4mi_QKV_mfma4_kernelIDF16_DF16_LN4vllm18Fp8KVCacheDataTypeE0EhLi16ELi128ELi256ELb1ELi1EEvPKT_PKT0_S7_ifPKiS9_S9_iPKfiiiPfSC_PS2_PT2_iSB_SB_,@object ; @__PRETTY_FUNCTION__._Z38paged_attention_ll4mi_QKV_mfma4_kernelIDF16_DF16_LN4vllm18Fp8KVCacheDataTypeE0EhLi16ELi128ELi256ELb1ELi1EEvPKT_PKT0_S7_ifPKiS9_S9_iPKfiiiPfSC_PS2_PT2_iSB_SB_
__PRETTY_FUNCTION__._Z38paged_attention_ll4mi_QKV_mfma4_kernelIDF16_DF16_LN4vllm18Fp8KVCacheDataTypeE0EhLi16ELi128ELi256ELb1ELi1EEvPKT_PKT0_S7_ifPKiS9_S9_iPKfiiiPfSC_PS2_PT2_iSB_SB_:
	.asciz	"void paged_attention_ll4mi_QKV_mfma4_kernel(const scalar_t *__restrict, const cache_t *__restrict, const cache_t *__restrict, const int, const float, const int *__restrict, const int *__restrict, const int *__restrict, const int, const float *__restrict, const int, const int, const int, float *__restrict, float *__restrict, scalar_t *__restrict, OUTT *__restrict, int, const float *, const float *) [scalar_t = _Float16, cache_t = _Float16, KV_DTYPE = vllm::Fp8KVCacheDataType::kAuto, OUTT = unsigned char, BLOCK_SIZE = 16, HEAD_SIZE = 128, NUM_THREADS = 256, ALIBI_ENABLED = true, GQA_RATIO = 1]"
	.size	__PRETTY_FUNCTION__._Z38paged_attention_ll4mi_QKV_mfma4_kernelIDF16_DF16_LN4vllm18Fp8KVCacheDataTypeE0EhLi16ELi128ELi256ELb1ELi1EEvPKT_PKT0_S7_ifPKiS9_S9_iPKfiiiPfSC_PS2_PT2_iSB_SB_, 599

	.type	__PRETTY_FUNCTION__._Z38paged_attention_ll4mi_QKV_mfma4_kernelIDF16_DF16_LN4vllm18Fp8KVCacheDataTypeE0EhLi16ELi128ELi256ELb1ELi2EEvPKT_PKT0_S7_ifPKiS9_S9_iPKfiiiPfSC_PS2_PT2_iSB_SB_,@object ; @__PRETTY_FUNCTION__._Z38paged_attention_ll4mi_QKV_mfma4_kernelIDF16_DF16_LN4vllm18Fp8KVCacheDataTypeE0EhLi16ELi128ELi256ELb1ELi2EEvPKT_PKT0_S7_ifPKiS9_S9_iPKfiiiPfSC_PS2_PT2_iSB_SB_
__PRETTY_FUNCTION__._Z38paged_attention_ll4mi_QKV_mfma4_kernelIDF16_DF16_LN4vllm18Fp8KVCacheDataTypeE0EhLi16ELi128ELi256ELb1ELi2EEvPKT_PKT0_S7_ifPKiS9_S9_iPKfiiiPfSC_PS2_PT2_iSB_SB_:
	.asciz	"void paged_attention_ll4mi_QKV_mfma4_kernel(const scalar_t *__restrict, const cache_t *__restrict, const cache_t *__restrict, const int, const float, const int *__restrict, const int *__restrict, const int *__restrict, const int, const float *__restrict, const int, const int, const int, float *__restrict, float *__restrict, scalar_t *__restrict, OUTT *__restrict, int, const float *, const float *) [scalar_t = _Float16, cache_t = _Float16, KV_DTYPE = vllm::Fp8KVCacheDataType::kAuto, OUTT = unsigned char, BLOCK_SIZE = 16, HEAD_SIZE = 128, NUM_THREADS = 256, ALIBI_ENABLED = true, GQA_RATIO = 2]"
	.size	__PRETTY_FUNCTION__._Z38paged_attention_ll4mi_QKV_mfma4_kernelIDF16_DF16_LN4vllm18Fp8KVCacheDataTypeE0EhLi16ELi128ELi256ELb1ELi2EEvPKT_PKT0_S7_ifPKiS9_S9_iPKfiiiPfSC_PS2_PT2_iSB_SB_, 599

	.type	__PRETTY_FUNCTION__._Z38paged_attention_ll4mi_QKV_mfma4_kernelIDF16_DF16_LN4vllm18Fp8KVCacheDataTypeE0EhLi16ELi128ELi256ELb1ELi3EEvPKT_PKT0_S7_ifPKiS9_S9_iPKfiiiPfSC_PS2_PT2_iSB_SB_,@object ; @__PRETTY_FUNCTION__._Z38paged_attention_ll4mi_QKV_mfma4_kernelIDF16_DF16_LN4vllm18Fp8KVCacheDataTypeE0EhLi16ELi128ELi256ELb1ELi3EEvPKT_PKT0_S7_ifPKiS9_S9_iPKfiiiPfSC_PS2_PT2_iSB_SB_
__PRETTY_FUNCTION__._Z38paged_attention_ll4mi_QKV_mfma4_kernelIDF16_DF16_LN4vllm18Fp8KVCacheDataTypeE0EhLi16ELi128ELi256ELb1ELi3EEvPKT_PKT0_S7_ifPKiS9_S9_iPKfiiiPfSC_PS2_PT2_iSB_SB_:
	.asciz	"void paged_attention_ll4mi_QKV_mfma4_kernel(const scalar_t *__restrict, const cache_t *__restrict, const cache_t *__restrict, const int, const float, const int *__restrict, const int *__restrict, const int *__restrict, const int, const float *__restrict, const int, const int, const int, float *__restrict, float *__restrict, scalar_t *__restrict, OUTT *__restrict, int, const float *, const float *) [scalar_t = _Float16, cache_t = _Float16, KV_DTYPE = vllm::Fp8KVCacheDataType::kAuto, OUTT = unsigned char, BLOCK_SIZE = 16, HEAD_SIZE = 128, NUM_THREADS = 256, ALIBI_ENABLED = true, GQA_RATIO = 3]"
	.size	__PRETTY_FUNCTION__._Z38paged_attention_ll4mi_QKV_mfma4_kernelIDF16_DF16_LN4vllm18Fp8KVCacheDataTypeE0EhLi16ELi128ELi256ELb1ELi3EEvPKT_PKT0_S7_ifPKiS9_S9_iPKfiiiPfSC_PS2_PT2_iSB_SB_, 599

	.type	__PRETTY_FUNCTION__._Z38paged_attention_ll4mi_QKV_mfma4_kernelIDF16_DF16_LN4vllm18Fp8KVCacheDataTypeE0EhLi16ELi128ELi256ELb1ELi4EEvPKT_PKT0_S7_ifPKiS9_S9_iPKfiiiPfSC_PS2_PT2_iSB_SB_,@object ; @__PRETTY_FUNCTION__._Z38paged_attention_ll4mi_QKV_mfma4_kernelIDF16_DF16_LN4vllm18Fp8KVCacheDataTypeE0EhLi16ELi128ELi256ELb1ELi4EEvPKT_PKT0_S7_ifPKiS9_S9_iPKfiiiPfSC_PS2_PT2_iSB_SB_
__PRETTY_FUNCTION__._Z38paged_attention_ll4mi_QKV_mfma4_kernelIDF16_DF16_LN4vllm18Fp8KVCacheDataTypeE0EhLi16ELi128ELi256ELb1ELi4EEvPKT_PKT0_S7_ifPKiS9_S9_iPKfiiiPfSC_PS2_PT2_iSB_SB_:
	.asciz	"void paged_attention_ll4mi_QKV_mfma4_kernel(const scalar_t *__restrict, const cache_t *__restrict, const cache_t *__restrict, const int, const float, const int *__restrict, const int *__restrict, const int *__restrict, const int, const float *__restrict, const int, const int, const int, float *__restrict, float *__restrict, scalar_t *__restrict, OUTT *__restrict, int, const float *, const float *) [scalar_t = _Float16, cache_t = _Float16, KV_DTYPE = vllm::Fp8KVCacheDataType::kAuto, OUTT = unsigned char, BLOCK_SIZE = 16, HEAD_SIZE = 128, NUM_THREADS = 256, ALIBI_ENABLED = true, GQA_RATIO = 4]"
	.size	__PRETTY_FUNCTION__._Z38paged_attention_ll4mi_QKV_mfma4_kernelIDF16_DF16_LN4vllm18Fp8KVCacheDataTypeE0EhLi16ELi128ELi256ELb1ELi4EEvPKT_PKT0_S7_ifPKiS9_S9_iPKfiiiPfSC_PS2_PT2_iSB_SB_, 599

	.type	__PRETTY_FUNCTION__._Z39paged_attention_ll4mi_QKV_mfma16_kernelIDF16_DF16_LN4vllm18Fp8KVCacheDataTypeE0EhLi16ELi128ELi256ELb1ELi5EEvPKT_PKT0_S7_ifPKiS9_S9_iPKfiiiPfSC_PS2_PT2_iSB_SB_,@object ; @__PRETTY_FUNCTION__._Z39paged_attention_ll4mi_QKV_mfma16_kernelIDF16_DF16_LN4vllm18Fp8KVCacheDataTypeE0EhLi16ELi128ELi256ELb1ELi5EEvPKT_PKT0_S7_ifPKiS9_S9_iPKfiiiPfSC_PS2_PT2_iSB_SB_
__PRETTY_FUNCTION__._Z39paged_attention_ll4mi_QKV_mfma16_kernelIDF16_DF16_LN4vllm18Fp8KVCacheDataTypeE0EhLi16ELi128ELi256ELb1ELi5EEvPKT_PKT0_S7_ifPKiS9_S9_iPKfiiiPfSC_PS2_PT2_iSB_SB_:
	.asciz	"void paged_attention_ll4mi_QKV_mfma16_kernel(const scalar_t *__restrict, const cache_t *__restrict, const cache_t *__restrict, const int, const float, const int *__restrict, const int *__restrict, const int *__restrict, const int, const float *__restrict, const int, const int, const int, float *__restrict, float *__restrict, scalar_t *__restrict, OUTT *__restrict, int, const float *, const float *) [scalar_t = _Float16, cache_t = _Float16, KV_DTYPE = vllm::Fp8KVCacheDataType::kAuto, OUTT = unsigned char, BLOCK_SIZE = 16, HEAD_SIZE = 128, NUM_THREADS = 256, ALIBI_ENABLED = true, GQA_RATIO = 5]"
	.size	__PRETTY_FUNCTION__._Z39paged_attention_ll4mi_QKV_mfma16_kernelIDF16_DF16_LN4vllm18Fp8KVCacheDataTypeE0EhLi16ELi128ELi256ELb1ELi5EEvPKT_PKT0_S7_ifPKiS9_S9_iPKfiiiPfSC_PS2_PT2_iSB_SB_, 600

	.type	__PRETTY_FUNCTION__._Z39paged_attention_ll4mi_QKV_mfma16_kernelIDF16_DF16_LN4vllm18Fp8KVCacheDataTypeE0EhLi16ELi128ELi256ELb1ELi6EEvPKT_PKT0_S7_ifPKiS9_S9_iPKfiiiPfSC_PS2_PT2_iSB_SB_,@object ; @__PRETTY_FUNCTION__._Z39paged_attention_ll4mi_QKV_mfma16_kernelIDF16_DF16_LN4vllm18Fp8KVCacheDataTypeE0EhLi16ELi128ELi256ELb1ELi6EEvPKT_PKT0_S7_ifPKiS9_S9_iPKfiiiPfSC_PS2_PT2_iSB_SB_
__PRETTY_FUNCTION__._Z39paged_attention_ll4mi_QKV_mfma16_kernelIDF16_DF16_LN4vllm18Fp8KVCacheDataTypeE0EhLi16ELi128ELi256ELb1ELi6EEvPKT_PKT0_S7_ifPKiS9_S9_iPKfiiiPfSC_PS2_PT2_iSB_SB_:
	.asciz	"void paged_attention_ll4mi_QKV_mfma16_kernel(const scalar_t *__restrict, const cache_t *__restrict, const cache_t *__restrict, const int, const float, const int *__restrict, const int *__restrict, const int *__restrict, const int, const float *__restrict, const int, const int, const int, float *__restrict, float *__restrict, scalar_t *__restrict, OUTT *__restrict, int, const float *, const float *) [scalar_t = _Float16, cache_t = _Float16, KV_DTYPE = vllm::Fp8KVCacheDataType::kAuto, OUTT = unsigned char, BLOCK_SIZE = 16, HEAD_SIZE = 128, NUM_THREADS = 256, ALIBI_ENABLED = true, GQA_RATIO = 6]"
	.size	__PRETTY_FUNCTION__._Z39paged_attention_ll4mi_QKV_mfma16_kernelIDF16_DF16_LN4vllm18Fp8KVCacheDataTypeE0EhLi16ELi128ELi256ELb1ELi6EEvPKT_PKT0_S7_ifPKiS9_S9_iPKfiiiPfSC_PS2_PT2_iSB_SB_, 600

	.type	__PRETTY_FUNCTION__._Z39paged_attention_ll4mi_QKV_mfma16_kernelIDF16_DF16_LN4vllm18Fp8KVCacheDataTypeE0EhLi16ELi128ELi256ELb1ELi7EEvPKT_PKT0_S7_ifPKiS9_S9_iPKfiiiPfSC_PS2_PT2_iSB_SB_,@object ; @__PRETTY_FUNCTION__._Z39paged_attention_ll4mi_QKV_mfma16_kernelIDF16_DF16_LN4vllm18Fp8KVCacheDataTypeE0EhLi16ELi128ELi256ELb1ELi7EEvPKT_PKT0_S7_ifPKiS9_S9_iPKfiiiPfSC_PS2_PT2_iSB_SB_
__PRETTY_FUNCTION__._Z39paged_attention_ll4mi_QKV_mfma16_kernelIDF16_DF16_LN4vllm18Fp8KVCacheDataTypeE0EhLi16ELi128ELi256ELb1ELi7EEvPKT_PKT0_S7_ifPKiS9_S9_iPKfiiiPfSC_PS2_PT2_iSB_SB_:
	.asciz	"void paged_attention_ll4mi_QKV_mfma16_kernel(const scalar_t *__restrict, const cache_t *__restrict, const cache_t *__restrict, const int, const float, const int *__restrict, const int *__restrict, const int *__restrict, const int, const float *__restrict, const int, const int, const int, float *__restrict, float *__restrict, scalar_t *__restrict, OUTT *__restrict, int, const float *, const float *) [scalar_t = _Float16, cache_t = _Float16, KV_DTYPE = vllm::Fp8KVCacheDataType::kAuto, OUTT = unsigned char, BLOCK_SIZE = 16, HEAD_SIZE = 128, NUM_THREADS = 256, ALIBI_ENABLED = true, GQA_RATIO = 7]"
	.size	__PRETTY_FUNCTION__._Z39paged_attention_ll4mi_QKV_mfma16_kernelIDF16_DF16_LN4vllm18Fp8KVCacheDataTypeE0EhLi16ELi128ELi256ELb1ELi7EEvPKT_PKT0_S7_ifPKiS9_S9_iPKfiiiPfSC_PS2_PT2_iSB_SB_, 600

	.type	__PRETTY_FUNCTION__._Z39paged_attention_ll4mi_QKV_mfma16_kernelIDF16_DF16_LN4vllm18Fp8KVCacheDataTypeE0EhLi16ELi128ELi256ELb1ELi8EEvPKT_PKT0_S7_ifPKiS9_S9_iPKfiiiPfSC_PS2_PT2_iSB_SB_,@object ; @__PRETTY_FUNCTION__._Z39paged_attention_ll4mi_QKV_mfma16_kernelIDF16_DF16_LN4vllm18Fp8KVCacheDataTypeE0EhLi16ELi128ELi256ELb1ELi8EEvPKT_PKT0_S7_ifPKiS9_S9_iPKfiiiPfSC_PS2_PT2_iSB_SB_
__PRETTY_FUNCTION__._Z39paged_attention_ll4mi_QKV_mfma16_kernelIDF16_DF16_LN4vllm18Fp8KVCacheDataTypeE0EhLi16ELi128ELi256ELb1ELi8EEvPKT_PKT0_S7_ifPKiS9_S9_iPKfiiiPfSC_PS2_PT2_iSB_SB_:
	.asciz	"void paged_attention_ll4mi_QKV_mfma16_kernel(const scalar_t *__restrict, const cache_t *__restrict, const cache_t *__restrict, const int, const float, const int *__restrict, const int *__restrict, const int *__restrict, const int, const float *__restrict, const int, const int, const int, float *__restrict, float *__restrict, scalar_t *__restrict, OUTT *__restrict, int, const float *, const float *) [scalar_t = _Float16, cache_t = _Float16, KV_DTYPE = vllm::Fp8KVCacheDataType::kAuto, OUTT = unsigned char, BLOCK_SIZE = 16, HEAD_SIZE = 128, NUM_THREADS = 256, ALIBI_ENABLED = true, GQA_RATIO = 8]"
	.size	__PRETTY_FUNCTION__._Z39paged_attention_ll4mi_QKV_mfma16_kernelIDF16_DF16_LN4vllm18Fp8KVCacheDataTypeE0EhLi16ELi128ELi256ELb1ELi8EEvPKT_PKT0_S7_ifPKiS9_S9_iPKfiiiPfSC_PS2_PT2_iSB_SB_, 600

	.type	__PRETTY_FUNCTION__._Z39paged_attention_ll4mi_QKV_mfma16_kernelIDF16_DF16_LN4vllm18Fp8KVCacheDataTypeE0EhLi16ELi128ELi256ELb1ELi9EEvPKT_PKT0_S7_ifPKiS9_S9_iPKfiiiPfSC_PS2_PT2_iSB_SB_,@object ; @__PRETTY_FUNCTION__._Z39paged_attention_ll4mi_QKV_mfma16_kernelIDF16_DF16_LN4vllm18Fp8KVCacheDataTypeE0EhLi16ELi128ELi256ELb1ELi9EEvPKT_PKT0_S7_ifPKiS9_S9_iPKfiiiPfSC_PS2_PT2_iSB_SB_
__PRETTY_FUNCTION__._Z39paged_attention_ll4mi_QKV_mfma16_kernelIDF16_DF16_LN4vllm18Fp8KVCacheDataTypeE0EhLi16ELi128ELi256ELb1ELi9EEvPKT_PKT0_S7_ifPKiS9_S9_iPKfiiiPfSC_PS2_PT2_iSB_SB_:
	.asciz	"void paged_attention_ll4mi_QKV_mfma16_kernel(const scalar_t *__restrict, const cache_t *__restrict, const cache_t *__restrict, const int, const float, const int *__restrict, const int *__restrict, const int *__restrict, const int, const float *__restrict, const int, const int, const int, float *__restrict, float *__restrict, scalar_t *__restrict, OUTT *__restrict, int, const float *, const float *) [scalar_t = _Float16, cache_t = _Float16, KV_DTYPE = vllm::Fp8KVCacheDataType::kAuto, OUTT = unsigned char, BLOCK_SIZE = 16, HEAD_SIZE = 128, NUM_THREADS = 256, ALIBI_ENABLED = true, GQA_RATIO = 9]"
	.size	__PRETTY_FUNCTION__._Z39paged_attention_ll4mi_QKV_mfma16_kernelIDF16_DF16_LN4vllm18Fp8KVCacheDataTypeE0EhLi16ELi128ELi256ELb1ELi9EEvPKT_PKT0_S7_ifPKiS9_S9_iPKfiiiPfSC_PS2_PT2_iSB_SB_, 600

	.type	__PRETTY_FUNCTION__._Z39paged_attention_ll4mi_QKV_mfma16_kernelIDF16_DF16_LN4vllm18Fp8KVCacheDataTypeE0EhLi16ELi128ELi256ELb1ELi10EEvPKT_PKT0_S7_ifPKiS9_S9_iPKfiiiPfSC_PS2_PT2_iSB_SB_,@object ; @__PRETTY_FUNCTION__._Z39paged_attention_ll4mi_QKV_mfma16_kernelIDF16_DF16_LN4vllm18Fp8KVCacheDataTypeE0EhLi16ELi128ELi256ELb1ELi10EEvPKT_PKT0_S7_ifPKiS9_S9_iPKfiiiPfSC_PS2_PT2_iSB_SB_
__PRETTY_FUNCTION__._Z39paged_attention_ll4mi_QKV_mfma16_kernelIDF16_DF16_LN4vllm18Fp8KVCacheDataTypeE0EhLi16ELi128ELi256ELb1ELi10EEvPKT_PKT0_S7_ifPKiS9_S9_iPKfiiiPfSC_PS2_PT2_iSB_SB_:
	.asciz	"void paged_attention_ll4mi_QKV_mfma16_kernel(const scalar_t *__restrict, const cache_t *__restrict, const cache_t *__restrict, const int, const float, const int *__restrict, const int *__restrict, const int *__restrict, const int, const float *__restrict, const int, const int, const int, float *__restrict, float *__restrict, scalar_t *__restrict, OUTT *__restrict, int, const float *, const float *) [scalar_t = _Float16, cache_t = _Float16, KV_DTYPE = vllm::Fp8KVCacheDataType::kAuto, OUTT = unsigned char, BLOCK_SIZE = 16, HEAD_SIZE = 128, NUM_THREADS = 256, ALIBI_ENABLED = true, GQA_RATIO = 10]"
	.size	__PRETTY_FUNCTION__._Z39paged_attention_ll4mi_QKV_mfma16_kernelIDF16_DF16_LN4vllm18Fp8KVCacheDataTypeE0EhLi16ELi128ELi256ELb1ELi10EEvPKT_PKT0_S7_ifPKiS9_S9_iPKfiiiPfSC_PS2_PT2_iSB_SB_, 601

	.type	__PRETTY_FUNCTION__._Z39paged_attention_ll4mi_QKV_mfma16_kernelIDF16_DF16_LN4vllm18Fp8KVCacheDataTypeE0EhLi16ELi128ELi256ELb1ELi11EEvPKT_PKT0_S7_ifPKiS9_S9_iPKfiiiPfSC_PS2_PT2_iSB_SB_,@object ; @__PRETTY_FUNCTION__._Z39paged_attention_ll4mi_QKV_mfma16_kernelIDF16_DF16_LN4vllm18Fp8KVCacheDataTypeE0EhLi16ELi128ELi256ELb1ELi11EEvPKT_PKT0_S7_ifPKiS9_S9_iPKfiiiPfSC_PS2_PT2_iSB_SB_
__PRETTY_FUNCTION__._Z39paged_attention_ll4mi_QKV_mfma16_kernelIDF16_DF16_LN4vllm18Fp8KVCacheDataTypeE0EhLi16ELi128ELi256ELb1ELi11EEvPKT_PKT0_S7_ifPKiS9_S9_iPKfiiiPfSC_PS2_PT2_iSB_SB_:
	.asciz	"void paged_attention_ll4mi_QKV_mfma16_kernel(const scalar_t *__restrict, const cache_t *__restrict, const cache_t *__restrict, const int, const float, const int *__restrict, const int *__restrict, const int *__restrict, const int, const float *__restrict, const int, const int, const int, float *__restrict, float *__restrict, scalar_t *__restrict, OUTT *__restrict, int, const float *, const float *) [scalar_t = _Float16, cache_t = _Float16, KV_DTYPE = vllm::Fp8KVCacheDataType::kAuto, OUTT = unsigned char, BLOCK_SIZE = 16, HEAD_SIZE = 128, NUM_THREADS = 256, ALIBI_ENABLED = true, GQA_RATIO = 11]"
	.size	__PRETTY_FUNCTION__._Z39paged_attention_ll4mi_QKV_mfma16_kernelIDF16_DF16_LN4vllm18Fp8KVCacheDataTypeE0EhLi16ELi128ELi256ELb1ELi11EEvPKT_PKT0_S7_ifPKiS9_S9_iPKfiiiPfSC_PS2_PT2_iSB_SB_, 601

	.type	__PRETTY_FUNCTION__._Z39paged_attention_ll4mi_QKV_mfma16_kernelIDF16_DF16_LN4vllm18Fp8KVCacheDataTypeE0EhLi16ELi128ELi256ELb1ELi12EEvPKT_PKT0_S7_ifPKiS9_S9_iPKfiiiPfSC_PS2_PT2_iSB_SB_,@object ; @__PRETTY_FUNCTION__._Z39paged_attention_ll4mi_QKV_mfma16_kernelIDF16_DF16_LN4vllm18Fp8KVCacheDataTypeE0EhLi16ELi128ELi256ELb1ELi12EEvPKT_PKT0_S7_ifPKiS9_S9_iPKfiiiPfSC_PS2_PT2_iSB_SB_
__PRETTY_FUNCTION__._Z39paged_attention_ll4mi_QKV_mfma16_kernelIDF16_DF16_LN4vllm18Fp8KVCacheDataTypeE0EhLi16ELi128ELi256ELb1ELi12EEvPKT_PKT0_S7_ifPKiS9_S9_iPKfiiiPfSC_PS2_PT2_iSB_SB_:
	.asciz	"void paged_attention_ll4mi_QKV_mfma16_kernel(const scalar_t *__restrict, const cache_t *__restrict, const cache_t *__restrict, const int, const float, const int *__restrict, const int *__restrict, const int *__restrict, const int, const float *__restrict, const int, const int, const int, float *__restrict, float *__restrict, scalar_t *__restrict, OUTT *__restrict, int, const float *, const float *) [scalar_t = _Float16, cache_t = _Float16, KV_DTYPE = vllm::Fp8KVCacheDataType::kAuto, OUTT = unsigned char, BLOCK_SIZE = 16, HEAD_SIZE = 128, NUM_THREADS = 256, ALIBI_ENABLED = true, GQA_RATIO = 12]"
	.size	__PRETTY_FUNCTION__._Z39paged_attention_ll4mi_QKV_mfma16_kernelIDF16_DF16_LN4vllm18Fp8KVCacheDataTypeE0EhLi16ELi128ELi256ELb1ELi12EEvPKT_PKT0_S7_ifPKiS9_S9_iPKfiiiPfSC_PS2_PT2_iSB_SB_, 601

	.type	__PRETTY_FUNCTION__._Z39paged_attention_ll4mi_QKV_mfma16_kernelIDF16_DF16_LN4vllm18Fp8KVCacheDataTypeE0EhLi16ELi128ELi256ELb1ELi13EEvPKT_PKT0_S7_ifPKiS9_S9_iPKfiiiPfSC_PS2_PT2_iSB_SB_,@object ; @__PRETTY_FUNCTION__._Z39paged_attention_ll4mi_QKV_mfma16_kernelIDF16_DF16_LN4vllm18Fp8KVCacheDataTypeE0EhLi16ELi128ELi256ELb1ELi13EEvPKT_PKT0_S7_ifPKiS9_S9_iPKfiiiPfSC_PS2_PT2_iSB_SB_
__PRETTY_FUNCTION__._Z39paged_attention_ll4mi_QKV_mfma16_kernelIDF16_DF16_LN4vllm18Fp8KVCacheDataTypeE0EhLi16ELi128ELi256ELb1ELi13EEvPKT_PKT0_S7_ifPKiS9_S9_iPKfiiiPfSC_PS2_PT2_iSB_SB_:
	.asciz	"void paged_attention_ll4mi_QKV_mfma16_kernel(const scalar_t *__restrict, const cache_t *__restrict, const cache_t *__restrict, const int, const float, const int *__restrict, const int *__restrict, const int *__restrict, const int, const float *__restrict, const int, const int, const int, float *__restrict, float *__restrict, scalar_t *__restrict, OUTT *__restrict, int, const float *, const float *) [scalar_t = _Float16, cache_t = _Float16, KV_DTYPE = vllm::Fp8KVCacheDataType::kAuto, OUTT = unsigned char, BLOCK_SIZE = 16, HEAD_SIZE = 128, NUM_THREADS = 256, ALIBI_ENABLED = true, GQA_RATIO = 13]"
	.size	__PRETTY_FUNCTION__._Z39paged_attention_ll4mi_QKV_mfma16_kernelIDF16_DF16_LN4vllm18Fp8KVCacheDataTypeE0EhLi16ELi128ELi256ELb1ELi13EEvPKT_PKT0_S7_ifPKiS9_S9_iPKfiiiPfSC_PS2_PT2_iSB_SB_, 601

	.type	__PRETTY_FUNCTION__._Z39paged_attention_ll4mi_QKV_mfma16_kernelIDF16_DF16_LN4vllm18Fp8KVCacheDataTypeE0EhLi16ELi128ELi256ELb1ELi14EEvPKT_PKT0_S7_ifPKiS9_S9_iPKfiiiPfSC_PS2_PT2_iSB_SB_,@object ; @__PRETTY_FUNCTION__._Z39paged_attention_ll4mi_QKV_mfma16_kernelIDF16_DF16_LN4vllm18Fp8KVCacheDataTypeE0EhLi16ELi128ELi256ELb1ELi14EEvPKT_PKT0_S7_ifPKiS9_S9_iPKfiiiPfSC_PS2_PT2_iSB_SB_
__PRETTY_FUNCTION__._Z39paged_attention_ll4mi_QKV_mfma16_kernelIDF16_DF16_LN4vllm18Fp8KVCacheDataTypeE0EhLi16ELi128ELi256ELb1ELi14EEvPKT_PKT0_S7_ifPKiS9_S9_iPKfiiiPfSC_PS2_PT2_iSB_SB_:
	.asciz	"void paged_attention_ll4mi_QKV_mfma16_kernel(const scalar_t *__restrict, const cache_t *__restrict, const cache_t *__restrict, const int, const float, const int *__restrict, const int *__restrict, const int *__restrict, const int, const float *__restrict, const int, const int, const int, float *__restrict, float *__restrict, scalar_t *__restrict, OUTT *__restrict, int, const float *, const float *) [scalar_t = _Float16, cache_t = _Float16, KV_DTYPE = vllm::Fp8KVCacheDataType::kAuto, OUTT = unsigned char, BLOCK_SIZE = 16, HEAD_SIZE = 128, NUM_THREADS = 256, ALIBI_ENABLED = true, GQA_RATIO = 14]"
	.size	__PRETTY_FUNCTION__._Z39paged_attention_ll4mi_QKV_mfma16_kernelIDF16_DF16_LN4vllm18Fp8KVCacheDataTypeE0EhLi16ELi128ELi256ELb1ELi14EEvPKT_PKT0_S7_ifPKiS9_S9_iPKfiiiPfSC_PS2_PT2_iSB_SB_, 601

	.type	__PRETTY_FUNCTION__._Z39paged_attention_ll4mi_QKV_mfma16_kernelIDF16_DF16_LN4vllm18Fp8KVCacheDataTypeE0EhLi16ELi128ELi256ELb1ELi15EEvPKT_PKT0_S7_ifPKiS9_S9_iPKfiiiPfSC_PS2_PT2_iSB_SB_,@object ; @__PRETTY_FUNCTION__._Z39paged_attention_ll4mi_QKV_mfma16_kernelIDF16_DF16_LN4vllm18Fp8KVCacheDataTypeE0EhLi16ELi128ELi256ELb1ELi15EEvPKT_PKT0_S7_ifPKiS9_S9_iPKfiiiPfSC_PS2_PT2_iSB_SB_
__PRETTY_FUNCTION__._Z39paged_attention_ll4mi_QKV_mfma16_kernelIDF16_DF16_LN4vllm18Fp8KVCacheDataTypeE0EhLi16ELi128ELi256ELb1ELi15EEvPKT_PKT0_S7_ifPKiS9_S9_iPKfiiiPfSC_PS2_PT2_iSB_SB_:
	.asciz	"void paged_attention_ll4mi_QKV_mfma16_kernel(const scalar_t *__restrict, const cache_t *__restrict, const cache_t *__restrict, const int, const float, const int *__restrict, const int *__restrict, const int *__restrict, const int, const float *__restrict, const int, const int, const int, float *__restrict, float *__restrict, scalar_t *__restrict, OUTT *__restrict, int, const float *, const float *) [scalar_t = _Float16, cache_t = _Float16, KV_DTYPE = vllm::Fp8KVCacheDataType::kAuto, OUTT = unsigned char, BLOCK_SIZE = 16, HEAD_SIZE = 128, NUM_THREADS = 256, ALIBI_ENABLED = true, GQA_RATIO = 15]"
	.size	__PRETTY_FUNCTION__._Z39paged_attention_ll4mi_QKV_mfma16_kernelIDF16_DF16_LN4vllm18Fp8KVCacheDataTypeE0EhLi16ELi128ELi256ELb1ELi15EEvPKT_PKT0_S7_ifPKiS9_S9_iPKfiiiPfSC_PS2_PT2_iSB_SB_, 601

	.type	__PRETTY_FUNCTION__._Z39paged_attention_ll4mi_QKV_mfma16_kernelIDF16_DF16_LN4vllm18Fp8KVCacheDataTypeE0EhLi16ELi128ELi256ELb1ELi16EEvPKT_PKT0_S7_ifPKiS9_S9_iPKfiiiPfSC_PS2_PT2_iSB_SB_,@object ; @__PRETTY_FUNCTION__._Z39paged_attention_ll4mi_QKV_mfma16_kernelIDF16_DF16_LN4vllm18Fp8KVCacheDataTypeE0EhLi16ELi128ELi256ELb1ELi16EEvPKT_PKT0_S7_ifPKiS9_S9_iPKfiiiPfSC_PS2_PT2_iSB_SB_
__PRETTY_FUNCTION__._Z39paged_attention_ll4mi_QKV_mfma16_kernelIDF16_DF16_LN4vllm18Fp8KVCacheDataTypeE0EhLi16ELi128ELi256ELb1ELi16EEvPKT_PKT0_S7_ifPKiS9_S9_iPKfiiiPfSC_PS2_PT2_iSB_SB_:
	.asciz	"void paged_attention_ll4mi_QKV_mfma16_kernel(const scalar_t *__restrict, const cache_t *__restrict, const cache_t *__restrict, const int, const float, const int *__restrict, const int *__restrict, const int *__restrict, const int, const float *__restrict, const int, const int, const int, float *__restrict, float *__restrict, scalar_t *__restrict, OUTT *__restrict, int, const float *, const float *) [scalar_t = _Float16, cache_t = _Float16, KV_DTYPE = vllm::Fp8KVCacheDataType::kAuto, OUTT = unsigned char, BLOCK_SIZE = 16, HEAD_SIZE = 128, NUM_THREADS = 256, ALIBI_ENABLED = true, GQA_RATIO = 16]"
	.size	__PRETTY_FUNCTION__._Z39paged_attention_ll4mi_QKV_mfma16_kernelIDF16_DF16_LN4vllm18Fp8KVCacheDataTypeE0EhLi16ELi128ELi256ELb1ELi16EEvPKT_PKT0_S7_ifPKiS9_S9_iPKfiiiPfSC_PS2_PT2_iSB_SB_, 601

	.type	__PRETTY_FUNCTION__._Z35paged_attention_ll4mi_reduce_kernelIDF16_hLi128ELi128ELi256ELi1EEvPT0_PKfS3_PKT_PKiS8_iS3_,@object ; @__PRETTY_FUNCTION__._Z35paged_attention_ll4mi_reduce_kernelIDF16_hLi128ELi128ELi256ELi1EEvPT0_PKfS3_PKT_PKiS8_iS3_
__PRETTY_FUNCTION__._Z35paged_attention_ll4mi_reduce_kernelIDF16_hLi128ELi128ELi256ELi1EEvPT0_PKfS3_PKT_PKiS8_iS3_:
	.asciz	"void paged_attention_ll4mi_reduce_kernel(OUTT *__restrict, const float *__restrict, const float *__restrict, const scalar_t *__restrict, const int *__restrict, const int *__restrict, const int, const float *__restrict) [scalar_t = _Float16, OUTT = unsigned char, HEAD_SIZE = 128, NUM_THREADS = 128, PARTITION_SIZE = 256, NPAR_LOOPS = 1]"
	.size	__PRETTY_FUNCTION__._Z35paged_attention_ll4mi_reduce_kernelIDF16_hLi128ELi128ELi256ELi1EEvPT0_PKfS3_PKT_PKiS8_iS3_, 337

	.type	__PRETTY_FUNCTION__._Z35paged_attention_ll4mi_reduce_kernelIDF16_hLi128ELi128ELi256ELi2EEvPT0_PKfS3_PKT_PKiS8_iS3_,@object ; @__PRETTY_FUNCTION__._Z35paged_attention_ll4mi_reduce_kernelIDF16_hLi128ELi128ELi256ELi2EEvPT0_PKfS3_PKT_PKiS8_iS3_
__PRETTY_FUNCTION__._Z35paged_attention_ll4mi_reduce_kernelIDF16_hLi128ELi128ELi256ELi2EEvPT0_PKfS3_PKT_PKiS8_iS3_:
	.asciz	"void paged_attention_ll4mi_reduce_kernel(OUTT *__restrict, const float *__restrict, const float *__restrict, const scalar_t *__restrict, const int *__restrict, const int *__restrict, const int, const float *__restrict) [scalar_t = _Float16, OUTT = unsigned char, HEAD_SIZE = 128, NUM_THREADS = 128, PARTITION_SIZE = 256, NPAR_LOOPS = 2]"
	.size	__PRETTY_FUNCTION__._Z35paged_attention_ll4mi_reduce_kernelIDF16_hLi128ELi128ELi256ELi2EEvPT0_PKfS3_PKT_PKiS8_iS3_, 337

	.type	__PRETTY_FUNCTION__._Z35paged_attention_ll4mi_reduce_kernelIDF16_hLi128ELi128ELi256ELi3EEvPT0_PKfS3_PKT_PKiS8_iS3_,@object ; @__PRETTY_FUNCTION__._Z35paged_attention_ll4mi_reduce_kernelIDF16_hLi128ELi128ELi256ELi3EEvPT0_PKfS3_PKT_PKiS8_iS3_
__PRETTY_FUNCTION__._Z35paged_attention_ll4mi_reduce_kernelIDF16_hLi128ELi128ELi256ELi3EEvPT0_PKfS3_PKT_PKiS8_iS3_:
	.asciz	"void paged_attention_ll4mi_reduce_kernel(OUTT *__restrict, const float *__restrict, const float *__restrict, const scalar_t *__restrict, const int *__restrict, const int *__restrict, const int, const float *__restrict) [scalar_t = _Float16, OUTT = unsigned char, HEAD_SIZE = 128, NUM_THREADS = 128, PARTITION_SIZE = 256, NPAR_LOOPS = 3]"
	.size	__PRETTY_FUNCTION__._Z35paged_attention_ll4mi_reduce_kernelIDF16_hLi128ELi128ELi256ELi3EEvPT0_PKfS3_PKT_PKiS8_iS3_, 337

	.type	__PRETTY_FUNCTION__._Z35paged_attention_ll4mi_reduce_kernelIDF16_hLi128ELi128ELi256ELi4EEvPT0_PKfS3_PKT_PKiS8_iS3_,@object ; @__PRETTY_FUNCTION__._Z35paged_attention_ll4mi_reduce_kernelIDF16_hLi128ELi128ELi256ELi4EEvPT0_PKfS3_PKT_PKiS8_iS3_
__PRETTY_FUNCTION__._Z35paged_attention_ll4mi_reduce_kernelIDF16_hLi128ELi128ELi256ELi4EEvPT0_PKfS3_PKT_PKiS8_iS3_:
	.asciz	"void paged_attention_ll4mi_reduce_kernel(OUTT *__restrict, const float *__restrict, const float *__restrict, const scalar_t *__restrict, const int *__restrict, const int *__restrict, const int, const float *__restrict) [scalar_t = _Float16, OUTT = unsigned char, HEAD_SIZE = 128, NUM_THREADS = 128, PARTITION_SIZE = 256, NPAR_LOOPS = 4]"
	.size	__PRETTY_FUNCTION__._Z35paged_attention_ll4mi_reduce_kernelIDF16_hLi128ELi128ELi256ELi4EEvPT0_PKfS3_PKT_PKiS8_iS3_, 337

	.type	__PRETTY_FUNCTION__._Z35paged_attention_ll4mi_reduce_kernelIDF16_hLi128ELi128ELi256ELi5EEvPT0_PKfS3_PKT_PKiS8_iS3_,@object ; @__PRETTY_FUNCTION__._Z35paged_attention_ll4mi_reduce_kernelIDF16_hLi128ELi128ELi256ELi5EEvPT0_PKfS3_PKT_PKiS8_iS3_
__PRETTY_FUNCTION__._Z35paged_attention_ll4mi_reduce_kernelIDF16_hLi128ELi128ELi256ELi5EEvPT0_PKfS3_PKT_PKiS8_iS3_:
	.asciz	"void paged_attention_ll4mi_reduce_kernel(OUTT *__restrict, const float *__restrict, const float *__restrict, const scalar_t *__restrict, const int *__restrict, const int *__restrict, const int, const float *__restrict) [scalar_t = _Float16, OUTT = unsigned char, HEAD_SIZE = 128, NUM_THREADS = 128, PARTITION_SIZE = 256, NPAR_LOOPS = 5]"
	.size	__PRETTY_FUNCTION__._Z35paged_attention_ll4mi_reduce_kernelIDF16_hLi128ELi128ELi256ELi5EEvPT0_PKfS3_PKT_PKiS8_iS3_, 337

	.type	__PRETTY_FUNCTION__._Z35paged_attention_ll4mi_reduce_kernelIDF16_hLi128ELi128ELi256ELi6EEvPT0_PKfS3_PKT_PKiS8_iS3_,@object ; @__PRETTY_FUNCTION__._Z35paged_attention_ll4mi_reduce_kernelIDF16_hLi128ELi128ELi256ELi6EEvPT0_PKfS3_PKT_PKiS8_iS3_
__PRETTY_FUNCTION__._Z35paged_attention_ll4mi_reduce_kernelIDF16_hLi128ELi128ELi256ELi6EEvPT0_PKfS3_PKT_PKiS8_iS3_:
	.asciz	"void paged_attention_ll4mi_reduce_kernel(OUTT *__restrict, const float *__restrict, const float *__restrict, const scalar_t *__restrict, const int *__restrict, const int *__restrict, const int, const float *__restrict) [scalar_t = _Float16, OUTT = unsigned char, HEAD_SIZE = 128, NUM_THREADS = 128, PARTITION_SIZE = 256, NPAR_LOOPS = 6]"
	.size	__PRETTY_FUNCTION__._Z35paged_attention_ll4mi_reduce_kernelIDF16_hLi128ELi128ELi256ELi6EEvPT0_PKfS3_PKT_PKiS8_iS3_, 337

	.type	__PRETTY_FUNCTION__._Z35paged_attention_ll4mi_reduce_kernelIDF16_hLi128ELi128ELi256ELi7EEvPT0_PKfS3_PKT_PKiS8_iS3_,@object ; @__PRETTY_FUNCTION__._Z35paged_attention_ll4mi_reduce_kernelIDF16_hLi128ELi128ELi256ELi7EEvPT0_PKfS3_PKT_PKiS8_iS3_
__PRETTY_FUNCTION__._Z35paged_attention_ll4mi_reduce_kernelIDF16_hLi128ELi128ELi256ELi7EEvPT0_PKfS3_PKT_PKiS8_iS3_:
	.asciz	"void paged_attention_ll4mi_reduce_kernel(OUTT *__restrict, const float *__restrict, const float *__restrict, const scalar_t *__restrict, const int *__restrict, const int *__restrict, const int, const float *__restrict) [scalar_t = _Float16, OUTT = unsigned char, HEAD_SIZE = 128, NUM_THREADS = 128, PARTITION_SIZE = 256, NPAR_LOOPS = 7]"
	.size	__PRETTY_FUNCTION__._Z35paged_attention_ll4mi_reduce_kernelIDF16_hLi128ELi128ELi256ELi7EEvPT0_PKfS3_PKT_PKiS8_iS3_, 337

	.type	__PRETTY_FUNCTION__._Z35paged_attention_ll4mi_reduce_kernelIDF16_hLi128ELi128ELi256ELi8EEvPT0_PKfS3_PKT_PKiS8_iS3_,@object ; @__PRETTY_FUNCTION__._Z35paged_attention_ll4mi_reduce_kernelIDF16_hLi128ELi128ELi256ELi8EEvPT0_PKfS3_PKT_PKiS8_iS3_
__PRETTY_FUNCTION__._Z35paged_attention_ll4mi_reduce_kernelIDF16_hLi128ELi128ELi256ELi8EEvPT0_PKfS3_PKT_PKiS8_iS3_:
	.asciz	"void paged_attention_ll4mi_reduce_kernel(OUTT *__restrict, const float *__restrict, const float *__restrict, const scalar_t *__restrict, const int *__restrict, const int *__restrict, const int, const float *__restrict) [scalar_t = _Float16, OUTT = unsigned char, HEAD_SIZE = 128, NUM_THREADS = 128, PARTITION_SIZE = 256, NPAR_LOOPS = 8]"
	.size	__PRETTY_FUNCTION__._Z35paged_attention_ll4mi_reduce_kernelIDF16_hLi128ELi128ELi256ELi8EEvPT0_PKfS3_PKT_PKiS8_iS3_, 337

	.type	__PRETTY_FUNCTION__._Z39paged_attention_ll4mi_QKV_mfma16_kernelIDF16_DF16_LN4vllm18Fp8KVCacheDataTypeE0EhLi16ELi128ELi256ELb1ELi1EEvPKT_PKT0_S7_ifPKiS9_S9_iPKfiiiPfSC_PS2_PT2_iSB_SB_,@object ; @__PRETTY_FUNCTION__._Z39paged_attention_ll4mi_QKV_mfma16_kernelIDF16_DF16_LN4vllm18Fp8KVCacheDataTypeE0EhLi16ELi128ELi256ELb1ELi1EEvPKT_PKT0_S7_ifPKiS9_S9_iPKfiiiPfSC_PS2_PT2_iSB_SB_
__PRETTY_FUNCTION__._Z39paged_attention_ll4mi_QKV_mfma16_kernelIDF16_DF16_LN4vllm18Fp8KVCacheDataTypeE0EhLi16ELi128ELi256ELb1ELi1EEvPKT_PKT0_S7_ifPKiS9_S9_iPKfiiiPfSC_PS2_PT2_iSB_SB_:
	.asciz	"void paged_attention_ll4mi_QKV_mfma16_kernel(const scalar_t *__restrict, const cache_t *__restrict, const cache_t *__restrict, const int, const float, const int *__restrict, const int *__restrict, const int *__restrict, const int, const float *__restrict, const int, const int, const int, float *__restrict, float *__restrict, scalar_t *__restrict, OUTT *__restrict, int, const float *, const float *) [scalar_t = _Float16, cache_t = _Float16, KV_DTYPE = vllm::Fp8KVCacheDataType::kAuto, OUTT = unsigned char, BLOCK_SIZE = 16, HEAD_SIZE = 128, NUM_THREADS = 256, ALIBI_ENABLED = true, GQA_RATIO = 1]"
	.size	__PRETTY_FUNCTION__._Z39paged_attention_ll4mi_QKV_mfma16_kernelIDF16_DF16_LN4vllm18Fp8KVCacheDataTypeE0EhLi16ELi128ELi256ELb1ELi1EEvPKT_PKT0_S7_ifPKiS9_S9_iPKfiiiPfSC_PS2_PT2_iSB_SB_, 600

	.type	__PRETTY_FUNCTION__._Z39paged_attention_ll4mi_QKV_mfma16_kernelIDF16_DF16_LN4vllm18Fp8KVCacheDataTypeE0EhLi16ELi128ELi256ELb1ELi2EEvPKT_PKT0_S7_ifPKiS9_S9_iPKfiiiPfSC_PS2_PT2_iSB_SB_,@object ; @__PRETTY_FUNCTION__._Z39paged_attention_ll4mi_QKV_mfma16_kernelIDF16_DF16_LN4vllm18Fp8KVCacheDataTypeE0EhLi16ELi128ELi256ELb1ELi2EEvPKT_PKT0_S7_ifPKiS9_S9_iPKfiiiPfSC_PS2_PT2_iSB_SB_
__PRETTY_FUNCTION__._Z39paged_attention_ll4mi_QKV_mfma16_kernelIDF16_DF16_LN4vllm18Fp8KVCacheDataTypeE0EhLi16ELi128ELi256ELb1ELi2EEvPKT_PKT0_S7_ifPKiS9_S9_iPKfiiiPfSC_PS2_PT2_iSB_SB_:
	.asciz	"void paged_attention_ll4mi_QKV_mfma16_kernel(const scalar_t *__restrict, const cache_t *__restrict, const cache_t *__restrict, const int, const float, const int *__restrict, const int *__restrict, const int *__restrict, const int, const float *__restrict, const int, const int, const int, float *__restrict, float *__restrict, scalar_t *__restrict, OUTT *__restrict, int, const float *, const float *) [scalar_t = _Float16, cache_t = _Float16, KV_DTYPE = vllm::Fp8KVCacheDataType::kAuto, OUTT = unsigned char, BLOCK_SIZE = 16, HEAD_SIZE = 128, NUM_THREADS = 256, ALIBI_ENABLED = true, GQA_RATIO = 2]"
	.size	__PRETTY_FUNCTION__._Z39paged_attention_ll4mi_QKV_mfma16_kernelIDF16_DF16_LN4vllm18Fp8KVCacheDataTypeE0EhLi16ELi128ELi256ELb1ELi2EEvPKT_PKT0_S7_ifPKiS9_S9_iPKfiiiPfSC_PS2_PT2_iSB_SB_, 600

	.type	__PRETTY_FUNCTION__._Z39paged_attention_ll4mi_QKV_mfma16_kernelIDF16_DF16_LN4vllm18Fp8KVCacheDataTypeE0EhLi16ELi128ELi256ELb1ELi3EEvPKT_PKT0_S7_ifPKiS9_S9_iPKfiiiPfSC_PS2_PT2_iSB_SB_,@object ; @__PRETTY_FUNCTION__._Z39paged_attention_ll4mi_QKV_mfma16_kernelIDF16_DF16_LN4vllm18Fp8KVCacheDataTypeE0EhLi16ELi128ELi256ELb1ELi3EEvPKT_PKT0_S7_ifPKiS9_S9_iPKfiiiPfSC_PS2_PT2_iSB_SB_
__PRETTY_FUNCTION__._Z39paged_attention_ll4mi_QKV_mfma16_kernelIDF16_DF16_LN4vllm18Fp8KVCacheDataTypeE0EhLi16ELi128ELi256ELb1ELi3EEvPKT_PKT0_S7_ifPKiS9_S9_iPKfiiiPfSC_PS2_PT2_iSB_SB_:
	.asciz	"void paged_attention_ll4mi_QKV_mfma16_kernel(const scalar_t *__restrict, const cache_t *__restrict, const cache_t *__restrict, const int, const float, const int *__restrict, const int *__restrict, const int *__restrict, const int, const float *__restrict, const int, const int, const int, float *__restrict, float *__restrict, scalar_t *__restrict, OUTT *__restrict, int, const float *, const float *) [scalar_t = _Float16, cache_t = _Float16, KV_DTYPE = vllm::Fp8KVCacheDataType::kAuto, OUTT = unsigned char, BLOCK_SIZE = 16, HEAD_SIZE = 128, NUM_THREADS = 256, ALIBI_ENABLED = true, GQA_RATIO = 3]"
	.size	__PRETTY_FUNCTION__._Z39paged_attention_ll4mi_QKV_mfma16_kernelIDF16_DF16_LN4vllm18Fp8KVCacheDataTypeE0EhLi16ELi128ELi256ELb1ELi3EEvPKT_PKT0_S7_ifPKiS9_S9_iPKfiiiPfSC_PS2_PT2_iSB_SB_, 600

	.type	__PRETTY_FUNCTION__._Z39paged_attention_ll4mi_QKV_mfma16_kernelIDF16_DF16_LN4vllm18Fp8KVCacheDataTypeE0EhLi16ELi128ELi256ELb1ELi4EEvPKT_PKT0_S7_ifPKiS9_S9_iPKfiiiPfSC_PS2_PT2_iSB_SB_,@object ; @__PRETTY_FUNCTION__._Z39paged_attention_ll4mi_QKV_mfma16_kernelIDF16_DF16_LN4vllm18Fp8KVCacheDataTypeE0EhLi16ELi128ELi256ELb1ELi4EEvPKT_PKT0_S7_ifPKiS9_S9_iPKfiiiPfSC_PS2_PT2_iSB_SB_
__PRETTY_FUNCTION__._Z39paged_attention_ll4mi_QKV_mfma16_kernelIDF16_DF16_LN4vllm18Fp8KVCacheDataTypeE0EhLi16ELi128ELi256ELb1ELi4EEvPKT_PKT0_S7_ifPKiS9_S9_iPKfiiiPfSC_PS2_PT2_iSB_SB_:
	.asciz	"void paged_attention_ll4mi_QKV_mfma16_kernel(const scalar_t *__restrict, const cache_t *__restrict, const cache_t *__restrict, const int, const float, const int *__restrict, const int *__restrict, const int *__restrict, const int, const float *__restrict, const int, const int, const int, float *__restrict, float *__restrict, scalar_t *__restrict, OUTT *__restrict, int, const float *, const float *) [scalar_t = _Float16, cache_t = _Float16, KV_DTYPE = vllm::Fp8KVCacheDataType::kAuto, OUTT = unsigned char, BLOCK_SIZE = 16, HEAD_SIZE = 128, NUM_THREADS = 256, ALIBI_ENABLED = true, GQA_RATIO = 4]"
	.size	__PRETTY_FUNCTION__._Z39paged_attention_ll4mi_QKV_mfma16_kernelIDF16_DF16_LN4vllm18Fp8KVCacheDataTypeE0EhLi16ELi128ELi256ELb1ELi4EEvPKT_PKT0_S7_ifPKiS9_S9_iPKfiiiPfSC_PS2_PT2_iSB_SB_, 600

	.type	__PRETTY_FUNCTION__._Z35paged_attention_ll4mi_reduce_kernelIDF16_hLi128ELi128ELi256ELi9EEvPT0_PKfS3_PKT_PKiS8_iS3_,@object ; @__PRETTY_FUNCTION__._Z35paged_attention_ll4mi_reduce_kernelIDF16_hLi128ELi128ELi256ELi9EEvPT0_PKfS3_PKT_PKiS8_iS3_
__PRETTY_FUNCTION__._Z35paged_attention_ll4mi_reduce_kernelIDF16_hLi128ELi128ELi256ELi9EEvPT0_PKfS3_PKT_PKiS8_iS3_:
	.asciz	"void paged_attention_ll4mi_reduce_kernel(OUTT *__restrict, const float *__restrict, const float *__restrict, const scalar_t *__restrict, const int *__restrict, const int *__restrict, const int, const float *__restrict) [scalar_t = _Float16, OUTT = unsigned char, HEAD_SIZE = 128, NUM_THREADS = 128, PARTITION_SIZE = 256, NPAR_LOOPS = 9]"
	.size	__PRETTY_FUNCTION__._Z35paged_attention_ll4mi_reduce_kernelIDF16_hLi128ELi128ELi256ELi9EEvPT0_PKfS3_PKT_PKiS8_iS3_, 337

	.type	__PRETTY_FUNCTION__._Z35paged_attention_ll4mi_reduce_kernelIDF16_hLi128ELi128ELi256ELi10EEvPT0_PKfS3_PKT_PKiS8_iS3_,@object ; @__PRETTY_FUNCTION__._Z35paged_attention_ll4mi_reduce_kernelIDF16_hLi128ELi128ELi256ELi10EEvPT0_PKfS3_PKT_PKiS8_iS3_
__PRETTY_FUNCTION__._Z35paged_attention_ll4mi_reduce_kernelIDF16_hLi128ELi128ELi256ELi10EEvPT0_PKfS3_PKT_PKiS8_iS3_:
	.asciz	"void paged_attention_ll4mi_reduce_kernel(OUTT *__restrict, const float *__restrict, const float *__restrict, const scalar_t *__restrict, const int *__restrict, const int *__restrict, const int, const float *__restrict) [scalar_t = _Float16, OUTT = unsigned char, HEAD_SIZE = 128, NUM_THREADS = 128, PARTITION_SIZE = 256, NPAR_LOOPS = 10]"
	.size	__PRETTY_FUNCTION__._Z35paged_attention_ll4mi_reduce_kernelIDF16_hLi128ELi128ELi256ELi10EEvPT0_PKfS3_PKT_PKiS8_iS3_, 338

	.type	__PRETTY_FUNCTION__._Z35paged_attention_ll4mi_reduce_kernelIDF16_hLi128ELi128ELi256ELi11EEvPT0_PKfS3_PKT_PKiS8_iS3_,@object ; @__PRETTY_FUNCTION__._Z35paged_attention_ll4mi_reduce_kernelIDF16_hLi128ELi128ELi256ELi11EEvPT0_PKfS3_PKT_PKiS8_iS3_
__PRETTY_FUNCTION__._Z35paged_attention_ll4mi_reduce_kernelIDF16_hLi128ELi128ELi256ELi11EEvPT0_PKfS3_PKT_PKiS8_iS3_:
	.asciz	"void paged_attention_ll4mi_reduce_kernel(OUTT *__restrict, const float *__restrict, const float *__restrict, const scalar_t *__restrict, const int *__restrict, const int *__restrict, const int, const float *__restrict) [scalar_t = _Float16, OUTT = unsigned char, HEAD_SIZE = 128, NUM_THREADS = 128, PARTITION_SIZE = 256, NPAR_LOOPS = 11]"
	.size	__PRETTY_FUNCTION__._Z35paged_attention_ll4mi_reduce_kernelIDF16_hLi128ELi128ELi256ELi11EEvPT0_PKfS3_PKT_PKiS8_iS3_, 338

	.type	__PRETTY_FUNCTION__._Z35paged_attention_ll4mi_reduce_kernelIDF16_hLi128ELi128ELi256ELi12EEvPT0_PKfS3_PKT_PKiS8_iS3_,@object ; @__PRETTY_FUNCTION__._Z35paged_attention_ll4mi_reduce_kernelIDF16_hLi128ELi128ELi256ELi12EEvPT0_PKfS3_PKT_PKiS8_iS3_
__PRETTY_FUNCTION__._Z35paged_attention_ll4mi_reduce_kernelIDF16_hLi128ELi128ELi256ELi12EEvPT0_PKfS3_PKT_PKiS8_iS3_:
	.asciz	"void paged_attention_ll4mi_reduce_kernel(OUTT *__restrict, const float *__restrict, const float *__restrict, const scalar_t *__restrict, const int *__restrict, const int *__restrict, const int, const float *__restrict) [scalar_t = _Float16, OUTT = unsigned char, HEAD_SIZE = 128, NUM_THREADS = 128, PARTITION_SIZE = 256, NPAR_LOOPS = 12]"
	.size	__PRETTY_FUNCTION__._Z35paged_attention_ll4mi_reduce_kernelIDF16_hLi128ELi128ELi256ELi12EEvPT0_PKfS3_PKT_PKiS8_iS3_, 338

	.type	__PRETTY_FUNCTION__._Z35paged_attention_ll4mi_reduce_kernelIDF16_hLi128ELi128ELi256ELi13EEvPT0_PKfS3_PKT_PKiS8_iS3_,@object ; @__PRETTY_FUNCTION__._Z35paged_attention_ll4mi_reduce_kernelIDF16_hLi128ELi128ELi256ELi13EEvPT0_PKfS3_PKT_PKiS8_iS3_
__PRETTY_FUNCTION__._Z35paged_attention_ll4mi_reduce_kernelIDF16_hLi128ELi128ELi256ELi13EEvPT0_PKfS3_PKT_PKiS8_iS3_:
	.asciz	"void paged_attention_ll4mi_reduce_kernel(OUTT *__restrict, const float *__restrict, const float *__restrict, const scalar_t *__restrict, const int *__restrict, const int *__restrict, const int, const float *__restrict) [scalar_t = _Float16, OUTT = unsigned char, HEAD_SIZE = 128, NUM_THREADS = 128, PARTITION_SIZE = 256, NPAR_LOOPS = 13]"
	.size	__PRETTY_FUNCTION__._Z35paged_attention_ll4mi_reduce_kernelIDF16_hLi128ELi128ELi256ELi13EEvPT0_PKfS3_PKT_PKiS8_iS3_, 338

	.type	__PRETTY_FUNCTION__._Z35paged_attention_ll4mi_reduce_kernelIDF16_hLi128ELi128ELi256ELi14EEvPT0_PKfS3_PKT_PKiS8_iS3_,@object ; @__PRETTY_FUNCTION__._Z35paged_attention_ll4mi_reduce_kernelIDF16_hLi128ELi128ELi256ELi14EEvPT0_PKfS3_PKT_PKiS8_iS3_
__PRETTY_FUNCTION__._Z35paged_attention_ll4mi_reduce_kernelIDF16_hLi128ELi128ELi256ELi14EEvPT0_PKfS3_PKT_PKiS8_iS3_:
	.asciz	"void paged_attention_ll4mi_reduce_kernel(OUTT *__restrict, const float *__restrict, const float *__restrict, const scalar_t *__restrict, const int *__restrict, const int *__restrict, const int, const float *__restrict) [scalar_t = _Float16, OUTT = unsigned char, HEAD_SIZE = 128, NUM_THREADS = 128, PARTITION_SIZE = 256, NPAR_LOOPS = 14]"
	.size	__PRETTY_FUNCTION__._Z35paged_attention_ll4mi_reduce_kernelIDF16_hLi128ELi128ELi256ELi14EEvPT0_PKfS3_PKT_PKiS8_iS3_, 338

	.type	__PRETTY_FUNCTION__._Z35paged_attention_ll4mi_reduce_kernelIDF16_hLi128ELi128ELi256ELi15EEvPT0_PKfS3_PKT_PKiS8_iS3_,@object ; @__PRETTY_FUNCTION__._Z35paged_attention_ll4mi_reduce_kernelIDF16_hLi128ELi128ELi256ELi15EEvPT0_PKfS3_PKT_PKiS8_iS3_
__PRETTY_FUNCTION__._Z35paged_attention_ll4mi_reduce_kernelIDF16_hLi128ELi128ELi256ELi15EEvPT0_PKfS3_PKT_PKiS8_iS3_:
	.asciz	"void paged_attention_ll4mi_reduce_kernel(OUTT *__restrict, const float *__restrict, const float *__restrict, const scalar_t *__restrict, const int *__restrict, const int *__restrict, const int, const float *__restrict) [scalar_t = _Float16, OUTT = unsigned char, HEAD_SIZE = 128, NUM_THREADS = 128, PARTITION_SIZE = 256, NPAR_LOOPS = 15]"
	.size	__PRETTY_FUNCTION__._Z35paged_attention_ll4mi_reduce_kernelIDF16_hLi128ELi128ELi256ELi15EEvPT0_PKfS3_PKT_PKiS8_iS3_, 338

	.type	__PRETTY_FUNCTION__._Z35paged_attention_ll4mi_reduce_kernelIDF16_hLi128ELi128ELi256ELi16EEvPT0_PKfS3_PKT_PKiS8_iS3_,@object ; @__PRETTY_FUNCTION__._Z35paged_attention_ll4mi_reduce_kernelIDF16_hLi128ELi128ELi256ELi16EEvPT0_PKfS3_PKT_PKiS8_iS3_
__PRETTY_FUNCTION__._Z35paged_attention_ll4mi_reduce_kernelIDF16_hLi128ELi128ELi256ELi16EEvPT0_PKfS3_PKT_PKiS8_iS3_:
	.asciz	"void paged_attention_ll4mi_reduce_kernel(OUTT *__restrict, const float *__restrict, const float *__restrict, const scalar_t *__restrict, const int *__restrict, const int *__restrict, const int, const float *__restrict) [scalar_t = _Float16, OUTT = unsigned char, HEAD_SIZE = 128, NUM_THREADS = 128, PARTITION_SIZE = 256, NPAR_LOOPS = 16]"
	.size	__PRETTY_FUNCTION__._Z35paged_attention_ll4mi_reduce_kernelIDF16_hLi128ELi128ELi256ELi16EEvPT0_PKfS3_PKT_PKiS8_iS3_, 338

	.type	__PRETTY_FUNCTION__._Z38paged_attention_ll4mi_QKV_mfma4_kernelIDF16_DF16_LN4vllm18Fp8KVCacheDataTypeE0EhLi16ELi128ELi256ELb0ELi1EEvPKT_PKT0_S7_ifPKiS9_S9_iPKfiiiPfSC_PS2_PT2_iSB_SB_,@object ; @__PRETTY_FUNCTION__._Z38paged_attention_ll4mi_QKV_mfma4_kernelIDF16_DF16_LN4vllm18Fp8KVCacheDataTypeE0EhLi16ELi128ELi256ELb0ELi1EEvPKT_PKT0_S7_ifPKiS9_S9_iPKfiiiPfSC_PS2_PT2_iSB_SB_
__PRETTY_FUNCTION__._Z38paged_attention_ll4mi_QKV_mfma4_kernelIDF16_DF16_LN4vllm18Fp8KVCacheDataTypeE0EhLi16ELi128ELi256ELb0ELi1EEvPKT_PKT0_S7_ifPKiS9_S9_iPKfiiiPfSC_PS2_PT2_iSB_SB_:
	.asciz	"void paged_attention_ll4mi_QKV_mfma4_kernel(const scalar_t *__restrict, const cache_t *__restrict, const cache_t *__restrict, const int, const float, const int *__restrict, const int *__restrict, const int *__restrict, const int, const float *__restrict, const int, const int, const int, float *__restrict, float *__restrict, scalar_t *__restrict, OUTT *__restrict, int, const float *, const float *) [scalar_t = _Float16, cache_t = _Float16, KV_DTYPE = vllm::Fp8KVCacheDataType::kAuto, OUTT = unsigned char, BLOCK_SIZE = 16, HEAD_SIZE = 128, NUM_THREADS = 256, ALIBI_ENABLED = false, GQA_RATIO = 1]"
	.size	__PRETTY_FUNCTION__._Z38paged_attention_ll4mi_QKV_mfma4_kernelIDF16_DF16_LN4vllm18Fp8KVCacheDataTypeE0EhLi16ELi128ELi256ELb0ELi1EEvPKT_PKT0_S7_ifPKiS9_S9_iPKfiiiPfSC_PS2_PT2_iSB_SB_, 600

	.type	__PRETTY_FUNCTION__._Z38paged_attention_ll4mi_QKV_mfma4_kernelIDF16_DF16_LN4vllm18Fp8KVCacheDataTypeE0EhLi16ELi128ELi256ELb0ELi2EEvPKT_PKT0_S7_ifPKiS9_S9_iPKfiiiPfSC_PS2_PT2_iSB_SB_,@object ; @__PRETTY_FUNCTION__._Z38paged_attention_ll4mi_QKV_mfma4_kernelIDF16_DF16_LN4vllm18Fp8KVCacheDataTypeE0EhLi16ELi128ELi256ELb0ELi2EEvPKT_PKT0_S7_ifPKiS9_S9_iPKfiiiPfSC_PS2_PT2_iSB_SB_
__PRETTY_FUNCTION__._Z38paged_attention_ll4mi_QKV_mfma4_kernelIDF16_DF16_LN4vllm18Fp8KVCacheDataTypeE0EhLi16ELi128ELi256ELb0ELi2EEvPKT_PKT0_S7_ifPKiS9_S9_iPKfiiiPfSC_PS2_PT2_iSB_SB_:
	.asciz	"void paged_attention_ll4mi_QKV_mfma4_kernel(const scalar_t *__restrict, const cache_t *__restrict, const cache_t *__restrict, const int, const float, const int *__restrict, const int *__restrict, const int *__restrict, const int, const float *__restrict, const int, const int, const int, float *__restrict, float *__restrict, scalar_t *__restrict, OUTT *__restrict, int, const float *, const float *) [scalar_t = _Float16, cache_t = _Float16, KV_DTYPE = vllm::Fp8KVCacheDataType::kAuto, OUTT = unsigned char, BLOCK_SIZE = 16, HEAD_SIZE = 128, NUM_THREADS = 256, ALIBI_ENABLED = false, GQA_RATIO = 2]"
	.size	__PRETTY_FUNCTION__._Z38paged_attention_ll4mi_QKV_mfma4_kernelIDF16_DF16_LN4vllm18Fp8KVCacheDataTypeE0EhLi16ELi128ELi256ELb0ELi2EEvPKT_PKT0_S7_ifPKiS9_S9_iPKfiiiPfSC_PS2_PT2_iSB_SB_, 600

	.type	__PRETTY_FUNCTION__._Z38paged_attention_ll4mi_QKV_mfma4_kernelIDF16_DF16_LN4vllm18Fp8KVCacheDataTypeE0EhLi16ELi128ELi256ELb0ELi3EEvPKT_PKT0_S7_ifPKiS9_S9_iPKfiiiPfSC_PS2_PT2_iSB_SB_,@object ; @__PRETTY_FUNCTION__._Z38paged_attention_ll4mi_QKV_mfma4_kernelIDF16_DF16_LN4vllm18Fp8KVCacheDataTypeE0EhLi16ELi128ELi256ELb0ELi3EEvPKT_PKT0_S7_ifPKiS9_S9_iPKfiiiPfSC_PS2_PT2_iSB_SB_
__PRETTY_FUNCTION__._Z38paged_attention_ll4mi_QKV_mfma4_kernelIDF16_DF16_LN4vllm18Fp8KVCacheDataTypeE0EhLi16ELi128ELi256ELb0ELi3EEvPKT_PKT0_S7_ifPKiS9_S9_iPKfiiiPfSC_PS2_PT2_iSB_SB_:
	.asciz	"void paged_attention_ll4mi_QKV_mfma4_kernel(const scalar_t *__restrict, const cache_t *__restrict, const cache_t *__restrict, const int, const float, const int *__restrict, const int *__restrict, const int *__restrict, const int, const float *__restrict, const int, const int, const int, float *__restrict, float *__restrict, scalar_t *__restrict, OUTT *__restrict, int, const float *, const float *) [scalar_t = _Float16, cache_t = _Float16, KV_DTYPE = vllm::Fp8KVCacheDataType::kAuto, OUTT = unsigned char, BLOCK_SIZE = 16, HEAD_SIZE = 128, NUM_THREADS = 256, ALIBI_ENABLED = false, GQA_RATIO = 3]"
	.size	__PRETTY_FUNCTION__._Z38paged_attention_ll4mi_QKV_mfma4_kernelIDF16_DF16_LN4vllm18Fp8KVCacheDataTypeE0EhLi16ELi128ELi256ELb0ELi3EEvPKT_PKT0_S7_ifPKiS9_S9_iPKfiiiPfSC_PS2_PT2_iSB_SB_, 600

	.type	__PRETTY_FUNCTION__._Z38paged_attention_ll4mi_QKV_mfma4_kernelIDF16_DF16_LN4vllm18Fp8KVCacheDataTypeE0EhLi16ELi128ELi256ELb0ELi4EEvPKT_PKT0_S7_ifPKiS9_S9_iPKfiiiPfSC_PS2_PT2_iSB_SB_,@object ; @__PRETTY_FUNCTION__._Z38paged_attention_ll4mi_QKV_mfma4_kernelIDF16_DF16_LN4vllm18Fp8KVCacheDataTypeE0EhLi16ELi128ELi256ELb0ELi4EEvPKT_PKT0_S7_ifPKiS9_S9_iPKfiiiPfSC_PS2_PT2_iSB_SB_
__PRETTY_FUNCTION__._Z38paged_attention_ll4mi_QKV_mfma4_kernelIDF16_DF16_LN4vllm18Fp8KVCacheDataTypeE0EhLi16ELi128ELi256ELb0ELi4EEvPKT_PKT0_S7_ifPKiS9_S9_iPKfiiiPfSC_PS2_PT2_iSB_SB_:
	.asciz	"void paged_attention_ll4mi_QKV_mfma4_kernel(const scalar_t *__restrict, const cache_t *__restrict, const cache_t *__restrict, const int, const float, const int *__restrict, const int *__restrict, const int *__restrict, const int, const float *__restrict, const int, const int, const int, float *__restrict, float *__restrict, scalar_t *__restrict, OUTT *__restrict, int, const float *, const float *) [scalar_t = _Float16, cache_t = _Float16, KV_DTYPE = vllm::Fp8KVCacheDataType::kAuto, OUTT = unsigned char, BLOCK_SIZE = 16, HEAD_SIZE = 128, NUM_THREADS = 256, ALIBI_ENABLED = false, GQA_RATIO = 4]"
	.size	__PRETTY_FUNCTION__._Z38paged_attention_ll4mi_QKV_mfma4_kernelIDF16_DF16_LN4vllm18Fp8KVCacheDataTypeE0EhLi16ELi128ELi256ELb0ELi4EEvPKT_PKT0_S7_ifPKiS9_S9_iPKfiiiPfSC_PS2_PT2_iSB_SB_, 600

	.type	__PRETTY_FUNCTION__._Z39paged_attention_ll4mi_QKV_mfma16_kernelIDF16_DF16_LN4vllm18Fp8KVCacheDataTypeE0EhLi16ELi128ELi256ELb0ELi5EEvPKT_PKT0_S7_ifPKiS9_S9_iPKfiiiPfSC_PS2_PT2_iSB_SB_,@object ; @__PRETTY_FUNCTION__._Z39paged_attention_ll4mi_QKV_mfma16_kernelIDF16_DF16_LN4vllm18Fp8KVCacheDataTypeE0EhLi16ELi128ELi256ELb0ELi5EEvPKT_PKT0_S7_ifPKiS9_S9_iPKfiiiPfSC_PS2_PT2_iSB_SB_
__PRETTY_FUNCTION__._Z39paged_attention_ll4mi_QKV_mfma16_kernelIDF16_DF16_LN4vllm18Fp8KVCacheDataTypeE0EhLi16ELi128ELi256ELb0ELi5EEvPKT_PKT0_S7_ifPKiS9_S9_iPKfiiiPfSC_PS2_PT2_iSB_SB_:
	.asciz	"void paged_attention_ll4mi_QKV_mfma16_kernel(const scalar_t *__restrict, const cache_t *__restrict, const cache_t *__restrict, const int, const float, const int *__restrict, const int *__restrict, const int *__restrict, const int, const float *__restrict, const int, const int, const int, float *__restrict, float *__restrict, scalar_t *__restrict, OUTT *__restrict, int, const float *, const float *) [scalar_t = _Float16, cache_t = _Float16, KV_DTYPE = vllm::Fp8KVCacheDataType::kAuto, OUTT = unsigned char, BLOCK_SIZE = 16, HEAD_SIZE = 128, NUM_THREADS = 256, ALIBI_ENABLED = false, GQA_RATIO = 5]"
	.size	__PRETTY_FUNCTION__._Z39paged_attention_ll4mi_QKV_mfma16_kernelIDF16_DF16_LN4vllm18Fp8KVCacheDataTypeE0EhLi16ELi128ELi256ELb0ELi5EEvPKT_PKT0_S7_ifPKiS9_S9_iPKfiiiPfSC_PS2_PT2_iSB_SB_, 601

	.type	__PRETTY_FUNCTION__._Z39paged_attention_ll4mi_QKV_mfma16_kernelIDF16_DF16_LN4vllm18Fp8KVCacheDataTypeE0EhLi16ELi128ELi256ELb0ELi6EEvPKT_PKT0_S7_ifPKiS9_S9_iPKfiiiPfSC_PS2_PT2_iSB_SB_,@object ; @__PRETTY_FUNCTION__._Z39paged_attention_ll4mi_QKV_mfma16_kernelIDF16_DF16_LN4vllm18Fp8KVCacheDataTypeE0EhLi16ELi128ELi256ELb0ELi6EEvPKT_PKT0_S7_ifPKiS9_S9_iPKfiiiPfSC_PS2_PT2_iSB_SB_
__PRETTY_FUNCTION__._Z39paged_attention_ll4mi_QKV_mfma16_kernelIDF16_DF16_LN4vllm18Fp8KVCacheDataTypeE0EhLi16ELi128ELi256ELb0ELi6EEvPKT_PKT0_S7_ifPKiS9_S9_iPKfiiiPfSC_PS2_PT2_iSB_SB_:
	.asciz	"void paged_attention_ll4mi_QKV_mfma16_kernel(const scalar_t *__restrict, const cache_t *__restrict, const cache_t *__restrict, const int, const float, const int *__restrict, const int *__restrict, const int *__restrict, const int, const float *__restrict, const int, const int, const int, float *__restrict, float *__restrict, scalar_t *__restrict, OUTT *__restrict, int, const float *, const float *) [scalar_t = _Float16, cache_t = _Float16, KV_DTYPE = vllm::Fp8KVCacheDataType::kAuto, OUTT = unsigned char, BLOCK_SIZE = 16, HEAD_SIZE = 128, NUM_THREADS = 256, ALIBI_ENABLED = false, GQA_RATIO = 6]"
	.size	__PRETTY_FUNCTION__._Z39paged_attention_ll4mi_QKV_mfma16_kernelIDF16_DF16_LN4vllm18Fp8KVCacheDataTypeE0EhLi16ELi128ELi256ELb0ELi6EEvPKT_PKT0_S7_ifPKiS9_S9_iPKfiiiPfSC_PS2_PT2_iSB_SB_, 601

	.type	__PRETTY_FUNCTION__._Z39paged_attention_ll4mi_QKV_mfma16_kernelIDF16_DF16_LN4vllm18Fp8KVCacheDataTypeE0EhLi16ELi128ELi256ELb0ELi7EEvPKT_PKT0_S7_ifPKiS9_S9_iPKfiiiPfSC_PS2_PT2_iSB_SB_,@object ; @__PRETTY_FUNCTION__._Z39paged_attention_ll4mi_QKV_mfma16_kernelIDF16_DF16_LN4vllm18Fp8KVCacheDataTypeE0EhLi16ELi128ELi256ELb0ELi7EEvPKT_PKT0_S7_ifPKiS9_S9_iPKfiiiPfSC_PS2_PT2_iSB_SB_
__PRETTY_FUNCTION__._Z39paged_attention_ll4mi_QKV_mfma16_kernelIDF16_DF16_LN4vllm18Fp8KVCacheDataTypeE0EhLi16ELi128ELi256ELb0ELi7EEvPKT_PKT0_S7_ifPKiS9_S9_iPKfiiiPfSC_PS2_PT2_iSB_SB_:
	.asciz	"void paged_attention_ll4mi_QKV_mfma16_kernel(const scalar_t *__restrict, const cache_t *__restrict, const cache_t *__restrict, const int, const float, const int *__restrict, const int *__restrict, const int *__restrict, const int, const float *__restrict, const int, const int, const int, float *__restrict, float *__restrict, scalar_t *__restrict, OUTT *__restrict, int, const float *, const float *) [scalar_t = _Float16, cache_t = _Float16, KV_DTYPE = vllm::Fp8KVCacheDataType::kAuto, OUTT = unsigned char, BLOCK_SIZE = 16, HEAD_SIZE = 128, NUM_THREADS = 256, ALIBI_ENABLED = false, GQA_RATIO = 7]"
	.size	__PRETTY_FUNCTION__._Z39paged_attention_ll4mi_QKV_mfma16_kernelIDF16_DF16_LN4vllm18Fp8KVCacheDataTypeE0EhLi16ELi128ELi256ELb0ELi7EEvPKT_PKT0_S7_ifPKiS9_S9_iPKfiiiPfSC_PS2_PT2_iSB_SB_, 601

	.type	__PRETTY_FUNCTION__._Z39paged_attention_ll4mi_QKV_mfma16_kernelIDF16_DF16_LN4vllm18Fp8KVCacheDataTypeE0EhLi16ELi128ELi256ELb0ELi8EEvPKT_PKT0_S7_ifPKiS9_S9_iPKfiiiPfSC_PS2_PT2_iSB_SB_,@object ; @__PRETTY_FUNCTION__._Z39paged_attention_ll4mi_QKV_mfma16_kernelIDF16_DF16_LN4vllm18Fp8KVCacheDataTypeE0EhLi16ELi128ELi256ELb0ELi8EEvPKT_PKT0_S7_ifPKiS9_S9_iPKfiiiPfSC_PS2_PT2_iSB_SB_
__PRETTY_FUNCTION__._Z39paged_attention_ll4mi_QKV_mfma16_kernelIDF16_DF16_LN4vllm18Fp8KVCacheDataTypeE0EhLi16ELi128ELi256ELb0ELi8EEvPKT_PKT0_S7_ifPKiS9_S9_iPKfiiiPfSC_PS2_PT2_iSB_SB_:
	.asciz	"void paged_attention_ll4mi_QKV_mfma16_kernel(const scalar_t *__restrict, const cache_t *__restrict, const cache_t *__restrict, const int, const float, const int *__restrict, const int *__restrict, const int *__restrict, const int, const float *__restrict, const int, const int, const int, float *__restrict, float *__restrict, scalar_t *__restrict, OUTT *__restrict, int, const float *, const float *) [scalar_t = _Float16, cache_t = _Float16, KV_DTYPE = vllm::Fp8KVCacheDataType::kAuto, OUTT = unsigned char, BLOCK_SIZE = 16, HEAD_SIZE = 128, NUM_THREADS = 256, ALIBI_ENABLED = false, GQA_RATIO = 8]"
	.size	__PRETTY_FUNCTION__._Z39paged_attention_ll4mi_QKV_mfma16_kernelIDF16_DF16_LN4vllm18Fp8KVCacheDataTypeE0EhLi16ELi128ELi256ELb0ELi8EEvPKT_PKT0_S7_ifPKiS9_S9_iPKfiiiPfSC_PS2_PT2_iSB_SB_, 601

	.type	__PRETTY_FUNCTION__._Z39paged_attention_ll4mi_QKV_mfma16_kernelIDF16_DF16_LN4vllm18Fp8KVCacheDataTypeE0EhLi16ELi128ELi256ELb0ELi9EEvPKT_PKT0_S7_ifPKiS9_S9_iPKfiiiPfSC_PS2_PT2_iSB_SB_,@object ; @__PRETTY_FUNCTION__._Z39paged_attention_ll4mi_QKV_mfma16_kernelIDF16_DF16_LN4vllm18Fp8KVCacheDataTypeE0EhLi16ELi128ELi256ELb0ELi9EEvPKT_PKT0_S7_ifPKiS9_S9_iPKfiiiPfSC_PS2_PT2_iSB_SB_
__PRETTY_FUNCTION__._Z39paged_attention_ll4mi_QKV_mfma16_kernelIDF16_DF16_LN4vllm18Fp8KVCacheDataTypeE0EhLi16ELi128ELi256ELb0ELi9EEvPKT_PKT0_S7_ifPKiS9_S9_iPKfiiiPfSC_PS2_PT2_iSB_SB_:
	.asciz	"void paged_attention_ll4mi_QKV_mfma16_kernel(const scalar_t *__restrict, const cache_t *__restrict, const cache_t *__restrict, const int, const float, const int *__restrict, const int *__restrict, const int *__restrict, const int, const float *__restrict, const int, const int, const int, float *__restrict, float *__restrict, scalar_t *__restrict, OUTT *__restrict, int, const float *, const float *) [scalar_t = _Float16, cache_t = _Float16, KV_DTYPE = vllm::Fp8KVCacheDataType::kAuto, OUTT = unsigned char, BLOCK_SIZE = 16, HEAD_SIZE = 128, NUM_THREADS = 256, ALIBI_ENABLED = false, GQA_RATIO = 9]"
	.size	__PRETTY_FUNCTION__._Z39paged_attention_ll4mi_QKV_mfma16_kernelIDF16_DF16_LN4vllm18Fp8KVCacheDataTypeE0EhLi16ELi128ELi256ELb0ELi9EEvPKT_PKT0_S7_ifPKiS9_S9_iPKfiiiPfSC_PS2_PT2_iSB_SB_, 601

	.type	__PRETTY_FUNCTION__._Z39paged_attention_ll4mi_QKV_mfma16_kernelIDF16_DF16_LN4vllm18Fp8KVCacheDataTypeE0EhLi16ELi128ELi256ELb0ELi10EEvPKT_PKT0_S7_ifPKiS9_S9_iPKfiiiPfSC_PS2_PT2_iSB_SB_,@object ; @__PRETTY_FUNCTION__._Z39paged_attention_ll4mi_QKV_mfma16_kernelIDF16_DF16_LN4vllm18Fp8KVCacheDataTypeE0EhLi16ELi128ELi256ELb0ELi10EEvPKT_PKT0_S7_ifPKiS9_S9_iPKfiiiPfSC_PS2_PT2_iSB_SB_
__PRETTY_FUNCTION__._Z39paged_attention_ll4mi_QKV_mfma16_kernelIDF16_DF16_LN4vllm18Fp8KVCacheDataTypeE0EhLi16ELi128ELi256ELb0ELi10EEvPKT_PKT0_S7_ifPKiS9_S9_iPKfiiiPfSC_PS2_PT2_iSB_SB_:
	.asciz	"void paged_attention_ll4mi_QKV_mfma16_kernel(const scalar_t *__restrict, const cache_t *__restrict, const cache_t *__restrict, const int, const float, const int *__restrict, const int *__restrict, const int *__restrict, const int, const float *__restrict, const int, const int, const int, float *__restrict, float *__restrict, scalar_t *__restrict, OUTT *__restrict, int, const float *, const float *) [scalar_t = _Float16, cache_t = _Float16, KV_DTYPE = vllm::Fp8KVCacheDataType::kAuto, OUTT = unsigned char, BLOCK_SIZE = 16, HEAD_SIZE = 128, NUM_THREADS = 256, ALIBI_ENABLED = false, GQA_RATIO = 10]"
	.size	__PRETTY_FUNCTION__._Z39paged_attention_ll4mi_QKV_mfma16_kernelIDF16_DF16_LN4vllm18Fp8KVCacheDataTypeE0EhLi16ELi128ELi256ELb0ELi10EEvPKT_PKT0_S7_ifPKiS9_S9_iPKfiiiPfSC_PS2_PT2_iSB_SB_, 602

	.type	__PRETTY_FUNCTION__._Z39paged_attention_ll4mi_QKV_mfma16_kernelIDF16_DF16_LN4vllm18Fp8KVCacheDataTypeE0EhLi16ELi128ELi256ELb0ELi11EEvPKT_PKT0_S7_ifPKiS9_S9_iPKfiiiPfSC_PS2_PT2_iSB_SB_,@object ; @__PRETTY_FUNCTION__._Z39paged_attention_ll4mi_QKV_mfma16_kernelIDF16_DF16_LN4vllm18Fp8KVCacheDataTypeE0EhLi16ELi128ELi256ELb0ELi11EEvPKT_PKT0_S7_ifPKiS9_S9_iPKfiiiPfSC_PS2_PT2_iSB_SB_
__PRETTY_FUNCTION__._Z39paged_attention_ll4mi_QKV_mfma16_kernelIDF16_DF16_LN4vllm18Fp8KVCacheDataTypeE0EhLi16ELi128ELi256ELb0ELi11EEvPKT_PKT0_S7_ifPKiS9_S9_iPKfiiiPfSC_PS2_PT2_iSB_SB_:
	.asciz	"void paged_attention_ll4mi_QKV_mfma16_kernel(const scalar_t *__restrict, const cache_t *__restrict, const cache_t *__restrict, const int, const float, const int *__restrict, const int *__restrict, const int *__restrict, const int, const float *__restrict, const int, const int, const int, float *__restrict, float *__restrict, scalar_t *__restrict, OUTT *__restrict, int, const float *, const float *) [scalar_t = _Float16, cache_t = _Float16, KV_DTYPE = vllm::Fp8KVCacheDataType::kAuto, OUTT = unsigned char, BLOCK_SIZE = 16, HEAD_SIZE = 128, NUM_THREADS = 256, ALIBI_ENABLED = false, GQA_RATIO = 11]"
	.size	__PRETTY_FUNCTION__._Z39paged_attention_ll4mi_QKV_mfma16_kernelIDF16_DF16_LN4vllm18Fp8KVCacheDataTypeE0EhLi16ELi128ELi256ELb0ELi11EEvPKT_PKT0_S7_ifPKiS9_S9_iPKfiiiPfSC_PS2_PT2_iSB_SB_, 602

	.type	__PRETTY_FUNCTION__._Z39paged_attention_ll4mi_QKV_mfma16_kernelIDF16_DF16_LN4vllm18Fp8KVCacheDataTypeE0EhLi16ELi128ELi256ELb0ELi12EEvPKT_PKT0_S7_ifPKiS9_S9_iPKfiiiPfSC_PS2_PT2_iSB_SB_,@object ; @__PRETTY_FUNCTION__._Z39paged_attention_ll4mi_QKV_mfma16_kernelIDF16_DF16_LN4vllm18Fp8KVCacheDataTypeE0EhLi16ELi128ELi256ELb0ELi12EEvPKT_PKT0_S7_ifPKiS9_S9_iPKfiiiPfSC_PS2_PT2_iSB_SB_
__PRETTY_FUNCTION__._Z39paged_attention_ll4mi_QKV_mfma16_kernelIDF16_DF16_LN4vllm18Fp8KVCacheDataTypeE0EhLi16ELi128ELi256ELb0ELi12EEvPKT_PKT0_S7_ifPKiS9_S9_iPKfiiiPfSC_PS2_PT2_iSB_SB_:
	.asciz	"void paged_attention_ll4mi_QKV_mfma16_kernel(const scalar_t *__restrict, const cache_t *__restrict, const cache_t *__restrict, const int, const float, const int *__restrict, const int *__restrict, const int *__restrict, const int, const float *__restrict, const int, const int, const int, float *__restrict, float *__restrict, scalar_t *__restrict, OUTT *__restrict, int, const float *, const float *) [scalar_t = _Float16, cache_t = _Float16, KV_DTYPE = vllm::Fp8KVCacheDataType::kAuto, OUTT = unsigned char, BLOCK_SIZE = 16, HEAD_SIZE = 128, NUM_THREADS = 256, ALIBI_ENABLED = false, GQA_RATIO = 12]"
	.size	__PRETTY_FUNCTION__._Z39paged_attention_ll4mi_QKV_mfma16_kernelIDF16_DF16_LN4vllm18Fp8KVCacheDataTypeE0EhLi16ELi128ELi256ELb0ELi12EEvPKT_PKT0_S7_ifPKiS9_S9_iPKfiiiPfSC_PS2_PT2_iSB_SB_, 602

	.type	__PRETTY_FUNCTION__._Z39paged_attention_ll4mi_QKV_mfma16_kernelIDF16_DF16_LN4vllm18Fp8KVCacheDataTypeE0EhLi16ELi128ELi256ELb0ELi13EEvPKT_PKT0_S7_ifPKiS9_S9_iPKfiiiPfSC_PS2_PT2_iSB_SB_,@object ; @__PRETTY_FUNCTION__._Z39paged_attention_ll4mi_QKV_mfma16_kernelIDF16_DF16_LN4vllm18Fp8KVCacheDataTypeE0EhLi16ELi128ELi256ELb0ELi13EEvPKT_PKT0_S7_ifPKiS9_S9_iPKfiiiPfSC_PS2_PT2_iSB_SB_
__PRETTY_FUNCTION__._Z39paged_attention_ll4mi_QKV_mfma16_kernelIDF16_DF16_LN4vllm18Fp8KVCacheDataTypeE0EhLi16ELi128ELi256ELb0ELi13EEvPKT_PKT0_S7_ifPKiS9_S9_iPKfiiiPfSC_PS2_PT2_iSB_SB_:
	.asciz	"void paged_attention_ll4mi_QKV_mfma16_kernel(const scalar_t *__restrict, const cache_t *__restrict, const cache_t *__restrict, const int, const float, const int *__restrict, const int *__restrict, const int *__restrict, const int, const float *__restrict, const int, const int, const int, float *__restrict, float *__restrict, scalar_t *__restrict, OUTT *__restrict, int, const float *, const float *) [scalar_t = _Float16, cache_t = _Float16, KV_DTYPE = vllm::Fp8KVCacheDataType::kAuto, OUTT = unsigned char, BLOCK_SIZE = 16, HEAD_SIZE = 128, NUM_THREADS = 256, ALIBI_ENABLED = false, GQA_RATIO = 13]"
	.size	__PRETTY_FUNCTION__._Z39paged_attention_ll4mi_QKV_mfma16_kernelIDF16_DF16_LN4vllm18Fp8KVCacheDataTypeE0EhLi16ELi128ELi256ELb0ELi13EEvPKT_PKT0_S7_ifPKiS9_S9_iPKfiiiPfSC_PS2_PT2_iSB_SB_, 602

	.type	__PRETTY_FUNCTION__._Z39paged_attention_ll4mi_QKV_mfma16_kernelIDF16_DF16_LN4vllm18Fp8KVCacheDataTypeE0EhLi16ELi128ELi256ELb0ELi14EEvPKT_PKT0_S7_ifPKiS9_S9_iPKfiiiPfSC_PS2_PT2_iSB_SB_,@object ; @__PRETTY_FUNCTION__._Z39paged_attention_ll4mi_QKV_mfma16_kernelIDF16_DF16_LN4vllm18Fp8KVCacheDataTypeE0EhLi16ELi128ELi256ELb0ELi14EEvPKT_PKT0_S7_ifPKiS9_S9_iPKfiiiPfSC_PS2_PT2_iSB_SB_
__PRETTY_FUNCTION__._Z39paged_attention_ll4mi_QKV_mfma16_kernelIDF16_DF16_LN4vllm18Fp8KVCacheDataTypeE0EhLi16ELi128ELi256ELb0ELi14EEvPKT_PKT0_S7_ifPKiS9_S9_iPKfiiiPfSC_PS2_PT2_iSB_SB_:
	.asciz	"void paged_attention_ll4mi_QKV_mfma16_kernel(const scalar_t *__restrict, const cache_t *__restrict, const cache_t *__restrict, const int, const float, const int *__restrict, const int *__restrict, const int *__restrict, const int, const float *__restrict, const int, const int, const int, float *__restrict, float *__restrict, scalar_t *__restrict, OUTT *__restrict, int, const float *, const float *) [scalar_t = _Float16, cache_t = _Float16, KV_DTYPE = vllm::Fp8KVCacheDataType::kAuto, OUTT = unsigned char, BLOCK_SIZE = 16, HEAD_SIZE = 128, NUM_THREADS = 256, ALIBI_ENABLED = false, GQA_RATIO = 14]"
	.size	__PRETTY_FUNCTION__._Z39paged_attention_ll4mi_QKV_mfma16_kernelIDF16_DF16_LN4vllm18Fp8KVCacheDataTypeE0EhLi16ELi128ELi256ELb0ELi14EEvPKT_PKT0_S7_ifPKiS9_S9_iPKfiiiPfSC_PS2_PT2_iSB_SB_, 602

	.type	__PRETTY_FUNCTION__._Z39paged_attention_ll4mi_QKV_mfma16_kernelIDF16_DF16_LN4vllm18Fp8KVCacheDataTypeE0EhLi16ELi128ELi256ELb0ELi15EEvPKT_PKT0_S7_ifPKiS9_S9_iPKfiiiPfSC_PS2_PT2_iSB_SB_,@object ; @__PRETTY_FUNCTION__._Z39paged_attention_ll4mi_QKV_mfma16_kernelIDF16_DF16_LN4vllm18Fp8KVCacheDataTypeE0EhLi16ELi128ELi256ELb0ELi15EEvPKT_PKT0_S7_ifPKiS9_S9_iPKfiiiPfSC_PS2_PT2_iSB_SB_
__PRETTY_FUNCTION__._Z39paged_attention_ll4mi_QKV_mfma16_kernelIDF16_DF16_LN4vllm18Fp8KVCacheDataTypeE0EhLi16ELi128ELi256ELb0ELi15EEvPKT_PKT0_S7_ifPKiS9_S9_iPKfiiiPfSC_PS2_PT2_iSB_SB_:
	.asciz	"void paged_attention_ll4mi_QKV_mfma16_kernel(const scalar_t *__restrict, const cache_t *__restrict, const cache_t *__restrict, const int, const float, const int *__restrict, const int *__restrict, const int *__restrict, const int, const float *__restrict, const int, const int, const int, float *__restrict, float *__restrict, scalar_t *__restrict, OUTT *__restrict, int, const float *, const float *) [scalar_t = _Float16, cache_t = _Float16, KV_DTYPE = vllm::Fp8KVCacheDataType::kAuto, OUTT = unsigned char, BLOCK_SIZE = 16, HEAD_SIZE = 128, NUM_THREADS = 256, ALIBI_ENABLED = false, GQA_RATIO = 15]"
	.size	__PRETTY_FUNCTION__._Z39paged_attention_ll4mi_QKV_mfma16_kernelIDF16_DF16_LN4vllm18Fp8KVCacheDataTypeE0EhLi16ELi128ELi256ELb0ELi15EEvPKT_PKT0_S7_ifPKiS9_S9_iPKfiiiPfSC_PS2_PT2_iSB_SB_, 602

	.type	__PRETTY_FUNCTION__._Z39paged_attention_ll4mi_QKV_mfma16_kernelIDF16_DF16_LN4vllm18Fp8KVCacheDataTypeE0EhLi16ELi128ELi256ELb0ELi16EEvPKT_PKT0_S7_ifPKiS9_S9_iPKfiiiPfSC_PS2_PT2_iSB_SB_,@object ; @__PRETTY_FUNCTION__._Z39paged_attention_ll4mi_QKV_mfma16_kernelIDF16_DF16_LN4vllm18Fp8KVCacheDataTypeE0EhLi16ELi128ELi256ELb0ELi16EEvPKT_PKT0_S7_ifPKiS9_S9_iPKfiiiPfSC_PS2_PT2_iSB_SB_
__PRETTY_FUNCTION__._Z39paged_attention_ll4mi_QKV_mfma16_kernelIDF16_DF16_LN4vllm18Fp8KVCacheDataTypeE0EhLi16ELi128ELi256ELb0ELi16EEvPKT_PKT0_S7_ifPKiS9_S9_iPKfiiiPfSC_PS2_PT2_iSB_SB_:
	.asciz	"void paged_attention_ll4mi_QKV_mfma16_kernel(const scalar_t *__restrict, const cache_t *__restrict, const cache_t *__restrict, const int, const float, const int *__restrict, const int *__restrict, const int *__restrict, const int, const float *__restrict, const int, const int, const int, float *__restrict, float *__restrict, scalar_t *__restrict, OUTT *__restrict, int, const float *, const float *) [scalar_t = _Float16, cache_t = _Float16, KV_DTYPE = vllm::Fp8KVCacheDataType::kAuto, OUTT = unsigned char, BLOCK_SIZE = 16, HEAD_SIZE = 128, NUM_THREADS = 256, ALIBI_ENABLED = false, GQA_RATIO = 16]"
	.size	__PRETTY_FUNCTION__._Z39paged_attention_ll4mi_QKV_mfma16_kernelIDF16_DF16_LN4vllm18Fp8KVCacheDataTypeE0EhLi16ELi128ELi256ELb0ELi16EEvPKT_PKT0_S7_ifPKiS9_S9_iPKfiiiPfSC_PS2_PT2_iSB_SB_, 602

	.type	__PRETTY_FUNCTION__._Z39paged_attention_ll4mi_QKV_mfma16_kernelIDF16_DF16_LN4vllm18Fp8KVCacheDataTypeE0EhLi16ELi128ELi256ELb0ELi1EEvPKT_PKT0_S7_ifPKiS9_S9_iPKfiiiPfSC_PS2_PT2_iSB_SB_,@object ; @__PRETTY_FUNCTION__._Z39paged_attention_ll4mi_QKV_mfma16_kernelIDF16_DF16_LN4vllm18Fp8KVCacheDataTypeE0EhLi16ELi128ELi256ELb0ELi1EEvPKT_PKT0_S7_ifPKiS9_S9_iPKfiiiPfSC_PS2_PT2_iSB_SB_
__PRETTY_FUNCTION__._Z39paged_attention_ll4mi_QKV_mfma16_kernelIDF16_DF16_LN4vllm18Fp8KVCacheDataTypeE0EhLi16ELi128ELi256ELb0ELi1EEvPKT_PKT0_S7_ifPKiS9_S9_iPKfiiiPfSC_PS2_PT2_iSB_SB_:
	.asciz	"void paged_attention_ll4mi_QKV_mfma16_kernel(const scalar_t *__restrict, const cache_t *__restrict, const cache_t *__restrict, const int, const float, const int *__restrict, const int *__restrict, const int *__restrict, const int, const float *__restrict, const int, const int, const int, float *__restrict, float *__restrict, scalar_t *__restrict, OUTT *__restrict, int, const float *, const float *) [scalar_t = _Float16, cache_t = _Float16, KV_DTYPE = vllm::Fp8KVCacheDataType::kAuto, OUTT = unsigned char, BLOCK_SIZE = 16, HEAD_SIZE = 128, NUM_THREADS = 256, ALIBI_ENABLED = false, GQA_RATIO = 1]"
	.size	__PRETTY_FUNCTION__._Z39paged_attention_ll4mi_QKV_mfma16_kernelIDF16_DF16_LN4vllm18Fp8KVCacheDataTypeE0EhLi16ELi128ELi256ELb0ELi1EEvPKT_PKT0_S7_ifPKiS9_S9_iPKfiiiPfSC_PS2_PT2_iSB_SB_, 601

	.type	__PRETTY_FUNCTION__._Z39paged_attention_ll4mi_QKV_mfma16_kernelIDF16_DF16_LN4vllm18Fp8KVCacheDataTypeE0EhLi16ELi128ELi256ELb0ELi2EEvPKT_PKT0_S7_ifPKiS9_S9_iPKfiiiPfSC_PS2_PT2_iSB_SB_,@object ; @__PRETTY_FUNCTION__._Z39paged_attention_ll4mi_QKV_mfma16_kernelIDF16_DF16_LN4vllm18Fp8KVCacheDataTypeE0EhLi16ELi128ELi256ELb0ELi2EEvPKT_PKT0_S7_ifPKiS9_S9_iPKfiiiPfSC_PS2_PT2_iSB_SB_
__PRETTY_FUNCTION__._Z39paged_attention_ll4mi_QKV_mfma16_kernelIDF16_DF16_LN4vllm18Fp8KVCacheDataTypeE0EhLi16ELi128ELi256ELb0ELi2EEvPKT_PKT0_S7_ifPKiS9_S9_iPKfiiiPfSC_PS2_PT2_iSB_SB_:
	.asciz	"void paged_attention_ll4mi_QKV_mfma16_kernel(const scalar_t *__restrict, const cache_t *__restrict, const cache_t *__restrict, const int, const float, const int *__restrict, const int *__restrict, const int *__restrict, const int, const float *__restrict, const int, const int, const int, float *__restrict, float *__restrict, scalar_t *__restrict, OUTT *__restrict, int, const float *, const float *) [scalar_t = _Float16, cache_t = _Float16, KV_DTYPE = vllm::Fp8KVCacheDataType::kAuto, OUTT = unsigned char, BLOCK_SIZE = 16, HEAD_SIZE = 128, NUM_THREADS = 256, ALIBI_ENABLED = false, GQA_RATIO = 2]"
	.size	__PRETTY_FUNCTION__._Z39paged_attention_ll4mi_QKV_mfma16_kernelIDF16_DF16_LN4vllm18Fp8KVCacheDataTypeE0EhLi16ELi128ELi256ELb0ELi2EEvPKT_PKT0_S7_ifPKiS9_S9_iPKfiiiPfSC_PS2_PT2_iSB_SB_, 601

	.type	__PRETTY_FUNCTION__._Z39paged_attention_ll4mi_QKV_mfma16_kernelIDF16_DF16_LN4vllm18Fp8KVCacheDataTypeE0EhLi16ELi128ELi256ELb0ELi3EEvPKT_PKT0_S7_ifPKiS9_S9_iPKfiiiPfSC_PS2_PT2_iSB_SB_,@object ; @__PRETTY_FUNCTION__._Z39paged_attention_ll4mi_QKV_mfma16_kernelIDF16_DF16_LN4vllm18Fp8KVCacheDataTypeE0EhLi16ELi128ELi256ELb0ELi3EEvPKT_PKT0_S7_ifPKiS9_S9_iPKfiiiPfSC_PS2_PT2_iSB_SB_
__PRETTY_FUNCTION__._Z39paged_attention_ll4mi_QKV_mfma16_kernelIDF16_DF16_LN4vllm18Fp8KVCacheDataTypeE0EhLi16ELi128ELi256ELb0ELi3EEvPKT_PKT0_S7_ifPKiS9_S9_iPKfiiiPfSC_PS2_PT2_iSB_SB_:
	.asciz	"void paged_attention_ll4mi_QKV_mfma16_kernel(const scalar_t *__restrict, const cache_t *__restrict, const cache_t *__restrict, const int, const float, const int *__restrict, const int *__restrict, const int *__restrict, const int, const float *__restrict, const int, const int, const int, float *__restrict, float *__restrict, scalar_t *__restrict, OUTT *__restrict, int, const float *, const float *) [scalar_t = _Float16, cache_t = _Float16, KV_DTYPE = vllm::Fp8KVCacheDataType::kAuto, OUTT = unsigned char, BLOCK_SIZE = 16, HEAD_SIZE = 128, NUM_THREADS = 256, ALIBI_ENABLED = false, GQA_RATIO = 3]"
	.size	__PRETTY_FUNCTION__._Z39paged_attention_ll4mi_QKV_mfma16_kernelIDF16_DF16_LN4vllm18Fp8KVCacheDataTypeE0EhLi16ELi128ELi256ELb0ELi3EEvPKT_PKT0_S7_ifPKiS9_S9_iPKfiiiPfSC_PS2_PT2_iSB_SB_, 601

	.type	__PRETTY_FUNCTION__._Z39paged_attention_ll4mi_QKV_mfma16_kernelIDF16_DF16_LN4vllm18Fp8KVCacheDataTypeE0EhLi16ELi128ELi256ELb0ELi4EEvPKT_PKT0_S7_ifPKiS9_S9_iPKfiiiPfSC_PS2_PT2_iSB_SB_,@object ; @__PRETTY_FUNCTION__._Z39paged_attention_ll4mi_QKV_mfma16_kernelIDF16_DF16_LN4vllm18Fp8KVCacheDataTypeE0EhLi16ELi128ELi256ELb0ELi4EEvPKT_PKT0_S7_ifPKiS9_S9_iPKfiiiPfSC_PS2_PT2_iSB_SB_
__PRETTY_FUNCTION__._Z39paged_attention_ll4mi_QKV_mfma16_kernelIDF16_DF16_LN4vllm18Fp8KVCacheDataTypeE0EhLi16ELi128ELi256ELb0ELi4EEvPKT_PKT0_S7_ifPKiS9_S9_iPKfiiiPfSC_PS2_PT2_iSB_SB_:
	.asciz	"void paged_attention_ll4mi_QKV_mfma16_kernel(const scalar_t *__restrict, const cache_t *__restrict, const cache_t *__restrict, const int, const float, const int *__restrict, const int *__restrict, const int *__restrict, const int, const float *__restrict, const int, const int, const int, float *__restrict, float *__restrict, scalar_t *__restrict, OUTT *__restrict, int, const float *, const float *) [scalar_t = _Float16, cache_t = _Float16, KV_DTYPE = vllm::Fp8KVCacheDataType::kAuto, OUTT = unsigned char, BLOCK_SIZE = 16, HEAD_SIZE = 128, NUM_THREADS = 256, ALIBI_ENABLED = false, GQA_RATIO = 4]"
	.size	__PRETTY_FUNCTION__._Z39paged_attention_ll4mi_QKV_mfma16_kernelIDF16_DF16_LN4vllm18Fp8KVCacheDataTypeE0EhLi16ELi128ELi256ELb0ELi4EEvPKT_PKT0_S7_ifPKiS9_S9_iPKfiiiPfSC_PS2_PT2_iSB_SB_, 601

	.type	__PRETTY_FUNCTION__._Z38paged_attention_ll4mi_QKV_mfma4_kernelIDF16_DF16_LN4vllm18Fp8KVCacheDataTypeE0EDF16_Li16ELi128ELi256ELb1ELi1EEvPKT_PKT0_S7_ifPKiS9_S9_iPKfiiiPfSC_PS2_PT2_iSB_SB_,@object ; @__PRETTY_FUNCTION__._Z38paged_attention_ll4mi_QKV_mfma4_kernelIDF16_DF16_LN4vllm18Fp8KVCacheDataTypeE0EDF16_Li16ELi128ELi256ELb1ELi1EEvPKT_PKT0_S7_ifPKiS9_S9_iPKfiiiPfSC_PS2_PT2_iSB_SB_
__PRETTY_FUNCTION__._Z38paged_attention_ll4mi_QKV_mfma4_kernelIDF16_DF16_LN4vllm18Fp8KVCacheDataTypeE0EDF16_Li16ELi128ELi256ELb1ELi1EEvPKT_PKT0_S7_ifPKiS9_S9_iPKfiiiPfSC_PS2_PT2_iSB_SB_:
	.asciz	"void paged_attention_ll4mi_QKV_mfma4_kernel(const scalar_t *__restrict, const cache_t *__restrict, const cache_t *__restrict, const int, const float, const int *__restrict, const int *__restrict, const int *__restrict, const int, const float *__restrict, const int, const int, const int, float *__restrict, float *__restrict, scalar_t *__restrict, OUTT *__restrict, int, const float *, const float *) [scalar_t = _Float16, cache_t = _Float16, KV_DTYPE = vllm::Fp8KVCacheDataType::kAuto, OUTT = _Float16, BLOCK_SIZE = 16, HEAD_SIZE = 128, NUM_THREADS = 256, ALIBI_ENABLED = true, GQA_RATIO = 1]"
	.size	__PRETTY_FUNCTION__._Z38paged_attention_ll4mi_QKV_mfma4_kernelIDF16_DF16_LN4vllm18Fp8KVCacheDataTypeE0EDF16_Li16ELi128ELi256ELb1ELi1EEvPKT_PKT0_S7_ifPKiS9_S9_iPKfiiiPfSC_PS2_PT2_iSB_SB_, 594

	.type	__PRETTY_FUNCTION__._Z38paged_attention_ll4mi_QKV_mfma4_kernelIDF16_DF16_LN4vllm18Fp8KVCacheDataTypeE0EDF16_Li16ELi128ELi256ELb1ELi2EEvPKT_PKT0_S7_ifPKiS9_S9_iPKfiiiPfSC_PS2_PT2_iSB_SB_,@object ; @__PRETTY_FUNCTION__._Z38paged_attention_ll4mi_QKV_mfma4_kernelIDF16_DF16_LN4vllm18Fp8KVCacheDataTypeE0EDF16_Li16ELi128ELi256ELb1ELi2EEvPKT_PKT0_S7_ifPKiS9_S9_iPKfiiiPfSC_PS2_PT2_iSB_SB_
__PRETTY_FUNCTION__._Z38paged_attention_ll4mi_QKV_mfma4_kernelIDF16_DF16_LN4vllm18Fp8KVCacheDataTypeE0EDF16_Li16ELi128ELi256ELb1ELi2EEvPKT_PKT0_S7_ifPKiS9_S9_iPKfiiiPfSC_PS2_PT2_iSB_SB_:
	.asciz	"void paged_attention_ll4mi_QKV_mfma4_kernel(const scalar_t *__restrict, const cache_t *__restrict, const cache_t *__restrict, const int, const float, const int *__restrict, const int *__restrict, const int *__restrict, const int, const float *__restrict, const int, const int, const int, float *__restrict, float *__restrict, scalar_t *__restrict, OUTT *__restrict, int, const float *, const float *) [scalar_t = _Float16, cache_t = _Float16, KV_DTYPE = vllm::Fp8KVCacheDataType::kAuto, OUTT = _Float16, BLOCK_SIZE = 16, HEAD_SIZE = 128, NUM_THREADS = 256, ALIBI_ENABLED = true, GQA_RATIO = 2]"
	.size	__PRETTY_FUNCTION__._Z38paged_attention_ll4mi_QKV_mfma4_kernelIDF16_DF16_LN4vllm18Fp8KVCacheDataTypeE0EDF16_Li16ELi128ELi256ELb1ELi2EEvPKT_PKT0_S7_ifPKiS9_S9_iPKfiiiPfSC_PS2_PT2_iSB_SB_, 594

	.type	__PRETTY_FUNCTION__._Z38paged_attention_ll4mi_QKV_mfma4_kernelIDF16_DF16_LN4vllm18Fp8KVCacheDataTypeE0EDF16_Li16ELi128ELi256ELb1ELi3EEvPKT_PKT0_S7_ifPKiS9_S9_iPKfiiiPfSC_PS2_PT2_iSB_SB_,@object ; @__PRETTY_FUNCTION__._Z38paged_attention_ll4mi_QKV_mfma4_kernelIDF16_DF16_LN4vllm18Fp8KVCacheDataTypeE0EDF16_Li16ELi128ELi256ELb1ELi3EEvPKT_PKT0_S7_ifPKiS9_S9_iPKfiiiPfSC_PS2_PT2_iSB_SB_
__PRETTY_FUNCTION__._Z38paged_attention_ll4mi_QKV_mfma4_kernelIDF16_DF16_LN4vllm18Fp8KVCacheDataTypeE0EDF16_Li16ELi128ELi256ELb1ELi3EEvPKT_PKT0_S7_ifPKiS9_S9_iPKfiiiPfSC_PS2_PT2_iSB_SB_:
	.asciz	"void paged_attention_ll4mi_QKV_mfma4_kernel(const scalar_t *__restrict, const cache_t *__restrict, const cache_t *__restrict, const int, const float, const int *__restrict, const int *__restrict, const int *__restrict, const int, const float *__restrict, const int, const int, const int, float *__restrict, float *__restrict, scalar_t *__restrict, OUTT *__restrict, int, const float *, const float *) [scalar_t = _Float16, cache_t = _Float16, KV_DTYPE = vllm::Fp8KVCacheDataType::kAuto, OUTT = _Float16, BLOCK_SIZE = 16, HEAD_SIZE = 128, NUM_THREADS = 256, ALIBI_ENABLED = true, GQA_RATIO = 3]"
	.size	__PRETTY_FUNCTION__._Z38paged_attention_ll4mi_QKV_mfma4_kernelIDF16_DF16_LN4vllm18Fp8KVCacheDataTypeE0EDF16_Li16ELi128ELi256ELb1ELi3EEvPKT_PKT0_S7_ifPKiS9_S9_iPKfiiiPfSC_PS2_PT2_iSB_SB_, 594

	.type	__PRETTY_FUNCTION__._Z38paged_attention_ll4mi_QKV_mfma4_kernelIDF16_DF16_LN4vllm18Fp8KVCacheDataTypeE0EDF16_Li16ELi128ELi256ELb1ELi4EEvPKT_PKT0_S7_ifPKiS9_S9_iPKfiiiPfSC_PS2_PT2_iSB_SB_,@object ; @__PRETTY_FUNCTION__._Z38paged_attention_ll4mi_QKV_mfma4_kernelIDF16_DF16_LN4vllm18Fp8KVCacheDataTypeE0EDF16_Li16ELi128ELi256ELb1ELi4EEvPKT_PKT0_S7_ifPKiS9_S9_iPKfiiiPfSC_PS2_PT2_iSB_SB_
__PRETTY_FUNCTION__._Z38paged_attention_ll4mi_QKV_mfma4_kernelIDF16_DF16_LN4vllm18Fp8KVCacheDataTypeE0EDF16_Li16ELi128ELi256ELb1ELi4EEvPKT_PKT0_S7_ifPKiS9_S9_iPKfiiiPfSC_PS2_PT2_iSB_SB_:
	.asciz	"void paged_attention_ll4mi_QKV_mfma4_kernel(const scalar_t *__restrict, const cache_t *__restrict, const cache_t *__restrict, const int, const float, const int *__restrict, const int *__restrict, const int *__restrict, const int, const float *__restrict, const int, const int, const int, float *__restrict, float *__restrict, scalar_t *__restrict, OUTT *__restrict, int, const float *, const float *) [scalar_t = _Float16, cache_t = _Float16, KV_DTYPE = vllm::Fp8KVCacheDataType::kAuto, OUTT = _Float16, BLOCK_SIZE = 16, HEAD_SIZE = 128, NUM_THREADS = 256, ALIBI_ENABLED = true, GQA_RATIO = 4]"
	.size	__PRETTY_FUNCTION__._Z38paged_attention_ll4mi_QKV_mfma4_kernelIDF16_DF16_LN4vllm18Fp8KVCacheDataTypeE0EDF16_Li16ELi128ELi256ELb1ELi4EEvPKT_PKT0_S7_ifPKiS9_S9_iPKfiiiPfSC_PS2_PT2_iSB_SB_, 594

	.type	__PRETTY_FUNCTION__._Z39paged_attention_ll4mi_QKV_mfma16_kernelIDF16_DF16_LN4vllm18Fp8KVCacheDataTypeE0EDF16_Li16ELi128ELi256ELb1ELi5EEvPKT_PKT0_S7_ifPKiS9_S9_iPKfiiiPfSC_PS2_PT2_iSB_SB_,@object ; @__PRETTY_FUNCTION__._Z39paged_attention_ll4mi_QKV_mfma16_kernelIDF16_DF16_LN4vllm18Fp8KVCacheDataTypeE0EDF16_Li16ELi128ELi256ELb1ELi5EEvPKT_PKT0_S7_ifPKiS9_S9_iPKfiiiPfSC_PS2_PT2_iSB_SB_
__PRETTY_FUNCTION__._Z39paged_attention_ll4mi_QKV_mfma16_kernelIDF16_DF16_LN4vllm18Fp8KVCacheDataTypeE0EDF16_Li16ELi128ELi256ELb1ELi5EEvPKT_PKT0_S7_ifPKiS9_S9_iPKfiiiPfSC_PS2_PT2_iSB_SB_:
	.asciz	"void paged_attention_ll4mi_QKV_mfma16_kernel(const scalar_t *__restrict, const cache_t *__restrict, const cache_t *__restrict, const int, const float, const int *__restrict, const int *__restrict, const int *__restrict, const int, const float *__restrict, const int, const int, const int, float *__restrict, float *__restrict, scalar_t *__restrict, OUTT *__restrict, int, const float *, const float *) [scalar_t = _Float16, cache_t = _Float16, KV_DTYPE = vllm::Fp8KVCacheDataType::kAuto, OUTT = _Float16, BLOCK_SIZE = 16, HEAD_SIZE = 128, NUM_THREADS = 256, ALIBI_ENABLED = true, GQA_RATIO = 5]"
	.size	__PRETTY_FUNCTION__._Z39paged_attention_ll4mi_QKV_mfma16_kernelIDF16_DF16_LN4vllm18Fp8KVCacheDataTypeE0EDF16_Li16ELi128ELi256ELb1ELi5EEvPKT_PKT0_S7_ifPKiS9_S9_iPKfiiiPfSC_PS2_PT2_iSB_SB_, 595

	.type	__PRETTY_FUNCTION__._Z39paged_attention_ll4mi_QKV_mfma16_kernelIDF16_DF16_LN4vllm18Fp8KVCacheDataTypeE0EDF16_Li16ELi128ELi256ELb1ELi6EEvPKT_PKT0_S7_ifPKiS9_S9_iPKfiiiPfSC_PS2_PT2_iSB_SB_,@object ; @__PRETTY_FUNCTION__._Z39paged_attention_ll4mi_QKV_mfma16_kernelIDF16_DF16_LN4vllm18Fp8KVCacheDataTypeE0EDF16_Li16ELi128ELi256ELb1ELi6EEvPKT_PKT0_S7_ifPKiS9_S9_iPKfiiiPfSC_PS2_PT2_iSB_SB_
__PRETTY_FUNCTION__._Z39paged_attention_ll4mi_QKV_mfma16_kernelIDF16_DF16_LN4vllm18Fp8KVCacheDataTypeE0EDF16_Li16ELi128ELi256ELb1ELi6EEvPKT_PKT0_S7_ifPKiS9_S9_iPKfiiiPfSC_PS2_PT2_iSB_SB_:
	.asciz	"void paged_attention_ll4mi_QKV_mfma16_kernel(const scalar_t *__restrict, const cache_t *__restrict, const cache_t *__restrict, const int, const float, const int *__restrict, const int *__restrict, const int *__restrict, const int, const float *__restrict, const int, const int, const int, float *__restrict, float *__restrict, scalar_t *__restrict, OUTT *__restrict, int, const float *, const float *) [scalar_t = _Float16, cache_t = _Float16, KV_DTYPE = vllm::Fp8KVCacheDataType::kAuto, OUTT = _Float16, BLOCK_SIZE = 16, HEAD_SIZE = 128, NUM_THREADS = 256, ALIBI_ENABLED = true, GQA_RATIO = 6]"
	.size	__PRETTY_FUNCTION__._Z39paged_attention_ll4mi_QKV_mfma16_kernelIDF16_DF16_LN4vllm18Fp8KVCacheDataTypeE0EDF16_Li16ELi128ELi256ELb1ELi6EEvPKT_PKT0_S7_ifPKiS9_S9_iPKfiiiPfSC_PS2_PT2_iSB_SB_, 595

	.type	__PRETTY_FUNCTION__._Z39paged_attention_ll4mi_QKV_mfma16_kernelIDF16_DF16_LN4vllm18Fp8KVCacheDataTypeE0EDF16_Li16ELi128ELi256ELb1ELi7EEvPKT_PKT0_S7_ifPKiS9_S9_iPKfiiiPfSC_PS2_PT2_iSB_SB_,@object ; @__PRETTY_FUNCTION__._Z39paged_attention_ll4mi_QKV_mfma16_kernelIDF16_DF16_LN4vllm18Fp8KVCacheDataTypeE0EDF16_Li16ELi128ELi256ELb1ELi7EEvPKT_PKT0_S7_ifPKiS9_S9_iPKfiiiPfSC_PS2_PT2_iSB_SB_
__PRETTY_FUNCTION__._Z39paged_attention_ll4mi_QKV_mfma16_kernelIDF16_DF16_LN4vllm18Fp8KVCacheDataTypeE0EDF16_Li16ELi128ELi256ELb1ELi7EEvPKT_PKT0_S7_ifPKiS9_S9_iPKfiiiPfSC_PS2_PT2_iSB_SB_:
	.asciz	"void paged_attention_ll4mi_QKV_mfma16_kernel(const scalar_t *__restrict, const cache_t *__restrict, const cache_t *__restrict, const int, const float, const int *__restrict, const int *__restrict, const int *__restrict, const int, const float *__restrict, const int, const int, const int, float *__restrict, float *__restrict, scalar_t *__restrict, OUTT *__restrict, int, const float *, const float *) [scalar_t = _Float16, cache_t = _Float16, KV_DTYPE = vllm::Fp8KVCacheDataType::kAuto, OUTT = _Float16, BLOCK_SIZE = 16, HEAD_SIZE = 128, NUM_THREADS = 256, ALIBI_ENABLED = true, GQA_RATIO = 7]"
	.size	__PRETTY_FUNCTION__._Z39paged_attention_ll4mi_QKV_mfma16_kernelIDF16_DF16_LN4vllm18Fp8KVCacheDataTypeE0EDF16_Li16ELi128ELi256ELb1ELi7EEvPKT_PKT0_S7_ifPKiS9_S9_iPKfiiiPfSC_PS2_PT2_iSB_SB_, 595

	.type	__PRETTY_FUNCTION__._Z39paged_attention_ll4mi_QKV_mfma16_kernelIDF16_DF16_LN4vllm18Fp8KVCacheDataTypeE0EDF16_Li16ELi128ELi256ELb1ELi8EEvPKT_PKT0_S7_ifPKiS9_S9_iPKfiiiPfSC_PS2_PT2_iSB_SB_,@object ; @__PRETTY_FUNCTION__._Z39paged_attention_ll4mi_QKV_mfma16_kernelIDF16_DF16_LN4vllm18Fp8KVCacheDataTypeE0EDF16_Li16ELi128ELi256ELb1ELi8EEvPKT_PKT0_S7_ifPKiS9_S9_iPKfiiiPfSC_PS2_PT2_iSB_SB_
__PRETTY_FUNCTION__._Z39paged_attention_ll4mi_QKV_mfma16_kernelIDF16_DF16_LN4vllm18Fp8KVCacheDataTypeE0EDF16_Li16ELi128ELi256ELb1ELi8EEvPKT_PKT0_S7_ifPKiS9_S9_iPKfiiiPfSC_PS2_PT2_iSB_SB_:
	.asciz	"void paged_attention_ll4mi_QKV_mfma16_kernel(const scalar_t *__restrict, const cache_t *__restrict, const cache_t *__restrict, const int, const float, const int *__restrict, const int *__restrict, const int *__restrict, const int, const float *__restrict, const int, const int, const int, float *__restrict, float *__restrict, scalar_t *__restrict, OUTT *__restrict, int, const float *, const float *) [scalar_t = _Float16, cache_t = _Float16, KV_DTYPE = vllm::Fp8KVCacheDataType::kAuto, OUTT = _Float16, BLOCK_SIZE = 16, HEAD_SIZE = 128, NUM_THREADS = 256, ALIBI_ENABLED = true, GQA_RATIO = 8]"
	.size	__PRETTY_FUNCTION__._Z39paged_attention_ll4mi_QKV_mfma16_kernelIDF16_DF16_LN4vllm18Fp8KVCacheDataTypeE0EDF16_Li16ELi128ELi256ELb1ELi8EEvPKT_PKT0_S7_ifPKiS9_S9_iPKfiiiPfSC_PS2_PT2_iSB_SB_, 595

	.type	__PRETTY_FUNCTION__._Z39paged_attention_ll4mi_QKV_mfma16_kernelIDF16_DF16_LN4vllm18Fp8KVCacheDataTypeE0EDF16_Li16ELi128ELi256ELb1ELi9EEvPKT_PKT0_S7_ifPKiS9_S9_iPKfiiiPfSC_PS2_PT2_iSB_SB_,@object ; @__PRETTY_FUNCTION__._Z39paged_attention_ll4mi_QKV_mfma16_kernelIDF16_DF16_LN4vllm18Fp8KVCacheDataTypeE0EDF16_Li16ELi128ELi256ELb1ELi9EEvPKT_PKT0_S7_ifPKiS9_S9_iPKfiiiPfSC_PS2_PT2_iSB_SB_
__PRETTY_FUNCTION__._Z39paged_attention_ll4mi_QKV_mfma16_kernelIDF16_DF16_LN4vllm18Fp8KVCacheDataTypeE0EDF16_Li16ELi128ELi256ELb1ELi9EEvPKT_PKT0_S7_ifPKiS9_S9_iPKfiiiPfSC_PS2_PT2_iSB_SB_:
	.asciz	"void paged_attention_ll4mi_QKV_mfma16_kernel(const scalar_t *__restrict, const cache_t *__restrict, const cache_t *__restrict, const int, const float, const int *__restrict, const int *__restrict, const int *__restrict, const int, const float *__restrict, const int, const int, const int, float *__restrict, float *__restrict, scalar_t *__restrict, OUTT *__restrict, int, const float *, const float *) [scalar_t = _Float16, cache_t = _Float16, KV_DTYPE = vllm::Fp8KVCacheDataType::kAuto, OUTT = _Float16, BLOCK_SIZE = 16, HEAD_SIZE = 128, NUM_THREADS = 256, ALIBI_ENABLED = true, GQA_RATIO = 9]"
	.size	__PRETTY_FUNCTION__._Z39paged_attention_ll4mi_QKV_mfma16_kernelIDF16_DF16_LN4vllm18Fp8KVCacheDataTypeE0EDF16_Li16ELi128ELi256ELb1ELi9EEvPKT_PKT0_S7_ifPKiS9_S9_iPKfiiiPfSC_PS2_PT2_iSB_SB_, 595

	.type	__PRETTY_FUNCTION__._Z39paged_attention_ll4mi_QKV_mfma16_kernelIDF16_DF16_LN4vllm18Fp8KVCacheDataTypeE0EDF16_Li16ELi128ELi256ELb1ELi10EEvPKT_PKT0_S7_ifPKiS9_S9_iPKfiiiPfSC_PS2_PT2_iSB_SB_,@object ; @__PRETTY_FUNCTION__._Z39paged_attention_ll4mi_QKV_mfma16_kernelIDF16_DF16_LN4vllm18Fp8KVCacheDataTypeE0EDF16_Li16ELi128ELi256ELb1ELi10EEvPKT_PKT0_S7_ifPKiS9_S9_iPKfiiiPfSC_PS2_PT2_iSB_SB_
__PRETTY_FUNCTION__._Z39paged_attention_ll4mi_QKV_mfma16_kernelIDF16_DF16_LN4vllm18Fp8KVCacheDataTypeE0EDF16_Li16ELi128ELi256ELb1ELi10EEvPKT_PKT0_S7_ifPKiS9_S9_iPKfiiiPfSC_PS2_PT2_iSB_SB_:
	.asciz	"void paged_attention_ll4mi_QKV_mfma16_kernel(const scalar_t *__restrict, const cache_t *__restrict, const cache_t *__restrict, const int, const float, const int *__restrict, const int *__restrict, const int *__restrict, const int, const float *__restrict, const int, const int, const int, float *__restrict, float *__restrict, scalar_t *__restrict, OUTT *__restrict, int, const float *, const float *) [scalar_t = _Float16, cache_t = _Float16, KV_DTYPE = vllm::Fp8KVCacheDataType::kAuto, OUTT = _Float16, BLOCK_SIZE = 16, HEAD_SIZE = 128, NUM_THREADS = 256, ALIBI_ENABLED = true, GQA_RATIO = 10]"
	.size	__PRETTY_FUNCTION__._Z39paged_attention_ll4mi_QKV_mfma16_kernelIDF16_DF16_LN4vllm18Fp8KVCacheDataTypeE0EDF16_Li16ELi128ELi256ELb1ELi10EEvPKT_PKT0_S7_ifPKiS9_S9_iPKfiiiPfSC_PS2_PT2_iSB_SB_, 596

	.type	__PRETTY_FUNCTION__._Z39paged_attention_ll4mi_QKV_mfma16_kernelIDF16_DF16_LN4vllm18Fp8KVCacheDataTypeE0EDF16_Li16ELi128ELi256ELb1ELi11EEvPKT_PKT0_S7_ifPKiS9_S9_iPKfiiiPfSC_PS2_PT2_iSB_SB_,@object ; @__PRETTY_FUNCTION__._Z39paged_attention_ll4mi_QKV_mfma16_kernelIDF16_DF16_LN4vllm18Fp8KVCacheDataTypeE0EDF16_Li16ELi128ELi256ELb1ELi11EEvPKT_PKT0_S7_ifPKiS9_S9_iPKfiiiPfSC_PS2_PT2_iSB_SB_
__PRETTY_FUNCTION__._Z39paged_attention_ll4mi_QKV_mfma16_kernelIDF16_DF16_LN4vllm18Fp8KVCacheDataTypeE0EDF16_Li16ELi128ELi256ELb1ELi11EEvPKT_PKT0_S7_ifPKiS9_S9_iPKfiiiPfSC_PS2_PT2_iSB_SB_:
	.asciz	"void paged_attention_ll4mi_QKV_mfma16_kernel(const scalar_t *__restrict, const cache_t *__restrict, const cache_t *__restrict, const int, const float, const int *__restrict, const int *__restrict, const int *__restrict, const int, const float *__restrict, const int, const int, const int, float *__restrict, float *__restrict, scalar_t *__restrict, OUTT *__restrict, int, const float *, const float *) [scalar_t = _Float16, cache_t = _Float16, KV_DTYPE = vllm::Fp8KVCacheDataType::kAuto, OUTT = _Float16, BLOCK_SIZE = 16, HEAD_SIZE = 128, NUM_THREADS = 256, ALIBI_ENABLED = true, GQA_RATIO = 11]"
	.size	__PRETTY_FUNCTION__._Z39paged_attention_ll4mi_QKV_mfma16_kernelIDF16_DF16_LN4vllm18Fp8KVCacheDataTypeE0EDF16_Li16ELi128ELi256ELb1ELi11EEvPKT_PKT0_S7_ifPKiS9_S9_iPKfiiiPfSC_PS2_PT2_iSB_SB_, 596

	.type	__PRETTY_FUNCTION__._Z39paged_attention_ll4mi_QKV_mfma16_kernelIDF16_DF16_LN4vllm18Fp8KVCacheDataTypeE0EDF16_Li16ELi128ELi256ELb1ELi12EEvPKT_PKT0_S7_ifPKiS9_S9_iPKfiiiPfSC_PS2_PT2_iSB_SB_,@object ; @__PRETTY_FUNCTION__._Z39paged_attention_ll4mi_QKV_mfma16_kernelIDF16_DF16_LN4vllm18Fp8KVCacheDataTypeE0EDF16_Li16ELi128ELi256ELb1ELi12EEvPKT_PKT0_S7_ifPKiS9_S9_iPKfiiiPfSC_PS2_PT2_iSB_SB_
__PRETTY_FUNCTION__._Z39paged_attention_ll4mi_QKV_mfma16_kernelIDF16_DF16_LN4vllm18Fp8KVCacheDataTypeE0EDF16_Li16ELi128ELi256ELb1ELi12EEvPKT_PKT0_S7_ifPKiS9_S9_iPKfiiiPfSC_PS2_PT2_iSB_SB_:
	.asciz	"void paged_attention_ll4mi_QKV_mfma16_kernel(const scalar_t *__restrict, const cache_t *__restrict, const cache_t *__restrict, const int, const float, const int *__restrict, const int *__restrict, const int *__restrict, const int, const float *__restrict, const int, const int, const int, float *__restrict, float *__restrict, scalar_t *__restrict, OUTT *__restrict, int, const float *, const float *) [scalar_t = _Float16, cache_t = _Float16, KV_DTYPE = vllm::Fp8KVCacheDataType::kAuto, OUTT = _Float16, BLOCK_SIZE = 16, HEAD_SIZE = 128, NUM_THREADS = 256, ALIBI_ENABLED = true, GQA_RATIO = 12]"
	.size	__PRETTY_FUNCTION__._Z39paged_attention_ll4mi_QKV_mfma16_kernelIDF16_DF16_LN4vllm18Fp8KVCacheDataTypeE0EDF16_Li16ELi128ELi256ELb1ELi12EEvPKT_PKT0_S7_ifPKiS9_S9_iPKfiiiPfSC_PS2_PT2_iSB_SB_, 596

	.type	__PRETTY_FUNCTION__._Z39paged_attention_ll4mi_QKV_mfma16_kernelIDF16_DF16_LN4vllm18Fp8KVCacheDataTypeE0EDF16_Li16ELi128ELi256ELb1ELi13EEvPKT_PKT0_S7_ifPKiS9_S9_iPKfiiiPfSC_PS2_PT2_iSB_SB_,@object ; @__PRETTY_FUNCTION__._Z39paged_attention_ll4mi_QKV_mfma16_kernelIDF16_DF16_LN4vllm18Fp8KVCacheDataTypeE0EDF16_Li16ELi128ELi256ELb1ELi13EEvPKT_PKT0_S7_ifPKiS9_S9_iPKfiiiPfSC_PS2_PT2_iSB_SB_
__PRETTY_FUNCTION__._Z39paged_attention_ll4mi_QKV_mfma16_kernelIDF16_DF16_LN4vllm18Fp8KVCacheDataTypeE0EDF16_Li16ELi128ELi256ELb1ELi13EEvPKT_PKT0_S7_ifPKiS9_S9_iPKfiiiPfSC_PS2_PT2_iSB_SB_:
	.asciz	"void paged_attention_ll4mi_QKV_mfma16_kernel(const scalar_t *__restrict, const cache_t *__restrict, const cache_t *__restrict, const int, const float, const int *__restrict, const int *__restrict, const int *__restrict, const int, const float *__restrict, const int, const int, const int, float *__restrict, float *__restrict, scalar_t *__restrict, OUTT *__restrict, int, const float *, const float *) [scalar_t = _Float16, cache_t = _Float16, KV_DTYPE = vllm::Fp8KVCacheDataType::kAuto, OUTT = _Float16, BLOCK_SIZE = 16, HEAD_SIZE = 128, NUM_THREADS = 256, ALIBI_ENABLED = true, GQA_RATIO = 13]"
	.size	__PRETTY_FUNCTION__._Z39paged_attention_ll4mi_QKV_mfma16_kernelIDF16_DF16_LN4vllm18Fp8KVCacheDataTypeE0EDF16_Li16ELi128ELi256ELb1ELi13EEvPKT_PKT0_S7_ifPKiS9_S9_iPKfiiiPfSC_PS2_PT2_iSB_SB_, 596

	.type	__PRETTY_FUNCTION__._Z39paged_attention_ll4mi_QKV_mfma16_kernelIDF16_DF16_LN4vllm18Fp8KVCacheDataTypeE0EDF16_Li16ELi128ELi256ELb1ELi14EEvPKT_PKT0_S7_ifPKiS9_S9_iPKfiiiPfSC_PS2_PT2_iSB_SB_,@object ; @__PRETTY_FUNCTION__._Z39paged_attention_ll4mi_QKV_mfma16_kernelIDF16_DF16_LN4vllm18Fp8KVCacheDataTypeE0EDF16_Li16ELi128ELi256ELb1ELi14EEvPKT_PKT0_S7_ifPKiS9_S9_iPKfiiiPfSC_PS2_PT2_iSB_SB_
__PRETTY_FUNCTION__._Z39paged_attention_ll4mi_QKV_mfma16_kernelIDF16_DF16_LN4vllm18Fp8KVCacheDataTypeE0EDF16_Li16ELi128ELi256ELb1ELi14EEvPKT_PKT0_S7_ifPKiS9_S9_iPKfiiiPfSC_PS2_PT2_iSB_SB_:
	.asciz	"void paged_attention_ll4mi_QKV_mfma16_kernel(const scalar_t *__restrict, const cache_t *__restrict, const cache_t *__restrict, const int, const float, const int *__restrict, const int *__restrict, const int *__restrict, const int, const float *__restrict, const int, const int, const int, float *__restrict, float *__restrict, scalar_t *__restrict, OUTT *__restrict, int, const float *, const float *) [scalar_t = _Float16, cache_t = _Float16, KV_DTYPE = vllm::Fp8KVCacheDataType::kAuto, OUTT = _Float16, BLOCK_SIZE = 16, HEAD_SIZE = 128, NUM_THREADS = 256, ALIBI_ENABLED = true, GQA_RATIO = 14]"
	.size	__PRETTY_FUNCTION__._Z39paged_attention_ll4mi_QKV_mfma16_kernelIDF16_DF16_LN4vllm18Fp8KVCacheDataTypeE0EDF16_Li16ELi128ELi256ELb1ELi14EEvPKT_PKT0_S7_ifPKiS9_S9_iPKfiiiPfSC_PS2_PT2_iSB_SB_, 596

	.type	__PRETTY_FUNCTION__._Z39paged_attention_ll4mi_QKV_mfma16_kernelIDF16_DF16_LN4vllm18Fp8KVCacheDataTypeE0EDF16_Li16ELi128ELi256ELb1ELi15EEvPKT_PKT0_S7_ifPKiS9_S9_iPKfiiiPfSC_PS2_PT2_iSB_SB_,@object ; @__PRETTY_FUNCTION__._Z39paged_attention_ll4mi_QKV_mfma16_kernelIDF16_DF16_LN4vllm18Fp8KVCacheDataTypeE0EDF16_Li16ELi128ELi256ELb1ELi15EEvPKT_PKT0_S7_ifPKiS9_S9_iPKfiiiPfSC_PS2_PT2_iSB_SB_
__PRETTY_FUNCTION__._Z39paged_attention_ll4mi_QKV_mfma16_kernelIDF16_DF16_LN4vllm18Fp8KVCacheDataTypeE0EDF16_Li16ELi128ELi256ELb1ELi15EEvPKT_PKT0_S7_ifPKiS9_S9_iPKfiiiPfSC_PS2_PT2_iSB_SB_:
	.asciz	"void paged_attention_ll4mi_QKV_mfma16_kernel(const scalar_t *__restrict, const cache_t *__restrict, const cache_t *__restrict, const int, const float, const int *__restrict, const int *__restrict, const int *__restrict, const int, const float *__restrict, const int, const int, const int, float *__restrict, float *__restrict, scalar_t *__restrict, OUTT *__restrict, int, const float *, const float *) [scalar_t = _Float16, cache_t = _Float16, KV_DTYPE = vllm::Fp8KVCacheDataType::kAuto, OUTT = _Float16, BLOCK_SIZE = 16, HEAD_SIZE = 128, NUM_THREADS = 256, ALIBI_ENABLED = true, GQA_RATIO = 15]"
	.size	__PRETTY_FUNCTION__._Z39paged_attention_ll4mi_QKV_mfma16_kernelIDF16_DF16_LN4vllm18Fp8KVCacheDataTypeE0EDF16_Li16ELi128ELi256ELb1ELi15EEvPKT_PKT0_S7_ifPKiS9_S9_iPKfiiiPfSC_PS2_PT2_iSB_SB_, 596

	.type	__PRETTY_FUNCTION__._Z39paged_attention_ll4mi_QKV_mfma16_kernelIDF16_DF16_LN4vllm18Fp8KVCacheDataTypeE0EDF16_Li16ELi128ELi256ELb1ELi16EEvPKT_PKT0_S7_ifPKiS9_S9_iPKfiiiPfSC_PS2_PT2_iSB_SB_,@object ; @__PRETTY_FUNCTION__._Z39paged_attention_ll4mi_QKV_mfma16_kernelIDF16_DF16_LN4vllm18Fp8KVCacheDataTypeE0EDF16_Li16ELi128ELi256ELb1ELi16EEvPKT_PKT0_S7_ifPKiS9_S9_iPKfiiiPfSC_PS2_PT2_iSB_SB_
__PRETTY_FUNCTION__._Z39paged_attention_ll4mi_QKV_mfma16_kernelIDF16_DF16_LN4vllm18Fp8KVCacheDataTypeE0EDF16_Li16ELi128ELi256ELb1ELi16EEvPKT_PKT0_S7_ifPKiS9_S9_iPKfiiiPfSC_PS2_PT2_iSB_SB_:
	.asciz	"void paged_attention_ll4mi_QKV_mfma16_kernel(const scalar_t *__restrict, const cache_t *__restrict, const cache_t *__restrict, const int, const float, const int *__restrict, const int *__restrict, const int *__restrict, const int, const float *__restrict, const int, const int, const int, float *__restrict, float *__restrict, scalar_t *__restrict, OUTT *__restrict, int, const float *, const float *) [scalar_t = _Float16, cache_t = _Float16, KV_DTYPE = vllm::Fp8KVCacheDataType::kAuto, OUTT = _Float16, BLOCK_SIZE = 16, HEAD_SIZE = 128, NUM_THREADS = 256, ALIBI_ENABLED = true, GQA_RATIO = 16]"
	.size	__PRETTY_FUNCTION__._Z39paged_attention_ll4mi_QKV_mfma16_kernelIDF16_DF16_LN4vllm18Fp8KVCacheDataTypeE0EDF16_Li16ELi128ELi256ELb1ELi16EEvPKT_PKT0_S7_ifPKiS9_S9_iPKfiiiPfSC_PS2_PT2_iSB_SB_, 596

	.type	__PRETTY_FUNCTION__._Z35paged_attention_ll4mi_reduce_kernelIDF16_DF16_Li128ELi128ELi256ELi1EEvPT0_PKfS3_PKT_PKiS8_iS3_,@object ; @__PRETTY_FUNCTION__._Z35paged_attention_ll4mi_reduce_kernelIDF16_DF16_Li128ELi128ELi256ELi1EEvPT0_PKfS3_PKT_PKiS8_iS3_
__PRETTY_FUNCTION__._Z35paged_attention_ll4mi_reduce_kernelIDF16_DF16_Li128ELi128ELi256ELi1EEvPT0_PKfS3_PKT_PKiS8_iS3_:
	.asciz	"void paged_attention_ll4mi_reduce_kernel(OUTT *__restrict, const float *__restrict, const float *__restrict, const scalar_t *__restrict, const int *__restrict, const int *__restrict, const int, const float *__restrict) [scalar_t = _Float16, OUTT = _Float16, HEAD_SIZE = 128, NUM_THREADS = 128, PARTITION_SIZE = 256, NPAR_LOOPS = 1]"
	.size	__PRETTY_FUNCTION__._Z35paged_attention_ll4mi_reduce_kernelIDF16_DF16_Li128ELi128ELi256ELi1EEvPT0_PKfS3_PKT_PKiS8_iS3_, 332

	.type	__PRETTY_FUNCTION__._Z35paged_attention_ll4mi_reduce_kernelIDF16_DF16_Li128ELi128ELi256ELi2EEvPT0_PKfS3_PKT_PKiS8_iS3_,@object ; @__PRETTY_FUNCTION__._Z35paged_attention_ll4mi_reduce_kernelIDF16_DF16_Li128ELi128ELi256ELi2EEvPT0_PKfS3_PKT_PKiS8_iS3_
__PRETTY_FUNCTION__._Z35paged_attention_ll4mi_reduce_kernelIDF16_DF16_Li128ELi128ELi256ELi2EEvPT0_PKfS3_PKT_PKiS8_iS3_:
	.asciz	"void paged_attention_ll4mi_reduce_kernel(OUTT *__restrict, const float *__restrict, const float *__restrict, const scalar_t *__restrict, const int *__restrict, const int *__restrict, const int, const float *__restrict) [scalar_t = _Float16, OUTT = _Float16, HEAD_SIZE = 128, NUM_THREADS = 128, PARTITION_SIZE = 256, NPAR_LOOPS = 2]"
	.size	__PRETTY_FUNCTION__._Z35paged_attention_ll4mi_reduce_kernelIDF16_DF16_Li128ELi128ELi256ELi2EEvPT0_PKfS3_PKT_PKiS8_iS3_, 332

	.type	__PRETTY_FUNCTION__._Z35paged_attention_ll4mi_reduce_kernelIDF16_DF16_Li128ELi128ELi256ELi3EEvPT0_PKfS3_PKT_PKiS8_iS3_,@object ; @__PRETTY_FUNCTION__._Z35paged_attention_ll4mi_reduce_kernelIDF16_DF16_Li128ELi128ELi256ELi3EEvPT0_PKfS3_PKT_PKiS8_iS3_
__PRETTY_FUNCTION__._Z35paged_attention_ll4mi_reduce_kernelIDF16_DF16_Li128ELi128ELi256ELi3EEvPT0_PKfS3_PKT_PKiS8_iS3_:
	.asciz	"void paged_attention_ll4mi_reduce_kernel(OUTT *__restrict, const float *__restrict, const float *__restrict, const scalar_t *__restrict, const int *__restrict, const int *__restrict, const int, const float *__restrict) [scalar_t = _Float16, OUTT = _Float16, HEAD_SIZE = 128, NUM_THREADS = 128, PARTITION_SIZE = 256, NPAR_LOOPS = 3]"
	.size	__PRETTY_FUNCTION__._Z35paged_attention_ll4mi_reduce_kernelIDF16_DF16_Li128ELi128ELi256ELi3EEvPT0_PKfS3_PKT_PKiS8_iS3_, 332

	.type	__PRETTY_FUNCTION__._Z35paged_attention_ll4mi_reduce_kernelIDF16_DF16_Li128ELi128ELi256ELi4EEvPT0_PKfS3_PKT_PKiS8_iS3_,@object ; @__PRETTY_FUNCTION__._Z35paged_attention_ll4mi_reduce_kernelIDF16_DF16_Li128ELi128ELi256ELi4EEvPT0_PKfS3_PKT_PKiS8_iS3_
__PRETTY_FUNCTION__._Z35paged_attention_ll4mi_reduce_kernelIDF16_DF16_Li128ELi128ELi256ELi4EEvPT0_PKfS3_PKT_PKiS8_iS3_:
	.asciz	"void paged_attention_ll4mi_reduce_kernel(OUTT *__restrict, const float *__restrict, const float *__restrict, const scalar_t *__restrict, const int *__restrict, const int *__restrict, const int, const float *__restrict) [scalar_t = _Float16, OUTT = _Float16, HEAD_SIZE = 128, NUM_THREADS = 128, PARTITION_SIZE = 256, NPAR_LOOPS = 4]"
	.size	__PRETTY_FUNCTION__._Z35paged_attention_ll4mi_reduce_kernelIDF16_DF16_Li128ELi128ELi256ELi4EEvPT0_PKfS3_PKT_PKiS8_iS3_, 332

	.type	__PRETTY_FUNCTION__._Z35paged_attention_ll4mi_reduce_kernelIDF16_DF16_Li128ELi128ELi256ELi5EEvPT0_PKfS3_PKT_PKiS8_iS3_,@object ; @__PRETTY_FUNCTION__._Z35paged_attention_ll4mi_reduce_kernelIDF16_DF16_Li128ELi128ELi256ELi5EEvPT0_PKfS3_PKT_PKiS8_iS3_
__PRETTY_FUNCTION__._Z35paged_attention_ll4mi_reduce_kernelIDF16_DF16_Li128ELi128ELi256ELi5EEvPT0_PKfS3_PKT_PKiS8_iS3_:
	.asciz	"void paged_attention_ll4mi_reduce_kernel(OUTT *__restrict, const float *__restrict, const float *__restrict, const scalar_t *__restrict, const int *__restrict, const int *__restrict, const int, const float *__restrict) [scalar_t = _Float16, OUTT = _Float16, HEAD_SIZE = 128, NUM_THREADS = 128, PARTITION_SIZE = 256, NPAR_LOOPS = 5]"
	.size	__PRETTY_FUNCTION__._Z35paged_attention_ll4mi_reduce_kernelIDF16_DF16_Li128ELi128ELi256ELi5EEvPT0_PKfS3_PKT_PKiS8_iS3_, 332

	.type	__PRETTY_FUNCTION__._Z35paged_attention_ll4mi_reduce_kernelIDF16_DF16_Li128ELi128ELi256ELi6EEvPT0_PKfS3_PKT_PKiS8_iS3_,@object ; @__PRETTY_FUNCTION__._Z35paged_attention_ll4mi_reduce_kernelIDF16_DF16_Li128ELi128ELi256ELi6EEvPT0_PKfS3_PKT_PKiS8_iS3_
__PRETTY_FUNCTION__._Z35paged_attention_ll4mi_reduce_kernelIDF16_DF16_Li128ELi128ELi256ELi6EEvPT0_PKfS3_PKT_PKiS8_iS3_:
	.asciz	"void paged_attention_ll4mi_reduce_kernel(OUTT *__restrict, const float *__restrict, const float *__restrict, const scalar_t *__restrict, const int *__restrict, const int *__restrict, const int, const float *__restrict) [scalar_t = _Float16, OUTT = _Float16, HEAD_SIZE = 128, NUM_THREADS = 128, PARTITION_SIZE = 256, NPAR_LOOPS = 6]"
	.size	__PRETTY_FUNCTION__._Z35paged_attention_ll4mi_reduce_kernelIDF16_DF16_Li128ELi128ELi256ELi6EEvPT0_PKfS3_PKT_PKiS8_iS3_, 332

	.type	__PRETTY_FUNCTION__._Z35paged_attention_ll4mi_reduce_kernelIDF16_DF16_Li128ELi128ELi256ELi7EEvPT0_PKfS3_PKT_PKiS8_iS3_,@object ; @__PRETTY_FUNCTION__._Z35paged_attention_ll4mi_reduce_kernelIDF16_DF16_Li128ELi128ELi256ELi7EEvPT0_PKfS3_PKT_PKiS8_iS3_
__PRETTY_FUNCTION__._Z35paged_attention_ll4mi_reduce_kernelIDF16_DF16_Li128ELi128ELi256ELi7EEvPT0_PKfS3_PKT_PKiS8_iS3_:
	.asciz	"void paged_attention_ll4mi_reduce_kernel(OUTT *__restrict, const float *__restrict, const float *__restrict, const scalar_t *__restrict, const int *__restrict, const int *__restrict, const int, const float *__restrict) [scalar_t = _Float16, OUTT = _Float16, HEAD_SIZE = 128, NUM_THREADS = 128, PARTITION_SIZE = 256, NPAR_LOOPS = 7]"
	.size	__PRETTY_FUNCTION__._Z35paged_attention_ll4mi_reduce_kernelIDF16_DF16_Li128ELi128ELi256ELi7EEvPT0_PKfS3_PKT_PKiS8_iS3_, 332

	.type	__PRETTY_FUNCTION__._Z35paged_attention_ll4mi_reduce_kernelIDF16_DF16_Li128ELi128ELi256ELi8EEvPT0_PKfS3_PKT_PKiS8_iS3_,@object ; @__PRETTY_FUNCTION__._Z35paged_attention_ll4mi_reduce_kernelIDF16_DF16_Li128ELi128ELi256ELi8EEvPT0_PKfS3_PKT_PKiS8_iS3_
__PRETTY_FUNCTION__._Z35paged_attention_ll4mi_reduce_kernelIDF16_DF16_Li128ELi128ELi256ELi8EEvPT0_PKfS3_PKT_PKiS8_iS3_:
	.asciz	"void paged_attention_ll4mi_reduce_kernel(OUTT *__restrict, const float *__restrict, const float *__restrict, const scalar_t *__restrict, const int *__restrict, const int *__restrict, const int, const float *__restrict) [scalar_t = _Float16, OUTT = _Float16, HEAD_SIZE = 128, NUM_THREADS = 128, PARTITION_SIZE = 256, NPAR_LOOPS = 8]"
	.size	__PRETTY_FUNCTION__._Z35paged_attention_ll4mi_reduce_kernelIDF16_DF16_Li128ELi128ELi256ELi8EEvPT0_PKfS3_PKT_PKiS8_iS3_, 332

	.type	__PRETTY_FUNCTION__._Z39paged_attention_ll4mi_QKV_mfma16_kernelIDF16_DF16_LN4vllm18Fp8KVCacheDataTypeE0EDF16_Li16ELi128ELi256ELb1ELi1EEvPKT_PKT0_S7_ifPKiS9_S9_iPKfiiiPfSC_PS2_PT2_iSB_SB_,@object ; @__PRETTY_FUNCTION__._Z39paged_attention_ll4mi_QKV_mfma16_kernelIDF16_DF16_LN4vllm18Fp8KVCacheDataTypeE0EDF16_Li16ELi128ELi256ELb1ELi1EEvPKT_PKT0_S7_ifPKiS9_S9_iPKfiiiPfSC_PS2_PT2_iSB_SB_
__PRETTY_FUNCTION__._Z39paged_attention_ll4mi_QKV_mfma16_kernelIDF16_DF16_LN4vllm18Fp8KVCacheDataTypeE0EDF16_Li16ELi128ELi256ELb1ELi1EEvPKT_PKT0_S7_ifPKiS9_S9_iPKfiiiPfSC_PS2_PT2_iSB_SB_:
	.asciz	"void paged_attention_ll4mi_QKV_mfma16_kernel(const scalar_t *__restrict, const cache_t *__restrict, const cache_t *__restrict, const int, const float, const int *__restrict, const int *__restrict, const int *__restrict, const int, const float *__restrict, const int, const int, const int, float *__restrict, float *__restrict, scalar_t *__restrict, OUTT *__restrict, int, const float *, const float *) [scalar_t = _Float16, cache_t = _Float16, KV_DTYPE = vllm::Fp8KVCacheDataType::kAuto, OUTT = _Float16, BLOCK_SIZE = 16, HEAD_SIZE = 128, NUM_THREADS = 256, ALIBI_ENABLED = true, GQA_RATIO = 1]"
	.size	__PRETTY_FUNCTION__._Z39paged_attention_ll4mi_QKV_mfma16_kernelIDF16_DF16_LN4vllm18Fp8KVCacheDataTypeE0EDF16_Li16ELi128ELi256ELb1ELi1EEvPKT_PKT0_S7_ifPKiS9_S9_iPKfiiiPfSC_PS2_PT2_iSB_SB_, 595

	.type	__PRETTY_FUNCTION__._Z39paged_attention_ll4mi_QKV_mfma16_kernelIDF16_DF16_LN4vllm18Fp8KVCacheDataTypeE0EDF16_Li16ELi128ELi256ELb1ELi2EEvPKT_PKT0_S7_ifPKiS9_S9_iPKfiiiPfSC_PS2_PT2_iSB_SB_,@object ; @__PRETTY_FUNCTION__._Z39paged_attention_ll4mi_QKV_mfma16_kernelIDF16_DF16_LN4vllm18Fp8KVCacheDataTypeE0EDF16_Li16ELi128ELi256ELb1ELi2EEvPKT_PKT0_S7_ifPKiS9_S9_iPKfiiiPfSC_PS2_PT2_iSB_SB_
__PRETTY_FUNCTION__._Z39paged_attention_ll4mi_QKV_mfma16_kernelIDF16_DF16_LN4vllm18Fp8KVCacheDataTypeE0EDF16_Li16ELi128ELi256ELb1ELi2EEvPKT_PKT0_S7_ifPKiS9_S9_iPKfiiiPfSC_PS2_PT2_iSB_SB_:
	.asciz	"void paged_attention_ll4mi_QKV_mfma16_kernel(const scalar_t *__restrict, const cache_t *__restrict, const cache_t *__restrict, const int, const float, const int *__restrict, const int *__restrict, const int *__restrict, const int, const float *__restrict, const int, const int, const int, float *__restrict, float *__restrict, scalar_t *__restrict, OUTT *__restrict, int, const float *, const float *) [scalar_t = _Float16, cache_t = _Float16, KV_DTYPE = vllm::Fp8KVCacheDataType::kAuto, OUTT = _Float16, BLOCK_SIZE = 16, HEAD_SIZE = 128, NUM_THREADS = 256, ALIBI_ENABLED = true, GQA_RATIO = 2]"
	.size	__PRETTY_FUNCTION__._Z39paged_attention_ll4mi_QKV_mfma16_kernelIDF16_DF16_LN4vllm18Fp8KVCacheDataTypeE0EDF16_Li16ELi128ELi256ELb1ELi2EEvPKT_PKT0_S7_ifPKiS9_S9_iPKfiiiPfSC_PS2_PT2_iSB_SB_, 595

	.type	__PRETTY_FUNCTION__._Z39paged_attention_ll4mi_QKV_mfma16_kernelIDF16_DF16_LN4vllm18Fp8KVCacheDataTypeE0EDF16_Li16ELi128ELi256ELb1ELi3EEvPKT_PKT0_S7_ifPKiS9_S9_iPKfiiiPfSC_PS2_PT2_iSB_SB_,@object ; @__PRETTY_FUNCTION__._Z39paged_attention_ll4mi_QKV_mfma16_kernelIDF16_DF16_LN4vllm18Fp8KVCacheDataTypeE0EDF16_Li16ELi128ELi256ELb1ELi3EEvPKT_PKT0_S7_ifPKiS9_S9_iPKfiiiPfSC_PS2_PT2_iSB_SB_
__PRETTY_FUNCTION__._Z39paged_attention_ll4mi_QKV_mfma16_kernelIDF16_DF16_LN4vllm18Fp8KVCacheDataTypeE0EDF16_Li16ELi128ELi256ELb1ELi3EEvPKT_PKT0_S7_ifPKiS9_S9_iPKfiiiPfSC_PS2_PT2_iSB_SB_:
	.asciz	"void paged_attention_ll4mi_QKV_mfma16_kernel(const scalar_t *__restrict, const cache_t *__restrict, const cache_t *__restrict, const int, const float, const int *__restrict, const int *__restrict, const int *__restrict, const int, const float *__restrict, const int, const int, const int, float *__restrict, float *__restrict, scalar_t *__restrict, OUTT *__restrict, int, const float *, const float *) [scalar_t = _Float16, cache_t = _Float16, KV_DTYPE = vllm::Fp8KVCacheDataType::kAuto, OUTT = _Float16, BLOCK_SIZE = 16, HEAD_SIZE = 128, NUM_THREADS = 256, ALIBI_ENABLED = true, GQA_RATIO = 3]"
	.size	__PRETTY_FUNCTION__._Z39paged_attention_ll4mi_QKV_mfma16_kernelIDF16_DF16_LN4vllm18Fp8KVCacheDataTypeE0EDF16_Li16ELi128ELi256ELb1ELi3EEvPKT_PKT0_S7_ifPKiS9_S9_iPKfiiiPfSC_PS2_PT2_iSB_SB_, 595

	.type	__PRETTY_FUNCTION__._Z39paged_attention_ll4mi_QKV_mfma16_kernelIDF16_DF16_LN4vllm18Fp8KVCacheDataTypeE0EDF16_Li16ELi128ELi256ELb1ELi4EEvPKT_PKT0_S7_ifPKiS9_S9_iPKfiiiPfSC_PS2_PT2_iSB_SB_,@object ; @__PRETTY_FUNCTION__._Z39paged_attention_ll4mi_QKV_mfma16_kernelIDF16_DF16_LN4vllm18Fp8KVCacheDataTypeE0EDF16_Li16ELi128ELi256ELb1ELi4EEvPKT_PKT0_S7_ifPKiS9_S9_iPKfiiiPfSC_PS2_PT2_iSB_SB_
__PRETTY_FUNCTION__._Z39paged_attention_ll4mi_QKV_mfma16_kernelIDF16_DF16_LN4vllm18Fp8KVCacheDataTypeE0EDF16_Li16ELi128ELi256ELb1ELi4EEvPKT_PKT0_S7_ifPKiS9_S9_iPKfiiiPfSC_PS2_PT2_iSB_SB_:
	.asciz	"void paged_attention_ll4mi_QKV_mfma16_kernel(const scalar_t *__restrict, const cache_t *__restrict, const cache_t *__restrict, const int, const float, const int *__restrict, const int *__restrict, const int *__restrict, const int, const float *__restrict, const int, const int, const int, float *__restrict, float *__restrict, scalar_t *__restrict, OUTT *__restrict, int, const float *, const float *) [scalar_t = _Float16, cache_t = _Float16, KV_DTYPE = vllm::Fp8KVCacheDataType::kAuto, OUTT = _Float16, BLOCK_SIZE = 16, HEAD_SIZE = 128, NUM_THREADS = 256, ALIBI_ENABLED = true, GQA_RATIO = 4]"
	.size	__PRETTY_FUNCTION__._Z39paged_attention_ll4mi_QKV_mfma16_kernelIDF16_DF16_LN4vllm18Fp8KVCacheDataTypeE0EDF16_Li16ELi128ELi256ELb1ELi4EEvPKT_PKT0_S7_ifPKiS9_S9_iPKfiiiPfSC_PS2_PT2_iSB_SB_, 595

	.type	__PRETTY_FUNCTION__._Z35paged_attention_ll4mi_reduce_kernelIDF16_DF16_Li128ELi128ELi256ELi9EEvPT0_PKfS3_PKT_PKiS8_iS3_,@object ; @__PRETTY_FUNCTION__._Z35paged_attention_ll4mi_reduce_kernelIDF16_DF16_Li128ELi128ELi256ELi9EEvPT0_PKfS3_PKT_PKiS8_iS3_
__PRETTY_FUNCTION__._Z35paged_attention_ll4mi_reduce_kernelIDF16_DF16_Li128ELi128ELi256ELi9EEvPT0_PKfS3_PKT_PKiS8_iS3_:
	.asciz	"void paged_attention_ll4mi_reduce_kernel(OUTT *__restrict, const float *__restrict, const float *__restrict, const scalar_t *__restrict, const int *__restrict, const int *__restrict, const int, const float *__restrict) [scalar_t = _Float16, OUTT = _Float16, HEAD_SIZE = 128, NUM_THREADS = 128, PARTITION_SIZE = 256, NPAR_LOOPS = 9]"
	.size	__PRETTY_FUNCTION__._Z35paged_attention_ll4mi_reduce_kernelIDF16_DF16_Li128ELi128ELi256ELi9EEvPT0_PKfS3_PKT_PKiS8_iS3_, 332

	.type	__PRETTY_FUNCTION__._Z35paged_attention_ll4mi_reduce_kernelIDF16_DF16_Li128ELi128ELi256ELi10EEvPT0_PKfS3_PKT_PKiS8_iS3_,@object ; @__PRETTY_FUNCTION__._Z35paged_attention_ll4mi_reduce_kernelIDF16_DF16_Li128ELi128ELi256ELi10EEvPT0_PKfS3_PKT_PKiS8_iS3_
__PRETTY_FUNCTION__._Z35paged_attention_ll4mi_reduce_kernelIDF16_DF16_Li128ELi128ELi256ELi10EEvPT0_PKfS3_PKT_PKiS8_iS3_:
	.asciz	"void paged_attention_ll4mi_reduce_kernel(OUTT *__restrict, const float *__restrict, const float *__restrict, const scalar_t *__restrict, const int *__restrict, const int *__restrict, const int, const float *__restrict) [scalar_t = _Float16, OUTT = _Float16, HEAD_SIZE = 128, NUM_THREADS = 128, PARTITION_SIZE = 256, NPAR_LOOPS = 10]"
	.size	__PRETTY_FUNCTION__._Z35paged_attention_ll4mi_reduce_kernelIDF16_DF16_Li128ELi128ELi256ELi10EEvPT0_PKfS3_PKT_PKiS8_iS3_, 333

	.type	__PRETTY_FUNCTION__._Z35paged_attention_ll4mi_reduce_kernelIDF16_DF16_Li128ELi128ELi256ELi11EEvPT0_PKfS3_PKT_PKiS8_iS3_,@object ; @__PRETTY_FUNCTION__._Z35paged_attention_ll4mi_reduce_kernelIDF16_DF16_Li128ELi128ELi256ELi11EEvPT0_PKfS3_PKT_PKiS8_iS3_
__PRETTY_FUNCTION__._Z35paged_attention_ll4mi_reduce_kernelIDF16_DF16_Li128ELi128ELi256ELi11EEvPT0_PKfS3_PKT_PKiS8_iS3_:
	.asciz	"void paged_attention_ll4mi_reduce_kernel(OUTT *__restrict, const float *__restrict, const float *__restrict, const scalar_t *__restrict, const int *__restrict, const int *__restrict, const int, const float *__restrict) [scalar_t = _Float16, OUTT = _Float16, HEAD_SIZE = 128, NUM_THREADS = 128, PARTITION_SIZE = 256, NPAR_LOOPS = 11]"
	.size	__PRETTY_FUNCTION__._Z35paged_attention_ll4mi_reduce_kernelIDF16_DF16_Li128ELi128ELi256ELi11EEvPT0_PKfS3_PKT_PKiS8_iS3_, 333

	.type	__PRETTY_FUNCTION__._Z35paged_attention_ll4mi_reduce_kernelIDF16_DF16_Li128ELi128ELi256ELi12EEvPT0_PKfS3_PKT_PKiS8_iS3_,@object ; @__PRETTY_FUNCTION__._Z35paged_attention_ll4mi_reduce_kernelIDF16_DF16_Li128ELi128ELi256ELi12EEvPT0_PKfS3_PKT_PKiS8_iS3_
__PRETTY_FUNCTION__._Z35paged_attention_ll4mi_reduce_kernelIDF16_DF16_Li128ELi128ELi256ELi12EEvPT0_PKfS3_PKT_PKiS8_iS3_:
	.asciz	"void paged_attention_ll4mi_reduce_kernel(OUTT *__restrict, const float *__restrict, const float *__restrict, const scalar_t *__restrict, const int *__restrict, const int *__restrict, const int, const float *__restrict) [scalar_t = _Float16, OUTT = _Float16, HEAD_SIZE = 128, NUM_THREADS = 128, PARTITION_SIZE = 256, NPAR_LOOPS = 12]"
	.size	__PRETTY_FUNCTION__._Z35paged_attention_ll4mi_reduce_kernelIDF16_DF16_Li128ELi128ELi256ELi12EEvPT0_PKfS3_PKT_PKiS8_iS3_, 333

	.type	__PRETTY_FUNCTION__._Z35paged_attention_ll4mi_reduce_kernelIDF16_DF16_Li128ELi128ELi256ELi13EEvPT0_PKfS3_PKT_PKiS8_iS3_,@object ; @__PRETTY_FUNCTION__._Z35paged_attention_ll4mi_reduce_kernelIDF16_DF16_Li128ELi128ELi256ELi13EEvPT0_PKfS3_PKT_PKiS8_iS3_
__PRETTY_FUNCTION__._Z35paged_attention_ll4mi_reduce_kernelIDF16_DF16_Li128ELi128ELi256ELi13EEvPT0_PKfS3_PKT_PKiS8_iS3_:
	.asciz	"void paged_attention_ll4mi_reduce_kernel(OUTT *__restrict, const float *__restrict, const float *__restrict, const scalar_t *__restrict, const int *__restrict, const int *__restrict, const int, const float *__restrict) [scalar_t = _Float16, OUTT = _Float16, HEAD_SIZE = 128, NUM_THREADS = 128, PARTITION_SIZE = 256, NPAR_LOOPS = 13]"
	.size	__PRETTY_FUNCTION__._Z35paged_attention_ll4mi_reduce_kernelIDF16_DF16_Li128ELi128ELi256ELi13EEvPT0_PKfS3_PKT_PKiS8_iS3_, 333

	.type	__PRETTY_FUNCTION__._Z35paged_attention_ll4mi_reduce_kernelIDF16_DF16_Li128ELi128ELi256ELi14EEvPT0_PKfS3_PKT_PKiS8_iS3_,@object ; @__PRETTY_FUNCTION__._Z35paged_attention_ll4mi_reduce_kernelIDF16_DF16_Li128ELi128ELi256ELi14EEvPT0_PKfS3_PKT_PKiS8_iS3_
__PRETTY_FUNCTION__._Z35paged_attention_ll4mi_reduce_kernelIDF16_DF16_Li128ELi128ELi256ELi14EEvPT0_PKfS3_PKT_PKiS8_iS3_:
	.asciz	"void paged_attention_ll4mi_reduce_kernel(OUTT *__restrict, const float *__restrict, const float *__restrict, const scalar_t *__restrict, const int *__restrict, const int *__restrict, const int, const float *__restrict) [scalar_t = _Float16, OUTT = _Float16, HEAD_SIZE = 128, NUM_THREADS = 128, PARTITION_SIZE = 256, NPAR_LOOPS = 14]"
	.size	__PRETTY_FUNCTION__._Z35paged_attention_ll4mi_reduce_kernelIDF16_DF16_Li128ELi128ELi256ELi14EEvPT0_PKfS3_PKT_PKiS8_iS3_, 333

	.type	__PRETTY_FUNCTION__._Z35paged_attention_ll4mi_reduce_kernelIDF16_DF16_Li128ELi128ELi256ELi15EEvPT0_PKfS3_PKT_PKiS8_iS3_,@object ; @__PRETTY_FUNCTION__._Z35paged_attention_ll4mi_reduce_kernelIDF16_DF16_Li128ELi128ELi256ELi15EEvPT0_PKfS3_PKT_PKiS8_iS3_
__PRETTY_FUNCTION__._Z35paged_attention_ll4mi_reduce_kernelIDF16_DF16_Li128ELi128ELi256ELi15EEvPT0_PKfS3_PKT_PKiS8_iS3_:
	.asciz	"void paged_attention_ll4mi_reduce_kernel(OUTT *__restrict, const float *__restrict, const float *__restrict, const scalar_t *__restrict, const int *__restrict, const int *__restrict, const int, const float *__restrict) [scalar_t = _Float16, OUTT = _Float16, HEAD_SIZE = 128, NUM_THREADS = 128, PARTITION_SIZE = 256, NPAR_LOOPS = 15]"
	.size	__PRETTY_FUNCTION__._Z35paged_attention_ll4mi_reduce_kernelIDF16_DF16_Li128ELi128ELi256ELi15EEvPT0_PKfS3_PKT_PKiS8_iS3_, 333

	.type	__PRETTY_FUNCTION__._Z35paged_attention_ll4mi_reduce_kernelIDF16_DF16_Li128ELi128ELi256ELi16EEvPT0_PKfS3_PKT_PKiS8_iS3_,@object ; @__PRETTY_FUNCTION__._Z35paged_attention_ll4mi_reduce_kernelIDF16_DF16_Li128ELi128ELi256ELi16EEvPT0_PKfS3_PKT_PKiS8_iS3_
__PRETTY_FUNCTION__._Z35paged_attention_ll4mi_reduce_kernelIDF16_DF16_Li128ELi128ELi256ELi16EEvPT0_PKfS3_PKT_PKiS8_iS3_:
	.asciz	"void paged_attention_ll4mi_reduce_kernel(OUTT *__restrict, const float *__restrict, const float *__restrict, const scalar_t *__restrict, const int *__restrict, const int *__restrict, const int, const float *__restrict) [scalar_t = _Float16, OUTT = _Float16, HEAD_SIZE = 128, NUM_THREADS = 128, PARTITION_SIZE = 256, NPAR_LOOPS = 16]"
	.size	__PRETTY_FUNCTION__._Z35paged_attention_ll4mi_reduce_kernelIDF16_DF16_Li128ELi128ELi256ELi16EEvPT0_PKfS3_PKT_PKiS8_iS3_, 333

	.type	__PRETTY_FUNCTION__._Z38paged_attention_ll4mi_QKV_mfma4_kernelIDF16_DF16_LN4vllm18Fp8KVCacheDataTypeE0EDF16_Li16ELi128ELi256ELb0ELi1EEvPKT_PKT0_S7_ifPKiS9_S9_iPKfiiiPfSC_PS2_PT2_iSB_SB_,@object ; @__PRETTY_FUNCTION__._Z38paged_attention_ll4mi_QKV_mfma4_kernelIDF16_DF16_LN4vllm18Fp8KVCacheDataTypeE0EDF16_Li16ELi128ELi256ELb0ELi1EEvPKT_PKT0_S7_ifPKiS9_S9_iPKfiiiPfSC_PS2_PT2_iSB_SB_
__PRETTY_FUNCTION__._Z38paged_attention_ll4mi_QKV_mfma4_kernelIDF16_DF16_LN4vllm18Fp8KVCacheDataTypeE0EDF16_Li16ELi128ELi256ELb0ELi1EEvPKT_PKT0_S7_ifPKiS9_S9_iPKfiiiPfSC_PS2_PT2_iSB_SB_:
	.asciz	"void paged_attention_ll4mi_QKV_mfma4_kernel(const scalar_t *__restrict, const cache_t *__restrict, const cache_t *__restrict, const int, const float, const int *__restrict, const int *__restrict, const int *__restrict, const int, const float *__restrict, const int, const int, const int, float *__restrict, float *__restrict, scalar_t *__restrict, OUTT *__restrict, int, const float *, const float *) [scalar_t = _Float16, cache_t = _Float16, KV_DTYPE = vllm::Fp8KVCacheDataType::kAuto, OUTT = _Float16, BLOCK_SIZE = 16, HEAD_SIZE = 128, NUM_THREADS = 256, ALIBI_ENABLED = false, GQA_RATIO = 1]"
	.size	__PRETTY_FUNCTION__._Z38paged_attention_ll4mi_QKV_mfma4_kernelIDF16_DF16_LN4vllm18Fp8KVCacheDataTypeE0EDF16_Li16ELi128ELi256ELb0ELi1EEvPKT_PKT0_S7_ifPKiS9_S9_iPKfiiiPfSC_PS2_PT2_iSB_SB_, 595

	.type	__PRETTY_FUNCTION__._Z38paged_attention_ll4mi_QKV_mfma4_kernelIDF16_DF16_LN4vllm18Fp8KVCacheDataTypeE0EDF16_Li16ELi128ELi256ELb0ELi2EEvPKT_PKT0_S7_ifPKiS9_S9_iPKfiiiPfSC_PS2_PT2_iSB_SB_,@object ; @__PRETTY_FUNCTION__._Z38paged_attention_ll4mi_QKV_mfma4_kernelIDF16_DF16_LN4vllm18Fp8KVCacheDataTypeE0EDF16_Li16ELi128ELi256ELb0ELi2EEvPKT_PKT0_S7_ifPKiS9_S9_iPKfiiiPfSC_PS2_PT2_iSB_SB_
__PRETTY_FUNCTION__._Z38paged_attention_ll4mi_QKV_mfma4_kernelIDF16_DF16_LN4vllm18Fp8KVCacheDataTypeE0EDF16_Li16ELi128ELi256ELb0ELi2EEvPKT_PKT0_S7_ifPKiS9_S9_iPKfiiiPfSC_PS2_PT2_iSB_SB_:
	.asciz	"void paged_attention_ll4mi_QKV_mfma4_kernel(const scalar_t *__restrict, const cache_t *__restrict, const cache_t *__restrict, const int, const float, const int *__restrict, const int *__restrict, const int *__restrict, const int, const float *__restrict, const int, const int, const int, float *__restrict, float *__restrict, scalar_t *__restrict, OUTT *__restrict, int, const float *, const float *) [scalar_t = _Float16, cache_t = _Float16, KV_DTYPE = vllm::Fp8KVCacheDataType::kAuto, OUTT = _Float16, BLOCK_SIZE = 16, HEAD_SIZE = 128, NUM_THREADS = 256, ALIBI_ENABLED = false, GQA_RATIO = 2]"
	.size	__PRETTY_FUNCTION__._Z38paged_attention_ll4mi_QKV_mfma4_kernelIDF16_DF16_LN4vllm18Fp8KVCacheDataTypeE0EDF16_Li16ELi128ELi256ELb0ELi2EEvPKT_PKT0_S7_ifPKiS9_S9_iPKfiiiPfSC_PS2_PT2_iSB_SB_, 595

	.type	__PRETTY_FUNCTION__._Z38paged_attention_ll4mi_QKV_mfma4_kernelIDF16_DF16_LN4vllm18Fp8KVCacheDataTypeE0EDF16_Li16ELi128ELi256ELb0ELi3EEvPKT_PKT0_S7_ifPKiS9_S9_iPKfiiiPfSC_PS2_PT2_iSB_SB_,@object ; @__PRETTY_FUNCTION__._Z38paged_attention_ll4mi_QKV_mfma4_kernelIDF16_DF16_LN4vllm18Fp8KVCacheDataTypeE0EDF16_Li16ELi128ELi256ELb0ELi3EEvPKT_PKT0_S7_ifPKiS9_S9_iPKfiiiPfSC_PS2_PT2_iSB_SB_
__PRETTY_FUNCTION__._Z38paged_attention_ll4mi_QKV_mfma4_kernelIDF16_DF16_LN4vllm18Fp8KVCacheDataTypeE0EDF16_Li16ELi128ELi256ELb0ELi3EEvPKT_PKT0_S7_ifPKiS9_S9_iPKfiiiPfSC_PS2_PT2_iSB_SB_:
	.asciz	"void paged_attention_ll4mi_QKV_mfma4_kernel(const scalar_t *__restrict, const cache_t *__restrict, const cache_t *__restrict, const int, const float, const int *__restrict, const int *__restrict, const int *__restrict, const int, const float *__restrict, const int, const int, const int, float *__restrict, float *__restrict, scalar_t *__restrict, OUTT *__restrict, int, const float *, const float *) [scalar_t = _Float16, cache_t = _Float16, KV_DTYPE = vllm::Fp8KVCacheDataType::kAuto, OUTT = _Float16, BLOCK_SIZE = 16, HEAD_SIZE = 128, NUM_THREADS = 256, ALIBI_ENABLED = false, GQA_RATIO = 3]"
	.size	__PRETTY_FUNCTION__._Z38paged_attention_ll4mi_QKV_mfma4_kernelIDF16_DF16_LN4vllm18Fp8KVCacheDataTypeE0EDF16_Li16ELi128ELi256ELb0ELi3EEvPKT_PKT0_S7_ifPKiS9_S9_iPKfiiiPfSC_PS2_PT2_iSB_SB_, 595

	.type	__PRETTY_FUNCTION__._Z38paged_attention_ll4mi_QKV_mfma4_kernelIDF16_DF16_LN4vllm18Fp8KVCacheDataTypeE0EDF16_Li16ELi128ELi256ELb0ELi4EEvPKT_PKT0_S7_ifPKiS9_S9_iPKfiiiPfSC_PS2_PT2_iSB_SB_,@object ; @__PRETTY_FUNCTION__._Z38paged_attention_ll4mi_QKV_mfma4_kernelIDF16_DF16_LN4vllm18Fp8KVCacheDataTypeE0EDF16_Li16ELi128ELi256ELb0ELi4EEvPKT_PKT0_S7_ifPKiS9_S9_iPKfiiiPfSC_PS2_PT2_iSB_SB_
__PRETTY_FUNCTION__._Z38paged_attention_ll4mi_QKV_mfma4_kernelIDF16_DF16_LN4vllm18Fp8KVCacheDataTypeE0EDF16_Li16ELi128ELi256ELb0ELi4EEvPKT_PKT0_S7_ifPKiS9_S9_iPKfiiiPfSC_PS2_PT2_iSB_SB_:
	.asciz	"void paged_attention_ll4mi_QKV_mfma4_kernel(const scalar_t *__restrict, const cache_t *__restrict, const cache_t *__restrict, const int, const float, const int *__restrict, const int *__restrict, const int *__restrict, const int, const float *__restrict, const int, const int, const int, float *__restrict, float *__restrict, scalar_t *__restrict, OUTT *__restrict, int, const float *, const float *) [scalar_t = _Float16, cache_t = _Float16, KV_DTYPE = vllm::Fp8KVCacheDataType::kAuto, OUTT = _Float16, BLOCK_SIZE = 16, HEAD_SIZE = 128, NUM_THREADS = 256, ALIBI_ENABLED = false, GQA_RATIO = 4]"
	.size	__PRETTY_FUNCTION__._Z38paged_attention_ll4mi_QKV_mfma4_kernelIDF16_DF16_LN4vllm18Fp8KVCacheDataTypeE0EDF16_Li16ELi128ELi256ELb0ELi4EEvPKT_PKT0_S7_ifPKiS9_S9_iPKfiiiPfSC_PS2_PT2_iSB_SB_, 595

	.type	__PRETTY_FUNCTION__._Z39paged_attention_ll4mi_QKV_mfma16_kernelIDF16_DF16_LN4vllm18Fp8KVCacheDataTypeE0EDF16_Li16ELi128ELi256ELb0ELi5EEvPKT_PKT0_S7_ifPKiS9_S9_iPKfiiiPfSC_PS2_PT2_iSB_SB_,@object ; @__PRETTY_FUNCTION__._Z39paged_attention_ll4mi_QKV_mfma16_kernelIDF16_DF16_LN4vllm18Fp8KVCacheDataTypeE0EDF16_Li16ELi128ELi256ELb0ELi5EEvPKT_PKT0_S7_ifPKiS9_S9_iPKfiiiPfSC_PS2_PT2_iSB_SB_
__PRETTY_FUNCTION__._Z39paged_attention_ll4mi_QKV_mfma16_kernelIDF16_DF16_LN4vllm18Fp8KVCacheDataTypeE0EDF16_Li16ELi128ELi256ELb0ELi5EEvPKT_PKT0_S7_ifPKiS9_S9_iPKfiiiPfSC_PS2_PT2_iSB_SB_:
	.asciz	"void paged_attention_ll4mi_QKV_mfma16_kernel(const scalar_t *__restrict, const cache_t *__restrict, const cache_t *__restrict, const int, const float, const int *__restrict, const int *__restrict, const int *__restrict, const int, const float *__restrict, const int, const int, const int, float *__restrict, float *__restrict, scalar_t *__restrict, OUTT *__restrict, int, const float *, const float *) [scalar_t = _Float16, cache_t = _Float16, KV_DTYPE = vllm::Fp8KVCacheDataType::kAuto, OUTT = _Float16, BLOCK_SIZE = 16, HEAD_SIZE = 128, NUM_THREADS = 256, ALIBI_ENABLED = false, GQA_RATIO = 5]"
	.size	__PRETTY_FUNCTION__._Z39paged_attention_ll4mi_QKV_mfma16_kernelIDF16_DF16_LN4vllm18Fp8KVCacheDataTypeE0EDF16_Li16ELi128ELi256ELb0ELi5EEvPKT_PKT0_S7_ifPKiS9_S9_iPKfiiiPfSC_PS2_PT2_iSB_SB_, 596

	.type	__PRETTY_FUNCTION__._Z39paged_attention_ll4mi_QKV_mfma16_kernelIDF16_DF16_LN4vllm18Fp8KVCacheDataTypeE0EDF16_Li16ELi128ELi256ELb0ELi6EEvPKT_PKT0_S7_ifPKiS9_S9_iPKfiiiPfSC_PS2_PT2_iSB_SB_,@object ; @__PRETTY_FUNCTION__._Z39paged_attention_ll4mi_QKV_mfma16_kernelIDF16_DF16_LN4vllm18Fp8KVCacheDataTypeE0EDF16_Li16ELi128ELi256ELb0ELi6EEvPKT_PKT0_S7_ifPKiS9_S9_iPKfiiiPfSC_PS2_PT2_iSB_SB_
__PRETTY_FUNCTION__._Z39paged_attention_ll4mi_QKV_mfma16_kernelIDF16_DF16_LN4vllm18Fp8KVCacheDataTypeE0EDF16_Li16ELi128ELi256ELb0ELi6EEvPKT_PKT0_S7_ifPKiS9_S9_iPKfiiiPfSC_PS2_PT2_iSB_SB_:
	.asciz	"void paged_attention_ll4mi_QKV_mfma16_kernel(const scalar_t *__restrict, const cache_t *__restrict, const cache_t *__restrict, const int, const float, const int *__restrict, const int *__restrict, const int *__restrict, const int, const float *__restrict, const int, const int, const int, float *__restrict, float *__restrict, scalar_t *__restrict, OUTT *__restrict, int, const float *, const float *) [scalar_t = _Float16, cache_t = _Float16, KV_DTYPE = vllm::Fp8KVCacheDataType::kAuto, OUTT = _Float16, BLOCK_SIZE = 16, HEAD_SIZE = 128, NUM_THREADS = 256, ALIBI_ENABLED = false, GQA_RATIO = 6]"
	.size	__PRETTY_FUNCTION__._Z39paged_attention_ll4mi_QKV_mfma16_kernelIDF16_DF16_LN4vllm18Fp8KVCacheDataTypeE0EDF16_Li16ELi128ELi256ELb0ELi6EEvPKT_PKT0_S7_ifPKiS9_S9_iPKfiiiPfSC_PS2_PT2_iSB_SB_, 596

	.type	__PRETTY_FUNCTION__._Z39paged_attention_ll4mi_QKV_mfma16_kernelIDF16_DF16_LN4vllm18Fp8KVCacheDataTypeE0EDF16_Li16ELi128ELi256ELb0ELi7EEvPKT_PKT0_S7_ifPKiS9_S9_iPKfiiiPfSC_PS2_PT2_iSB_SB_,@object ; @__PRETTY_FUNCTION__._Z39paged_attention_ll4mi_QKV_mfma16_kernelIDF16_DF16_LN4vllm18Fp8KVCacheDataTypeE0EDF16_Li16ELi128ELi256ELb0ELi7EEvPKT_PKT0_S7_ifPKiS9_S9_iPKfiiiPfSC_PS2_PT2_iSB_SB_
__PRETTY_FUNCTION__._Z39paged_attention_ll4mi_QKV_mfma16_kernelIDF16_DF16_LN4vllm18Fp8KVCacheDataTypeE0EDF16_Li16ELi128ELi256ELb0ELi7EEvPKT_PKT0_S7_ifPKiS9_S9_iPKfiiiPfSC_PS2_PT2_iSB_SB_:
	.asciz	"void paged_attention_ll4mi_QKV_mfma16_kernel(const scalar_t *__restrict, const cache_t *__restrict, const cache_t *__restrict, const int, const float, const int *__restrict, const int *__restrict, const int *__restrict, const int, const float *__restrict, const int, const int, const int, float *__restrict, float *__restrict, scalar_t *__restrict, OUTT *__restrict, int, const float *, const float *) [scalar_t = _Float16, cache_t = _Float16, KV_DTYPE = vllm::Fp8KVCacheDataType::kAuto, OUTT = _Float16, BLOCK_SIZE = 16, HEAD_SIZE = 128, NUM_THREADS = 256, ALIBI_ENABLED = false, GQA_RATIO = 7]"
	.size	__PRETTY_FUNCTION__._Z39paged_attention_ll4mi_QKV_mfma16_kernelIDF16_DF16_LN4vllm18Fp8KVCacheDataTypeE0EDF16_Li16ELi128ELi256ELb0ELi7EEvPKT_PKT0_S7_ifPKiS9_S9_iPKfiiiPfSC_PS2_PT2_iSB_SB_, 596

	.type	__PRETTY_FUNCTION__._Z39paged_attention_ll4mi_QKV_mfma16_kernelIDF16_DF16_LN4vllm18Fp8KVCacheDataTypeE0EDF16_Li16ELi128ELi256ELb0ELi8EEvPKT_PKT0_S7_ifPKiS9_S9_iPKfiiiPfSC_PS2_PT2_iSB_SB_,@object ; @__PRETTY_FUNCTION__._Z39paged_attention_ll4mi_QKV_mfma16_kernelIDF16_DF16_LN4vllm18Fp8KVCacheDataTypeE0EDF16_Li16ELi128ELi256ELb0ELi8EEvPKT_PKT0_S7_ifPKiS9_S9_iPKfiiiPfSC_PS2_PT2_iSB_SB_
__PRETTY_FUNCTION__._Z39paged_attention_ll4mi_QKV_mfma16_kernelIDF16_DF16_LN4vllm18Fp8KVCacheDataTypeE0EDF16_Li16ELi128ELi256ELb0ELi8EEvPKT_PKT0_S7_ifPKiS9_S9_iPKfiiiPfSC_PS2_PT2_iSB_SB_:
	.asciz	"void paged_attention_ll4mi_QKV_mfma16_kernel(const scalar_t *__restrict, const cache_t *__restrict, const cache_t *__restrict, const int, const float, const int *__restrict, const int *__restrict, const int *__restrict, const int, const float *__restrict, const int, const int, const int, float *__restrict, float *__restrict, scalar_t *__restrict, OUTT *__restrict, int, const float *, const float *) [scalar_t = _Float16, cache_t = _Float16, KV_DTYPE = vllm::Fp8KVCacheDataType::kAuto, OUTT = _Float16, BLOCK_SIZE = 16, HEAD_SIZE = 128, NUM_THREADS = 256, ALIBI_ENABLED = false, GQA_RATIO = 8]"
	.size	__PRETTY_FUNCTION__._Z39paged_attention_ll4mi_QKV_mfma16_kernelIDF16_DF16_LN4vllm18Fp8KVCacheDataTypeE0EDF16_Li16ELi128ELi256ELb0ELi8EEvPKT_PKT0_S7_ifPKiS9_S9_iPKfiiiPfSC_PS2_PT2_iSB_SB_, 596

	.type	__PRETTY_FUNCTION__._Z39paged_attention_ll4mi_QKV_mfma16_kernelIDF16_DF16_LN4vllm18Fp8KVCacheDataTypeE0EDF16_Li16ELi128ELi256ELb0ELi9EEvPKT_PKT0_S7_ifPKiS9_S9_iPKfiiiPfSC_PS2_PT2_iSB_SB_,@object ; @__PRETTY_FUNCTION__._Z39paged_attention_ll4mi_QKV_mfma16_kernelIDF16_DF16_LN4vllm18Fp8KVCacheDataTypeE0EDF16_Li16ELi128ELi256ELb0ELi9EEvPKT_PKT0_S7_ifPKiS9_S9_iPKfiiiPfSC_PS2_PT2_iSB_SB_
__PRETTY_FUNCTION__._Z39paged_attention_ll4mi_QKV_mfma16_kernelIDF16_DF16_LN4vllm18Fp8KVCacheDataTypeE0EDF16_Li16ELi128ELi256ELb0ELi9EEvPKT_PKT0_S7_ifPKiS9_S9_iPKfiiiPfSC_PS2_PT2_iSB_SB_:
	.asciz	"void paged_attention_ll4mi_QKV_mfma16_kernel(const scalar_t *__restrict, const cache_t *__restrict, const cache_t *__restrict, const int, const float, const int *__restrict, const int *__restrict, const int *__restrict, const int, const float *__restrict, const int, const int, const int, float *__restrict, float *__restrict, scalar_t *__restrict, OUTT *__restrict, int, const float *, const float *) [scalar_t = _Float16, cache_t = _Float16, KV_DTYPE = vllm::Fp8KVCacheDataType::kAuto, OUTT = _Float16, BLOCK_SIZE = 16, HEAD_SIZE = 128, NUM_THREADS = 256, ALIBI_ENABLED = false, GQA_RATIO = 9]"
	.size	__PRETTY_FUNCTION__._Z39paged_attention_ll4mi_QKV_mfma16_kernelIDF16_DF16_LN4vllm18Fp8KVCacheDataTypeE0EDF16_Li16ELi128ELi256ELb0ELi9EEvPKT_PKT0_S7_ifPKiS9_S9_iPKfiiiPfSC_PS2_PT2_iSB_SB_, 596

	.type	__PRETTY_FUNCTION__._Z39paged_attention_ll4mi_QKV_mfma16_kernelIDF16_DF16_LN4vllm18Fp8KVCacheDataTypeE0EDF16_Li16ELi128ELi256ELb0ELi10EEvPKT_PKT0_S7_ifPKiS9_S9_iPKfiiiPfSC_PS2_PT2_iSB_SB_,@object ; @__PRETTY_FUNCTION__._Z39paged_attention_ll4mi_QKV_mfma16_kernelIDF16_DF16_LN4vllm18Fp8KVCacheDataTypeE0EDF16_Li16ELi128ELi256ELb0ELi10EEvPKT_PKT0_S7_ifPKiS9_S9_iPKfiiiPfSC_PS2_PT2_iSB_SB_
__PRETTY_FUNCTION__._Z39paged_attention_ll4mi_QKV_mfma16_kernelIDF16_DF16_LN4vllm18Fp8KVCacheDataTypeE0EDF16_Li16ELi128ELi256ELb0ELi10EEvPKT_PKT0_S7_ifPKiS9_S9_iPKfiiiPfSC_PS2_PT2_iSB_SB_:
	.asciz	"void paged_attention_ll4mi_QKV_mfma16_kernel(const scalar_t *__restrict, const cache_t *__restrict, const cache_t *__restrict, const int, const float, const int *__restrict, const int *__restrict, const int *__restrict, const int, const float *__restrict, const int, const int, const int, float *__restrict, float *__restrict, scalar_t *__restrict, OUTT *__restrict, int, const float *, const float *) [scalar_t = _Float16, cache_t = _Float16, KV_DTYPE = vllm::Fp8KVCacheDataType::kAuto, OUTT = _Float16, BLOCK_SIZE = 16, HEAD_SIZE = 128, NUM_THREADS = 256, ALIBI_ENABLED = false, GQA_RATIO = 10]"
	.size	__PRETTY_FUNCTION__._Z39paged_attention_ll4mi_QKV_mfma16_kernelIDF16_DF16_LN4vllm18Fp8KVCacheDataTypeE0EDF16_Li16ELi128ELi256ELb0ELi10EEvPKT_PKT0_S7_ifPKiS9_S9_iPKfiiiPfSC_PS2_PT2_iSB_SB_, 597

	.type	__PRETTY_FUNCTION__._Z39paged_attention_ll4mi_QKV_mfma16_kernelIDF16_DF16_LN4vllm18Fp8KVCacheDataTypeE0EDF16_Li16ELi128ELi256ELb0ELi11EEvPKT_PKT0_S7_ifPKiS9_S9_iPKfiiiPfSC_PS2_PT2_iSB_SB_,@object ; @__PRETTY_FUNCTION__._Z39paged_attention_ll4mi_QKV_mfma16_kernelIDF16_DF16_LN4vllm18Fp8KVCacheDataTypeE0EDF16_Li16ELi128ELi256ELb0ELi11EEvPKT_PKT0_S7_ifPKiS9_S9_iPKfiiiPfSC_PS2_PT2_iSB_SB_
__PRETTY_FUNCTION__._Z39paged_attention_ll4mi_QKV_mfma16_kernelIDF16_DF16_LN4vllm18Fp8KVCacheDataTypeE0EDF16_Li16ELi128ELi256ELb0ELi11EEvPKT_PKT0_S7_ifPKiS9_S9_iPKfiiiPfSC_PS2_PT2_iSB_SB_:
	.asciz	"void paged_attention_ll4mi_QKV_mfma16_kernel(const scalar_t *__restrict, const cache_t *__restrict, const cache_t *__restrict, const int, const float, const int *__restrict, const int *__restrict, const int *__restrict, const int, const float *__restrict, const int, const int, const int, float *__restrict, float *__restrict, scalar_t *__restrict, OUTT *__restrict, int, const float *, const float *) [scalar_t = _Float16, cache_t = _Float16, KV_DTYPE = vllm::Fp8KVCacheDataType::kAuto, OUTT = _Float16, BLOCK_SIZE = 16, HEAD_SIZE = 128, NUM_THREADS = 256, ALIBI_ENABLED = false, GQA_RATIO = 11]"
	.size	__PRETTY_FUNCTION__._Z39paged_attention_ll4mi_QKV_mfma16_kernelIDF16_DF16_LN4vllm18Fp8KVCacheDataTypeE0EDF16_Li16ELi128ELi256ELb0ELi11EEvPKT_PKT0_S7_ifPKiS9_S9_iPKfiiiPfSC_PS2_PT2_iSB_SB_, 597

	.type	__PRETTY_FUNCTION__._Z39paged_attention_ll4mi_QKV_mfma16_kernelIDF16_DF16_LN4vllm18Fp8KVCacheDataTypeE0EDF16_Li16ELi128ELi256ELb0ELi12EEvPKT_PKT0_S7_ifPKiS9_S9_iPKfiiiPfSC_PS2_PT2_iSB_SB_,@object ; @__PRETTY_FUNCTION__._Z39paged_attention_ll4mi_QKV_mfma16_kernelIDF16_DF16_LN4vllm18Fp8KVCacheDataTypeE0EDF16_Li16ELi128ELi256ELb0ELi12EEvPKT_PKT0_S7_ifPKiS9_S9_iPKfiiiPfSC_PS2_PT2_iSB_SB_
__PRETTY_FUNCTION__._Z39paged_attention_ll4mi_QKV_mfma16_kernelIDF16_DF16_LN4vllm18Fp8KVCacheDataTypeE0EDF16_Li16ELi128ELi256ELb0ELi12EEvPKT_PKT0_S7_ifPKiS9_S9_iPKfiiiPfSC_PS2_PT2_iSB_SB_:
	.asciz	"void paged_attention_ll4mi_QKV_mfma16_kernel(const scalar_t *__restrict, const cache_t *__restrict, const cache_t *__restrict, const int, const float, const int *__restrict, const int *__restrict, const int *__restrict, const int, const float *__restrict, const int, const int, const int, float *__restrict, float *__restrict, scalar_t *__restrict, OUTT *__restrict, int, const float *, const float *) [scalar_t = _Float16, cache_t = _Float16, KV_DTYPE = vllm::Fp8KVCacheDataType::kAuto, OUTT = _Float16, BLOCK_SIZE = 16, HEAD_SIZE = 128, NUM_THREADS = 256, ALIBI_ENABLED = false, GQA_RATIO = 12]"
	.size	__PRETTY_FUNCTION__._Z39paged_attention_ll4mi_QKV_mfma16_kernelIDF16_DF16_LN4vllm18Fp8KVCacheDataTypeE0EDF16_Li16ELi128ELi256ELb0ELi12EEvPKT_PKT0_S7_ifPKiS9_S9_iPKfiiiPfSC_PS2_PT2_iSB_SB_, 597

	.type	__PRETTY_FUNCTION__._Z39paged_attention_ll4mi_QKV_mfma16_kernelIDF16_DF16_LN4vllm18Fp8KVCacheDataTypeE0EDF16_Li16ELi128ELi256ELb0ELi13EEvPKT_PKT0_S7_ifPKiS9_S9_iPKfiiiPfSC_PS2_PT2_iSB_SB_,@object ; @__PRETTY_FUNCTION__._Z39paged_attention_ll4mi_QKV_mfma16_kernelIDF16_DF16_LN4vllm18Fp8KVCacheDataTypeE0EDF16_Li16ELi128ELi256ELb0ELi13EEvPKT_PKT0_S7_ifPKiS9_S9_iPKfiiiPfSC_PS2_PT2_iSB_SB_
__PRETTY_FUNCTION__._Z39paged_attention_ll4mi_QKV_mfma16_kernelIDF16_DF16_LN4vllm18Fp8KVCacheDataTypeE0EDF16_Li16ELi128ELi256ELb0ELi13EEvPKT_PKT0_S7_ifPKiS9_S9_iPKfiiiPfSC_PS2_PT2_iSB_SB_:
	.asciz	"void paged_attention_ll4mi_QKV_mfma16_kernel(const scalar_t *__restrict, const cache_t *__restrict, const cache_t *__restrict, const int, const float, const int *__restrict, const int *__restrict, const int *__restrict, const int, const float *__restrict, const int, const int, const int, float *__restrict, float *__restrict, scalar_t *__restrict, OUTT *__restrict, int, const float *, const float *) [scalar_t = _Float16, cache_t = _Float16, KV_DTYPE = vllm::Fp8KVCacheDataType::kAuto, OUTT = _Float16, BLOCK_SIZE = 16, HEAD_SIZE = 128, NUM_THREADS = 256, ALIBI_ENABLED = false, GQA_RATIO = 13]"
	.size	__PRETTY_FUNCTION__._Z39paged_attention_ll4mi_QKV_mfma16_kernelIDF16_DF16_LN4vllm18Fp8KVCacheDataTypeE0EDF16_Li16ELi128ELi256ELb0ELi13EEvPKT_PKT0_S7_ifPKiS9_S9_iPKfiiiPfSC_PS2_PT2_iSB_SB_, 597

	.type	__PRETTY_FUNCTION__._Z39paged_attention_ll4mi_QKV_mfma16_kernelIDF16_DF16_LN4vllm18Fp8KVCacheDataTypeE0EDF16_Li16ELi128ELi256ELb0ELi14EEvPKT_PKT0_S7_ifPKiS9_S9_iPKfiiiPfSC_PS2_PT2_iSB_SB_,@object ; @__PRETTY_FUNCTION__._Z39paged_attention_ll4mi_QKV_mfma16_kernelIDF16_DF16_LN4vllm18Fp8KVCacheDataTypeE0EDF16_Li16ELi128ELi256ELb0ELi14EEvPKT_PKT0_S7_ifPKiS9_S9_iPKfiiiPfSC_PS2_PT2_iSB_SB_
__PRETTY_FUNCTION__._Z39paged_attention_ll4mi_QKV_mfma16_kernelIDF16_DF16_LN4vllm18Fp8KVCacheDataTypeE0EDF16_Li16ELi128ELi256ELb0ELi14EEvPKT_PKT0_S7_ifPKiS9_S9_iPKfiiiPfSC_PS2_PT2_iSB_SB_:
	.asciz	"void paged_attention_ll4mi_QKV_mfma16_kernel(const scalar_t *__restrict, const cache_t *__restrict, const cache_t *__restrict, const int, const float, const int *__restrict, const int *__restrict, const int *__restrict, const int, const float *__restrict, const int, const int, const int, float *__restrict, float *__restrict, scalar_t *__restrict, OUTT *__restrict, int, const float *, const float *) [scalar_t = _Float16, cache_t = _Float16, KV_DTYPE = vllm::Fp8KVCacheDataType::kAuto, OUTT = _Float16, BLOCK_SIZE = 16, HEAD_SIZE = 128, NUM_THREADS = 256, ALIBI_ENABLED = false, GQA_RATIO = 14]"
	.size	__PRETTY_FUNCTION__._Z39paged_attention_ll4mi_QKV_mfma16_kernelIDF16_DF16_LN4vllm18Fp8KVCacheDataTypeE0EDF16_Li16ELi128ELi256ELb0ELi14EEvPKT_PKT0_S7_ifPKiS9_S9_iPKfiiiPfSC_PS2_PT2_iSB_SB_, 597

	.type	__PRETTY_FUNCTION__._Z39paged_attention_ll4mi_QKV_mfma16_kernelIDF16_DF16_LN4vllm18Fp8KVCacheDataTypeE0EDF16_Li16ELi128ELi256ELb0ELi15EEvPKT_PKT0_S7_ifPKiS9_S9_iPKfiiiPfSC_PS2_PT2_iSB_SB_,@object ; @__PRETTY_FUNCTION__._Z39paged_attention_ll4mi_QKV_mfma16_kernelIDF16_DF16_LN4vllm18Fp8KVCacheDataTypeE0EDF16_Li16ELi128ELi256ELb0ELi15EEvPKT_PKT0_S7_ifPKiS9_S9_iPKfiiiPfSC_PS2_PT2_iSB_SB_
__PRETTY_FUNCTION__._Z39paged_attention_ll4mi_QKV_mfma16_kernelIDF16_DF16_LN4vllm18Fp8KVCacheDataTypeE0EDF16_Li16ELi128ELi256ELb0ELi15EEvPKT_PKT0_S7_ifPKiS9_S9_iPKfiiiPfSC_PS2_PT2_iSB_SB_:
	.asciz	"void paged_attention_ll4mi_QKV_mfma16_kernel(const scalar_t *__restrict, const cache_t *__restrict, const cache_t *__restrict, const int, const float, const int *__restrict, const int *__restrict, const int *__restrict, const int, const float *__restrict, const int, const int, const int, float *__restrict, float *__restrict, scalar_t *__restrict, OUTT *__restrict, int, const float *, const float *) [scalar_t = _Float16, cache_t = _Float16, KV_DTYPE = vllm::Fp8KVCacheDataType::kAuto, OUTT = _Float16, BLOCK_SIZE = 16, HEAD_SIZE = 128, NUM_THREADS = 256, ALIBI_ENABLED = false, GQA_RATIO = 15]"
	.size	__PRETTY_FUNCTION__._Z39paged_attention_ll4mi_QKV_mfma16_kernelIDF16_DF16_LN4vllm18Fp8KVCacheDataTypeE0EDF16_Li16ELi128ELi256ELb0ELi15EEvPKT_PKT0_S7_ifPKiS9_S9_iPKfiiiPfSC_PS2_PT2_iSB_SB_, 597

	.type	__PRETTY_FUNCTION__._Z39paged_attention_ll4mi_QKV_mfma16_kernelIDF16_DF16_LN4vllm18Fp8KVCacheDataTypeE0EDF16_Li16ELi128ELi256ELb0ELi16EEvPKT_PKT0_S7_ifPKiS9_S9_iPKfiiiPfSC_PS2_PT2_iSB_SB_,@object ; @__PRETTY_FUNCTION__._Z39paged_attention_ll4mi_QKV_mfma16_kernelIDF16_DF16_LN4vllm18Fp8KVCacheDataTypeE0EDF16_Li16ELi128ELi256ELb0ELi16EEvPKT_PKT0_S7_ifPKiS9_S9_iPKfiiiPfSC_PS2_PT2_iSB_SB_
__PRETTY_FUNCTION__._Z39paged_attention_ll4mi_QKV_mfma16_kernelIDF16_DF16_LN4vllm18Fp8KVCacheDataTypeE0EDF16_Li16ELi128ELi256ELb0ELi16EEvPKT_PKT0_S7_ifPKiS9_S9_iPKfiiiPfSC_PS2_PT2_iSB_SB_:
	.asciz	"void paged_attention_ll4mi_QKV_mfma16_kernel(const scalar_t *__restrict, const cache_t *__restrict, const cache_t *__restrict, const int, const float, const int *__restrict, const int *__restrict, const int *__restrict, const int, const float *__restrict, const int, const int, const int, float *__restrict, float *__restrict, scalar_t *__restrict, OUTT *__restrict, int, const float *, const float *) [scalar_t = _Float16, cache_t = _Float16, KV_DTYPE = vllm::Fp8KVCacheDataType::kAuto, OUTT = _Float16, BLOCK_SIZE = 16, HEAD_SIZE = 128, NUM_THREADS = 256, ALIBI_ENABLED = false, GQA_RATIO = 16]"
	.size	__PRETTY_FUNCTION__._Z39paged_attention_ll4mi_QKV_mfma16_kernelIDF16_DF16_LN4vllm18Fp8KVCacheDataTypeE0EDF16_Li16ELi128ELi256ELb0ELi16EEvPKT_PKT0_S7_ifPKiS9_S9_iPKfiiiPfSC_PS2_PT2_iSB_SB_, 597

	.type	__PRETTY_FUNCTION__._Z39paged_attention_ll4mi_QKV_mfma16_kernelIDF16_DF16_LN4vllm18Fp8KVCacheDataTypeE0EDF16_Li16ELi128ELi256ELb0ELi1EEvPKT_PKT0_S7_ifPKiS9_S9_iPKfiiiPfSC_PS2_PT2_iSB_SB_,@object ; @__PRETTY_FUNCTION__._Z39paged_attention_ll4mi_QKV_mfma16_kernelIDF16_DF16_LN4vllm18Fp8KVCacheDataTypeE0EDF16_Li16ELi128ELi256ELb0ELi1EEvPKT_PKT0_S7_ifPKiS9_S9_iPKfiiiPfSC_PS2_PT2_iSB_SB_
__PRETTY_FUNCTION__._Z39paged_attention_ll4mi_QKV_mfma16_kernelIDF16_DF16_LN4vllm18Fp8KVCacheDataTypeE0EDF16_Li16ELi128ELi256ELb0ELi1EEvPKT_PKT0_S7_ifPKiS9_S9_iPKfiiiPfSC_PS2_PT2_iSB_SB_:
	.asciz	"void paged_attention_ll4mi_QKV_mfma16_kernel(const scalar_t *__restrict, const cache_t *__restrict, const cache_t *__restrict, const int, const float, const int *__restrict, const int *__restrict, const int *__restrict, const int, const float *__restrict, const int, const int, const int, float *__restrict, float *__restrict, scalar_t *__restrict, OUTT *__restrict, int, const float *, const float *) [scalar_t = _Float16, cache_t = _Float16, KV_DTYPE = vllm::Fp8KVCacheDataType::kAuto, OUTT = _Float16, BLOCK_SIZE = 16, HEAD_SIZE = 128, NUM_THREADS = 256, ALIBI_ENABLED = false, GQA_RATIO = 1]"
	.size	__PRETTY_FUNCTION__._Z39paged_attention_ll4mi_QKV_mfma16_kernelIDF16_DF16_LN4vllm18Fp8KVCacheDataTypeE0EDF16_Li16ELi128ELi256ELb0ELi1EEvPKT_PKT0_S7_ifPKiS9_S9_iPKfiiiPfSC_PS2_PT2_iSB_SB_, 596

	.type	__PRETTY_FUNCTION__._Z39paged_attention_ll4mi_QKV_mfma16_kernelIDF16_DF16_LN4vllm18Fp8KVCacheDataTypeE0EDF16_Li16ELi128ELi256ELb0ELi2EEvPKT_PKT0_S7_ifPKiS9_S9_iPKfiiiPfSC_PS2_PT2_iSB_SB_,@object ; @__PRETTY_FUNCTION__._Z39paged_attention_ll4mi_QKV_mfma16_kernelIDF16_DF16_LN4vllm18Fp8KVCacheDataTypeE0EDF16_Li16ELi128ELi256ELb0ELi2EEvPKT_PKT0_S7_ifPKiS9_S9_iPKfiiiPfSC_PS2_PT2_iSB_SB_
__PRETTY_FUNCTION__._Z39paged_attention_ll4mi_QKV_mfma16_kernelIDF16_DF16_LN4vllm18Fp8KVCacheDataTypeE0EDF16_Li16ELi128ELi256ELb0ELi2EEvPKT_PKT0_S7_ifPKiS9_S9_iPKfiiiPfSC_PS2_PT2_iSB_SB_:
	.asciz	"void paged_attention_ll4mi_QKV_mfma16_kernel(const scalar_t *__restrict, const cache_t *__restrict, const cache_t *__restrict, const int, const float, const int *__restrict, const int *__restrict, const int *__restrict, const int, const float *__restrict, const int, const int, const int, float *__restrict, float *__restrict, scalar_t *__restrict, OUTT *__restrict, int, const float *, const float *) [scalar_t = _Float16, cache_t = _Float16, KV_DTYPE = vllm::Fp8KVCacheDataType::kAuto, OUTT = _Float16, BLOCK_SIZE = 16, HEAD_SIZE = 128, NUM_THREADS = 256, ALIBI_ENABLED = false, GQA_RATIO = 2]"
	.size	__PRETTY_FUNCTION__._Z39paged_attention_ll4mi_QKV_mfma16_kernelIDF16_DF16_LN4vllm18Fp8KVCacheDataTypeE0EDF16_Li16ELi128ELi256ELb0ELi2EEvPKT_PKT0_S7_ifPKiS9_S9_iPKfiiiPfSC_PS2_PT2_iSB_SB_, 596

	.type	__PRETTY_FUNCTION__._Z39paged_attention_ll4mi_QKV_mfma16_kernelIDF16_DF16_LN4vllm18Fp8KVCacheDataTypeE0EDF16_Li16ELi128ELi256ELb0ELi3EEvPKT_PKT0_S7_ifPKiS9_S9_iPKfiiiPfSC_PS2_PT2_iSB_SB_,@object ; @__PRETTY_FUNCTION__._Z39paged_attention_ll4mi_QKV_mfma16_kernelIDF16_DF16_LN4vllm18Fp8KVCacheDataTypeE0EDF16_Li16ELi128ELi256ELb0ELi3EEvPKT_PKT0_S7_ifPKiS9_S9_iPKfiiiPfSC_PS2_PT2_iSB_SB_
__PRETTY_FUNCTION__._Z39paged_attention_ll4mi_QKV_mfma16_kernelIDF16_DF16_LN4vllm18Fp8KVCacheDataTypeE0EDF16_Li16ELi128ELi256ELb0ELi3EEvPKT_PKT0_S7_ifPKiS9_S9_iPKfiiiPfSC_PS2_PT2_iSB_SB_:
	.asciz	"void paged_attention_ll4mi_QKV_mfma16_kernel(const scalar_t *__restrict, const cache_t *__restrict, const cache_t *__restrict, const int, const float, const int *__restrict, const int *__restrict, const int *__restrict, const int, const float *__restrict, const int, const int, const int, float *__restrict, float *__restrict, scalar_t *__restrict, OUTT *__restrict, int, const float *, const float *) [scalar_t = _Float16, cache_t = _Float16, KV_DTYPE = vllm::Fp8KVCacheDataType::kAuto, OUTT = _Float16, BLOCK_SIZE = 16, HEAD_SIZE = 128, NUM_THREADS = 256, ALIBI_ENABLED = false, GQA_RATIO = 3]"
	.size	__PRETTY_FUNCTION__._Z39paged_attention_ll4mi_QKV_mfma16_kernelIDF16_DF16_LN4vllm18Fp8KVCacheDataTypeE0EDF16_Li16ELi128ELi256ELb0ELi3EEvPKT_PKT0_S7_ifPKiS9_S9_iPKfiiiPfSC_PS2_PT2_iSB_SB_, 596

	.type	__PRETTY_FUNCTION__._Z39paged_attention_ll4mi_QKV_mfma16_kernelIDF16_DF16_LN4vllm18Fp8KVCacheDataTypeE0EDF16_Li16ELi128ELi256ELb0ELi4EEvPKT_PKT0_S7_ifPKiS9_S9_iPKfiiiPfSC_PS2_PT2_iSB_SB_,@object ; @__PRETTY_FUNCTION__._Z39paged_attention_ll4mi_QKV_mfma16_kernelIDF16_DF16_LN4vllm18Fp8KVCacheDataTypeE0EDF16_Li16ELi128ELi256ELb0ELi4EEvPKT_PKT0_S7_ifPKiS9_S9_iPKfiiiPfSC_PS2_PT2_iSB_SB_
__PRETTY_FUNCTION__._Z39paged_attention_ll4mi_QKV_mfma16_kernelIDF16_DF16_LN4vllm18Fp8KVCacheDataTypeE0EDF16_Li16ELi128ELi256ELb0ELi4EEvPKT_PKT0_S7_ifPKiS9_S9_iPKfiiiPfSC_PS2_PT2_iSB_SB_:
	.asciz	"void paged_attention_ll4mi_QKV_mfma16_kernel(const scalar_t *__restrict, const cache_t *__restrict, const cache_t *__restrict, const int, const float, const int *__restrict, const int *__restrict, const int *__restrict, const int, const float *__restrict, const int, const int, const int, float *__restrict, float *__restrict, scalar_t *__restrict, OUTT *__restrict, int, const float *, const float *) [scalar_t = _Float16, cache_t = _Float16, KV_DTYPE = vllm::Fp8KVCacheDataType::kAuto, OUTT = _Float16, BLOCK_SIZE = 16, HEAD_SIZE = 128, NUM_THREADS = 256, ALIBI_ENABLED = false, GQA_RATIO = 4]"
	.size	__PRETTY_FUNCTION__._Z39paged_attention_ll4mi_QKV_mfma16_kernelIDF16_DF16_LN4vllm18Fp8KVCacheDataTypeE0EDF16_Li16ELi128ELi256ELb0ELi4EEvPKT_PKT0_S7_ifPKiS9_S9_iPKfiiiPfSC_PS2_PT2_iSB_SB_, 596

	.type	__PRETTY_FUNCTION__._Z38paged_attention_ll4mi_QKV_mfma4_kernelIDF16_DF16_LN4vllm18Fp8KVCacheDataTypeE0EhLi32ELi128ELi256ELb1ELi1EEvPKT_PKT0_S7_ifPKiS9_S9_iPKfiiiPfSC_PS2_PT2_iSB_SB_,@object ; @__PRETTY_FUNCTION__._Z38paged_attention_ll4mi_QKV_mfma4_kernelIDF16_DF16_LN4vllm18Fp8KVCacheDataTypeE0EhLi32ELi128ELi256ELb1ELi1EEvPKT_PKT0_S7_ifPKiS9_S9_iPKfiiiPfSC_PS2_PT2_iSB_SB_
__PRETTY_FUNCTION__._Z38paged_attention_ll4mi_QKV_mfma4_kernelIDF16_DF16_LN4vllm18Fp8KVCacheDataTypeE0EhLi32ELi128ELi256ELb1ELi1EEvPKT_PKT0_S7_ifPKiS9_S9_iPKfiiiPfSC_PS2_PT2_iSB_SB_:
	.asciz	"void paged_attention_ll4mi_QKV_mfma4_kernel(const scalar_t *__restrict, const cache_t *__restrict, const cache_t *__restrict, const int, const float, const int *__restrict, const int *__restrict, const int *__restrict, const int, const float *__restrict, const int, const int, const int, float *__restrict, float *__restrict, scalar_t *__restrict, OUTT *__restrict, int, const float *, const float *) [scalar_t = _Float16, cache_t = _Float16, KV_DTYPE = vllm::Fp8KVCacheDataType::kAuto, OUTT = unsigned char, BLOCK_SIZE = 32, HEAD_SIZE = 128, NUM_THREADS = 256, ALIBI_ENABLED = true, GQA_RATIO = 1]"
	.size	__PRETTY_FUNCTION__._Z38paged_attention_ll4mi_QKV_mfma4_kernelIDF16_DF16_LN4vllm18Fp8KVCacheDataTypeE0EhLi32ELi128ELi256ELb1ELi1EEvPKT_PKT0_S7_ifPKiS9_S9_iPKfiiiPfSC_PS2_PT2_iSB_SB_, 599

	.type	__PRETTY_FUNCTION__._Z38paged_attention_ll4mi_QKV_mfma4_kernelIDF16_DF16_LN4vllm18Fp8KVCacheDataTypeE0EhLi32ELi128ELi256ELb1ELi2EEvPKT_PKT0_S7_ifPKiS9_S9_iPKfiiiPfSC_PS2_PT2_iSB_SB_,@object ; @__PRETTY_FUNCTION__._Z38paged_attention_ll4mi_QKV_mfma4_kernelIDF16_DF16_LN4vllm18Fp8KVCacheDataTypeE0EhLi32ELi128ELi256ELb1ELi2EEvPKT_PKT0_S7_ifPKiS9_S9_iPKfiiiPfSC_PS2_PT2_iSB_SB_
__PRETTY_FUNCTION__._Z38paged_attention_ll4mi_QKV_mfma4_kernelIDF16_DF16_LN4vllm18Fp8KVCacheDataTypeE0EhLi32ELi128ELi256ELb1ELi2EEvPKT_PKT0_S7_ifPKiS9_S9_iPKfiiiPfSC_PS2_PT2_iSB_SB_:
	.asciz	"void paged_attention_ll4mi_QKV_mfma4_kernel(const scalar_t *__restrict, const cache_t *__restrict, const cache_t *__restrict, const int, const float, const int *__restrict, const int *__restrict, const int *__restrict, const int, const float *__restrict, const int, const int, const int, float *__restrict, float *__restrict, scalar_t *__restrict, OUTT *__restrict, int, const float *, const float *) [scalar_t = _Float16, cache_t = _Float16, KV_DTYPE = vllm::Fp8KVCacheDataType::kAuto, OUTT = unsigned char, BLOCK_SIZE = 32, HEAD_SIZE = 128, NUM_THREADS = 256, ALIBI_ENABLED = true, GQA_RATIO = 2]"
	.size	__PRETTY_FUNCTION__._Z38paged_attention_ll4mi_QKV_mfma4_kernelIDF16_DF16_LN4vllm18Fp8KVCacheDataTypeE0EhLi32ELi128ELi256ELb1ELi2EEvPKT_PKT0_S7_ifPKiS9_S9_iPKfiiiPfSC_PS2_PT2_iSB_SB_, 599

	.type	__PRETTY_FUNCTION__._Z38paged_attention_ll4mi_QKV_mfma4_kernelIDF16_DF16_LN4vllm18Fp8KVCacheDataTypeE0EhLi32ELi128ELi256ELb1ELi3EEvPKT_PKT0_S7_ifPKiS9_S9_iPKfiiiPfSC_PS2_PT2_iSB_SB_,@object ; @__PRETTY_FUNCTION__._Z38paged_attention_ll4mi_QKV_mfma4_kernelIDF16_DF16_LN4vllm18Fp8KVCacheDataTypeE0EhLi32ELi128ELi256ELb1ELi3EEvPKT_PKT0_S7_ifPKiS9_S9_iPKfiiiPfSC_PS2_PT2_iSB_SB_
__PRETTY_FUNCTION__._Z38paged_attention_ll4mi_QKV_mfma4_kernelIDF16_DF16_LN4vllm18Fp8KVCacheDataTypeE0EhLi32ELi128ELi256ELb1ELi3EEvPKT_PKT0_S7_ifPKiS9_S9_iPKfiiiPfSC_PS2_PT2_iSB_SB_:
	.asciz	"void paged_attention_ll4mi_QKV_mfma4_kernel(const scalar_t *__restrict, const cache_t *__restrict, const cache_t *__restrict, const int, const float, const int *__restrict, const int *__restrict, const int *__restrict, const int, const float *__restrict, const int, const int, const int, float *__restrict, float *__restrict, scalar_t *__restrict, OUTT *__restrict, int, const float *, const float *) [scalar_t = _Float16, cache_t = _Float16, KV_DTYPE = vllm::Fp8KVCacheDataType::kAuto, OUTT = unsigned char, BLOCK_SIZE = 32, HEAD_SIZE = 128, NUM_THREADS = 256, ALIBI_ENABLED = true, GQA_RATIO = 3]"
	.size	__PRETTY_FUNCTION__._Z38paged_attention_ll4mi_QKV_mfma4_kernelIDF16_DF16_LN4vllm18Fp8KVCacheDataTypeE0EhLi32ELi128ELi256ELb1ELi3EEvPKT_PKT0_S7_ifPKiS9_S9_iPKfiiiPfSC_PS2_PT2_iSB_SB_, 599

	.type	__PRETTY_FUNCTION__._Z38paged_attention_ll4mi_QKV_mfma4_kernelIDF16_DF16_LN4vllm18Fp8KVCacheDataTypeE0EhLi32ELi128ELi256ELb1ELi4EEvPKT_PKT0_S7_ifPKiS9_S9_iPKfiiiPfSC_PS2_PT2_iSB_SB_,@object ; @__PRETTY_FUNCTION__._Z38paged_attention_ll4mi_QKV_mfma4_kernelIDF16_DF16_LN4vllm18Fp8KVCacheDataTypeE0EhLi32ELi128ELi256ELb1ELi4EEvPKT_PKT0_S7_ifPKiS9_S9_iPKfiiiPfSC_PS2_PT2_iSB_SB_
__PRETTY_FUNCTION__._Z38paged_attention_ll4mi_QKV_mfma4_kernelIDF16_DF16_LN4vllm18Fp8KVCacheDataTypeE0EhLi32ELi128ELi256ELb1ELi4EEvPKT_PKT0_S7_ifPKiS9_S9_iPKfiiiPfSC_PS2_PT2_iSB_SB_:
	.asciz	"void paged_attention_ll4mi_QKV_mfma4_kernel(const scalar_t *__restrict, const cache_t *__restrict, const cache_t *__restrict, const int, const float, const int *__restrict, const int *__restrict, const int *__restrict, const int, const float *__restrict, const int, const int, const int, float *__restrict, float *__restrict, scalar_t *__restrict, OUTT *__restrict, int, const float *, const float *) [scalar_t = _Float16, cache_t = _Float16, KV_DTYPE = vllm::Fp8KVCacheDataType::kAuto, OUTT = unsigned char, BLOCK_SIZE = 32, HEAD_SIZE = 128, NUM_THREADS = 256, ALIBI_ENABLED = true, GQA_RATIO = 4]"
	.size	__PRETTY_FUNCTION__._Z38paged_attention_ll4mi_QKV_mfma4_kernelIDF16_DF16_LN4vllm18Fp8KVCacheDataTypeE0EhLi32ELi128ELi256ELb1ELi4EEvPKT_PKT0_S7_ifPKiS9_S9_iPKfiiiPfSC_PS2_PT2_iSB_SB_, 599

	.type	__PRETTY_FUNCTION__._Z39paged_attention_ll4mi_QKV_mfma16_kernelIDF16_DF16_LN4vllm18Fp8KVCacheDataTypeE0EhLi32ELi128ELi256ELb1ELi5EEvPKT_PKT0_S7_ifPKiS9_S9_iPKfiiiPfSC_PS2_PT2_iSB_SB_,@object ; @__PRETTY_FUNCTION__._Z39paged_attention_ll4mi_QKV_mfma16_kernelIDF16_DF16_LN4vllm18Fp8KVCacheDataTypeE0EhLi32ELi128ELi256ELb1ELi5EEvPKT_PKT0_S7_ifPKiS9_S9_iPKfiiiPfSC_PS2_PT2_iSB_SB_
__PRETTY_FUNCTION__._Z39paged_attention_ll4mi_QKV_mfma16_kernelIDF16_DF16_LN4vllm18Fp8KVCacheDataTypeE0EhLi32ELi128ELi256ELb1ELi5EEvPKT_PKT0_S7_ifPKiS9_S9_iPKfiiiPfSC_PS2_PT2_iSB_SB_:
	.asciz	"void paged_attention_ll4mi_QKV_mfma16_kernel(const scalar_t *__restrict, const cache_t *__restrict, const cache_t *__restrict, const int, const float, const int *__restrict, const int *__restrict, const int *__restrict, const int, const float *__restrict, const int, const int, const int, float *__restrict, float *__restrict, scalar_t *__restrict, OUTT *__restrict, int, const float *, const float *) [scalar_t = _Float16, cache_t = _Float16, KV_DTYPE = vllm::Fp8KVCacheDataType::kAuto, OUTT = unsigned char, BLOCK_SIZE = 32, HEAD_SIZE = 128, NUM_THREADS = 256, ALIBI_ENABLED = true, GQA_RATIO = 5]"
	.size	__PRETTY_FUNCTION__._Z39paged_attention_ll4mi_QKV_mfma16_kernelIDF16_DF16_LN4vllm18Fp8KVCacheDataTypeE0EhLi32ELi128ELi256ELb1ELi5EEvPKT_PKT0_S7_ifPKiS9_S9_iPKfiiiPfSC_PS2_PT2_iSB_SB_, 600

	.type	__PRETTY_FUNCTION__._Z39paged_attention_ll4mi_QKV_mfma16_kernelIDF16_DF16_LN4vllm18Fp8KVCacheDataTypeE0EhLi32ELi128ELi256ELb1ELi6EEvPKT_PKT0_S7_ifPKiS9_S9_iPKfiiiPfSC_PS2_PT2_iSB_SB_,@object ; @__PRETTY_FUNCTION__._Z39paged_attention_ll4mi_QKV_mfma16_kernelIDF16_DF16_LN4vllm18Fp8KVCacheDataTypeE0EhLi32ELi128ELi256ELb1ELi6EEvPKT_PKT0_S7_ifPKiS9_S9_iPKfiiiPfSC_PS2_PT2_iSB_SB_
__PRETTY_FUNCTION__._Z39paged_attention_ll4mi_QKV_mfma16_kernelIDF16_DF16_LN4vllm18Fp8KVCacheDataTypeE0EhLi32ELi128ELi256ELb1ELi6EEvPKT_PKT0_S7_ifPKiS9_S9_iPKfiiiPfSC_PS2_PT2_iSB_SB_:
	.asciz	"void paged_attention_ll4mi_QKV_mfma16_kernel(const scalar_t *__restrict, const cache_t *__restrict, const cache_t *__restrict, const int, const float, const int *__restrict, const int *__restrict, const int *__restrict, const int, const float *__restrict, const int, const int, const int, float *__restrict, float *__restrict, scalar_t *__restrict, OUTT *__restrict, int, const float *, const float *) [scalar_t = _Float16, cache_t = _Float16, KV_DTYPE = vllm::Fp8KVCacheDataType::kAuto, OUTT = unsigned char, BLOCK_SIZE = 32, HEAD_SIZE = 128, NUM_THREADS = 256, ALIBI_ENABLED = true, GQA_RATIO = 6]"
	.size	__PRETTY_FUNCTION__._Z39paged_attention_ll4mi_QKV_mfma16_kernelIDF16_DF16_LN4vllm18Fp8KVCacheDataTypeE0EhLi32ELi128ELi256ELb1ELi6EEvPKT_PKT0_S7_ifPKiS9_S9_iPKfiiiPfSC_PS2_PT2_iSB_SB_, 600

	.type	__PRETTY_FUNCTION__._Z39paged_attention_ll4mi_QKV_mfma16_kernelIDF16_DF16_LN4vllm18Fp8KVCacheDataTypeE0EhLi32ELi128ELi256ELb1ELi7EEvPKT_PKT0_S7_ifPKiS9_S9_iPKfiiiPfSC_PS2_PT2_iSB_SB_,@object ; @__PRETTY_FUNCTION__._Z39paged_attention_ll4mi_QKV_mfma16_kernelIDF16_DF16_LN4vllm18Fp8KVCacheDataTypeE0EhLi32ELi128ELi256ELb1ELi7EEvPKT_PKT0_S7_ifPKiS9_S9_iPKfiiiPfSC_PS2_PT2_iSB_SB_
__PRETTY_FUNCTION__._Z39paged_attention_ll4mi_QKV_mfma16_kernelIDF16_DF16_LN4vllm18Fp8KVCacheDataTypeE0EhLi32ELi128ELi256ELb1ELi7EEvPKT_PKT0_S7_ifPKiS9_S9_iPKfiiiPfSC_PS2_PT2_iSB_SB_:
	.asciz	"void paged_attention_ll4mi_QKV_mfma16_kernel(const scalar_t *__restrict, const cache_t *__restrict, const cache_t *__restrict, const int, const float, const int *__restrict, const int *__restrict, const int *__restrict, const int, const float *__restrict, const int, const int, const int, float *__restrict, float *__restrict, scalar_t *__restrict, OUTT *__restrict, int, const float *, const float *) [scalar_t = _Float16, cache_t = _Float16, KV_DTYPE = vllm::Fp8KVCacheDataType::kAuto, OUTT = unsigned char, BLOCK_SIZE = 32, HEAD_SIZE = 128, NUM_THREADS = 256, ALIBI_ENABLED = true, GQA_RATIO = 7]"
	.size	__PRETTY_FUNCTION__._Z39paged_attention_ll4mi_QKV_mfma16_kernelIDF16_DF16_LN4vllm18Fp8KVCacheDataTypeE0EhLi32ELi128ELi256ELb1ELi7EEvPKT_PKT0_S7_ifPKiS9_S9_iPKfiiiPfSC_PS2_PT2_iSB_SB_, 600

	.type	__PRETTY_FUNCTION__._Z39paged_attention_ll4mi_QKV_mfma16_kernelIDF16_DF16_LN4vllm18Fp8KVCacheDataTypeE0EhLi32ELi128ELi256ELb1ELi8EEvPKT_PKT0_S7_ifPKiS9_S9_iPKfiiiPfSC_PS2_PT2_iSB_SB_,@object ; @__PRETTY_FUNCTION__._Z39paged_attention_ll4mi_QKV_mfma16_kernelIDF16_DF16_LN4vllm18Fp8KVCacheDataTypeE0EhLi32ELi128ELi256ELb1ELi8EEvPKT_PKT0_S7_ifPKiS9_S9_iPKfiiiPfSC_PS2_PT2_iSB_SB_
__PRETTY_FUNCTION__._Z39paged_attention_ll4mi_QKV_mfma16_kernelIDF16_DF16_LN4vllm18Fp8KVCacheDataTypeE0EhLi32ELi128ELi256ELb1ELi8EEvPKT_PKT0_S7_ifPKiS9_S9_iPKfiiiPfSC_PS2_PT2_iSB_SB_:
	.asciz	"void paged_attention_ll4mi_QKV_mfma16_kernel(const scalar_t *__restrict, const cache_t *__restrict, const cache_t *__restrict, const int, const float, const int *__restrict, const int *__restrict, const int *__restrict, const int, const float *__restrict, const int, const int, const int, float *__restrict, float *__restrict, scalar_t *__restrict, OUTT *__restrict, int, const float *, const float *) [scalar_t = _Float16, cache_t = _Float16, KV_DTYPE = vllm::Fp8KVCacheDataType::kAuto, OUTT = unsigned char, BLOCK_SIZE = 32, HEAD_SIZE = 128, NUM_THREADS = 256, ALIBI_ENABLED = true, GQA_RATIO = 8]"
	.size	__PRETTY_FUNCTION__._Z39paged_attention_ll4mi_QKV_mfma16_kernelIDF16_DF16_LN4vllm18Fp8KVCacheDataTypeE0EhLi32ELi128ELi256ELb1ELi8EEvPKT_PKT0_S7_ifPKiS9_S9_iPKfiiiPfSC_PS2_PT2_iSB_SB_, 600

	.type	__PRETTY_FUNCTION__._Z39paged_attention_ll4mi_QKV_mfma16_kernelIDF16_DF16_LN4vllm18Fp8KVCacheDataTypeE0EhLi32ELi128ELi256ELb1ELi9EEvPKT_PKT0_S7_ifPKiS9_S9_iPKfiiiPfSC_PS2_PT2_iSB_SB_,@object ; @__PRETTY_FUNCTION__._Z39paged_attention_ll4mi_QKV_mfma16_kernelIDF16_DF16_LN4vllm18Fp8KVCacheDataTypeE0EhLi32ELi128ELi256ELb1ELi9EEvPKT_PKT0_S7_ifPKiS9_S9_iPKfiiiPfSC_PS2_PT2_iSB_SB_
__PRETTY_FUNCTION__._Z39paged_attention_ll4mi_QKV_mfma16_kernelIDF16_DF16_LN4vllm18Fp8KVCacheDataTypeE0EhLi32ELi128ELi256ELb1ELi9EEvPKT_PKT0_S7_ifPKiS9_S9_iPKfiiiPfSC_PS2_PT2_iSB_SB_:
	.asciz	"void paged_attention_ll4mi_QKV_mfma16_kernel(const scalar_t *__restrict, const cache_t *__restrict, const cache_t *__restrict, const int, const float, const int *__restrict, const int *__restrict, const int *__restrict, const int, const float *__restrict, const int, const int, const int, float *__restrict, float *__restrict, scalar_t *__restrict, OUTT *__restrict, int, const float *, const float *) [scalar_t = _Float16, cache_t = _Float16, KV_DTYPE = vllm::Fp8KVCacheDataType::kAuto, OUTT = unsigned char, BLOCK_SIZE = 32, HEAD_SIZE = 128, NUM_THREADS = 256, ALIBI_ENABLED = true, GQA_RATIO = 9]"
	.size	__PRETTY_FUNCTION__._Z39paged_attention_ll4mi_QKV_mfma16_kernelIDF16_DF16_LN4vllm18Fp8KVCacheDataTypeE0EhLi32ELi128ELi256ELb1ELi9EEvPKT_PKT0_S7_ifPKiS9_S9_iPKfiiiPfSC_PS2_PT2_iSB_SB_, 600

	.type	__PRETTY_FUNCTION__._Z39paged_attention_ll4mi_QKV_mfma16_kernelIDF16_DF16_LN4vllm18Fp8KVCacheDataTypeE0EhLi32ELi128ELi256ELb1ELi10EEvPKT_PKT0_S7_ifPKiS9_S9_iPKfiiiPfSC_PS2_PT2_iSB_SB_,@object ; @__PRETTY_FUNCTION__._Z39paged_attention_ll4mi_QKV_mfma16_kernelIDF16_DF16_LN4vllm18Fp8KVCacheDataTypeE0EhLi32ELi128ELi256ELb1ELi10EEvPKT_PKT0_S7_ifPKiS9_S9_iPKfiiiPfSC_PS2_PT2_iSB_SB_
__PRETTY_FUNCTION__._Z39paged_attention_ll4mi_QKV_mfma16_kernelIDF16_DF16_LN4vllm18Fp8KVCacheDataTypeE0EhLi32ELi128ELi256ELb1ELi10EEvPKT_PKT0_S7_ifPKiS9_S9_iPKfiiiPfSC_PS2_PT2_iSB_SB_:
	.asciz	"void paged_attention_ll4mi_QKV_mfma16_kernel(const scalar_t *__restrict, const cache_t *__restrict, const cache_t *__restrict, const int, const float, const int *__restrict, const int *__restrict, const int *__restrict, const int, const float *__restrict, const int, const int, const int, float *__restrict, float *__restrict, scalar_t *__restrict, OUTT *__restrict, int, const float *, const float *) [scalar_t = _Float16, cache_t = _Float16, KV_DTYPE = vllm::Fp8KVCacheDataType::kAuto, OUTT = unsigned char, BLOCK_SIZE = 32, HEAD_SIZE = 128, NUM_THREADS = 256, ALIBI_ENABLED = true, GQA_RATIO = 10]"
	.size	__PRETTY_FUNCTION__._Z39paged_attention_ll4mi_QKV_mfma16_kernelIDF16_DF16_LN4vllm18Fp8KVCacheDataTypeE0EhLi32ELi128ELi256ELb1ELi10EEvPKT_PKT0_S7_ifPKiS9_S9_iPKfiiiPfSC_PS2_PT2_iSB_SB_, 601

	.type	__PRETTY_FUNCTION__._Z39paged_attention_ll4mi_QKV_mfma16_kernelIDF16_DF16_LN4vllm18Fp8KVCacheDataTypeE0EhLi32ELi128ELi256ELb1ELi11EEvPKT_PKT0_S7_ifPKiS9_S9_iPKfiiiPfSC_PS2_PT2_iSB_SB_,@object ; @__PRETTY_FUNCTION__._Z39paged_attention_ll4mi_QKV_mfma16_kernelIDF16_DF16_LN4vllm18Fp8KVCacheDataTypeE0EhLi32ELi128ELi256ELb1ELi11EEvPKT_PKT0_S7_ifPKiS9_S9_iPKfiiiPfSC_PS2_PT2_iSB_SB_
__PRETTY_FUNCTION__._Z39paged_attention_ll4mi_QKV_mfma16_kernelIDF16_DF16_LN4vllm18Fp8KVCacheDataTypeE0EhLi32ELi128ELi256ELb1ELi11EEvPKT_PKT0_S7_ifPKiS9_S9_iPKfiiiPfSC_PS2_PT2_iSB_SB_:
	.asciz	"void paged_attention_ll4mi_QKV_mfma16_kernel(const scalar_t *__restrict, const cache_t *__restrict, const cache_t *__restrict, const int, const float, const int *__restrict, const int *__restrict, const int *__restrict, const int, const float *__restrict, const int, const int, const int, float *__restrict, float *__restrict, scalar_t *__restrict, OUTT *__restrict, int, const float *, const float *) [scalar_t = _Float16, cache_t = _Float16, KV_DTYPE = vllm::Fp8KVCacheDataType::kAuto, OUTT = unsigned char, BLOCK_SIZE = 32, HEAD_SIZE = 128, NUM_THREADS = 256, ALIBI_ENABLED = true, GQA_RATIO = 11]"
	.size	__PRETTY_FUNCTION__._Z39paged_attention_ll4mi_QKV_mfma16_kernelIDF16_DF16_LN4vllm18Fp8KVCacheDataTypeE0EhLi32ELi128ELi256ELb1ELi11EEvPKT_PKT0_S7_ifPKiS9_S9_iPKfiiiPfSC_PS2_PT2_iSB_SB_, 601

	.type	__PRETTY_FUNCTION__._Z39paged_attention_ll4mi_QKV_mfma16_kernelIDF16_DF16_LN4vllm18Fp8KVCacheDataTypeE0EhLi32ELi128ELi256ELb1ELi12EEvPKT_PKT0_S7_ifPKiS9_S9_iPKfiiiPfSC_PS2_PT2_iSB_SB_,@object ; @__PRETTY_FUNCTION__._Z39paged_attention_ll4mi_QKV_mfma16_kernelIDF16_DF16_LN4vllm18Fp8KVCacheDataTypeE0EhLi32ELi128ELi256ELb1ELi12EEvPKT_PKT0_S7_ifPKiS9_S9_iPKfiiiPfSC_PS2_PT2_iSB_SB_
__PRETTY_FUNCTION__._Z39paged_attention_ll4mi_QKV_mfma16_kernelIDF16_DF16_LN4vllm18Fp8KVCacheDataTypeE0EhLi32ELi128ELi256ELb1ELi12EEvPKT_PKT0_S7_ifPKiS9_S9_iPKfiiiPfSC_PS2_PT2_iSB_SB_:
	.asciz	"void paged_attention_ll4mi_QKV_mfma16_kernel(const scalar_t *__restrict, const cache_t *__restrict, const cache_t *__restrict, const int, const float, const int *__restrict, const int *__restrict, const int *__restrict, const int, const float *__restrict, const int, const int, const int, float *__restrict, float *__restrict, scalar_t *__restrict, OUTT *__restrict, int, const float *, const float *) [scalar_t = _Float16, cache_t = _Float16, KV_DTYPE = vllm::Fp8KVCacheDataType::kAuto, OUTT = unsigned char, BLOCK_SIZE = 32, HEAD_SIZE = 128, NUM_THREADS = 256, ALIBI_ENABLED = true, GQA_RATIO = 12]"
	.size	__PRETTY_FUNCTION__._Z39paged_attention_ll4mi_QKV_mfma16_kernelIDF16_DF16_LN4vllm18Fp8KVCacheDataTypeE0EhLi32ELi128ELi256ELb1ELi12EEvPKT_PKT0_S7_ifPKiS9_S9_iPKfiiiPfSC_PS2_PT2_iSB_SB_, 601

	.type	__PRETTY_FUNCTION__._Z39paged_attention_ll4mi_QKV_mfma16_kernelIDF16_DF16_LN4vllm18Fp8KVCacheDataTypeE0EhLi32ELi128ELi256ELb1ELi13EEvPKT_PKT0_S7_ifPKiS9_S9_iPKfiiiPfSC_PS2_PT2_iSB_SB_,@object ; @__PRETTY_FUNCTION__._Z39paged_attention_ll4mi_QKV_mfma16_kernelIDF16_DF16_LN4vllm18Fp8KVCacheDataTypeE0EhLi32ELi128ELi256ELb1ELi13EEvPKT_PKT0_S7_ifPKiS9_S9_iPKfiiiPfSC_PS2_PT2_iSB_SB_
__PRETTY_FUNCTION__._Z39paged_attention_ll4mi_QKV_mfma16_kernelIDF16_DF16_LN4vllm18Fp8KVCacheDataTypeE0EhLi32ELi128ELi256ELb1ELi13EEvPKT_PKT0_S7_ifPKiS9_S9_iPKfiiiPfSC_PS2_PT2_iSB_SB_:
	.asciz	"void paged_attention_ll4mi_QKV_mfma16_kernel(const scalar_t *__restrict, const cache_t *__restrict, const cache_t *__restrict, const int, const float, const int *__restrict, const int *__restrict, const int *__restrict, const int, const float *__restrict, const int, const int, const int, float *__restrict, float *__restrict, scalar_t *__restrict, OUTT *__restrict, int, const float *, const float *) [scalar_t = _Float16, cache_t = _Float16, KV_DTYPE = vllm::Fp8KVCacheDataType::kAuto, OUTT = unsigned char, BLOCK_SIZE = 32, HEAD_SIZE = 128, NUM_THREADS = 256, ALIBI_ENABLED = true, GQA_RATIO = 13]"
	.size	__PRETTY_FUNCTION__._Z39paged_attention_ll4mi_QKV_mfma16_kernelIDF16_DF16_LN4vllm18Fp8KVCacheDataTypeE0EhLi32ELi128ELi256ELb1ELi13EEvPKT_PKT0_S7_ifPKiS9_S9_iPKfiiiPfSC_PS2_PT2_iSB_SB_, 601

	.type	__PRETTY_FUNCTION__._Z39paged_attention_ll4mi_QKV_mfma16_kernelIDF16_DF16_LN4vllm18Fp8KVCacheDataTypeE0EhLi32ELi128ELi256ELb1ELi14EEvPKT_PKT0_S7_ifPKiS9_S9_iPKfiiiPfSC_PS2_PT2_iSB_SB_,@object ; @__PRETTY_FUNCTION__._Z39paged_attention_ll4mi_QKV_mfma16_kernelIDF16_DF16_LN4vllm18Fp8KVCacheDataTypeE0EhLi32ELi128ELi256ELb1ELi14EEvPKT_PKT0_S7_ifPKiS9_S9_iPKfiiiPfSC_PS2_PT2_iSB_SB_
__PRETTY_FUNCTION__._Z39paged_attention_ll4mi_QKV_mfma16_kernelIDF16_DF16_LN4vllm18Fp8KVCacheDataTypeE0EhLi32ELi128ELi256ELb1ELi14EEvPKT_PKT0_S7_ifPKiS9_S9_iPKfiiiPfSC_PS2_PT2_iSB_SB_:
	.asciz	"void paged_attention_ll4mi_QKV_mfma16_kernel(const scalar_t *__restrict, const cache_t *__restrict, const cache_t *__restrict, const int, const float, const int *__restrict, const int *__restrict, const int *__restrict, const int, const float *__restrict, const int, const int, const int, float *__restrict, float *__restrict, scalar_t *__restrict, OUTT *__restrict, int, const float *, const float *) [scalar_t = _Float16, cache_t = _Float16, KV_DTYPE = vllm::Fp8KVCacheDataType::kAuto, OUTT = unsigned char, BLOCK_SIZE = 32, HEAD_SIZE = 128, NUM_THREADS = 256, ALIBI_ENABLED = true, GQA_RATIO = 14]"
	.size	__PRETTY_FUNCTION__._Z39paged_attention_ll4mi_QKV_mfma16_kernelIDF16_DF16_LN4vllm18Fp8KVCacheDataTypeE0EhLi32ELi128ELi256ELb1ELi14EEvPKT_PKT0_S7_ifPKiS9_S9_iPKfiiiPfSC_PS2_PT2_iSB_SB_, 601

	.type	__PRETTY_FUNCTION__._Z39paged_attention_ll4mi_QKV_mfma16_kernelIDF16_DF16_LN4vllm18Fp8KVCacheDataTypeE0EhLi32ELi128ELi256ELb1ELi15EEvPKT_PKT0_S7_ifPKiS9_S9_iPKfiiiPfSC_PS2_PT2_iSB_SB_,@object ; @__PRETTY_FUNCTION__._Z39paged_attention_ll4mi_QKV_mfma16_kernelIDF16_DF16_LN4vllm18Fp8KVCacheDataTypeE0EhLi32ELi128ELi256ELb1ELi15EEvPKT_PKT0_S7_ifPKiS9_S9_iPKfiiiPfSC_PS2_PT2_iSB_SB_
__PRETTY_FUNCTION__._Z39paged_attention_ll4mi_QKV_mfma16_kernelIDF16_DF16_LN4vllm18Fp8KVCacheDataTypeE0EhLi32ELi128ELi256ELb1ELi15EEvPKT_PKT0_S7_ifPKiS9_S9_iPKfiiiPfSC_PS2_PT2_iSB_SB_:
	.asciz	"void paged_attention_ll4mi_QKV_mfma16_kernel(const scalar_t *__restrict, const cache_t *__restrict, const cache_t *__restrict, const int, const float, const int *__restrict, const int *__restrict, const int *__restrict, const int, const float *__restrict, const int, const int, const int, float *__restrict, float *__restrict, scalar_t *__restrict, OUTT *__restrict, int, const float *, const float *) [scalar_t = _Float16, cache_t = _Float16, KV_DTYPE = vllm::Fp8KVCacheDataType::kAuto, OUTT = unsigned char, BLOCK_SIZE = 32, HEAD_SIZE = 128, NUM_THREADS = 256, ALIBI_ENABLED = true, GQA_RATIO = 15]"
	.size	__PRETTY_FUNCTION__._Z39paged_attention_ll4mi_QKV_mfma16_kernelIDF16_DF16_LN4vllm18Fp8KVCacheDataTypeE0EhLi32ELi128ELi256ELb1ELi15EEvPKT_PKT0_S7_ifPKiS9_S9_iPKfiiiPfSC_PS2_PT2_iSB_SB_, 601

	.type	__PRETTY_FUNCTION__._Z39paged_attention_ll4mi_QKV_mfma16_kernelIDF16_DF16_LN4vllm18Fp8KVCacheDataTypeE0EhLi32ELi128ELi256ELb1ELi16EEvPKT_PKT0_S7_ifPKiS9_S9_iPKfiiiPfSC_PS2_PT2_iSB_SB_,@object ; @__PRETTY_FUNCTION__._Z39paged_attention_ll4mi_QKV_mfma16_kernelIDF16_DF16_LN4vllm18Fp8KVCacheDataTypeE0EhLi32ELi128ELi256ELb1ELi16EEvPKT_PKT0_S7_ifPKiS9_S9_iPKfiiiPfSC_PS2_PT2_iSB_SB_
__PRETTY_FUNCTION__._Z39paged_attention_ll4mi_QKV_mfma16_kernelIDF16_DF16_LN4vllm18Fp8KVCacheDataTypeE0EhLi32ELi128ELi256ELb1ELi16EEvPKT_PKT0_S7_ifPKiS9_S9_iPKfiiiPfSC_PS2_PT2_iSB_SB_:
	.asciz	"void paged_attention_ll4mi_QKV_mfma16_kernel(const scalar_t *__restrict, const cache_t *__restrict, const cache_t *__restrict, const int, const float, const int *__restrict, const int *__restrict, const int *__restrict, const int, const float *__restrict, const int, const int, const int, float *__restrict, float *__restrict, scalar_t *__restrict, OUTT *__restrict, int, const float *, const float *) [scalar_t = _Float16, cache_t = _Float16, KV_DTYPE = vllm::Fp8KVCacheDataType::kAuto, OUTT = unsigned char, BLOCK_SIZE = 32, HEAD_SIZE = 128, NUM_THREADS = 256, ALIBI_ENABLED = true, GQA_RATIO = 16]"
	.size	__PRETTY_FUNCTION__._Z39paged_attention_ll4mi_QKV_mfma16_kernelIDF16_DF16_LN4vllm18Fp8KVCacheDataTypeE0EhLi32ELi128ELi256ELb1ELi16EEvPKT_PKT0_S7_ifPKiS9_S9_iPKfiiiPfSC_PS2_PT2_iSB_SB_, 601

	.type	__PRETTY_FUNCTION__._Z39paged_attention_ll4mi_QKV_mfma16_kernelIDF16_DF16_LN4vllm18Fp8KVCacheDataTypeE0EhLi32ELi128ELi256ELb1ELi1EEvPKT_PKT0_S7_ifPKiS9_S9_iPKfiiiPfSC_PS2_PT2_iSB_SB_,@object ; @__PRETTY_FUNCTION__._Z39paged_attention_ll4mi_QKV_mfma16_kernelIDF16_DF16_LN4vllm18Fp8KVCacheDataTypeE0EhLi32ELi128ELi256ELb1ELi1EEvPKT_PKT0_S7_ifPKiS9_S9_iPKfiiiPfSC_PS2_PT2_iSB_SB_
__PRETTY_FUNCTION__._Z39paged_attention_ll4mi_QKV_mfma16_kernelIDF16_DF16_LN4vllm18Fp8KVCacheDataTypeE0EhLi32ELi128ELi256ELb1ELi1EEvPKT_PKT0_S7_ifPKiS9_S9_iPKfiiiPfSC_PS2_PT2_iSB_SB_:
	.asciz	"void paged_attention_ll4mi_QKV_mfma16_kernel(const scalar_t *__restrict, const cache_t *__restrict, const cache_t *__restrict, const int, const float, const int *__restrict, const int *__restrict, const int *__restrict, const int, const float *__restrict, const int, const int, const int, float *__restrict, float *__restrict, scalar_t *__restrict, OUTT *__restrict, int, const float *, const float *) [scalar_t = _Float16, cache_t = _Float16, KV_DTYPE = vllm::Fp8KVCacheDataType::kAuto, OUTT = unsigned char, BLOCK_SIZE = 32, HEAD_SIZE = 128, NUM_THREADS = 256, ALIBI_ENABLED = true, GQA_RATIO = 1]"
	.size	__PRETTY_FUNCTION__._Z39paged_attention_ll4mi_QKV_mfma16_kernelIDF16_DF16_LN4vllm18Fp8KVCacheDataTypeE0EhLi32ELi128ELi256ELb1ELi1EEvPKT_PKT0_S7_ifPKiS9_S9_iPKfiiiPfSC_PS2_PT2_iSB_SB_, 600

	.type	__PRETTY_FUNCTION__._Z39paged_attention_ll4mi_QKV_mfma16_kernelIDF16_DF16_LN4vllm18Fp8KVCacheDataTypeE0EhLi32ELi128ELi256ELb1ELi2EEvPKT_PKT0_S7_ifPKiS9_S9_iPKfiiiPfSC_PS2_PT2_iSB_SB_,@object ; @__PRETTY_FUNCTION__._Z39paged_attention_ll4mi_QKV_mfma16_kernelIDF16_DF16_LN4vllm18Fp8KVCacheDataTypeE0EhLi32ELi128ELi256ELb1ELi2EEvPKT_PKT0_S7_ifPKiS9_S9_iPKfiiiPfSC_PS2_PT2_iSB_SB_
__PRETTY_FUNCTION__._Z39paged_attention_ll4mi_QKV_mfma16_kernelIDF16_DF16_LN4vllm18Fp8KVCacheDataTypeE0EhLi32ELi128ELi256ELb1ELi2EEvPKT_PKT0_S7_ifPKiS9_S9_iPKfiiiPfSC_PS2_PT2_iSB_SB_:
	.asciz	"void paged_attention_ll4mi_QKV_mfma16_kernel(const scalar_t *__restrict, const cache_t *__restrict, const cache_t *__restrict, const int, const float, const int *__restrict, const int *__restrict, const int *__restrict, const int, const float *__restrict, const int, const int, const int, float *__restrict, float *__restrict, scalar_t *__restrict, OUTT *__restrict, int, const float *, const float *) [scalar_t = _Float16, cache_t = _Float16, KV_DTYPE = vllm::Fp8KVCacheDataType::kAuto, OUTT = unsigned char, BLOCK_SIZE = 32, HEAD_SIZE = 128, NUM_THREADS = 256, ALIBI_ENABLED = true, GQA_RATIO = 2]"
	.size	__PRETTY_FUNCTION__._Z39paged_attention_ll4mi_QKV_mfma16_kernelIDF16_DF16_LN4vllm18Fp8KVCacheDataTypeE0EhLi32ELi128ELi256ELb1ELi2EEvPKT_PKT0_S7_ifPKiS9_S9_iPKfiiiPfSC_PS2_PT2_iSB_SB_, 600

	.type	__PRETTY_FUNCTION__._Z39paged_attention_ll4mi_QKV_mfma16_kernelIDF16_DF16_LN4vllm18Fp8KVCacheDataTypeE0EhLi32ELi128ELi256ELb1ELi3EEvPKT_PKT0_S7_ifPKiS9_S9_iPKfiiiPfSC_PS2_PT2_iSB_SB_,@object ; @__PRETTY_FUNCTION__._Z39paged_attention_ll4mi_QKV_mfma16_kernelIDF16_DF16_LN4vllm18Fp8KVCacheDataTypeE0EhLi32ELi128ELi256ELb1ELi3EEvPKT_PKT0_S7_ifPKiS9_S9_iPKfiiiPfSC_PS2_PT2_iSB_SB_
__PRETTY_FUNCTION__._Z39paged_attention_ll4mi_QKV_mfma16_kernelIDF16_DF16_LN4vllm18Fp8KVCacheDataTypeE0EhLi32ELi128ELi256ELb1ELi3EEvPKT_PKT0_S7_ifPKiS9_S9_iPKfiiiPfSC_PS2_PT2_iSB_SB_:
	.asciz	"void paged_attention_ll4mi_QKV_mfma16_kernel(const scalar_t *__restrict, const cache_t *__restrict, const cache_t *__restrict, const int, const float, const int *__restrict, const int *__restrict, const int *__restrict, const int, const float *__restrict, const int, const int, const int, float *__restrict, float *__restrict, scalar_t *__restrict, OUTT *__restrict, int, const float *, const float *) [scalar_t = _Float16, cache_t = _Float16, KV_DTYPE = vllm::Fp8KVCacheDataType::kAuto, OUTT = unsigned char, BLOCK_SIZE = 32, HEAD_SIZE = 128, NUM_THREADS = 256, ALIBI_ENABLED = true, GQA_RATIO = 3]"
	.size	__PRETTY_FUNCTION__._Z39paged_attention_ll4mi_QKV_mfma16_kernelIDF16_DF16_LN4vllm18Fp8KVCacheDataTypeE0EhLi32ELi128ELi256ELb1ELi3EEvPKT_PKT0_S7_ifPKiS9_S9_iPKfiiiPfSC_PS2_PT2_iSB_SB_, 600

	.type	__PRETTY_FUNCTION__._Z39paged_attention_ll4mi_QKV_mfma16_kernelIDF16_DF16_LN4vllm18Fp8KVCacheDataTypeE0EhLi32ELi128ELi256ELb1ELi4EEvPKT_PKT0_S7_ifPKiS9_S9_iPKfiiiPfSC_PS2_PT2_iSB_SB_,@object ; @__PRETTY_FUNCTION__._Z39paged_attention_ll4mi_QKV_mfma16_kernelIDF16_DF16_LN4vllm18Fp8KVCacheDataTypeE0EhLi32ELi128ELi256ELb1ELi4EEvPKT_PKT0_S7_ifPKiS9_S9_iPKfiiiPfSC_PS2_PT2_iSB_SB_
__PRETTY_FUNCTION__._Z39paged_attention_ll4mi_QKV_mfma16_kernelIDF16_DF16_LN4vllm18Fp8KVCacheDataTypeE0EhLi32ELi128ELi256ELb1ELi4EEvPKT_PKT0_S7_ifPKiS9_S9_iPKfiiiPfSC_PS2_PT2_iSB_SB_:
	.asciz	"void paged_attention_ll4mi_QKV_mfma16_kernel(const scalar_t *__restrict, const cache_t *__restrict, const cache_t *__restrict, const int, const float, const int *__restrict, const int *__restrict, const int *__restrict, const int, const float *__restrict, const int, const int, const int, float *__restrict, float *__restrict, scalar_t *__restrict, OUTT *__restrict, int, const float *, const float *) [scalar_t = _Float16, cache_t = _Float16, KV_DTYPE = vllm::Fp8KVCacheDataType::kAuto, OUTT = unsigned char, BLOCK_SIZE = 32, HEAD_SIZE = 128, NUM_THREADS = 256, ALIBI_ENABLED = true, GQA_RATIO = 4]"
	.size	__PRETTY_FUNCTION__._Z39paged_attention_ll4mi_QKV_mfma16_kernelIDF16_DF16_LN4vllm18Fp8KVCacheDataTypeE0EhLi32ELi128ELi256ELb1ELi4EEvPKT_PKT0_S7_ifPKiS9_S9_iPKfiiiPfSC_PS2_PT2_iSB_SB_, 600

	.type	__PRETTY_FUNCTION__._Z38paged_attention_ll4mi_QKV_mfma4_kernelIDF16_DF16_LN4vllm18Fp8KVCacheDataTypeE0EhLi32ELi128ELi256ELb0ELi1EEvPKT_PKT0_S7_ifPKiS9_S9_iPKfiiiPfSC_PS2_PT2_iSB_SB_,@object ; @__PRETTY_FUNCTION__._Z38paged_attention_ll4mi_QKV_mfma4_kernelIDF16_DF16_LN4vllm18Fp8KVCacheDataTypeE0EhLi32ELi128ELi256ELb0ELi1EEvPKT_PKT0_S7_ifPKiS9_S9_iPKfiiiPfSC_PS2_PT2_iSB_SB_
__PRETTY_FUNCTION__._Z38paged_attention_ll4mi_QKV_mfma4_kernelIDF16_DF16_LN4vllm18Fp8KVCacheDataTypeE0EhLi32ELi128ELi256ELb0ELi1EEvPKT_PKT0_S7_ifPKiS9_S9_iPKfiiiPfSC_PS2_PT2_iSB_SB_:
	.asciz	"void paged_attention_ll4mi_QKV_mfma4_kernel(const scalar_t *__restrict, const cache_t *__restrict, const cache_t *__restrict, const int, const float, const int *__restrict, const int *__restrict, const int *__restrict, const int, const float *__restrict, const int, const int, const int, float *__restrict, float *__restrict, scalar_t *__restrict, OUTT *__restrict, int, const float *, const float *) [scalar_t = _Float16, cache_t = _Float16, KV_DTYPE = vllm::Fp8KVCacheDataType::kAuto, OUTT = unsigned char, BLOCK_SIZE = 32, HEAD_SIZE = 128, NUM_THREADS = 256, ALIBI_ENABLED = false, GQA_RATIO = 1]"
	.size	__PRETTY_FUNCTION__._Z38paged_attention_ll4mi_QKV_mfma4_kernelIDF16_DF16_LN4vllm18Fp8KVCacheDataTypeE0EhLi32ELi128ELi256ELb0ELi1EEvPKT_PKT0_S7_ifPKiS9_S9_iPKfiiiPfSC_PS2_PT2_iSB_SB_, 600

	.type	__PRETTY_FUNCTION__._Z38paged_attention_ll4mi_QKV_mfma4_kernelIDF16_DF16_LN4vllm18Fp8KVCacheDataTypeE0EhLi32ELi128ELi256ELb0ELi2EEvPKT_PKT0_S7_ifPKiS9_S9_iPKfiiiPfSC_PS2_PT2_iSB_SB_,@object ; @__PRETTY_FUNCTION__._Z38paged_attention_ll4mi_QKV_mfma4_kernelIDF16_DF16_LN4vllm18Fp8KVCacheDataTypeE0EhLi32ELi128ELi256ELb0ELi2EEvPKT_PKT0_S7_ifPKiS9_S9_iPKfiiiPfSC_PS2_PT2_iSB_SB_
__PRETTY_FUNCTION__._Z38paged_attention_ll4mi_QKV_mfma4_kernelIDF16_DF16_LN4vllm18Fp8KVCacheDataTypeE0EhLi32ELi128ELi256ELb0ELi2EEvPKT_PKT0_S7_ifPKiS9_S9_iPKfiiiPfSC_PS2_PT2_iSB_SB_:
	.asciz	"void paged_attention_ll4mi_QKV_mfma4_kernel(const scalar_t *__restrict, const cache_t *__restrict, const cache_t *__restrict, const int, const float, const int *__restrict, const int *__restrict, const int *__restrict, const int, const float *__restrict, const int, const int, const int, float *__restrict, float *__restrict, scalar_t *__restrict, OUTT *__restrict, int, const float *, const float *) [scalar_t = _Float16, cache_t = _Float16, KV_DTYPE = vllm::Fp8KVCacheDataType::kAuto, OUTT = unsigned char, BLOCK_SIZE = 32, HEAD_SIZE = 128, NUM_THREADS = 256, ALIBI_ENABLED = false, GQA_RATIO = 2]"
	.size	__PRETTY_FUNCTION__._Z38paged_attention_ll4mi_QKV_mfma4_kernelIDF16_DF16_LN4vllm18Fp8KVCacheDataTypeE0EhLi32ELi128ELi256ELb0ELi2EEvPKT_PKT0_S7_ifPKiS9_S9_iPKfiiiPfSC_PS2_PT2_iSB_SB_, 600

	.type	__PRETTY_FUNCTION__._Z38paged_attention_ll4mi_QKV_mfma4_kernelIDF16_DF16_LN4vllm18Fp8KVCacheDataTypeE0EhLi32ELi128ELi256ELb0ELi3EEvPKT_PKT0_S7_ifPKiS9_S9_iPKfiiiPfSC_PS2_PT2_iSB_SB_,@object ; @__PRETTY_FUNCTION__._Z38paged_attention_ll4mi_QKV_mfma4_kernelIDF16_DF16_LN4vllm18Fp8KVCacheDataTypeE0EhLi32ELi128ELi256ELb0ELi3EEvPKT_PKT0_S7_ifPKiS9_S9_iPKfiiiPfSC_PS2_PT2_iSB_SB_
__PRETTY_FUNCTION__._Z38paged_attention_ll4mi_QKV_mfma4_kernelIDF16_DF16_LN4vllm18Fp8KVCacheDataTypeE0EhLi32ELi128ELi256ELb0ELi3EEvPKT_PKT0_S7_ifPKiS9_S9_iPKfiiiPfSC_PS2_PT2_iSB_SB_:
	.asciz	"void paged_attention_ll4mi_QKV_mfma4_kernel(const scalar_t *__restrict, const cache_t *__restrict, const cache_t *__restrict, const int, const float, const int *__restrict, const int *__restrict, const int *__restrict, const int, const float *__restrict, const int, const int, const int, float *__restrict, float *__restrict, scalar_t *__restrict, OUTT *__restrict, int, const float *, const float *) [scalar_t = _Float16, cache_t = _Float16, KV_DTYPE = vllm::Fp8KVCacheDataType::kAuto, OUTT = unsigned char, BLOCK_SIZE = 32, HEAD_SIZE = 128, NUM_THREADS = 256, ALIBI_ENABLED = false, GQA_RATIO = 3]"
	.size	__PRETTY_FUNCTION__._Z38paged_attention_ll4mi_QKV_mfma4_kernelIDF16_DF16_LN4vllm18Fp8KVCacheDataTypeE0EhLi32ELi128ELi256ELb0ELi3EEvPKT_PKT0_S7_ifPKiS9_S9_iPKfiiiPfSC_PS2_PT2_iSB_SB_, 600

	.type	__PRETTY_FUNCTION__._Z38paged_attention_ll4mi_QKV_mfma4_kernelIDF16_DF16_LN4vllm18Fp8KVCacheDataTypeE0EhLi32ELi128ELi256ELb0ELi4EEvPKT_PKT0_S7_ifPKiS9_S9_iPKfiiiPfSC_PS2_PT2_iSB_SB_,@object ; @__PRETTY_FUNCTION__._Z38paged_attention_ll4mi_QKV_mfma4_kernelIDF16_DF16_LN4vllm18Fp8KVCacheDataTypeE0EhLi32ELi128ELi256ELb0ELi4EEvPKT_PKT0_S7_ifPKiS9_S9_iPKfiiiPfSC_PS2_PT2_iSB_SB_
__PRETTY_FUNCTION__._Z38paged_attention_ll4mi_QKV_mfma4_kernelIDF16_DF16_LN4vllm18Fp8KVCacheDataTypeE0EhLi32ELi128ELi256ELb0ELi4EEvPKT_PKT0_S7_ifPKiS9_S9_iPKfiiiPfSC_PS2_PT2_iSB_SB_:
	.asciz	"void paged_attention_ll4mi_QKV_mfma4_kernel(const scalar_t *__restrict, const cache_t *__restrict, const cache_t *__restrict, const int, const float, const int *__restrict, const int *__restrict, const int *__restrict, const int, const float *__restrict, const int, const int, const int, float *__restrict, float *__restrict, scalar_t *__restrict, OUTT *__restrict, int, const float *, const float *) [scalar_t = _Float16, cache_t = _Float16, KV_DTYPE = vllm::Fp8KVCacheDataType::kAuto, OUTT = unsigned char, BLOCK_SIZE = 32, HEAD_SIZE = 128, NUM_THREADS = 256, ALIBI_ENABLED = false, GQA_RATIO = 4]"
	.size	__PRETTY_FUNCTION__._Z38paged_attention_ll4mi_QKV_mfma4_kernelIDF16_DF16_LN4vllm18Fp8KVCacheDataTypeE0EhLi32ELi128ELi256ELb0ELi4EEvPKT_PKT0_S7_ifPKiS9_S9_iPKfiiiPfSC_PS2_PT2_iSB_SB_, 600

	.type	__PRETTY_FUNCTION__._Z39paged_attention_ll4mi_QKV_mfma16_kernelIDF16_DF16_LN4vllm18Fp8KVCacheDataTypeE0EhLi32ELi128ELi256ELb0ELi5EEvPKT_PKT0_S7_ifPKiS9_S9_iPKfiiiPfSC_PS2_PT2_iSB_SB_,@object ; @__PRETTY_FUNCTION__._Z39paged_attention_ll4mi_QKV_mfma16_kernelIDF16_DF16_LN4vllm18Fp8KVCacheDataTypeE0EhLi32ELi128ELi256ELb0ELi5EEvPKT_PKT0_S7_ifPKiS9_S9_iPKfiiiPfSC_PS2_PT2_iSB_SB_
__PRETTY_FUNCTION__._Z39paged_attention_ll4mi_QKV_mfma16_kernelIDF16_DF16_LN4vllm18Fp8KVCacheDataTypeE0EhLi32ELi128ELi256ELb0ELi5EEvPKT_PKT0_S7_ifPKiS9_S9_iPKfiiiPfSC_PS2_PT2_iSB_SB_:
	.asciz	"void paged_attention_ll4mi_QKV_mfma16_kernel(const scalar_t *__restrict, const cache_t *__restrict, const cache_t *__restrict, const int, const float, const int *__restrict, const int *__restrict, const int *__restrict, const int, const float *__restrict, const int, const int, const int, float *__restrict, float *__restrict, scalar_t *__restrict, OUTT *__restrict, int, const float *, const float *) [scalar_t = _Float16, cache_t = _Float16, KV_DTYPE = vllm::Fp8KVCacheDataType::kAuto, OUTT = unsigned char, BLOCK_SIZE = 32, HEAD_SIZE = 128, NUM_THREADS = 256, ALIBI_ENABLED = false, GQA_RATIO = 5]"
	.size	__PRETTY_FUNCTION__._Z39paged_attention_ll4mi_QKV_mfma16_kernelIDF16_DF16_LN4vllm18Fp8KVCacheDataTypeE0EhLi32ELi128ELi256ELb0ELi5EEvPKT_PKT0_S7_ifPKiS9_S9_iPKfiiiPfSC_PS2_PT2_iSB_SB_, 601

	.type	__PRETTY_FUNCTION__._Z39paged_attention_ll4mi_QKV_mfma16_kernelIDF16_DF16_LN4vllm18Fp8KVCacheDataTypeE0EhLi32ELi128ELi256ELb0ELi6EEvPKT_PKT0_S7_ifPKiS9_S9_iPKfiiiPfSC_PS2_PT2_iSB_SB_,@object ; @__PRETTY_FUNCTION__._Z39paged_attention_ll4mi_QKV_mfma16_kernelIDF16_DF16_LN4vllm18Fp8KVCacheDataTypeE0EhLi32ELi128ELi256ELb0ELi6EEvPKT_PKT0_S7_ifPKiS9_S9_iPKfiiiPfSC_PS2_PT2_iSB_SB_
__PRETTY_FUNCTION__._Z39paged_attention_ll4mi_QKV_mfma16_kernelIDF16_DF16_LN4vllm18Fp8KVCacheDataTypeE0EhLi32ELi128ELi256ELb0ELi6EEvPKT_PKT0_S7_ifPKiS9_S9_iPKfiiiPfSC_PS2_PT2_iSB_SB_:
	.asciz	"void paged_attention_ll4mi_QKV_mfma16_kernel(const scalar_t *__restrict, const cache_t *__restrict, const cache_t *__restrict, const int, const float, const int *__restrict, const int *__restrict, const int *__restrict, const int, const float *__restrict, const int, const int, const int, float *__restrict, float *__restrict, scalar_t *__restrict, OUTT *__restrict, int, const float *, const float *) [scalar_t = _Float16, cache_t = _Float16, KV_DTYPE = vllm::Fp8KVCacheDataType::kAuto, OUTT = unsigned char, BLOCK_SIZE = 32, HEAD_SIZE = 128, NUM_THREADS = 256, ALIBI_ENABLED = false, GQA_RATIO = 6]"
	.size	__PRETTY_FUNCTION__._Z39paged_attention_ll4mi_QKV_mfma16_kernelIDF16_DF16_LN4vllm18Fp8KVCacheDataTypeE0EhLi32ELi128ELi256ELb0ELi6EEvPKT_PKT0_S7_ifPKiS9_S9_iPKfiiiPfSC_PS2_PT2_iSB_SB_, 601

	.type	__PRETTY_FUNCTION__._Z39paged_attention_ll4mi_QKV_mfma16_kernelIDF16_DF16_LN4vllm18Fp8KVCacheDataTypeE0EhLi32ELi128ELi256ELb0ELi7EEvPKT_PKT0_S7_ifPKiS9_S9_iPKfiiiPfSC_PS2_PT2_iSB_SB_,@object ; @__PRETTY_FUNCTION__._Z39paged_attention_ll4mi_QKV_mfma16_kernelIDF16_DF16_LN4vllm18Fp8KVCacheDataTypeE0EhLi32ELi128ELi256ELb0ELi7EEvPKT_PKT0_S7_ifPKiS9_S9_iPKfiiiPfSC_PS2_PT2_iSB_SB_
__PRETTY_FUNCTION__._Z39paged_attention_ll4mi_QKV_mfma16_kernelIDF16_DF16_LN4vllm18Fp8KVCacheDataTypeE0EhLi32ELi128ELi256ELb0ELi7EEvPKT_PKT0_S7_ifPKiS9_S9_iPKfiiiPfSC_PS2_PT2_iSB_SB_:
	.asciz	"void paged_attention_ll4mi_QKV_mfma16_kernel(const scalar_t *__restrict, const cache_t *__restrict, const cache_t *__restrict, const int, const float, const int *__restrict, const int *__restrict, const int *__restrict, const int, const float *__restrict, const int, const int, const int, float *__restrict, float *__restrict, scalar_t *__restrict, OUTT *__restrict, int, const float *, const float *) [scalar_t = _Float16, cache_t = _Float16, KV_DTYPE = vllm::Fp8KVCacheDataType::kAuto, OUTT = unsigned char, BLOCK_SIZE = 32, HEAD_SIZE = 128, NUM_THREADS = 256, ALIBI_ENABLED = false, GQA_RATIO = 7]"
	.size	__PRETTY_FUNCTION__._Z39paged_attention_ll4mi_QKV_mfma16_kernelIDF16_DF16_LN4vllm18Fp8KVCacheDataTypeE0EhLi32ELi128ELi256ELb0ELi7EEvPKT_PKT0_S7_ifPKiS9_S9_iPKfiiiPfSC_PS2_PT2_iSB_SB_, 601

	.type	__PRETTY_FUNCTION__._Z39paged_attention_ll4mi_QKV_mfma16_kernelIDF16_DF16_LN4vllm18Fp8KVCacheDataTypeE0EhLi32ELi128ELi256ELb0ELi8EEvPKT_PKT0_S7_ifPKiS9_S9_iPKfiiiPfSC_PS2_PT2_iSB_SB_,@object ; @__PRETTY_FUNCTION__._Z39paged_attention_ll4mi_QKV_mfma16_kernelIDF16_DF16_LN4vllm18Fp8KVCacheDataTypeE0EhLi32ELi128ELi256ELb0ELi8EEvPKT_PKT0_S7_ifPKiS9_S9_iPKfiiiPfSC_PS2_PT2_iSB_SB_
__PRETTY_FUNCTION__._Z39paged_attention_ll4mi_QKV_mfma16_kernelIDF16_DF16_LN4vllm18Fp8KVCacheDataTypeE0EhLi32ELi128ELi256ELb0ELi8EEvPKT_PKT0_S7_ifPKiS9_S9_iPKfiiiPfSC_PS2_PT2_iSB_SB_:
	.asciz	"void paged_attention_ll4mi_QKV_mfma16_kernel(const scalar_t *__restrict, const cache_t *__restrict, const cache_t *__restrict, const int, const float, const int *__restrict, const int *__restrict, const int *__restrict, const int, const float *__restrict, const int, const int, const int, float *__restrict, float *__restrict, scalar_t *__restrict, OUTT *__restrict, int, const float *, const float *) [scalar_t = _Float16, cache_t = _Float16, KV_DTYPE = vllm::Fp8KVCacheDataType::kAuto, OUTT = unsigned char, BLOCK_SIZE = 32, HEAD_SIZE = 128, NUM_THREADS = 256, ALIBI_ENABLED = false, GQA_RATIO = 8]"
	.size	__PRETTY_FUNCTION__._Z39paged_attention_ll4mi_QKV_mfma16_kernelIDF16_DF16_LN4vllm18Fp8KVCacheDataTypeE0EhLi32ELi128ELi256ELb0ELi8EEvPKT_PKT0_S7_ifPKiS9_S9_iPKfiiiPfSC_PS2_PT2_iSB_SB_, 601

	.type	__PRETTY_FUNCTION__._Z39paged_attention_ll4mi_QKV_mfma16_kernelIDF16_DF16_LN4vllm18Fp8KVCacheDataTypeE0EhLi32ELi128ELi256ELb0ELi9EEvPKT_PKT0_S7_ifPKiS9_S9_iPKfiiiPfSC_PS2_PT2_iSB_SB_,@object ; @__PRETTY_FUNCTION__._Z39paged_attention_ll4mi_QKV_mfma16_kernelIDF16_DF16_LN4vllm18Fp8KVCacheDataTypeE0EhLi32ELi128ELi256ELb0ELi9EEvPKT_PKT0_S7_ifPKiS9_S9_iPKfiiiPfSC_PS2_PT2_iSB_SB_
__PRETTY_FUNCTION__._Z39paged_attention_ll4mi_QKV_mfma16_kernelIDF16_DF16_LN4vllm18Fp8KVCacheDataTypeE0EhLi32ELi128ELi256ELb0ELi9EEvPKT_PKT0_S7_ifPKiS9_S9_iPKfiiiPfSC_PS2_PT2_iSB_SB_:
	.asciz	"void paged_attention_ll4mi_QKV_mfma16_kernel(const scalar_t *__restrict, const cache_t *__restrict, const cache_t *__restrict, const int, const float, const int *__restrict, const int *__restrict, const int *__restrict, const int, const float *__restrict, const int, const int, const int, float *__restrict, float *__restrict, scalar_t *__restrict, OUTT *__restrict, int, const float *, const float *) [scalar_t = _Float16, cache_t = _Float16, KV_DTYPE = vllm::Fp8KVCacheDataType::kAuto, OUTT = unsigned char, BLOCK_SIZE = 32, HEAD_SIZE = 128, NUM_THREADS = 256, ALIBI_ENABLED = false, GQA_RATIO = 9]"
	.size	__PRETTY_FUNCTION__._Z39paged_attention_ll4mi_QKV_mfma16_kernelIDF16_DF16_LN4vllm18Fp8KVCacheDataTypeE0EhLi32ELi128ELi256ELb0ELi9EEvPKT_PKT0_S7_ifPKiS9_S9_iPKfiiiPfSC_PS2_PT2_iSB_SB_, 601

	.type	__PRETTY_FUNCTION__._Z39paged_attention_ll4mi_QKV_mfma16_kernelIDF16_DF16_LN4vllm18Fp8KVCacheDataTypeE0EhLi32ELi128ELi256ELb0ELi10EEvPKT_PKT0_S7_ifPKiS9_S9_iPKfiiiPfSC_PS2_PT2_iSB_SB_,@object ; @__PRETTY_FUNCTION__._Z39paged_attention_ll4mi_QKV_mfma16_kernelIDF16_DF16_LN4vllm18Fp8KVCacheDataTypeE0EhLi32ELi128ELi256ELb0ELi10EEvPKT_PKT0_S7_ifPKiS9_S9_iPKfiiiPfSC_PS2_PT2_iSB_SB_
__PRETTY_FUNCTION__._Z39paged_attention_ll4mi_QKV_mfma16_kernelIDF16_DF16_LN4vllm18Fp8KVCacheDataTypeE0EhLi32ELi128ELi256ELb0ELi10EEvPKT_PKT0_S7_ifPKiS9_S9_iPKfiiiPfSC_PS2_PT2_iSB_SB_:
	.asciz	"void paged_attention_ll4mi_QKV_mfma16_kernel(const scalar_t *__restrict, const cache_t *__restrict, const cache_t *__restrict, const int, const float, const int *__restrict, const int *__restrict, const int *__restrict, const int, const float *__restrict, const int, const int, const int, float *__restrict, float *__restrict, scalar_t *__restrict, OUTT *__restrict, int, const float *, const float *) [scalar_t = _Float16, cache_t = _Float16, KV_DTYPE = vllm::Fp8KVCacheDataType::kAuto, OUTT = unsigned char, BLOCK_SIZE = 32, HEAD_SIZE = 128, NUM_THREADS = 256, ALIBI_ENABLED = false, GQA_RATIO = 10]"
	.size	__PRETTY_FUNCTION__._Z39paged_attention_ll4mi_QKV_mfma16_kernelIDF16_DF16_LN4vllm18Fp8KVCacheDataTypeE0EhLi32ELi128ELi256ELb0ELi10EEvPKT_PKT0_S7_ifPKiS9_S9_iPKfiiiPfSC_PS2_PT2_iSB_SB_, 602

	.type	__PRETTY_FUNCTION__._Z39paged_attention_ll4mi_QKV_mfma16_kernelIDF16_DF16_LN4vllm18Fp8KVCacheDataTypeE0EhLi32ELi128ELi256ELb0ELi11EEvPKT_PKT0_S7_ifPKiS9_S9_iPKfiiiPfSC_PS2_PT2_iSB_SB_,@object ; @__PRETTY_FUNCTION__._Z39paged_attention_ll4mi_QKV_mfma16_kernelIDF16_DF16_LN4vllm18Fp8KVCacheDataTypeE0EhLi32ELi128ELi256ELb0ELi11EEvPKT_PKT0_S7_ifPKiS9_S9_iPKfiiiPfSC_PS2_PT2_iSB_SB_
__PRETTY_FUNCTION__._Z39paged_attention_ll4mi_QKV_mfma16_kernelIDF16_DF16_LN4vllm18Fp8KVCacheDataTypeE0EhLi32ELi128ELi256ELb0ELi11EEvPKT_PKT0_S7_ifPKiS9_S9_iPKfiiiPfSC_PS2_PT2_iSB_SB_:
	.asciz	"void paged_attention_ll4mi_QKV_mfma16_kernel(const scalar_t *__restrict, const cache_t *__restrict, const cache_t *__restrict, const int, const float, const int *__restrict, const int *__restrict, const int *__restrict, const int, const float *__restrict, const int, const int, const int, float *__restrict, float *__restrict, scalar_t *__restrict, OUTT *__restrict, int, const float *, const float *) [scalar_t = _Float16, cache_t = _Float16, KV_DTYPE = vllm::Fp8KVCacheDataType::kAuto, OUTT = unsigned char, BLOCK_SIZE = 32, HEAD_SIZE = 128, NUM_THREADS = 256, ALIBI_ENABLED = false, GQA_RATIO = 11]"
	.size	__PRETTY_FUNCTION__._Z39paged_attention_ll4mi_QKV_mfma16_kernelIDF16_DF16_LN4vllm18Fp8KVCacheDataTypeE0EhLi32ELi128ELi256ELb0ELi11EEvPKT_PKT0_S7_ifPKiS9_S9_iPKfiiiPfSC_PS2_PT2_iSB_SB_, 602

	.type	__PRETTY_FUNCTION__._Z39paged_attention_ll4mi_QKV_mfma16_kernelIDF16_DF16_LN4vllm18Fp8KVCacheDataTypeE0EhLi32ELi128ELi256ELb0ELi12EEvPKT_PKT0_S7_ifPKiS9_S9_iPKfiiiPfSC_PS2_PT2_iSB_SB_,@object ; @__PRETTY_FUNCTION__._Z39paged_attention_ll4mi_QKV_mfma16_kernelIDF16_DF16_LN4vllm18Fp8KVCacheDataTypeE0EhLi32ELi128ELi256ELb0ELi12EEvPKT_PKT0_S7_ifPKiS9_S9_iPKfiiiPfSC_PS2_PT2_iSB_SB_
__PRETTY_FUNCTION__._Z39paged_attention_ll4mi_QKV_mfma16_kernelIDF16_DF16_LN4vllm18Fp8KVCacheDataTypeE0EhLi32ELi128ELi256ELb0ELi12EEvPKT_PKT0_S7_ifPKiS9_S9_iPKfiiiPfSC_PS2_PT2_iSB_SB_:
	.asciz	"void paged_attention_ll4mi_QKV_mfma16_kernel(const scalar_t *__restrict, const cache_t *__restrict, const cache_t *__restrict, const int, const float, const int *__restrict, const int *__restrict, const int *__restrict, const int, const float *__restrict, const int, const int, const int, float *__restrict, float *__restrict, scalar_t *__restrict, OUTT *__restrict, int, const float *, const float *) [scalar_t = _Float16, cache_t = _Float16, KV_DTYPE = vllm::Fp8KVCacheDataType::kAuto, OUTT = unsigned char, BLOCK_SIZE = 32, HEAD_SIZE = 128, NUM_THREADS = 256, ALIBI_ENABLED = false, GQA_RATIO = 12]"
	.size	__PRETTY_FUNCTION__._Z39paged_attention_ll4mi_QKV_mfma16_kernelIDF16_DF16_LN4vllm18Fp8KVCacheDataTypeE0EhLi32ELi128ELi256ELb0ELi12EEvPKT_PKT0_S7_ifPKiS9_S9_iPKfiiiPfSC_PS2_PT2_iSB_SB_, 602

	.type	__PRETTY_FUNCTION__._Z39paged_attention_ll4mi_QKV_mfma16_kernelIDF16_DF16_LN4vllm18Fp8KVCacheDataTypeE0EhLi32ELi128ELi256ELb0ELi13EEvPKT_PKT0_S7_ifPKiS9_S9_iPKfiiiPfSC_PS2_PT2_iSB_SB_,@object ; @__PRETTY_FUNCTION__._Z39paged_attention_ll4mi_QKV_mfma16_kernelIDF16_DF16_LN4vllm18Fp8KVCacheDataTypeE0EhLi32ELi128ELi256ELb0ELi13EEvPKT_PKT0_S7_ifPKiS9_S9_iPKfiiiPfSC_PS2_PT2_iSB_SB_
__PRETTY_FUNCTION__._Z39paged_attention_ll4mi_QKV_mfma16_kernelIDF16_DF16_LN4vllm18Fp8KVCacheDataTypeE0EhLi32ELi128ELi256ELb0ELi13EEvPKT_PKT0_S7_ifPKiS9_S9_iPKfiiiPfSC_PS2_PT2_iSB_SB_:
	.asciz	"void paged_attention_ll4mi_QKV_mfma16_kernel(const scalar_t *__restrict, const cache_t *__restrict, const cache_t *__restrict, const int, const float, const int *__restrict, const int *__restrict, const int *__restrict, const int, const float *__restrict, const int, const int, const int, float *__restrict, float *__restrict, scalar_t *__restrict, OUTT *__restrict, int, const float *, const float *) [scalar_t = _Float16, cache_t = _Float16, KV_DTYPE = vllm::Fp8KVCacheDataType::kAuto, OUTT = unsigned char, BLOCK_SIZE = 32, HEAD_SIZE = 128, NUM_THREADS = 256, ALIBI_ENABLED = false, GQA_RATIO = 13]"
	.size	__PRETTY_FUNCTION__._Z39paged_attention_ll4mi_QKV_mfma16_kernelIDF16_DF16_LN4vllm18Fp8KVCacheDataTypeE0EhLi32ELi128ELi256ELb0ELi13EEvPKT_PKT0_S7_ifPKiS9_S9_iPKfiiiPfSC_PS2_PT2_iSB_SB_, 602

	.type	__PRETTY_FUNCTION__._Z39paged_attention_ll4mi_QKV_mfma16_kernelIDF16_DF16_LN4vllm18Fp8KVCacheDataTypeE0EhLi32ELi128ELi256ELb0ELi14EEvPKT_PKT0_S7_ifPKiS9_S9_iPKfiiiPfSC_PS2_PT2_iSB_SB_,@object ; @__PRETTY_FUNCTION__._Z39paged_attention_ll4mi_QKV_mfma16_kernelIDF16_DF16_LN4vllm18Fp8KVCacheDataTypeE0EhLi32ELi128ELi256ELb0ELi14EEvPKT_PKT0_S7_ifPKiS9_S9_iPKfiiiPfSC_PS2_PT2_iSB_SB_
__PRETTY_FUNCTION__._Z39paged_attention_ll4mi_QKV_mfma16_kernelIDF16_DF16_LN4vllm18Fp8KVCacheDataTypeE0EhLi32ELi128ELi256ELb0ELi14EEvPKT_PKT0_S7_ifPKiS9_S9_iPKfiiiPfSC_PS2_PT2_iSB_SB_:
	.asciz	"void paged_attention_ll4mi_QKV_mfma16_kernel(const scalar_t *__restrict, const cache_t *__restrict, const cache_t *__restrict, const int, const float, const int *__restrict, const int *__restrict, const int *__restrict, const int, const float *__restrict, const int, const int, const int, float *__restrict, float *__restrict, scalar_t *__restrict, OUTT *__restrict, int, const float *, const float *) [scalar_t = _Float16, cache_t = _Float16, KV_DTYPE = vllm::Fp8KVCacheDataType::kAuto, OUTT = unsigned char, BLOCK_SIZE = 32, HEAD_SIZE = 128, NUM_THREADS = 256, ALIBI_ENABLED = false, GQA_RATIO = 14]"
	.size	__PRETTY_FUNCTION__._Z39paged_attention_ll4mi_QKV_mfma16_kernelIDF16_DF16_LN4vllm18Fp8KVCacheDataTypeE0EhLi32ELi128ELi256ELb0ELi14EEvPKT_PKT0_S7_ifPKiS9_S9_iPKfiiiPfSC_PS2_PT2_iSB_SB_, 602

	.type	__PRETTY_FUNCTION__._Z39paged_attention_ll4mi_QKV_mfma16_kernelIDF16_DF16_LN4vllm18Fp8KVCacheDataTypeE0EhLi32ELi128ELi256ELb0ELi15EEvPKT_PKT0_S7_ifPKiS9_S9_iPKfiiiPfSC_PS2_PT2_iSB_SB_,@object ; @__PRETTY_FUNCTION__._Z39paged_attention_ll4mi_QKV_mfma16_kernelIDF16_DF16_LN4vllm18Fp8KVCacheDataTypeE0EhLi32ELi128ELi256ELb0ELi15EEvPKT_PKT0_S7_ifPKiS9_S9_iPKfiiiPfSC_PS2_PT2_iSB_SB_
__PRETTY_FUNCTION__._Z39paged_attention_ll4mi_QKV_mfma16_kernelIDF16_DF16_LN4vllm18Fp8KVCacheDataTypeE0EhLi32ELi128ELi256ELb0ELi15EEvPKT_PKT0_S7_ifPKiS9_S9_iPKfiiiPfSC_PS2_PT2_iSB_SB_:
	.asciz	"void paged_attention_ll4mi_QKV_mfma16_kernel(const scalar_t *__restrict, const cache_t *__restrict, const cache_t *__restrict, const int, const float, const int *__restrict, const int *__restrict, const int *__restrict, const int, const float *__restrict, const int, const int, const int, float *__restrict, float *__restrict, scalar_t *__restrict, OUTT *__restrict, int, const float *, const float *) [scalar_t = _Float16, cache_t = _Float16, KV_DTYPE = vllm::Fp8KVCacheDataType::kAuto, OUTT = unsigned char, BLOCK_SIZE = 32, HEAD_SIZE = 128, NUM_THREADS = 256, ALIBI_ENABLED = false, GQA_RATIO = 15]"
	.size	__PRETTY_FUNCTION__._Z39paged_attention_ll4mi_QKV_mfma16_kernelIDF16_DF16_LN4vllm18Fp8KVCacheDataTypeE0EhLi32ELi128ELi256ELb0ELi15EEvPKT_PKT0_S7_ifPKiS9_S9_iPKfiiiPfSC_PS2_PT2_iSB_SB_, 602

	.type	__PRETTY_FUNCTION__._Z39paged_attention_ll4mi_QKV_mfma16_kernelIDF16_DF16_LN4vllm18Fp8KVCacheDataTypeE0EhLi32ELi128ELi256ELb0ELi16EEvPKT_PKT0_S7_ifPKiS9_S9_iPKfiiiPfSC_PS2_PT2_iSB_SB_,@object ; @__PRETTY_FUNCTION__._Z39paged_attention_ll4mi_QKV_mfma16_kernelIDF16_DF16_LN4vllm18Fp8KVCacheDataTypeE0EhLi32ELi128ELi256ELb0ELi16EEvPKT_PKT0_S7_ifPKiS9_S9_iPKfiiiPfSC_PS2_PT2_iSB_SB_
__PRETTY_FUNCTION__._Z39paged_attention_ll4mi_QKV_mfma16_kernelIDF16_DF16_LN4vllm18Fp8KVCacheDataTypeE0EhLi32ELi128ELi256ELb0ELi16EEvPKT_PKT0_S7_ifPKiS9_S9_iPKfiiiPfSC_PS2_PT2_iSB_SB_:
	.asciz	"void paged_attention_ll4mi_QKV_mfma16_kernel(const scalar_t *__restrict, const cache_t *__restrict, const cache_t *__restrict, const int, const float, const int *__restrict, const int *__restrict, const int *__restrict, const int, const float *__restrict, const int, const int, const int, float *__restrict, float *__restrict, scalar_t *__restrict, OUTT *__restrict, int, const float *, const float *) [scalar_t = _Float16, cache_t = _Float16, KV_DTYPE = vllm::Fp8KVCacheDataType::kAuto, OUTT = unsigned char, BLOCK_SIZE = 32, HEAD_SIZE = 128, NUM_THREADS = 256, ALIBI_ENABLED = false, GQA_RATIO = 16]"
	.size	__PRETTY_FUNCTION__._Z39paged_attention_ll4mi_QKV_mfma16_kernelIDF16_DF16_LN4vllm18Fp8KVCacheDataTypeE0EhLi32ELi128ELi256ELb0ELi16EEvPKT_PKT0_S7_ifPKiS9_S9_iPKfiiiPfSC_PS2_PT2_iSB_SB_, 602

	.type	__PRETTY_FUNCTION__._Z39paged_attention_ll4mi_QKV_mfma16_kernelIDF16_DF16_LN4vllm18Fp8KVCacheDataTypeE0EhLi32ELi128ELi256ELb0ELi1EEvPKT_PKT0_S7_ifPKiS9_S9_iPKfiiiPfSC_PS2_PT2_iSB_SB_,@object ; @__PRETTY_FUNCTION__._Z39paged_attention_ll4mi_QKV_mfma16_kernelIDF16_DF16_LN4vllm18Fp8KVCacheDataTypeE0EhLi32ELi128ELi256ELb0ELi1EEvPKT_PKT0_S7_ifPKiS9_S9_iPKfiiiPfSC_PS2_PT2_iSB_SB_
__PRETTY_FUNCTION__._Z39paged_attention_ll4mi_QKV_mfma16_kernelIDF16_DF16_LN4vllm18Fp8KVCacheDataTypeE0EhLi32ELi128ELi256ELb0ELi1EEvPKT_PKT0_S7_ifPKiS9_S9_iPKfiiiPfSC_PS2_PT2_iSB_SB_:
	.asciz	"void paged_attention_ll4mi_QKV_mfma16_kernel(const scalar_t *__restrict, const cache_t *__restrict, const cache_t *__restrict, const int, const float, const int *__restrict, const int *__restrict, const int *__restrict, const int, const float *__restrict, const int, const int, const int, float *__restrict, float *__restrict, scalar_t *__restrict, OUTT *__restrict, int, const float *, const float *) [scalar_t = _Float16, cache_t = _Float16, KV_DTYPE = vllm::Fp8KVCacheDataType::kAuto, OUTT = unsigned char, BLOCK_SIZE = 32, HEAD_SIZE = 128, NUM_THREADS = 256, ALIBI_ENABLED = false, GQA_RATIO = 1]"
	.size	__PRETTY_FUNCTION__._Z39paged_attention_ll4mi_QKV_mfma16_kernelIDF16_DF16_LN4vllm18Fp8KVCacheDataTypeE0EhLi32ELi128ELi256ELb0ELi1EEvPKT_PKT0_S7_ifPKiS9_S9_iPKfiiiPfSC_PS2_PT2_iSB_SB_, 601

	.type	__PRETTY_FUNCTION__._Z39paged_attention_ll4mi_QKV_mfma16_kernelIDF16_DF16_LN4vllm18Fp8KVCacheDataTypeE0EhLi32ELi128ELi256ELb0ELi2EEvPKT_PKT0_S7_ifPKiS9_S9_iPKfiiiPfSC_PS2_PT2_iSB_SB_,@object ; @__PRETTY_FUNCTION__._Z39paged_attention_ll4mi_QKV_mfma16_kernelIDF16_DF16_LN4vllm18Fp8KVCacheDataTypeE0EhLi32ELi128ELi256ELb0ELi2EEvPKT_PKT0_S7_ifPKiS9_S9_iPKfiiiPfSC_PS2_PT2_iSB_SB_
__PRETTY_FUNCTION__._Z39paged_attention_ll4mi_QKV_mfma16_kernelIDF16_DF16_LN4vllm18Fp8KVCacheDataTypeE0EhLi32ELi128ELi256ELb0ELi2EEvPKT_PKT0_S7_ifPKiS9_S9_iPKfiiiPfSC_PS2_PT2_iSB_SB_:
	.asciz	"void paged_attention_ll4mi_QKV_mfma16_kernel(const scalar_t *__restrict, const cache_t *__restrict, const cache_t *__restrict, const int, const float, const int *__restrict, const int *__restrict, const int *__restrict, const int, const float *__restrict, const int, const int, const int, float *__restrict, float *__restrict, scalar_t *__restrict, OUTT *__restrict, int, const float *, const float *) [scalar_t = _Float16, cache_t = _Float16, KV_DTYPE = vllm::Fp8KVCacheDataType::kAuto, OUTT = unsigned char, BLOCK_SIZE = 32, HEAD_SIZE = 128, NUM_THREADS = 256, ALIBI_ENABLED = false, GQA_RATIO = 2]"
	.size	__PRETTY_FUNCTION__._Z39paged_attention_ll4mi_QKV_mfma16_kernelIDF16_DF16_LN4vllm18Fp8KVCacheDataTypeE0EhLi32ELi128ELi256ELb0ELi2EEvPKT_PKT0_S7_ifPKiS9_S9_iPKfiiiPfSC_PS2_PT2_iSB_SB_, 601

	.type	__PRETTY_FUNCTION__._Z39paged_attention_ll4mi_QKV_mfma16_kernelIDF16_DF16_LN4vllm18Fp8KVCacheDataTypeE0EhLi32ELi128ELi256ELb0ELi3EEvPKT_PKT0_S7_ifPKiS9_S9_iPKfiiiPfSC_PS2_PT2_iSB_SB_,@object ; @__PRETTY_FUNCTION__._Z39paged_attention_ll4mi_QKV_mfma16_kernelIDF16_DF16_LN4vllm18Fp8KVCacheDataTypeE0EhLi32ELi128ELi256ELb0ELi3EEvPKT_PKT0_S7_ifPKiS9_S9_iPKfiiiPfSC_PS2_PT2_iSB_SB_
__PRETTY_FUNCTION__._Z39paged_attention_ll4mi_QKV_mfma16_kernelIDF16_DF16_LN4vllm18Fp8KVCacheDataTypeE0EhLi32ELi128ELi256ELb0ELi3EEvPKT_PKT0_S7_ifPKiS9_S9_iPKfiiiPfSC_PS2_PT2_iSB_SB_:
	.asciz	"void paged_attention_ll4mi_QKV_mfma16_kernel(const scalar_t *__restrict, const cache_t *__restrict, const cache_t *__restrict, const int, const float, const int *__restrict, const int *__restrict, const int *__restrict, const int, const float *__restrict, const int, const int, const int, float *__restrict, float *__restrict, scalar_t *__restrict, OUTT *__restrict, int, const float *, const float *) [scalar_t = _Float16, cache_t = _Float16, KV_DTYPE = vllm::Fp8KVCacheDataType::kAuto, OUTT = unsigned char, BLOCK_SIZE = 32, HEAD_SIZE = 128, NUM_THREADS = 256, ALIBI_ENABLED = false, GQA_RATIO = 3]"
	.size	__PRETTY_FUNCTION__._Z39paged_attention_ll4mi_QKV_mfma16_kernelIDF16_DF16_LN4vllm18Fp8KVCacheDataTypeE0EhLi32ELi128ELi256ELb0ELi3EEvPKT_PKT0_S7_ifPKiS9_S9_iPKfiiiPfSC_PS2_PT2_iSB_SB_, 601

	.type	__PRETTY_FUNCTION__._Z39paged_attention_ll4mi_QKV_mfma16_kernelIDF16_DF16_LN4vllm18Fp8KVCacheDataTypeE0EhLi32ELi128ELi256ELb0ELi4EEvPKT_PKT0_S7_ifPKiS9_S9_iPKfiiiPfSC_PS2_PT2_iSB_SB_,@object ; @__PRETTY_FUNCTION__._Z39paged_attention_ll4mi_QKV_mfma16_kernelIDF16_DF16_LN4vllm18Fp8KVCacheDataTypeE0EhLi32ELi128ELi256ELb0ELi4EEvPKT_PKT0_S7_ifPKiS9_S9_iPKfiiiPfSC_PS2_PT2_iSB_SB_
__PRETTY_FUNCTION__._Z39paged_attention_ll4mi_QKV_mfma16_kernelIDF16_DF16_LN4vllm18Fp8KVCacheDataTypeE0EhLi32ELi128ELi256ELb0ELi4EEvPKT_PKT0_S7_ifPKiS9_S9_iPKfiiiPfSC_PS2_PT2_iSB_SB_:
	.asciz	"void paged_attention_ll4mi_QKV_mfma16_kernel(const scalar_t *__restrict, const cache_t *__restrict, const cache_t *__restrict, const int, const float, const int *__restrict, const int *__restrict, const int *__restrict, const int, const float *__restrict, const int, const int, const int, float *__restrict, float *__restrict, scalar_t *__restrict, OUTT *__restrict, int, const float *, const float *) [scalar_t = _Float16, cache_t = _Float16, KV_DTYPE = vllm::Fp8KVCacheDataType::kAuto, OUTT = unsigned char, BLOCK_SIZE = 32, HEAD_SIZE = 128, NUM_THREADS = 256, ALIBI_ENABLED = false, GQA_RATIO = 4]"
	.size	__PRETTY_FUNCTION__._Z39paged_attention_ll4mi_QKV_mfma16_kernelIDF16_DF16_LN4vllm18Fp8KVCacheDataTypeE0EhLi32ELi128ELi256ELb0ELi4EEvPKT_PKT0_S7_ifPKiS9_S9_iPKfiiiPfSC_PS2_PT2_iSB_SB_, 601

	.type	__PRETTY_FUNCTION__._Z38paged_attention_ll4mi_QKV_mfma4_kernelIDF16_DF16_LN4vllm18Fp8KVCacheDataTypeE0EDF16_Li32ELi128ELi256ELb1ELi1EEvPKT_PKT0_S7_ifPKiS9_S9_iPKfiiiPfSC_PS2_PT2_iSB_SB_,@object ; @__PRETTY_FUNCTION__._Z38paged_attention_ll4mi_QKV_mfma4_kernelIDF16_DF16_LN4vllm18Fp8KVCacheDataTypeE0EDF16_Li32ELi128ELi256ELb1ELi1EEvPKT_PKT0_S7_ifPKiS9_S9_iPKfiiiPfSC_PS2_PT2_iSB_SB_
__PRETTY_FUNCTION__._Z38paged_attention_ll4mi_QKV_mfma4_kernelIDF16_DF16_LN4vllm18Fp8KVCacheDataTypeE0EDF16_Li32ELi128ELi256ELb1ELi1EEvPKT_PKT0_S7_ifPKiS9_S9_iPKfiiiPfSC_PS2_PT2_iSB_SB_:
	.asciz	"void paged_attention_ll4mi_QKV_mfma4_kernel(const scalar_t *__restrict, const cache_t *__restrict, const cache_t *__restrict, const int, const float, const int *__restrict, const int *__restrict, const int *__restrict, const int, const float *__restrict, const int, const int, const int, float *__restrict, float *__restrict, scalar_t *__restrict, OUTT *__restrict, int, const float *, const float *) [scalar_t = _Float16, cache_t = _Float16, KV_DTYPE = vllm::Fp8KVCacheDataType::kAuto, OUTT = _Float16, BLOCK_SIZE = 32, HEAD_SIZE = 128, NUM_THREADS = 256, ALIBI_ENABLED = true, GQA_RATIO = 1]"
	.size	__PRETTY_FUNCTION__._Z38paged_attention_ll4mi_QKV_mfma4_kernelIDF16_DF16_LN4vllm18Fp8KVCacheDataTypeE0EDF16_Li32ELi128ELi256ELb1ELi1EEvPKT_PKT0_S7_ifPKiS9_S9_iPKfiiiPfSC_PS2_PT2_iSB_SB_, 594

	.type	__PRETTY_FUNCTION__._Z38paged_attention_ll4mi_QKV_mfma4_kernelIDF16_DF16_LN4vllm18Fp8KVCacheDataTypeE0EDF16_Li32ELi128ELi256ELb1ELi2EEvPKT_PKT0_S7_ifPKiS9_S9_iPKfiiiPfSC_PS2_PT2_iSB_SB_,@object ; @__PRETTY_FUNCTION__._Z38paged_attention_ll4mi_QKV_mfma4_kernelIDF16_DF16_LN4vllm18Fp8KVCacheDataTypeE0EDF16_Li32ELi128ELi256ELb1ELi2EEvPKT_PKT0_S7_ifPKiS9_S9_iPKfiiiPfSC_PS2_PT2_iSB_SB_
__PRETTY_FUNCTION__._Z38paged_attention_ll4mi_QKV_mfma4_kernelIDF16_DF16_LN4vllm18Fp8KVCacheDataTypeE0EDF16_Li32ELi128ELi256ELb1ELi2EEvPKT_PKT0_S7_ifPKiS9_S9_iPKfiiiPfSC_PS2_PT2_iSB_SB_:
	.asciz	"void paged_attention_ll4mi_QKV_mfma4_kernel(const scalar_t *__restrict, const cache_t *__restrict, const cache_t *__restrict, const int, const float, const int *__restrict, const int *__restrict, const int *__restrict, const int, const float *__restrict, const int, const int, const int, float *__restrict, float *__restrict, scalar_t *__restrict, OUTT *__restrict, int, const float *, const float *) [scalar_t = _Float16, cache_t = _Float16, KV_DTYPE = vllm::Fp8KVCacheDataType::kAuto, OUTT = _Float16, BLOCK_SIZE = 32, HEAD_SIZE = 128, NUM_THREADS = 256, ALIBI_ENABLED = true, GQA_RATIO = 2]"
	.size	__PRETTY_FUNCTION__._Z38paged_attention_ll4mi_QKV_mfma4_kernelIDF16_DF16_LN4vllm18Fp8KVCacheDataTypeE0EDF16_Li32ELi128ELi256ELb1ELi2EEvPKT_PKT0_S7_ifPKiS9_S9_iPKfiiiPfSC_PS2_PT2_iSB_SB_, 594

	.type	__PRETTY_FUNCTION__._Z38paged_attention_ll4mi_QKV_mfma4_kernelIDF16_DF16_LN4vllm18Fp8KVCacheDataTypeE0EDF16_Li32ELi128ELi256ELb1ELi3EEvPKT_PKT0_S7_ifPKiS9_S9_iPKfiiiPfSC_PS2_PT2_iSB_SB_,@object ; @__PRETTY_FUNCTION__._Z38paged_attention_ll4mi_QKV_mfma4_kernelIDF16_DF16_LN4vllm18Fp8KVCacheDataTypeE0EDF16_Li32ELi128ELi256ELb1ELi3EEvPKT_PKT0_S7_ifPKiS9_S9_iPKfiiiPfSC_PS2_PT2_iSB_SB_
__PRETTY_FUNCTION__._Z38paged_attention_ll4mi_QKV_mfma4_kernelIDF16_DF16_LN4vllm18Fp8KVCacheDataTypeE0EDF16_Li32ELi128ELi256ELb1ELi3EEvPKT_PKT0_S7_ifPKiS9_S9_iPKfiiiPfSC_PS2_PT2_iSB_SB_:
	.asciz	"void paged_attention_ll4mi_QKV_mfma4_kernel(const scalar_t *__restrict, const cache_t *__restrict, const cache_t *__restrict, const int, const float, const int *__restrict, const int *__restrict, const int *__restrict, const int, const float *__restrict, const int, const int, const int, float *__restrict, float *__restrict, scalar_t *__restrict, OUTT *__restrict, int, const float *, const float *) [scalar_t = _Float16, cache_t = _Float16, KV_DTYPE = vllm::Fp8KVCacheDataType::kAuto, OUTT = _Float16, BLOCK_SIZE = 32, HEAD_SIZE = 128, NUM_THREADS = 256, ALIBI_ENABLED = true, GQA_RATIO = 3]"
	.size	__PRETTY_FUNCTION__._Z38paged_attention_ll4mi_QKV_mfma4_kernelIDF16_DF16_LN4vllm18Fp8KVCacheDataTypeE0EDF16_Li32ELi128ELi256ELb1ELi3EEvPKT_PKT0_S7_ifPKiS9_S9_iPKfiiiPfSC_PS2_PT2_iSB_SB_, 594

	.type	__PRETTY_FUNCTION__._Z38paged_attention_ll4mi_QKV_mfma4_kernelIDF16_DF16_LN4vllm18Fp8KVCacheDataTypeE0EDF16_Li32ELi128ELi256ELb1ELi4EEvPKT_PKT0_S7_ifPKiS9_S9_iPKfiiiPfSC_PS2_PT2_iSB_SB_,@object ; @__PRETTY_FUNCTION__._Z38paged_attention_ll4mi_QKV_mfma4_kernelIDF16_DF16_LN4vllm18Fp8KVCacheDataTypeE0EDF16_Li32ELi128ELi256ELb1ELi4EEvPKT_PKT0_S7_ifPKiS9_S9_iPKfiiiPfSC_PS2_PT2_iSB_SB_
__PRETTY_FUNCTION__._Z38paged_attention_ll4mi_QKV_mfma4_kernelIDF16_DF16_LN4vllm18Fp8KVCacheDataTypeE0EDF16_Li32ELi128ELi256ELb1ELi4EEvPKT_PKT0_S7_ifPKiS9_S9_iPKfiiiPfSC_PS2_PT2_iSB_SB_:
	.asciz	"void paged_attention_ll4mi_QKV_mfma4_kernel(const scalar_t *__restrict, const cache_t *__restrict, const cache_t *__restrict, const int, const float, const int *__restrict, const int *__restrict, const int *__restrict, const int, const float *__restrict, const int, const int, const int, float *__restrict, float *__restrict, scalar_t *__restrict, OUTT *__restrict, int, const float *, const float *) [scalar_t = _Float16, cache_t = _Float16, KV_DTYPE = vllm::Fp8KVCacheDataType::kAuto, OUTT = _Float16, BLOCK_SIZE = 32, HEAD_SIZE = 128, NUM_THREADS = 256, ALIBI_ENABLED = true, GQA_RATIO = 4]"
	.size	__PRETTY_FUNCTION__._Z38paged_attention_ll4mi_QKV_mfma4_kernelIDF16_DF16_LN4vllm18Fp8KVCacheDataTypeE0EDF16_Li32ELi128ELi256ELb1ELi4EEvPKT_PKT0_S7_ifPKiS9_S9_iPKfiiiPfSC_PS2_PT2_iSB_SB_, 594

	.type	__PRETTY_FUNCTION__._Z39paged_attention_ll4mi_QKV_mfma16_kernelIDF16_DF16_LN4vllm18Fp8KVCacheDataTypeE0EDF16_Li32ELi128ELi256ELb1ELi5EEvPKT_PKT0_S7_ifPKiS9_S9_iPKfiiiPfSC_PS2_PT2_iSB_SB_,@object ; @__PRETTY_FUNCTION__._Z39paged_attention_ll4mi_QKV_mfma16_kernelIDF16_DF16_LN4vllm18Fp8KVCacheDataTypeE0EDF16_Li32ELi128ELi256ELb1ELi5EEvPKT_PKT0_S7_ifPKiS9_S9_iPKfiiiPfSC_PS2_PT2_iSB_SB_
__PRETTY_FUNCTION__._Z39paged_attention_ll4mi_QKV_mfma16_kernelIDF16_DF16_LN4vllm18Fp8KVCacheDataTypeE0EDF16_Li32ELi128ELi256ELb1ELi5EEvPKT_PKT0_S7_ifPKiS9_S9_iPKfiiiPfSC_PS2_PT2_iSB_SB_:
	.asciz	"void paged_attention_ll4mi_QKV_mfma16_kernel(const scalar_t *__restrict, const cache_t *__restrict, const cache_t *__restrict, const int, const float, const int *__restrict, const int *__restrict, const int *__restrict, const int, const float *__restrict, const int, const int, const int, float *__restrict, float *__restrict, scalar_t *__restrict, OUTT *__restrict, int, const float *, const float *) [scalar_t = _Float16, cache_t = _Float16, KV_DTYPE = vllm::Fp8KVCacheDataType::kAuto, OUTT = _Float16, BLOCK_SIZE = 32, HEAD_SIZE = 128, NUM_THREADS = 256, ALIBI_ENABLED = true, GQA_RATIO = 5]"
	.size	__PRETTY_FUNCTION__._Z39paged_attention_ll4mi_QKV_mfma16_kernelIDF16_DF16_LN4vllm18Fp8KVCacheDataTypeE0EDF16_Li32ELi128ELi256ELb1ELi5EEvPKT_PKT0_S7_ifPKiS9_S9_iPKfiiiPfSC_PS2_PT2_iSB_SB_, 595

	.type	__PRETTY_FUNCTION__._Z39paged_attention_ll4mi_QKV_mfma16_kernelIDF16_DF16_LN4vllm18Fp8KVCacheDataTypeE0EDF16_Li32ELi128ELi256ELb1ELi6EEvPKT_PKT0_S7_ifPKiS9_S9_iPKfiiiPfSC_PS2_PT2_iSB_SB_,@object ; @__PRETTY_FUNCTION__._Z39paged_attention_ll4mi_QKV_mfma16_kernelIDF16_DF16_LN4vllm18Fp8KVCacheDataTypeE0EDF16_Li32ELi128ELi256ELb1ELi6EEvPKT_PKT0_S7_ifPKiS9_S9_iPKfiiiPfSC_PS2_PT2_iSB_SB_
__PRETTY_FUNCTION__._Z39paged_attention_ll4mi_QKV_mfma16_kernelIDF16_DF16_LN4vllm18Fp8KVCacheDataTypeE0EDF16_Li32ELi128ELi256ELb1ELi6EEvPKT_PKT0_S7_ifPKiS9_S9_iPKfiiiPfSC_PS2_PT2_iSB_SB_:
	.asciz	"void paged_attention_ll4mi_QKV_mfma16_kernel(const scalar_t *__restrict, const cache_t *__restrict, const cache_t *__restrict, const int, const float, const int *__restrict, const int *__restrict, const int *__restrict, const int, const float *__restrict, const int, const int, const int, float *__restrict, float *__restrict, scalar_t *__restrict, OUTT *__restrict, int, const float *, const float *) [scalar_t = _Float16, cache_t = _Float16, KV_DTYPE = vllm::Fp8KVCacheDataType::kAuto, OUTT = _Float16, BLOCK_SIZE = 32, HEAD_SIZE = 128, NUM_THREADS = 256, ALIBI_ENABLED = true, GQA_RATIO = 6]"
	.size	__PRETTY_FUNCTION__._Z39paged_attention_ll4mi_QKV_mfma16_kernelIDF16_DF16_LN4vllm18Fp8KVCacheDataTypeE0EDF16_Li32ELi128ELi256ELb1ELi6EEvPKT_PKT0_S7_ifPKiS9_S9_iPKfiiiPfSC_PS2_PT2_iSB_SB_, 595

	.type	__PRETTY_FUNCTION__._Z39paged_attention_ll4mi_QKV_mfma16_kernelIDF16_DF16_LN4vllm18Fp8KVCacheDataTypeE0EDF16_Li32ELi128ELi256ELb1ELi7EEvPKT_PKT0_S7_ifPKiS9_S9_iPKfiiiPfSC_PS2_PT2_iSB_SB_,@object ; @__PRETTY_FUNCTION__._Z39paged_attention_ll4mi_QKV_mfma16_kernelIDF16_DF16_LN4vllm18Fp8KVCacheDataTypeE0EDF16_Li32ELi128ELi256ELb1ELi7EEvPKT_PKT0_S7_ifPKiS9_S9_iPKfiiiPfSC_PS2_PT2_iSB_SB_
__PRETTY_FUNCTION__._Z39paged_attention_ll4mi_QKV_mfma16_kernelIDF16_DF16_LN4vllm18Fp8KVCacheDataTypeE0EDF16_Li32ELi128ELi256ELb1ELi7EEvPKT_PKT0_S7_ifPKiS9_S9_iPKfiiiPfSC_PS2_PT2_iSB_SB_:
	.asciz	"void paged_attention_ll4mi_QKV_mfma16_kernel(const scalar_t *__restrict, const cache_t *__restrict, const cache_t *__restrict, const int, const float, const int *__restrict, const int *__restrict, const int *__restrict, const int, const float *__restrict, const int, const int, const int, float *__restrict, float *__restrict, scalar_t *__restrict, OUTT *__restrict, int, const float *, const float *) [scalar_t = _Float16, cache_t = _Float16, KV_DTYPE = vllm::Fp8KVCacheDataType::kAuto, OUTT = _Float16, BLOCK_SIZE = 32, HEAD_SIZE = 128, NUM_THREADS = 256, ALIBI_ENABLED = true, GQA_RATIO = 7]"
	.size	__PRETTY_FUNCTION__._Z39paged_attention_ll4mi_QKV_mfma16_kernelIDF16_DF16_LN4vllm18Fp8KVCacheDataTypeE0EDF16_Li32ELi128ELi256ELb1ELi7EEvPKT_PKT0_S7_ifPKiS9_S9_iPKfiiiPfSC_PS2_PT2_iSB_SB_, 595

	.type	__PRETTY_FUNCTION__._Z39paged_attention_ll4mi_QKV_mfma16_kernelIDF16_DF16_LN4vllm18Fp8KVCacheDataTypeE0EDF16_Li32ELi128ELi256ELb1ELi8EEvPKT_PKT0_S7_ifPKiS9_S9_iPKfiiiPfSC_PS2_PT2_iSB_SB_,@object ; @__PRETTY_FUNCTION__._Z39paged_attention_ll4mi_QKV_mfma16_kernelIDF16_DF16_LN4vllm18Fp8KVCacheDataTypeE0EDF16_Li32ELi128ELi256ELb1ELi8EEvPKT_PKT0_S7_ifPKiS9_S9_iPKfiiiPfSC_PS2_PT2_iSB_SB_
__PRETTY_FUNCTION__._Z39paged_attention_ll4mi_QKV_mfma16_kernelIDF16_DF16_LN4vllm18Fp8KVCacheDataTypeE0EDF16_Li32ELi128ELi256ELb1ELi8EEvPKT_PKT0_S7_ifPKiS9_S9_iPKfiiiPfSC_PS2_PT2_iSB_SB_:
	.asciz	"void paged_attention_ll4mi_QKV_mfma16_kernel(const scalar_t *__restrict, const cache_t *__restrict, const cache_t *__restrict, const int, const float, const int *__restrict, const int *__restrict, const int *__restrict, const int, const float *__restrict, const int, const int, const int, float *__restrict, float *__restrict, scalar_t *__restrict, OUTT *__restrict, int, const float *, const float *) [scalar_t = _Float16, cache_t = _Float16, KV_DTYPE = vllm::Fp8KVCacheDataType::kAuto, OUTT = _Float16, BLOCK_SIZE = 32, HEAD_SIZE = 128, NUM_THREADS = 256, ALIBI_ENABLED = true, GQA_RATIO = 8]"
	.size	__PRETTY_FUNCTION__._Z39paged_attention_ll4mi_QKV_mfma16_kernelIDF16_DF16_LN4vllm18Fp8KVCacheDataTypeE0EDF16_Li32ELi128ELi256ELb1ELi8EEvPKT_PKT0_S7_ifPKiS9_S9_iPKfiiiPfSC_PS2_PT2_iSB_SB_, 595

	.type	__PRETTY_FUNCTION__._Z39paged_attention_ll4mi_QKV_mfma16_kernelIDF16_DF16_LN4vllm18Fp8KVCacheDataTypeE0EDF16_Li32ELi128ELi256ELb1ELi9EEvPKT_PKT0_S7_ifPKiS9_S9_iPKfiiiPfSC_PS2_PT2_iSB_SB_,@object ; @__PRETTY_FUNCTION__._Z39paged_attention_ll4mi_QKV_mfma16_kernelIDF16_DF16_LN4vllm18Fp8KVCacheDataTypeE0EDF16_Li32ELi128ELi256ELb1ELi9EEvPKT_PKT0_S7_ifPKiS9_S9_iPKfiiiPfSC_PS2_PT2_iSB_SB_
__PRETTY_FUNCTION__._Z39paged_attention_ll4mi_QKV_mfma16_kernelIDF16_DF16_LN4vllm18Fp8KVCacheDataTypeE0EDF16_Li32ELi128ELi256ELb1ELi9EEvPKT_PKT0_S7_ifPKiS9_S9_iPKfiiiPfSC_PS2_PT2_iSB_SB_:
	.asciz	"void paged_attention_ll4mi_QKV_mfma16_kernel(const scalar_t *__restrict, const cache_t *__restrict, const cache_t *__restrict, const int, const float, const int *__restrict, const int *__restrict, const int *__restrict, const int, const float *__restrict, const int, const int, const int, float *__restrict, float *__restrict, scalar_t *__restrict, OUTT *__restrict, int, const float *, const float *) [scalar_t = _Float16, cache_t = _Float16, KV_DTYPE = vllm::Fp8KVCacheDataType::kAuto, OUTT = _Float16, BLOCK_SIZE = 32, HEAD_SIZE = 128, NUM_THREADS = 256, ALIBI_ENABLED = true, GQA_RATIO = 9]"
	.size	__PRETTY_FUNCTION__._Z39paged_attention_ll4mi_QKV_mfma16_kernelIDF16_DF16_LN4vllm18Fp8KVCacheDataTypeE0EDF16_Li32ELi128ELi256ELb1ELi9EEvPKT_PKT0_S7_ifPKiS9_S9_iPKfiiiPfSC_PS2_PT2_iSB_SB_, 595

	.type	__PRETTY_FUNCTION__._Z39paged_attention_ll4mi_QKV_mfma16_kernelIDF16_DF16_LN4vllm18Fp8KVCacheDataTypeE0EDF16_Li32ELi128ELi256ELb1ELi10EEvPKT_PKT0_S7_ifPKiS9_S9_iPKfiiiPfSC_PS2_PT2_iSB_SB_,@object ; @__PRETTY_FUNCTION__._Z39paged_attention_ll4mi_QKV_mfma16_kernelIDF16_DF16_LN4vllm18Fp8KVCacheDataTypeE0EDF16_Li32ELi128ELi256ELb1ELi10EEvPKT_PKT0_S7_ifPKiS9_S9_iPKfiiiPfSC_PS2_PT2_iSB_SB_
__PRETTY_FUNCTION__._Z39paged_attention_ll4mi_QKV_mfma16_kernelIDF16_DF16_LN4vllm18Fp8KVCacheDataTypeE0EDF16_Li32ELi128ELi256ELb1ELi10EEvPKT_PKT0_S7_ifPKiS9_S9_iPKfiiiPfSC_PS2_PT2_iSB_SB_:
	.asciz	"void paged_attention_ll4mi_QKV_mfma16_kernel(const scalar_t *__restrict, const cache_t *__restrict, const cache_t *__restrict, const int, const float, const int *__restrict, const int *__restrict, const int *__restrict, const int, const float *__restrict, const int, const int, const int, float *__restrict, float *__restrict, scalar_t *__restrict, OUTT *__restrict, int, const float *, const float *) [scalar_t = _Float16, cache_t = _Float16, KV_DTYPE = vllm::Fp8KVCacheDataType::kAuto, OUTT = _Float16, BLOCK_SIZE = 32, HEAD_SIZE = 128, NUM_THREADS = 256, ALIBI_ENABLED = true, GQA_RATIO = 10]"
	.size	__PRETTY_FUNCTION__._Z39paged_attention_ll4mi_QKV_mfma16_kernelIDF16_DF16_LN4vllm18Fp8KVCacheDataTypeE0EDF16_Li32ELi128ELi256ELb1ELi10EEvPKT_PKT0_S7_ifPKiS9_S9_iPKfiiiPfSC_PS2_PT2_iSB_SB_, 596

	.type	__PRETTY_FUNCTION__._Z39paged_attention_ll4mi_QKV_mfma16_kernelIDF16_DF16_LN4vllm18Fp8KVCacheDataTypeE0EDF16_Li32ELi128ELi256ELb1ELi11EEvPKT_PKT0_S7_ifPKiS9_S9_iPKfiiiPfSC_PS2_PT2_iSB_SB_,@object ; @__PRETTY_FUNCTION__._Z39paged_attention_ll4mi_QKV_mfma16_kernelIDF16_DF16_LN4vllm18Fp8KVCacheDataTypeE0EDF16_Li32ELi128ELi256ELb1ELi11EEvPKT_PKT0_S7_ifPKiS9_S9_iPKfiiiPfSC_PS2_PT2_iSB_SB_
__PRETTY_FUNCTION__._Z39paged_attention_ll4mi_QKV_mfma16_kernelIDF16_DF16_LN4vllm18Fp8KVCacheDataTypeE0EDF16_Li32ELi128ELi256ELb1ELi11EEvPKT_PKT0_S7_ifPKiS9_S9_iPKfiiiPfSC_PS2_PT2_iSB_SB_:
	.asciz	"void paged_attention_ll4mi_QKV_mfma16_kernel(const scalar_t *__restrict, const cache_t *__restrict, const cache_t *__restrict, const int, const float, const int *__restrict, const int *__restrict, const int *__restrict, const int, const float *__restrict, const int, const int, const int, float *__restrict, float *__restrict, scalar_t *__restrict, OUTT *__restrict, int, const float *, const float *) [scalar_t = _Float16, cache_t = _Float16, KV_DTYPE = vllm::Fp8KVCacheDataType::kAuto, OUTT = _Float16, BLOCK_SIZE = 32, HEAD_SIZE = 128, NUM_THREADS = 256, ALIBI_ENABLED = true, GQA_RATIO = 11]"
	.size	__PRETTY_FUNCTION__._Z39paged_attention_ll4mi_QKV_mfma16_kernelIDF16_DF16_LN4vllm18Fp8KVCacheDataTypeE0EDF16_Li32ELi128ELi256ELb1ELi11EEvPKT_PKT0_S7_ifPKiS9_S9_iPKfiiiPfSC_PS2_PT2_iSB_SB_, 596

	.type	__PRETTY_FUNCTION__._Z39paged_attention_ll4mi_QKV_mfma16_kernelIDF16_DF16_LN4vllm18Fp8KVCacheDataTypeE0EDF16_Li32ELi128ELi256ELb1ELi12EEvPKT_PKT0_S7_ifPKiS9_S9_iPKfiiiPfSC_PS2_PT2_iSB_SB_,@object ; @__PRETTY_FUNCTION__._Z39paged_attention_ll4mi_QKV_mfma16_kernelIDF16_DF16_LN4vllm18Fp8KVCacheDataTypeE0EDF16_Li32ELi128ELi256ELb1ELi12EEvPKT_PKT0_S7_ifPKiS9_S9_iPKfiiiPfSC_PS2_PT2_iSB_SB_
__PRETTY_FUNCTION__._Z39paged_attention_ll4mi_QKV_mfma16_kernelIDF16_DF16_LN4vllm18Fp8KVCacheDataTypeE0EDF16_Li32ELi128ELi256ELb1ELi12EEvPKT_PKT0_S7_ifPKiS9_S9_iPKfiiiPfSC_PS2_PT2_iSB_SB_:
	.asciz	"void paged_attention_ll4mi_QKV_mfma16_kernel(const scalar_t *__restrict, const cache_t *__restrict, const cache_t *__restrict, const int, const float, const int *__restrict, const int *__restrict, const int *__restrict, const int, const float *__restrict, const int, const int, const int, float *__restrict, float *__restrict, scalar_t *__restrict, OUTT *__restrict, int, const float *, const float *) [scalar_t = _Float16, cache_t = _Float16, KV_DTYPE = vllm::Fp8KVCacheDataType::kAuto, OUTT = _Float16, BLOCK_SIZE = 32, HEAD_SIZE = 128, NUM_THREADS = 256, ALIBI_ENABLED = true, GQA_RATIO = 12]"
	.size	__PRETTY_FUNCTION__._Z39paged_attention_ll4mi_QKV_mfma16_kernelIDF16_DF16_LN4vllm18Fp8KVCacheDataTypeE0EDF16_Li32ELi128ELi256ELb1ELi12EEvPKT_PKT0_S7_ifPKiS9_S9_iPKfiiiPfSC_PS2_PT2_iSB_SB_, 596

	.type	__PRETTY_FUNCTION__._Z39paged_attention_ll4mi_QKV_mfma16_kernelIDF16_DF16_LN4vllm18Fp8KVCacheDataTypeE0EDF16_Li32ELi128ELi256ELb1ELi13EEvPKT_PKT0_S7_ifPKiS9_S9_iPKfiiiPfSC_PS2_PT2_iSB_SB_,@object ; @__PRETTY_FUNCTION__._Z39paged_attention_ll4mi_QKV_mfma16_kernelIDF16_DF16_LN4vllm18Fp8KVCacheDataTypeE0EDF16_Li32ELi128ELi256ELb1ELi13EEvPKT_PKT0_S7_ifPKiS9_S9_iPKfiiiPfSC_PS2_PT2_iSB_SB_
__PRETTY_FUNCTION__._Z39paged_attention_ll4mi_QKV_mfma16_kernelIDF16_DF16_LN4vllm18Fp8KVCacheDataTypeE0EDF16_Li32ELi128ELi256ELb1ELi13EEvPKT_PKT0_S7_ifPKiS9_S9_iPKfiiiPfSC_PS2_PT2_iSB_SB_:
	.asciz	"void paged_attention_ll4mi_QKV_mfma16_kernel(const scalar_t *__restrict, const cache_t *__restrict, const cache_t *__restrict, const int, const float, const int *__restrict, const int *__restrict, const int *__restrict, const int, const float *__restrict, const int, const int, const int, float *__restrict, float *__restrict, scalar_t *__restrict, OUTT *__restrict, int, const float *, const float *) [scalar_t = _Float16, cache_t = _Float16, KV_DTYPE = vllm::Fp8KVCacheDataType::kAuto, OUTT = _Float16, BLOCK_SIZE = 32, HEAD_SIZE = 128, NUM_THREADS = 256, ALIBI_ENABLED = true, GQA_RATIO = 13]"
	.size	__PRETTY_FUNCTION__._Z39paged_attention_ll4mi_QKV_mfma16_kernelIDF16_DF16_LN4vllm18Fp8KVCacheDataTypeE0EDF16_Li32ELi128ELi256ELb1ELi13EEvPKT_PKT0_S7_ifPKiS9_S9_iPKfiiiPfSC_PS2_PT2_iSB_SB_, 596

	.type	__PRETTY_FUNCTION__._Z39paged_attention_ll4mi_QKV_mfma16_kernelIDF16_DF16_LN4vllm18Fp8KVCacheDataTypeE0EDF16_Li32ELi128ELi256ELb1ELi14EEvPKT_PKT0_S7_ifPKiS9_S9_iPKfiiiPfSC_PS2_PT2_iSB_SB_,@object ; @__PRETTY_FUNCTION__._Z39paged_attention_ll4mi_QKV_mfma16_kernelIDF16_DF16_LN4vllm18Fp8KVCacheDataTypeE0EDF16_Li32ELi128ELi256ELb1ELi14EEvPKT_PKT0_S7_ifPKiS9_S9_iPKfiiiPfSC_PS2_PT2_iSB_SB_
__PRETTY_FUNCTION__._Z39paged_attention_ll4mi_QKV_mfma16_kernelIDF16_DF16_LN4vllm18Fp8KVCacheDataTypeE0EDF16_Li32ELi128ELi256ELb1ELi14EEvPKT_PKT0_S7_ifPKiS9_S9_iPKfiiiPfSC_PS2_PT2_iSB_SB_:
	.asciz	"void paged_attention_ll4mi_QKV_mfma16_kernel(const scalar_t *__restrict, const cache_t *__restrict, const cache_t *__restrict, const int, const float, const int *__restrict, const int *__restrict, const int *__restrict, const int, const float *__restrict, const int, const int, const int, float *__restrict, float *__restrict, scalar_t *__restrict, OUTT *__restrict, int, const float *, const float *) [scalar_t = _Float16, cache_t = _Float16, KV_DTYPE = vllm::Fp8KVCacheDataType::kAuto, OUTT = _Float16, BLOCK_SIZE = 32, HEAD_SIZE = 128, NUM_THREADS = 256, ALIBI_ENABLED = true, GQA_RATIO = 14]"
	.size	__PRETTY_FUNCTION__._Z39paged_attention_ll4mi_QKV_mfma16_kernelIDF16_DF16_LN4vllm18Fp8KVCacheDataTypeE0EDF16_Li32ELi128ELi256ELb1ELi14EEvPKT_PKT0_S7_ifPKiS9_S9_iPKfiiiPfSC_PS2_PT2_iSB_SB_, 596

	.type	__PRETTY_FUNCTION__._Z39paged_attention_ll4mi_QKV_mfma16_kernelIDF16_DF16_LN4vllm18Fp8KVCacheDataTypeE0EDF16_Li32ELi128ELi256ELb1ELi15EEvPKT_PKT0_S7_ifPKiS9_S9_iPKfiiiPfSC_PS2_PT2_iSB_SB_,@object ; @__PRETTY_FUNCTION__._Z39paged_attention_ll4mi_QKV_mfma16_kernelIDF16_DF16_LN4vllm18Fp8KVCacheDataTypeE0EDF16_Li32ELi128ELi256ELb1ELi15EEvPKT_PKT0_S7_ifPKiS9_S9_iPKfiiiPfSC_PS2_PT2_iSB_SB_
__PRETTY_FUNCTION__._Z39paged_attention_ll4mi_QKV_mfma16_kernelIDF16_DF16_LN4vllm18Fp8KVCacheDataTypeE0EDF16_Li32ELi128ELi256ELb1ELi15EEvPKT_PKT0_S7_ifPKiS9_S9_iPKfiiiPfSC_PS2_PT2_iSB_SB_:
	.asciz	"void paged_attention_ll4mi_QKV_mfma16_kernel(const scalar_t *__restrict, const cache_t *__restrict, const cache_t *__restrict, const int, const float, const int *__restrict, const int *__restrict, const int *__restrict, const int, const float *__restrict, const int, const int, const int, float *__restrict, float *__restrict, scalar_t *__restrict, OUTT *__restrict, int, const float *, const float *) [scalar_t = _Float16, cache_t = _Float16, KV_DTYPE = vllm::Fp8KVCacheDataType::kAuto, OUTT = _Float16, BLOCK_SIZE = 32, HEAD_SIZE = 128, NUM_THREADS = 256, ALIBI_ENABLED = true, GQA_RATIO = 15]"
	.size	__PRETTY_FUNCTION__._Z39paged_attention_ll4mi_QKV_mfma16_kernelIDF16_DF16_LN4vllm18Fp8KVCacheDataTypeE0EDF16_Li32ELi128ELi256ELb1ELi15EEvPKT_PKT0_S7_ifPKiS9_S9_iPKfiiiPfSC_PS2_PT2_iSB_SB_, 596

	.type	__PRETTY_FUNCTION__._Z39paged_attention_ll4mi_QKV_mfma16_kernelIDF16_DF16_LN4vllm18Fp8KVCacheDataTypeE0EDF16_Li32ELi128ELi256ELb1ELi16EEvPKT_PKT0_S7_ifPKiS9_S9_iPKfiiiPfSC_PS2_PT2_iSB_SB_,@object ; @__PRETTY_FUNCTION__._Z39paged_attention_ll4mi_QKV_mfma16_kernelIDF16_DF16_LN4vllm18Fp8KVCacheDataTypeE0EDF16_Li32ELi128ELi256ELb1ELi16EEvPKT_PKT0_S7_ifPKiS9_S9_iPKfiiiPfSC_PS2_PT2_iSB_SB_
__PRETTY_FUNCTION__._Z39paged_attention_ll4mi_QKV_mfma16_kernelIDF16_DF16_LN4vllm18Fp8KVCacheDataTypeE0EDF16_Li32ELi128ELi256ELb1ELi16EEvPKT_PKT0_S7_ifPKiS9_S9_iPKfiiiPfSC_PS2_PT2_iSB_SB_:
	.asciz	"void paged_attention_ll4mi_QKV_mfma16_kernel(const scalar_t *__restrict, const cache_t *__restrict, const cache_t *__restrict, const int, const float, const int *__restrict, const int *__restrict, const int *__restrict, const int, const float *__restrict, const int, const int, const int, float *__restrict, float *__restrict, scalar_t *__restrict, OUTT *__restrict, int, const float *, const float *) [scalar_t = _Float16, cache_t = _Float16, KV_DTYPE = vllm::Fp8KVCacheDataType::kAuto, OUTT = _Float16, BLOCK_SIZE = 32, HEAD_SIZE = 128, NUM_THREADS = 256, ALIBI_ENABLED = true, GQA_RATIO = 16]"
	.size	__PRETTY_FUNCTION__._Z39paged_attention_ll4mi_QKV_mfma16_kernelIDF16_DF16_LN4vllm18Fp8KVCacheDataTypeE0EDF16_Li32ELi128ELi256ELb1ELi16EEvPKT_PKT0_S7_ifPKiS9_S9_iPKfiiiPfSC_PS2_PT2_iSB_SB_, 596

	.type	__PRETTY_FUNCTION__._Z39paged_attention_ll4mi_QKV_mfma16_kernelIDF16_DF16_LN4vllm18Fp8KVCacheDataTypeE0EDF16_Li32ELi128ELi256ELb1ELi1EEvPKT_PKT0_S7_ifPKiS9_S9_iPKfiiiPfSC_PS2_PT2_iSB_SB_,@object ; @__PRETTY_FUNCTION__._Z39paged_attention_ll4mi_QKV_mfma16_kernelIDF16_DF16_LN4vllm18Fp8KVCacheDataTypeE0EDF16_Li32ELi128ELi256ELb1ELi1EEvPKT_PKT0_S7_ifPKiS9_S9_iPKfiiiPfSC_PS2_PT2_iSB_SB_
__PRETTY_FUNCTION__._Z39paged_attention_ll4mi_QKV_mfma16_kernelIDF16_DF16_LN4vllm18Fp8KVCacheDataTypeE0EDF16_Li32ELi128ELi256ELb1ELi1EEvPKT_PKT0_S7_ifPKiS9_S9_iPKfiiiPfSC_PS2_PT2_iSB_SB_:
	.asciz	"void paged_attention_ll4mi_QKV_mfma16_kernel(const scalar_t *__restrict, const cache_t *__restrict, const cache_t *__restrict, const int, const float, const int *__restrict, const int *__restrict, const int *__restrict, const int, const float *__restrict, const int, const int, const int, float *__restrict, float *__restrict, scalar_t *__restrict, OUTT *__restrict, int, const float *, const float *) [scalar_t = _Float16, cache_t = _Float16, KV_DTYPE = vllm::Fp8KVCacheDataType::kAuto, OUTT = _Float16, BLOCK_SIZE = 32, HEAD_SIZE = 128, NUM_THREADS = 256, ALIBI_ENABLED = true, GQA_RATIO = 1]"
	.size	__PRETTY_FUNCTION__._Z39paged_attention_ll4mi_QKV_mfma16_kernelIDF16_DF16_LN4vllm18Fp8KVCacheDataTypeE0EDF16_Li32ELi128ELi256ELb1ELi1EEvPKT_PKT0_S7_ifPKiS9_S9_iPKfiiiPfSC_PS2_PT2_iSB_SB_, 595

	.type	__PRETTY_FUNCTION__._Z39paged_attention_ll4mi_QKV_mfma16_kernelIDF16_DF16_LN4vllm18Fp8KVCacheDataTypeE0EDF16_Li32ELi128ELi256ELb1ELi2EEvPKT_PKT0_S7_ifPKiS9_S9_iPKfiiiPfSC_PS2_PT2_iSB_SB_,@object ; @__PRETTY_FUNCTION__._Z39paged_attention_ll4mi_QKV_mfma16_kernelIDF16_DF16_LN4vllm18Fp8KVCacheDataTypeE0EDF16_Li32ELi128ELi256ELb1ELi2EEvPKT_PKT0_S7_ifPKiS9_S9_iPKfiiiPfSC_PS2_PT2_iSB_SB_
__PRETTY_FUNCTION__._Z39paged_attention_ll4mi_QKV_mfma16_kernelIDF16_DF16_LN4vllm18Fp8KVCacheDataTypeE0EDF16_Li32ELi128ELi256ELb1ELi2EEvPKT_PKT0_S7_ifPKiS9_S9_iPKfiiiPfSC_PS2_PT2_iSB_SB_:
	.asciz	"void paged_attention_ll4mi_QKV_mfma16_kernel(const scalar_t *__restrict, const cache_t *__restrict, const cache_t *__restrict, const int, const float, const int *__restrict, const int *__restrict, const int *__restrict, const int, const float *__restrict, const int, const int, const int, float *__restrict, float *__restrict, scalar_t *__restrict, OUTT *__restrict, int, const float *, const float *) [scalar_t = _Float16, cache_t = _Float16, KV_DTYPE = vllm::Fp8KVCacheDataType::kAuto, OUTT = _Float16, BLOCK_SIZE = 32, HEAD_SIZE = 128, NUM_THREADS = 256, ALIBI_ENABLED = true, GQA_RATIO = 2]"
	.size	__PRETTY_FUNCTION__._Z39paged_attention_ll4mi_QKV_mfma16_kernelIDF16_DF16_LN4vllm18Fp8KVCacheDataTypeE0EDF16_Li32ELi128ELi256ELb1ELi2EEvPKT_PKT0_S7_ifPKiS9_S9_iPKfiiiPfSC_PS2_PT2_iSB_SB_, 595

	.type	__PRETTY_FUNCTION__._Z39paged_attention_ll4mi_QKV_mfma16_kernelIDF16_DF16_LN4vllm18Fp8KVCacheDataTypeE0EDF16_Li32ELi128ELi256ELb1ELi3EEvPKT_PKT0_S7_ifPKiS9_S9_iPKfiiiPfSC_PS2_PT2_iSB_SB_,@object ; @__PRETTY_FUNCTION__._Z39paged_attention_ll4mi_QKV_mfma16_kernelIDF16_DF16_LN4vllm18Fp8KVCacheDataTypeE0EDF16_Li32ELi128ELi256ELb1ELi3EEvPKT_PKT0_S7_ifPKiS9_S9_iPKfiiiPfSC_PS2_PT2_iSB_SB_
__PRETTY_FUNCTION__._Z39paged_attention_ll4mi_QKV_mfma16_kernelIDF16_DF16_LN4vllm18Fp8KVCacheDataTypeE0EDF16_Li32ELi128ELi256ELb1ELi3EEvPKT_PKT0_S7_ifPKiS9_S9_iPKfiiiPfSC_PS2_PT2_iSB_SB_:
	.asciz	"void paged_attention_ll4mi_QKV_mfma16_kernel(const scalar_t *__restrict, const cache_t *__restrict, const cache_t *__restrict, const int, const float, const int *__restrict, const int *__restrict, const int *__restrict, const int, const float *__restrict, const int, const int, const int, float *__restrict, float *__restrict, scalar_t *__restrict, OUTT *__restrict, int, const float *, const float *) [scalar_t = _Float16, cache_t = _Float16, KV_DTYPE = vllm::Fp8KVCacheDataType::kAuto, OUTT = _Float16, BLOCK_SIZE = 32, HEAD_SIZE = 128, NUM_THREADS = 256, ALIBI_ENABLED = true, GQA_RATIO = 3]"
	.size	__PRETTY_FUNCTION__._Z39paged_attention_ll4mi_QKV_mfma16_kernelIDF16_DF16_LN4vllm18Fp8KVCacheDataTypeE0EDF16_Li32ELi128ELi256ELb1ELi3EEvPKT_PKT0_S7_ifPKiS9_S9_iPKfiiiPfSC_PS2_PT2_iSB_SB_, 595

	.type	__PRETTY_FUNCTION__._Z39paged_attention_ll4mi_QKV_mfma16_kernelIDF16_DF16_LN4vllm18Fp8KVCacheDataTypeE0EDF16_Li32ELi128ELi256ELb1ELi4EEvPKT_PKT0_S7_ifPKiS9_S9_iPKfiiiPfSC_PS2_PT2_iSB_SB_,@object ; @__PRETTY_FUNCTION__._Z39paged_attention_ll4mi_QKV_mfma16_kernelIDF16_DF16_LN4vllm18Fp8KVCacheDataTypeE0EDF16_Li32ELi128ELi256ELb1ELi4EEvPKT_PKT0_S7_ifPKiS9_S9_iPKfiiiPfSC_PS2_PT2_iSB_SB_
__PRETTY_FUNCTION__._Z39paged_attention_ll4mi_QKV_mfma16_kernelIDF16_DF16_LN4vllm18Fp8KVCacheDataTypeE0EDF16_Li32ELi128ELi256ELb1ELi4EEvPKT_PKT0_S7_ifPKiS9_S9_iPKfiiiPfSC_PS2_PT2_iSB_SB_:
	.asciz	"void paged_attention_ll4mi_QKV_mfma16_kernel(const scalar_t *__restrict, const cache_t *__restrict, const cache_t *__restrict, const int, const float, const int *__restrict, const int *__restrict, const int *__restrict, const int, const float *__restrict, const int, const int, const int, float *__restrict, float *__restrict, scalar_t *__restrict, OUTT *__restrict, int, const float *, const float *) [scalar_t = _Float16, cache_t = _Float16, KV_DTYPE = vllm::Fp8KVCacheDataType::kAuto, OUTT = _Float16, BLOCK_SIZE = 32, HEAD_SIZE = 128, NUM_THREADS = 256, ALIBI_ENABLED = true, GQA_RATIO = 4]"
	.size	__PRETTY_FUNCTION__._Z39paged_attention_ll4mi_QKV_mfma16_kernelIDF16_DF16_LN4vllm18Fp8KVCacheDataTypeE0EDF16_Li32ELi128ELi256ELb1ELi4EEvPKT_PKT0_S7_ifPKiS9_S9_iPKfiiiPfSC_PS2_PT2_iSB_SB_, 595

	.type	__PRETTY_FUNCTION__._Z38paged_attention_ll4mi_QKV_mfma4_kernelIDF16_DF16_LN4vllm18Fp8KVCacheDataTypeE0EDF16_Li32ELi128ELi256ELb0ELi1EEvPKT_PKT0_S7_ifPKiS9_S9_iPKfiiiPfSC_PS2_PT2_iSB_SB_,@object ; @__PRETTY_FUNCTION__._Z38paged_attention_ll4mi_QKV_mfma4_kernelIDF16_DF16_LN4vllm18Fp8KVCacheDataTypeE0EDF16_Li32ELi128ELi256ELb0ELi1EEvPKT_PKT0_S7_ifPKiS9_S9_iPKfiiiPfSC_PS2_PT2_iSB_SB_
__PRETTY_FUNCTION__._Z38paged_attention_ll4mi_QKV_mfma4_kernelIDF16_DF16_LN4vllm18Fp8KVCacheDataTypeE0EDF16_Li32ELi128ELi256ELb0ELi1EEvPKT_PKT0_S7_ifPKiS9_S9_iPKfiiiPfSC_PS2_PT2_iSB_SB_:
	.asciz	"void paged_attention_ll4mi_QKV_mfma4_kernel(const scalar_t *__restrict, const cache_t *__restrict, const cache_t *__restrict, const int, const float, const int *__restrict, const int *__restrict, const int *__restrict, const int, const float *__restrict, const int, const int, const int, float *__restrict, float *__restrict, scalar_t *__restrict, OUTT *__restrict, int, const float *, const float *) [scalar_t = _Float16, cache_t = _Float16, KV_DTYPE = vllm::Fp8KVCacheDataType::kAuto, OUTT = _Float16, BLOCK_SIZE = 32, HEAD_SIZE = 128, NUM_THREADS = 256, ALIBI_ENABLED = false, GQA_RATIO = 1]"
	.size	__PRETTY_FUNCTION__._Z38paged_attention_ll4mi_QKV_mfma4_kernelIDF16_DF16_LN4vllm18Fp8KVCacheDataTypeE0EDF16_Li32ELi128ELi256ELb0ELi1EEvPKT_PKT0_S7_ifPKiS9_S9_iPKfiiiPfSC_PS2_PT2_iSB_SB_, 595

	.type	__PRETTY_FUNCTION__._Z38paged_attention_ll4mi_QKV_mfma4_kernelIDF16_DF16_LN4vllm18Fp8KVCacheDataTypeE0EDF16_Li32ELi128ELi256ELb0ELi2EEvPKT_PKT0_S7_ifPKiS9_S9_iPKfiiiPfSC_PS2_PT2_iSB_SB_,@object ; @__PRETTY_FUNCTION__._Z38paged_attention_ll4mi_QKV_mfma4_kernelIDF16_DF16_LN4vllm18Fp8KVCacheDataTypeE0EDF16_Li32ELi128ELi256ELb0ELi2EEvPKT_PKT0_S7_ifPKiS9_S9_iPKfiiiPfSC_PS2_PT2_iSB_SB_
__PRETTY_FUNCTION__._Z38paged_attention_ll4mi_QKV_mfma4_kernelIDF16_DF16_LN4vllm18Fp8KVCacheDataTypeE0EDF16_Li32ELi128ELi256ELb0ELi2EEvPKT_PKT0_S7_ifPKiS9_S9_iPKfiiiPfSC_PS2_PT2_iSB_SB_:
	.asciz	"void paged_attention_ll4mi_QKV_mfma4_kernel(const scalar_t *__restrict, const cache_t *__restrict, const cache_t *__restrict, const int, const float, const int *__restrict, const int *__restrict, const int *__restrict, const int, const float *__restrict, const int, const int, const int, float *__restrict, float *__restrict, scalar_t *__restrict, OUTT *__restrict, int, const float *, const float *) [scalar_t = _Float16, cache_t = _Float16, KV_DTYPE = vllm::Fp8KVCacheDataType::kAuto, OUTT = _Float16, BLOCK_SIZE = 32, HEAD_SIZE = 128, NUM_THREADS = 256, ALIBI_ENABLED = false, GQA_RATIO = 2]"
	.size	__PRETTY_FUNCTION__._Z38paged_attention_ll4mi_QKV_mfma4_kernelIDF16_DF16_LN4vllm18Fp8KVCacheDataTypeE0EDF16_Li32ELi128ELi256ELb0ELi2EEvPKT_PKT0_S7_ifPKiS9_S9_iPKfiiiPfSC_PS2_PT2_iSB_SB_, 595

	.type	__PRETTY_FUNCTION__._Z38paged_attention_ll4mi_QKV_mfma4_kernelIDF16_DF16_LN4vllm18Fp8KVCacheDataTypeE0EDF16_Li32ELi128ELi256ELb0ELi3EEvPKT_PKT0_S7_ifPKiS9_S9_iPKfiiiPfSC_PS2_PT2_iSB_SB_,@object ; @__PRETTY_FUNCTION__._Z38paged_attention_ll4mi_QKV_mfma4_kernelIDF16_DF16_LN4vllm18Fp8KVCacheDataTypeE0EDF16_Li32ELi128ELi256ELb0ELi3EEvPKT_PKT0_S7_ifPKiS9_S9_iPKfiiiPfSC_PS2_PT2_iSB_SB_
__PRETTY_FUNCTION__._Z38paged_attention_ll4mi_QKV_mfma4_kernelIDF16_DF16_LN4vllm18Fp8KVCacheDataTypeE0EDF16_Li32ELi128ELi256ELb0ELi3EEvPKT_PKT0_S7_ifPKiS9_S9_iPKfiiiPfSC_PS2_PT2_iSB_SB_:
	.asciz	"void paged_attention_ll4mi_QKV_mfma4_kernel(const scalar_t *__restrict, const cache_t *__restrict, const cache_t *__restrict, const int, const float, const int *__restrict, const int *__restrict, const int *__restrict, const int, const float *__restrict, const int, const int, const int, float *__restrict, float *__restrict, scalar_t *__restrict, OUTT *__restrict, int, const float *, const float *) [scalar_t = _Float16, cache_t = _Float16, KV_DTYPE = vllm::Fp8KVCacheDataType::kAuto, OUTT = _Float16, BLOCK_SIZE = 32, HEAD_SIZE = 128, NUM_THREADS = 256, ALIBI_ENABLED = false, GQA_RATIO = 3]"
	.size	__PRETTY_FUNCTION__._Z38paged_attention_ll4mi_QKV_mfma4_kernelIDF16_DF16_LN4vllm18Fp8KVCacheDataTypeE0EDF16_Li32ELi128ELi256ELb0ELi3EEvPKT_PKT0_S7_ifPKiS9_S9_iPKfiiiPfSC_PS2_PT2_iSB_SB_, 595

	.type	__PRETTY_FUNCTION__._Z38paged_attention_ll4mi_QKV_mfma4_kernelIDF16_DF16_LN4vllm18Fp8KVCacheDataTypeE0EDF16_Li32ELi128ELi256ELb0ELi4EEvPKT_PKT0_S7_ifPKiS9_S9_iPKfiiiPfSC_PS2_PT2_iSB_SB_,@object ; @__PRETTY_FUNCTION__._Z38paged_attention_ll4mi_QKV_mfma4_kernelIDF16_DF16_LN4vllm18Fp8KVCacheDataTypeE0EDF16_Li32ELi128ELi256ELb0ELi4EEvPKT_PKT0_S7_ifPKiS9_S9_iPKfiiiPfSC_PS2_PT2_iSB_SB_
__PRETTY_FUNCTION__._Z38paged_attention_ll4mi_QKV_mfma4_kernelIDF16_DF16_LN4vllm18Fp8KVCacheDataTypeE0EDF16_Li32ELi128ELi256ELb0ELi4EEvPKT_PKT0_S7_ifPKiS9_S9_iPKfiiiPfSC_PS2_PT2_iSB_SB_:
	.asciz	"void paged_attention_ll4mi_QKV_mfma4_kernel(const scalar_t *__restrict, const cache_t *__restrict, const cache_t *__restrict, const int, const float, const int *__restrict, const int *__restrict, const int *__restrict, const int, const float *__restrict, const int, const int, const int, float *__restrict, float *__restrict, scalar_t *__restrict, OUTT *__restrict, int, const float *, const float *) [scalar_t = _Float16, cache_t = _Float16, KV_DTYPE = vllm::Fp8KVCacheDataType::kAuto, OUTT = _Float16, BLOCK_SIZE = 32, HEAD_SIZE = 128, NUM_THREADS = 256, ALIBI_ENABLED = false, GQA_RATIO = 4]"
	.size	__PRETTY_FUNCTION__._Z38paged_attention_ll4mi_QKV_mfma4_kernelIDF16_DF16_LN4vllm18Fp8KVCacheDataTypeE0EDF16_Li32ELi128ELi256ELb0ELi4EEvPKT_PKT0_S7_ifPKiS9_S9_iPKfiiiPfSC_PS2_PT2_iSB_SB_, 595

	.type	__PRETTY_FUNCTION__._Z39paged_attention_ll4mi_QKV_mfma16_kernelIDF16_DF16_LN4vllm18Fp8KVCacheDataTypeE0EDF16_Li32ELi128ELi256ELb0ELi5EEvPKT_PKT0_S7_ifPKiS9_S9_iPKfiiiPfSC_PS2_PT2_iSB_SB_,@object ; @__PRETTY_FUNCTION__._Z39paged_attention_ll4mi_QKV_mfma16_kernelIDF16_DF16_LN4vllm18Fp8KVCacheDataTypeE0EDF16_Li32ELi128ELi256ELb0ELi5EEvPKT_PKT0_S7_ifPKiS9_S9_iPKfiiiPfSC_PS2_PT2_iSB_SB_
__PRETTY_FUNCTION__._Z39paged_attention_ll4mi_QKV_mfma16_kernelIDF16_DF16_LN4vllm18Fp8KVCacheDataTypeE0EDF16_Li32ELi128ELi256ELb0ELi5EEvPKT_PKT0_S7_ifPKiS9_S9_iPKfiiiPfSC_PS2_PT2_iSB_SB_:
	.asciz	"void paged_attention_ll4mi_QKV_mfma16_kernel(const scalar_t *__restrict, const cache_t *__restrict, const cache_t *__restrict, const int, const float, const int *__restrict, const int *__restrict, const int *__restrict, const int, const float *__restrict, const int, const int, const int, float *__restrict, float *__restrict, scalar_t *__restrict, OUTT *__restrict, int, const float *, const float *) [scalar_t = _Float16, cache_t = _Float16, KV_DTYPE = vllm::Fp8KVCacheDataType::kAuto, OUTT = _Float16, BLOCK_SIZE = 32, HEAD_SIZE = 128, NUM_THREADS = 256, ALIBI_ENABLED = false, GQA_RATIO = 5]"
	.size	__PRETTY_FUNCTION__._Z39paged_attention_ll4mi_QKV_mfma16_kernelIDF16_DF16_LN4vllm18Fp8KVCacheDataTypeE0EDF16_Li32ELi128ELi256ELb0ELi5EEvPKT_PKT0_S7_ifPKiS9_S9_iPKfiiiPfSC_PS2_PT2_iSB_SB_, 596

	.type	__PRETTY_FUNCTION__._Z39paged_attention_ll4mi_QKV_mfma16_kernelIDF16_DF16_LN4vllm18Fp8KVCacheDataTypeE0EDF16_Li32ELi128ELi256ELb0ELi6EEvPKT_PKT0_S7_ifPKiS9_S9_iPKfiiiPfSC_PS2_PT2_iSB_SB_,@object ; @__PRETTY_FUNCTION__._Z39paged_attention_ll4mi_QKV_mfma16_kernelIDF16_DF16_LN4vllm18Fp8KVCacheDataTypeE0EDF16_Li32ELi128ELi256ELb0ELi6EEvPKT_PKT0_S7_ifPKiS9_S9_iPKfiiiPfSC_PS2_PT2_iSB_SB_
__PRETTY_FUNCTION__._Z39paged_attention_ll4mi_QKV_mfma16_kernelIDF16_DF16_LN4vllm18Fp8KVCacheDataTypeE0EDF16_Li32ELi128ELi256ELb0ELi6EEvPKT_PKT0_S7_ifPKiS9_S9_iPKfiiiPfSC_PS2_PT2_iSB_SB_:
	.asciz	"void paged_attention_ll4mi_QKV_mfma16_kernel(const scalar_t *__restrict, const cache_t *__restrict, const cache_t *__restrict, const int, const float, const int *__restrict, const int *__restrict, const int *__restrict, const int, const float *__restrict, const int, const int, const int, float *__restrict, float *__restrict, scalar_t *__restrict, OUTT *__restrict, int, const float *, const float *) [scalar_t = _Float16, cache_t = _Float16, KV_DTYPE = vllm::Fp8KVCacheDataType::kAuto, OUTT = _Float16, BLOCK_SIZE = 32, HEAD_SIZE = 128, NUM_THREADS = 256, ALIBI_ENABLED = false, GQA_RATIO = 6]"
	.size	__PRETTY_FUNCTION__._Z39paged_attention_ll4mi_QKV_mfma16_kernelIDF16_DF16_LN4vllm18Fp8KVCacheDataTypeE0EDF16_Li32ELi128ELi256ELb0ELi6EEvPKT_PKT0_S7_ifPKiS9_S9_iPKfiiiPfSC_PS2_PT2_iSB_SB_, 596

	.type	__PRETTY_FUNCTION__._Z39paged_attention_ll4mi_QKV_mfma16_kernelIDF16_DF16_LN4vllm18Fp8KVCacheDataTypeE0EDF16_Li32ELi128ELi256ELb0ELi7EEvPKT_PKT0_S7_ifPKiS9_S9_iPKfiiiPfSC_PS2_PT2_iSB_SB_,@object ; @__PRETTY_FUNCTION__._Z39paged_attention_ll4mi_QKV_mfma16_kernelIDF16_DF16_LN4vllm18Fp8KVCacheDataTypeE0EDF16_Li32ELi128ELi256ELb0ELi7EEvPKT_PKT0_S7_ifPKiS9_S9_iPKfiiiPfSC_PS2_PT2_iSB_SB_
__PRETTY_FUNCTION__._Z39paged_attention_ll4mi_QKV_mfma16_kernelIDF16_DF16_LN4vllm18Fp8KVCacheDataTypeE0EDF16_Li32ELi128ELi256ELb0ELi7EEvPKT_PKT0_S7_ifPKiS9_S9_iPKfiiiPfSC_PS2_PT2_iSB_SB_:
	.asciz	"void paged_attention_ll4mi_QKV_mfma16_kernel(const scalar_t *__restrict, const cache_t *__restrict, const cache_t *__restrict, const int, const float, const int *__restrict, const int *__restrict, const int *__restrict, const int, const float *__restrict, const int, const int, const int, float *__restrict, float *__restrict, scalar_t *__restrict, OUTT *__restrict, int, const float *, const float *) [scalar_t = _Float16, cache_t = _Float16, KV_DTYPE = vllm::Fp8KVCacheDataType::kAuto, OUTT = _Float16, BLOCK_SIZE = 32, HEAD_SIZE = 128, NUM_THREADS = 256, ALIBI_ENABLED = false, GQA_RATIO = 7]"
	.size	__PRETTY_FUNCTION__._Z39paged_attention_ll4mi_QKV_mfma16_kernelIDF16_DF16_LN4vllm18Fp8KVCacheDataTypeE0EDF16_Li32ELi128ELi256ELb0ELi7EEvPKT_PKT0_S7_ifPKiS9_S9_iPKfiiiPfSC_PS2_PT2_iSB_SB_, 596

	.type	__PRETTY_FUNCTION__._Z39paged_attention_ll4mi_QKV_mfma16_kernelIDF16_DF16_LN4vllm18Fp8KVCacheDataTypeE0EDF16_Li32ELi128ELi256ELb0ELi8EEvPKT_PKT0_S7_ifPKiS9_S9_iPKfiiiPfSC_PS2_PT2_iSB_SB_,@object ; @__PRETTY_FUNCTION__._Z39paged_attention_ll4mi_QKV_mfma16_kernelIDF16_DF16_LN4vllm18Fp8KVCacheDataTypeE0EDF16_Li32ELi128ELi256ELb0ELi8EEvPKT_PKT0_S7_ifPKiS9_S9_iPKfiiiPfSC_PS2_PT2_iSB_SB_
__PRETTY_FUNCTION__._Z39paged_attention_ll4mi_QKV_mfma16_kernelIDF16_DF16_LN4vllm18Fp8KVCacheDataTypeE0EDF16_Li32ELi128ELi256ELb0ELi8EEvPKT_PKT0_S7_ifPKiS9_S9_iPKfiiiPfSC_PS2_PT2_iSB_SB_:
	.asciz	"void paged_attention_ll4mi_QKV_mfma16_kernel(const scalar_t *__restrict, const cache_t *__restrict, const cache_t *__restrict, const int, const float, const int *__restrict, const int *__restrict, const int *__restrict, const int, const float *__restrict, const int, const int, const int, float *__restrict, float *__restrict, scalar_t *__restrict, OUTT *__restrict, int, const float *, const float *) [scalar_t = _Float16, cache_t = _Float16, KV_DTYPE = vllm::Fp8KVCacheDataType::kAuto, OUTT = _Float16, BLOCK_SIZE = 32, HEAD_SIZE = 128, NUM_THREADS = 256, ALIBI_ENABLED = false, GQA_RATIO = 8]"
	.size	__PRETTY_FUNCTION__._Z39paged_attention_ll4mi_QKV_mfma16_kernelIDF16_DF16_LN4vllm18Fp8KVCacheDataTypeE0EDF16_Li32ELi128ELi256ELb0ELi8EEvPKT_PKT0_S7_ifPKiS9_S9_iPKfiiiPfSC_PS2_PT2_iSB_SB_, 596

	.type	__PRETTY_FUNCTION__._Z39paged_attention_ll4mi_QKV_mfma16_kernelIDF16_DF16_LN4vllm18Fp8KVCacheDataTypeE0EDF16_Li32ELi128ELi256ELb0ELi9EEvPKT_PKT0_S7_ifPKiS9_S9_iPKfiiiPfSC_PS2_PT2_iSB_SB_,@object ; @__PRETTY_FUNCTION__._Z39paged_attention_ll4mi_QKV_mfma16_kernelIDF16_DF16_LN4vllm18Fp8KVCacheDataTypeE0EDF16_Li32ELi128ELi256ELb0ELi9EEvPKT_PKT0_S7_ifPKiS9_S9_iPKfiiiPfSC_PS2_PT2_iSB_SB_
__PRETTY_FUNCTION__._Z39paged_attention_ll4mi_QKV_mfma16_kernelIDF16_DF16_LN4vllm18Fp8KVCacheDataTypeE0EDF16_Li32ELi128ELi256ELb0ELi9EEvPKT_PKT0_S7_ifPKiS9_S9_iPKfiiiPfSC_PS2_PT2_iSB_SB_:
	.asciz	"void paged_attention_ll4mi_QKV_mfma16_kernel(const scalar_t *__restrict, const cache_t *__restrict, const cache_t *__restrict, const int, const float, const int *__restrict, const int *__restrict, const int *__restrict, const int, const float *__restrict, const int, const int, const int, float *__restrict, float *__restrict, scalar_t *__restrict, OUTT *__restrict, int, const float *, const float *) [scalar_t = _Float16, cache_t = _Float16, KV_DTYPE = vllm::Fp8KVCacheDataType::kAuto, OUTT = _Float16, BLOCK_SIZE = 32, HEAD_SIZE = 128, NUM_THREADS = 256, ALIBI_ENABLED = false, GQA_RATIO = 9]"
	.size	__PRETTY_FUNCTION__._Z39paged_attention_ll4mi_QKV_mfma16_kernelIDF16_DF16_LN4vllm18Fp8KVCacheDataTypeE0EDF16_Li32ELi128ELi256ELb0ELi9EEvPKT_PKT0_S7_ifPKiS9_S9_iPKfiiiPfSC_PS2_PT2_iSB_SB_, 596

	.type	__PRETTY_FUNCTION__._Z39paged_attention_ll4mi_QKV_mfma16_kernelIDF16_DF16_LN4vllm18Fp8KVCacheDataTypeE0EDF16_Li32ELi128ELi256ELb0ELi10EEvPKT_PKT0_S7_ifPKiS9_S9_iPKfiiiPfSC_PS2_PT2_iSB_SB_,@object ; @__PRETTY_FUNCTION__._Z39paged_attention_ll4mi_QKV_mfma16_kernelIDF16_DF16_LN4vllm18Fp8KVCacheDataTypeE0EDF16_Li32ELi128ELi256ELb0ELi10EEvPKT_PKT0_S7_ifPKiS9_S9_iPKfiiiPfSC_PS2_PT2_iSB_SB_
__PRETTY_FUNCTION__._Z39paged_attention_ll4mi_QKV_mfma16_kernelIDF16_DF16_LN4vllm18Fp8KVCacheDataTypeE0EDF16_Li32ELi128ELi256ELb0ELi10EEvPKT_PKT0_S7_ifPKiS9_S9_iPKfiiiPfSC_PS2_PT2_iSB_SB_:
	.asciz	"void paged_attention_ll4mi_QKV_mfma16_kernel(const scalar_t *__restrict, const cache_t *__restrict, const cache_t *__restrict, const int, const float, const int *__restrict, const int *__restrict, const int *__restrict, const int, const float *__restrict, const int, const int, const int, float *__restrict, float *__restrict, scalar_t *__restrict, OUTT *__restrict, int, const float *, const float *) [scalar_t = _Float16, cache_t = _Float16, KV_DTYPE = vllm::Fp8KVCacheDataType::kAuto, OUTT = _Float16, BLOCK_SIZE = 32, HEAD_SIZE = 128, NUM_THREADS = 256, ALIBI_ENABLED = false, GQA_RATIO = 10]"
	.size	__PRETTY_FUNCTION__._Z39paged_attention_ll4mi_QKV_mfma16_kernelIDF16_DF16_LN4vllm18Fp8KVCacheDataTypeE0EDF16_Li32ELi128ELi256ELb0ELi10EEvPKT_PKT0_S7_ifPKiS9_S9_iPKfiiiPfSC_PS2_PT2_iSB_SB_, 597

	.type	__PRETTY_FUNCTION__._Z39paged_attention_ll4mi_QKV_mfma16_kernelIDF16_DF16_LN4vllm18Fp8KVCacheDataTypeE0EDF16_Li32ELi128ELi256ELb0ELi11EEvPKT_PKT0_S7_ifPKiS9_S9_iPKfiiiPfSC_PS2_PT2_iSB_SB_,@object ; @__PRETTY_FUNCTION__._Z39paged_attention_ll4mi_QKV_mfma16_kernelIDF16_DF16_LN4vllm18Fp8KVCacheDataTypeE0EDF16_Li32ELi128ELi256ELb0ELi11EEvPKT_PKT0_S7_ifPKiS9_S9_iPKfiiiPfSC_PS2_PT2_iSB_SB_
__PRETTY_FUNCTION__._Z39paged_attention_ll4mi_QKV_mfma16_kernelIDF16_DF16_LN4vllm18Fp8KVCacheDataTypeE0EDF16_Li32ELi128ELi256ELb0ELi11EEvPKT_PKT0_S7_ifPKiS9_S9_iPKfiiiPfSC_PS2_PT2_iSB_SB_:
	.asciz	"void paged_attention_ll4mi_QKV_mfma16_kernel(const scalar_t *__restrict, const cache_t *__restrict, const cache_t *__restrict, const int, const float, const int *__restrict, const int *__restrict, const int *__restrict, const int, const float *__restrict, const int, const int, const int, float *__restrict, float *__restrict, scalar_t *__restrict, OUTT *__restrict, int, const float *, const float *) [scalar_t = _Float16, cache_t = _Float16, KV_DTYPE = vllm::Fp8KVCacheDataType::kAuto, OUTT = _Float16, BLOCK_SIZE = 32, HEAD_SIZE = 128, NUM_THREADS = 256, ALIBI_ENABLED = false, GQA_RATIO = 11]"
	.size	__PRETTY_FUNCTION__._Z39paged_attention_ll4mi_QKV_mfma16_kernelIDF16_DF16_LN4vllm18Fp8KVCacheDataTypeE0EDF16_Li32ELi128ELi256ELb0ELi11EEvPKT_PKT0_S7_ifPKiS9_S9_iPKfiiiPfSC_PS2_PT2_iSB_SB_, 597

	.type	__PRETTY_FUNCTION__._Z39paged_attention_ll4mi_QKV_mfma16_kernelIDF16_DF16_LN4vllm18Fp8KVCacheDataTypeE0EDF16_Li32ELi128ELi256ELb0ELi12EEvPKT_PKT0_S7_ifPKiS9_S9_iPKfiiiPfSC_PS2_PT2_iSB_SB_,@object ; @__PRETTY_FUNCTION__._Z39paged_attention_ll4mi_QKV_mfma16_kernelIDF16_DF16_LN4vllm18Fp8KVCacheDataTypeE0EDF16_Li32ELi128ELi256ELb0ELi12EEvPKT_PKT0_S7_ifPKiS9_S9_iPKfiiiPfSC_PS2_PT2_iSB_SB_
__PRETTY_FUNCTION__._Z39paged_attention_ll4mi_QKV_mfma16_kernelIDF16_DF16_LN4vllm18Fp8KVCacheDataTypeE0EDF16_Li32ELi128ELi256ELb0ELi12EEvPKT_PKT0_S7_ifPKiS9_S9_iPKfiiiPfSC_PS2_PT2_iSB_SB_:
	.asciz	"void paged_attention_ll4mi_QKV_mfma16_kernel(const scalar_t *__restrict, const cache_t *__restrict, const cache_t *__restrict, const int, const float, const int *__restrict, const int *__restrict, const int *__restrict, const int, const float *__restrict, const int, const int, const int, float *__restrict, float *__restrict, scalar_t *__restrict, OUTT *__restrict, int, const float *, const float *) [scalar_t = _Float16, cache_t = _Float16, KV_DTYPE = vllm::Fp8KVCacheDataType::kAuto, OUTT = _Float16, BLOCK_SIZE = 32, HEAD_SIZE = 128, NUM_THREADS = 256, ALIBI_ENABLED = false, GQA_RATIO = 12]"
	.size	__PRETTY_FUNCTION__._Z39paged_attention_ll4mi_QKV_mfma16_kernelIDF16_DF16_LN4vllm18Fp8KVCacheDataTypeE0EDF16_Li32ELi128ELi256ELb0ELi12EEvPKT_PKT0_S7_ifPKiS9_S9_iPKfiiiPfSC_PS2_PT2_iSB_SB_, 597

	.type	__PRETTY_FUNCTION__._Z39paged_attention_ll4mi_QKV_mfma16_kernelIDF16_DF16_LN4vllm18Fp8KVCacheDataTypeE0EDF16_Li32ELi128ELi256ELb0ELi13EEvPKT_PKT0_S7_ifPKiS9_S9_iPKfiiiPfSC_PS2_PT2_iSB_SB_,@object ; @__PRETTY_FUNCTION__._Z39paged_attention_ll4mi_QKV_mfma16_kernelIDF16_DF16_LN4vllm18Fp8KVCacheDataTypeE0EDF16_Li32ELi128ELi256ELb0ELi13EEvPKT_PKT0_S7_ifPKiS9_S9_iPKfiiiPfSC_PS2_PT2_iSB_SB_
__PRETTY_FUNCTION__._Z39paged_attention_ll4mi_QKV_mfma16_kernelIDF16_DF16_LN4vllm18Fp8KVCacheDataTypeE0EDF16_Li32ELi128ELi256ELb0ELi13EEvPKT_PKT0_S7_ifPKiS9_S9_iPKfiiiPfSC_PS2_PT2_iSB_SB_:
	.asciz	"void paged_attention_ll4mi_QKV_mfma16_kernel(const scalar_t *__restrict, const cache_t *__restrict, const cache_t *__restrict, const int, const float, const int *__restrict, const int *__restrict, const int *__restrict, const int, const float *__restrict, const int, const int, const int, float *__restrict, float *__restrict, scalar_t *__restrict, OUTT *__restrict, int, const float *, const float *) [scalar_t = _Float16, cache_t = _Float16, KV_DTYPE = vllm::Fp8KVCacheDataType::kAuto, OUTT = _Float16, BLOCK_SIZE = 32, HEAD_SIZE = 128, NUM_THREADS = 256, ALIBI_ENABLED = false, GQA_RATIO = 13]"
	.size	__PRETTY_FUNCTION__._Z39paged_attention_ll4mi_QKV_mfma16_kernelIDF16_DF16_LN4vllm18Fp8KVCacheDataTypeE0EDF16_Li32ELi128ELi256ELb0ELi13EEvPKT_PKT0_S7_ifPKiS9_S9_iPKfiiiPfSC_PS2_PT2_iSB_SB_, 597

	.type	__PRETTY_FUNCTION__._Z39paged_attention_ll4mi_QKV_mfma16_kernelIDF16_DF16_LN4vllm18Fp8KVCacheDataTypeE0EDF16_Li32ELi128ELi256ELb0ELi14EEvPKT_PKT0_S7_ifPKiS9_S9_iPKfiiiPfSC_PS2_PT2_iSB_SB_,@object ; @__PRETTY_FUNCTION__._Z39paged_attention_ll4mi_QKV_mfma16_kernelIDF16_DF16_LN4vllm18Fp8KVCacheDataTypeE0EDF16_Li32ELi128ELi256ELb0ELi14EEvPKT_PKT0_S7_ifPKiS9_S9_iPKfiiiPfSC_PS2_PT2_iSB_SB_
__PRETTY_FUNCTION__._Z39paged_attention_ll4mi_QKV_mfma16_kernelIDF16_DF16_LN4vllm18Fp8KVCacheDataTypeE0EDF16_Li32ELi128ELi256ELb0ELi14EEvPKT_PKT0_S7_ifPKiS9_S9_iPKfiiiPfSC_PS2_PT2_iSB_SB_:
	.asciz	"void paged_attention_ll4mi_QKV_mfma16_kernel(const scalar_t *__restrict, const cache_t *__restrict, const cache_t *__restrict, const int, const float, const int *__restrict, const int *__restrict, const int *__restrict, const int, const float *__restrict, const int, const int, const int, float *__restrict, float *__restrict, scalar_t *__restrict, OUTT *__restrict, int, const float *, const float *) [scalar_t = _Float16, cache_t = _Float16, KV_DTYPE = vllm::Fp8KVCacheDataType::kAuto, OUTT = _Float16, BLOCK_SIZE = 32, HEAD_SIZE = 128, NUM_THREADS = 256, ALIBI_ENABLED = false, GQA_RATIO = 14]"
	.size	__PRETTY_FUNCTION__._Z39paged_attention_ll4mi_QKV_mfma16_kernelIDF16_DF16_LN4vllm18Fp8KVCacheDataTypeE0EDF16_Li32ELi128ELi256ELb0ELi14EEvPKT_PKT0_S7_ifPKiS9_S9_iPKfiiiPfSC_PS2_PT2_iSB_SB_, 597

	.type	__PRETTY_FUNCTION__._Z39paged_attention_ll4mi_QKV_mfma16_kernelIDF16_DF16_LN4vllm18Fp8KVCacheDataTypeE0EDF16_Li32ELi128ELi256ELb0ELi15EEvPKT_PKT0_S7_ifPKiS9_S9_iPKfiiiPfSC_PS2_PT2_iSB_SB_,@object ; @__PRETTY_FUNCTION__._Z39paged_attention_ll4mi_QKV_mfma16_kernelIDF16_DF16_LN4vllm18Fp8KVCacheDataTypeE0EDF16_Li32ELi128ELi256ELb0ELi15EEvPKT_PKT0_S7_ifPKiS9_S9_iPKfiiiPfSC_PS2_PT2_iSB_SB_
__PRETTY_FUNCTION__._Z39paged_attention_ll4mi_QKV_mfma16_kernelIDF16_DF16_LN4vllm18Fp8KVCacheDataTypeE0EDF16_Li32ELi128ELi256ELb0ELi15EEvPKT_PKT0_S7_ifPKiS9_S9_iPKfiiiPfSC_PS2_PT2_iSB_SB_:
	.asciz	"void paged_attention_ll4mi_QKV_mfma16_kernel(const scalar_t *__restrict, const cache_t *__restrict, const cache_t *__restrict, const int, const float, const int *__restrict, const int *__restrict, const int *__restrict, const int, const float *__restrict, const int, const int, const int, float *__restrict, float *__restrict, scalar_t *__restrict, OUTT *__restrict, int, const float *, const float *) [scalar_t = _Float16, cache_t = _Float16, KV_DTYPE = vllm::Fp8KVCacheDataType::kAuto, OUTT = _Float16, BLOCK_SIZE = 32, HEAD_SIZE = 128, NUM_THREADS = 256, ALIBI_ENABLED = false, GQA_RATIO = 15]"
	.size	__PRETTY_FUNCTION__._Z39paged_attention_ll4mi_QKV_mfma16_kernelIDF16_DF16_LN4vllm18Fp8KVCacheDataTypeE0EDF16_Li32ELi128ELi256ELb0ELi15EEvPKT_PKT0_S7_ifPKiS9_S9_iPKfiiiPfSC_PS2_PT2_iSB_SB_, 597

	.type	__PRETTY_FUNCTION__._Z39paged_attention_ll4mi_QKV_mfma16_kernelIDF16_DF16_LN4vllm18Fp8KVCacheDataTypeE0EDF16_Li32ELi128ELi256ELb0ELi16EEvPKT_PKT0_S7_ifPKiS9_S9_iPKfiiiPfSC_PS2_PT2_iSB_SB_,@object ; @__PRETTY_FUNCTION__._Z39paged_attention_ll4mi_QKV_mfma16_kernelIDF16_DF16_LN4vllm18Fp8KVCacheDataTypeE0EDF16_Li32ELi128ELi256ELb0ELi16EEvPKT_PKT0_S7_ifPKiS9_S9_iPKfiiiPfSC_PS2_PT2_iSB_SB_
__PRETTY_FUNCTION__._Z39paged_attention_ll4mi_QKV_mfma16_kernelIDF16_DF16_LN4vllm18Fp8KVCacheDataTypeE0EDF16_Li32ELi128ELi256ELb0ELi16EEvPKT_PKT0_S7_ifPKiS9_S9_iPKfiiiPfSC_PS2_PT2_iSB_SB_:
	.asciz	"void paged_attention_ll4mi_QKV_mfma16_kernel(const scalar_t *__restrict, const cache_t *__restrict, const cache_t *__restrict, const int, const float, const int *__restrict, const int *__restrict, const int *__restrict, const int, const float *__restrict, const int, const int, const int, float *__restrict, float *__restrict, scalar_t *__restrict, OUTT *__restrict, int, const float *, const float *) [scalar_t = _Float16, cache_t = _Float16, KV_DTYPE = vllm::Fp8KVCacheDataType::kAuto, OUTT = _Float16, BLOCK_SIZE = 32, HEAD_SIZE = 128, NUM_THREADS = 256, ALIBI_ENABLED = false, GQA_RATIO = 16]"
	.size	__PRETTY_FUNCTION__._Z39paged_attention_ll4mi_QKV_mfma16_kernelIDF16_DF16_LN4vllm18Fp8KVCacheDataTypeE0EDF16_Li32ELi128ELi256ELb0ELi16EEvPKT_PKT0_S7_ifPKiS9_S9_iPKfiiiPfSC_PS2_PT2_iSB_SB_, 597

	.type	__PRETTY_FUNCTION__._Z39paged_attention_ll4mi_QKV_mfma16_kernelIDF16_DF16_LN4vllm18Fp8KVCacheDataTypeE0EDF16_Li32ELi128ELi256ELb0ELi1EEvPKT_PKT0_S7_ifPKiS9_S9_iPKfiiiPfSC_PS2_PT2_iSB_SB_,@object ; @__PRETTY_FUNCTION__._Z39paged_attention_ll4mi_QKV_mfma16_kernelIDF16_DF16_LN4vllm18Fp8KVCacheDataTypeE0EDF16_Li32ELi128ELi256ELb0ELi1EEvPKT_PKT0_S7_ifPKiS9_S9_iPKfiiiPfSC_PS2_PT2_iSB_SB_
__PRETTY_FUNCTION__._Z39paged_attention_ll4mi_QKV_mfma16_kernelIDF16_DF16_LN4vllm18Fp8KVCacheDataTypeE0EDF16_Li32ELi128ELi256ELb0ELi1EEvPKT_PKT0_S7_ifPKiS9_S9_iPKfiiiPfSC_PS2_PT2_iSB_SB_:
	.asciz	"void paged_attention_ll4mi_QKV_mfma16_kernel(const scalar_t *__restrict, const cache_t *__restrict, const cache_t *__restrict, const int, const float, const int *__restrict, const int *__restrict, const int *__restrict, const int, const float *__restrict, const int, const int, const int, float *__restrict, float *__restrict, scalar_t *__restrict, OUTT *__restrict, int, const float *, const float *) [scalar_t = _Float16, cache_t = _Float16, KV_DTYPE = vllm::Fp8KVCacheDataType::kAuto, OUTT = _Float16, BLOCK_SIZE = 32, HEAD_SIZE = 128, NUM_THREADS = 256, ALIBI_ENABLED = false, GQA_RATIO = 1]"
	.size	__PRETTY_FUNCTION__._Z39paged_attention_ll4mi_QKV_mfma16_kernelIDF16_DF16_LN4vllm18Fp8KVCacheDataTypeE0EDF16_Li32ELi128ELi256ELb0ELi1EEvPKT_PKT0_S7_ifPKiS9_S9_iPKfiiiPfSC_PS2_PT2_iSB_SB_, 596

	.type	__PRETTY_FUNCTION__._Z39paged_attention_ll4mi_QKV_mfma16_kernelIDF16_DF16_LN4vllm18Fp8KVCacheDataTypeE0EDF16_Li32ELi128ELi256ELb0ELi2EEvPKT_PKT0_S7_ifPKiS9_S9_iPKfiiiPfSC_PS2_PT2_iSB_SB_,@object ; @__PRETTY_FUNCTION__._Z39paged_attention_ll4mi_QKV_mfma16_kernelIDF16_DF16_LN4vllm18Fp8KVCacheDataTypeE0EDF16_Li32ELi128ELi256ELb0ELi2EEvPKT_PKT0_S7_ifPKiS9_S9_iPKfiiiPfSC_PS2_PT2_iSB_SB_
__PRETTY_FUNCTION__._Z39paged_attention_ll4mi_QKV_mfma16_kernelIDF16_DF16_LN4vllm18Fp8KVCacheDataTypeE0EDF16_Li32ELi128ELi256ELb0ELi2EEvPKT_PKT0_S7_ifPKiS9_S9_iPKfiiiPfSC_PS2_PT2_iSB_SB_:
	.asciz	"void paged_attention_ll4mi_QKV_mfma16_kernel(const scalar_t *__restrict, const cache_t *__restrict, const cache_t *__restrict, const int, const float, const int *__restrict, const int *__restrict, const int *__restrict, const int, const float *__restrict, const int, const int, const int, float *__restrict, float *__restrict, scalar_t *__restrict, OUTT *__restrict, int, const float *, const float *) [scalar_t = _Float16, cache_t = _Float16, KV_DTYPE = vllm::Fp8KVCacheDataType::kAuto, OUTT = _Float16, BLOCK_SIZE = 32, HEAD_SIZE = 128, NUM_THREADS = 256, ALIBI_ENABLED = false, GQA_RATIO = 2]"
	.size	__PRETTY_FUNCTION__._Z39paged_attention_ll4mi_QKV_mfma16_kernelIDF16_DF16_LN4vllm18Fp8KVCacheDataTypeE0EDF16_Li32ELi128ELi256ELb0ELi2EEvPKT_PKT0_S7_ifPKiS9_S9_iPKfiiiPfSC_PS2_PT2_iSB_SB_, 596

	.type	__PRETTY_FUNCTION__._Z39paged_attention_ll4mi_QKV_mfma16_kernelIDF16_DF16_LN4vllm18Fp8KVCacheDataTypeE0EDF16_Li32ELi128ELi256ELb0ELi3EEvPKT_PKT0_S7_ifPKiS9_S9_iPKfiiiPfSC_PS2_PT2_iSB_SB_,@object ; @__PRETTY_FUNCTION__._Z39paged_attention_ll4mi_QKV_mfma16_kernelIDF16_DF16_LN4vllm18Fp8KVCacheDataTypeE0EDF16_Li32ELi128ELi256ELb0ELi3EEvPKT_PKT0_S7_ifPKiS9_S9_iPKfiiiPfSC_PS2_PT2_iSB_SB_
__PRETTY_FUNCTION__._Z39paged_attention_ll4mi_QKV_mfma16_kernelIDF16_DF16_LN4vllm18Fp8KVCacheDataTypeE0EDF16_Li32ELi128ELi256ELb0ELi3EEvPKT_PKT0_S7_ifPKiS9_S9_iPKfiiiPfSC_PS2_PT2_iSB_SB_:
	.asciz	"void paged_attention_ll4mi_QKV_mfma16_kernel(const scalar_t *__restrict, const cache_t *__restrict, const cache_t *__restrict, const int, const float, const int *__restrict, const int *__restrict, const int *__restrict, const int, const float *__restrict, const int, const int, const int, float *__restrict, float *__restrict, scalar_t *__restrict, OUTT *__restrict, int, const float *, const float *) [scalar_t = _Float16, cache_t = _Float16, KV_DTYPE = vllm::Fp8KVCacheDataType::kAuto, OUTT = _Float16, BLOCK_SIZE = 32, HEAD_SIZE = 128, NUM_THREADS = 256, ALIBI_ENABLED = false, GQA_RATIO = 3]"
	.size	__PRETTY_FUNCTION__._Z39paged_attention_ll4mi_QKV_mfma16_kernelIDF16_DF16_LN4vllm18Fp8KVCacheDataTypeE0EDF16_Li32ELi128ELi256ELb0ELi3EEvPKT_PKT0_S7_ifPKiS9_S9_iPKfiiiPfSC_PS2_PT2_iSB_SB_, 596

	.type	__PRETTY_FUNCTION__._Z39paged_attention_ll4mi_QKV_mfma16_kernelIDF16_DF16_LN4vllm18Fp8KVCacheDataTypeE0EDF16_Li32ELi128ELi256ELb0ELi4EEvPKT_PKT0_S7_ifPKiS9_S9_iPKfiiiPfSC_PS2_PT2_iSB_SB_,@object ; @__PRETTY_FUNCTION__._Z39paged_attention_ll4mi_QKV_mfma16_kernelIDF16_DF16_LN4vllm18Fp8KVCacheDataTypeE0EDF16_Li32ELi128ELi256ELb0ELi4EEvPKT_PKT0_S7_ifPKiS9_S9_iPKfiiiPfSC_PS2_PT2_iSB_SB_
__PRETTY_FUNCTION__._Z39paged_attention_ll4mi_QKV_mfma16_kernelIDF16_DF16_LN4vllm18Fp8KVCacheDataTypeE0EDF16_Li32ELi128ELi256ELb0ELi4EEvPKT_PKT0_S7_ifPKiS9_S9_iPKfiiiPfSC_PS2_PT2_iSB_SB_:
	.asciz	"void paged_attention_ll4mi_QKV_mfma16_kernel(const scalar_t *__restrict, const cache_t *__restrict, const cache_t *__restrict, const int, const float, const int *__restrict, const int *__restrict, const int *__restrict, const int, const float *__restrict, const int, const int, const int, float *__restrict, float *__restrict, scalar_t *__restrict, OUTT *__restrict, int, const float *, const float *) [scalar_t = _Float16, cache_t = _Float16, KV_DTYPE = vllm::Fp8KVCacheDataType::kAuto, OUTT = _Float16, BLOCK_SIZE = 32, HEAD_SIZE = 128, NUM_THREADS = 256, ALIBI_ENABLED = false, GQA_RATIO = 4]"
	.size	__PRETTY_FUNCTION__._Z39paged_attention_ll4mi_QKV_mfma16_kernelIDF16_DF16_LN4vllm18Fp8KVCacheDataTypeE0EDF16_Li32ELi128ELi256ELb0ELi4EEvPKT_PKT0_S7_ifPKiS9_S9_iPKfiiiPfSC_PS2_PT2_iSB_SB_, 596

	.type	__PRETTY_FUNCTION__._Z38paged_attention_ll4mi_QKV_mfma4_kernelI14__hip_bfloat16S0_LN4vllm18Fp8KVCacheDataTypeE0EhLi16ELi64ELi256ELb1ELi1EEvPKT_PKT0_S8_ifPKiSA_SA_iPKfiiiPfSD_PS3_PT2_iSC_SC_,@object ; @__PRETTY_FUNCTION__._Z38paged_attention_ll4mi_QKV_mfma4_kernelI14__hip_bfloat16S0_LN4vllm18Fp8KVCacheDataTypeE0EhLi16ELi64ELi256ELb1ELi1EEvPKT_PKT0_S8_ifPKiSA_SA_iPKfiiiPfSD_PS3_PT2_iSC_SC_
__PRETTY_FUNCTION__._Z38paged_attention_ll4mi_QKV_mfma4_kernelI14__hip_bfloat16S0_LN4vllm18Fp8KVCacheDataTypeE0EhLi16ELi64ELi256ELb1ELi1EEvPKT_PKT0_S8_ifPKiSA_SA_iPKfiiiPfSD_PS3_PT2_iSC_SC_:
	.asciz	"void paged_attention_ll4mi_QKV_mfma4_kernel(const scalar_t *__restrict, const cache_t *__restrict, const cache_t *__restrict, const int, const float, const int *__restrict, const int *__restrict, const int *__restrict, const int, const float *__restrict, const int, const int, const int, float *__restrict, float *__restrict, scalar_t *__restrict, OUTT *__restrict, int, const float *, const float *) [scalar_t = __hip_bfloat16, cache_t = __hip_bfloat16, KV_DTYPE = vllm::Fp8KVCacheDataType::kAuto, OUTT = unsigned char, BLOCK_SIZE = 16, HEAD_SIZE = 64, NUM_THREADS = 256, ALIBI_ENABLED = true, GQA_RATIO = 1]"
	.size	__PRETTY_FUNCTION__._Z38paged_attention_ll4mi_QKV_mfma4_kernelI14__hip_bfloat16S0_LN4vllm18Fp8KVCacheDataTypeE0EhLi16ELi64ELi256ELb1ELi1EEvPKT_PKT0_S8_ifPKiSA_SA_iPKfiiiPfSD_PS3_PT2_iSC_SC_, 610

	.type	__PRETTY_FUNCTION__._Z38paged_attention_ll4mi_QKV_mfma4_kernelI14__hip_bfloat16S0_LN4vllm18Fp8KVCacheDataTypeE0EhLi16ELi64ELi256ELb1ELi2EEvPKT_PKT0_S8_ifPKiSA_SA_iPKfiiiPfSD_PS3_PT2_iSC_SC_,@object ; @__PRETTY_FUNCTION__._Z38paged_attention_ll4mi_QKV_mfma4_kernelI14__hip_bfloat16S0_LN4vllm18Fp8KVCacheDataTypeE0EhLi16ELi64ELi256ELb1ELi2EEvPKT_PKT0_S8_ifPKiSA_SA_iPKfiiiPfSD_PS3_PT2_iSC_SC_
__PRETTY_FUNCTION__._Z38paged_attention_ll4mi_QKV_mfma4_kernelI14__hip_bfloat16S0_LN4vllm18Fp8KVCacheDataTypeE0EhLi16ELi64ELi256ELb1ELi2EEvPKT_PKT0_S8_ifPKiSA_SA_iPKfiiiPfSD_PS3_PT2_iSC_SC_:
	.asciz	"void paged_attention_ll4mi_QKV_mfma4_kernel(const scalar_t *__restrict, const cache_t *__restrict, const cache_t *__restrict, const int, const float, const int *__restrict, const int *__restrict, const int *__restrict, const int, const float *__restrict, const int, const int, const int, float *__restrict, float *__restrict, scalar_t *__restrict, OUTT *__restrict, int, const float *, const float *) [scalar_t = __hip_bfloat16, cache_t = __hip_bfloat16, KV_DTYPE = vllm::Fp8KVCacheDataType::kAuto, OUTT = unsigned char, BLOCK_SIZE = 16, HEAD_SIZE = 64, NUM_THREADS = 256, ALIBI_ENABLED = true, GQA_RATIO = 2]"
	.size	__PRETTY_FUNCTION__._Z38paged_attention_ll4mi_QKV_mfma4_kernelI14__hip_bfloat16S0_LN4vllm18Fp8KVCacheDataTypeE0EhLi16ELi64ELi256ELb1ELi2EEvPKT_PKT0_S8_ifPKiSA_SA_iPKfiiiPfSD_PS3_PT2_iSC_SC_, 610

	.type	__PRETTY_FUNCTION__._Z38paged_attention_ll4mi_QKV_mfma4_kernelI14__hip_bfloat16S0_LN4vllm18Fp8KVCacheDataTypeE0EhLi16ELi64ELi256ELb1ELi3EEvPKT_PKT0_S8_ifPKiSA_SA_iPKfiiiPfSD_PS3_PT2_iSC_SC_,@object ; @__PRETTY_FUNCTION__._Z38paged_attention_ll4mi_QKV_mfma4_kernelI14__hip_bfloat16S0_LN4vllm18Fp8KVCacheDataTypeE0EhLi16ELi64ELi256ELb1ELi3EEvPKT_PKT0_S8_ifPKiSA_SA_iPKfiiiPfSD_PS3_PT2_iSC_SC_
__PRETTY_FUNCTION__._Z38paged_attention_ll4mi_QKV_mfma4_kernelI14__hip_bfloat16S0_LN4vllm18Fp8KVCacheDataTypeE0EhLi16ELi64ELi256ELb1ELi3EEvPKT_PKT0_S8_ifPKiSA_SA_iPKfiiiPfSD_PS3_PT2_iSC_SC_:
	.asciz	"void paged_attention_ll4mi_QKV_mfma4_kernel(const scalar_t *__restrict, const cache_t *__restrict, const cache_t *__restrict, const int, const float, const int *__restrict, const int *__restrict, const int *__restrict, const int, const float *__restrict, const int, const int, const int, float *__restrict, float *__restrict, scalar_t *__restrict, OUTT *__restrict, int, const float *, const float *) [scalar_t = __hip_bfloat16, cache_t = __hip_bfloat16, KV_DTYPE = vllm::Fp8KVCacheDataType::kAuto, OUTT = unsigned char, BLOCK_SIZE = 16, HEAD_SIZE = 64, NUM_THREADS = 256, ALIBI_ENABLED = true, GQA_RATIO = 3]"
	.size	__PRETTY_FUNCTION__._Z38paged_attention_ll4mi_QKV_mfma4_kernelI14__hip_bfloat16S0_LN4vllm18Fp8KVCacheDataTypeE0EhLi16ELi64ELi256ELb1ELi3EEvPKT_PKT0_S8_ifPKiSA_SA_iPKfiiiPfSD_PS3_PT2_iSC_SC_, 610

	.type	__PRETTY_FUNCTION__._Z38paged_attention_ll4mi_QKV_mfma4_kernelI14__hip_bfloat16S0_LN4vllm18Fp8KVCacheDataTypeE0EhLi16ELi64ELi256ELb1ELi4EEvPKT_PKT0_S8_ifPKiSA_SA_iPKfiiiPfSD_PS3_PT2_iSC_SC_,@object ; @__PRETTY_FUNCTION__._Z38paged_attention_ll4mi_QKV_mfma4_kernelI14__hip_bfloat16S0_LN4vllm18Fp8KVCacheDataTypeE0EhLi16ELi64ELi256ELb1ELi4EEvPKT_PKT0_S8_ifPKiSA_SA_iPKfiiiPfSD_PS3_PT2_iSC_SC_
__PRETTY_FUNCTION__._Z38paged_attention_ll4mi_QKV_mfma4_kernelI14__hip_bfloat16S0_LN4vllm18Fp8KVCacheDataTypeE0EhLi16ELi64ELi256ELb1ELi4EEvPKT_PKT0_S8_ifPKiSA_SA_iPKfiiiPfSD_PS3_PT2_iSC_SC_:
	.asciz	"void paged_attention_ll4mi_QKV_mfma4_kernel(const scalar_t *__restrict, const cache_t *__restrict, const cache_t *__restrict, const int, const float, const int *__restrict, const int *__restrict, const int *__restrict, const int, const float *__restrict, const int, const int, const int, float *__restrict, float *__restrict, scalar_t *__restrict, OUTT *__restrict, int, const float *, const float *) [scalar_t = __hip_bfloat16, cache_t = __hip_bfloat16, KV_DTYPE = vllm::Fp8KVCacheDataType::kAuto, OUTT = unsigned char, BLOCK_SIZE = 16, HEAD_SIZE = 64, NUM_THREADS = 256, ALIBI_ENABLED = true, GQA_RATIO = 4]"
	.size	__PRETTY_FUNCTION__._Z38paged_attention_ll4mi_QKV_mfma4_kernelI14__hip_bfloat16S0_LN4vllm18Fp8KVCacheDataTypeE0EhLi16ELi64ELi256ELb1ELi4EEvPKT_PKT0_S8_ifPKiSA_SA_iPKfiiiPfSD_PS3_PT2_iSC_SC_, 610

	.type	__PRETTY_FUNCTION__._Z39paged_attention_ll4mi_QKV_mfma16_kernelI14__hip_bfloat16S0_LN4vllm18Fp8KVCacheDataTypeE0EhLi16ELi64ELi256ELb1ELi5EEvPKT_PKT0_S8_ifPKiSA_SA_iPKfiiiPfSD_PS3_PT2_iSC_SC_,@object ; @__PRETTY_FUNCTION__._Z39paged_attention_ll4mi_QKV_mfma16_kernelI14__hip_bfloat16S0_LN4vllm18Fp8KVCacheDataTypeE0EhLi16ELi64ELi256ELb1ELi5EEvPKT_PKT0_S8_ifPKiSA_SA_iPKfiiiPfSD_PS3_PT2_iSC_SC_
__PRETTY_FUNCTION__._Z39paged_attention_ll4mi_QKV_mfma16_kernelI14__hip_bfloat16S0_LN4vllm18Fp8KVCacheDataTypeE0EhLi16ELi64ELi256ELb1ELi5EEvPKT_PKT0_S8_ifPKiSA_SA_iPKfiiiPfSD_PS3_PT2_iSC_SC_:
	.asciz	"void paged_attention_ll4mi_QKV_mfma16_kernel(const scalar_t *__restrict, const cache_t *__restrict, const cache_t *__restrict, const int, const float, const int *__restrict, const int *__restrict, const int *__restrict, const int, const float *__restrict, const int, const int, const int, float *__restrict, float *__restrict, scalar_t *__restrict, OUTT *__restrict, int, const float *, const float *) [scalar_t = __hip_bfloat16, cache_t = __hip_bfloat16, KV_DTYPE = vllm::Fp8KVCacheDataType::kAuto, OUTT = unsigned char, BLOCK_SIZE = 16, HEAD_SIZE = 64, NUM_THREADS = 256, ALIBI_ENABLED = true, GQA_RATIO = 5]"
	.size	__PRETTY_FUNCTION__._Z39paged_attention_ll4mi_QKV_mfma16_kernelI14__hip_bfloat16S0_LN4vllm18Fp8KVCacheDataTypeE0EhLi16ELi64ELi256ELb1ELi5EEvPKT_PKT0_S8_ifPKiSA_SA_iPKfiiiPfSD_PS3_PT2_iSC_SC_, 611

	.type	__PRETTY_FUNCTION__._Z39paged_attention_ll4mi_QKV_mfma16_kernelI14__hip_bfloat16S0_LN4vllm18Fp8KVCacheDataTypeE0EhLi16ELi64ELi256ELb1ELi6EEvPKT_PKT0_S8_ifPKiSA_SA_iPKfiiiPfSD_PS3_PT2_iSC_SC_,@object ; @__PRETTY_FUNCTION__._Z39paged_attention_ll4mi_QKV_mfma16_kernelI14__hip_bfloat16S0_LN4vllm18Fp8KVCacheDataTypeE0EhLi16ELi64ELi256ELb1ELi6EEvPKT_PKT0_S8_ifPKiSA_SA_iPKfiiiPfSD_PS3_PT2_iSC_SC_
__PRETTY_FUNCTION__._Z39paged_attention_ll4mi_QKV_mfma16_kernelI14__hip_bfloat16S0_LN4vllm18Fp8KVCacheDataTypeE0EhLi16ELi64ELi256ELb1ELi6EEvPKT_PKT0_S8_ifPKiSA_SA_iPKfiiiPfSD_PS3_PT2_iSC_SC_:
	.asciz	"void paged_attention_ll4mi_QKV_mfma16_kernel(const scalar_t *__restrict, const cache_t *__restrict, const cache_t *__restrict, const int, const float, const int *__restrict, const int *__restrict, const int *__restrict, const int, const float *__restrict, const int, const int, const int, float *__restrict, float *__restrict, scalar_t *__restrict, OUTT *__restrict, int, const float *, const float *) [scalar_t = __hip_bfloat16, cache_t = __hip_bfloat16, KV_DTYPE = vllm::Fp8KVCacheDataType::kAuto, OUTT = unsigned char, BLOCK_SIZE = 16, HEAD_SIZE = 64, NUM_THREADS = 256, ALIBI_ENABLED = true, GQA_RATIO = 6]"
	.size	__PRETTY_FUNCTION__._Z39paged_attention_ll4mi_QKV_mfma16_kernelI14__hip_bfloat16S0_LN4vllm18Fp8KVCacheDataTypeE0EhLi16ELi64ELi256ELb1ELi6EEvPKT_PKT0_S8_ifPKiSA_SA_iPKfiiiPfSD_PS3_PT2_iSC_SC_, 611

	.type	__PRETTY_FUNCTION__._Z39paged_attention_ll4mi_QKV_mfma16_kernelI14__hip_bfloat16S0_LN4vllm18Fp8KVCacheDataTypeE0EhLi16ELi64ELi256ELb1ELi7EEvPKT_PKT0_S8_ifPKiSA_SA_iPKfiiiPfSD_PS3_PT2_iSC_SC_,@object ; @__PRETTY_FUNCTION__._Z39paged_attention_ll4mi_QKV_mfma16_kernelI14__hip_bfloat16S0_LN4vllm18Fp8KVCacheDataTypeE0EhLi16ELi64ELi256ELb1ELi7EEvPKT_PKT0_S8_ifPKiSA_SA_iPKfiiiPfSD_PS3_PT2_iSC_SC_
__PRETTY_FUNCTION__._Z39paged_attention_ll4mi_QKV_mfma16_kernelI14__hip_bfloat16S0_LN4vllm18Fp8KVCacheDataTypeE0EhLi16ELi64ELi256ELb1ELi7EEvPKT_PKT0_S8_ifPKiSA_SA_iPKfiiiPfSD_PS3_PT2_iSC_SC_:
	.asciz	"void paged_attention_ll4mi_QKV_mfma16_kernel(const scalar_t *__restrict, const cache_t *__restrict, const cache_t *__restrict, const int, const float, const int *__restrict, const int *__restrict, const int *__restrict, const int, const float *__restrict, const int, const int, const int, float *__restrict, float *__restrict, scalar_t *__restrict, OUTT *__restrict, int, const float *, const float *) [scalar_t = __hip_bfloat16, cache_t = __hip_bfloat16, KV_DTYPE = vllm::Fp8KVCacheDataType::kAuto, OUTT = unsigned char, BLOCK_SIZE = 16, HEAD_SIZE = 64, NUM_THREADS = 256, ALIBI_ENABLED = true, GQA_RATIO = 7]"
	.size	__PRETTY_FUNCTION__._Z39paged_attention_ll4mi_QKV_mfma16_kernelI14__hip_bfloat16S0_LN4vllm18Fp8KVCacheDataTypeE0EhLi16ELi64ELi256ELb1ELi7EEvPKT_PKT0_S8_ifPKiSA_SA_iPKfiiiPfSD_PS3_PT2_iSC_SC_, 611

	.type	__PRETTY_FUNCTION__._Z39paged_attention_ll4mi_QKV_mfma16_kernelI14__hip_bfloat16S0_LN4vllm18Fp8KVCacheDataTypeE0EhLi16ELi64ELi256ELb1ELi8EEvPKT_PKT0_S8_ifPKiSA_SA_iPKfiiiPfSD_PS3_PT2_iSC_SC_,@object ; @__PRETTY_FUNCTION__._Z39paged_attention_ll4mi_QKV_mfma16_kernelI14__hip_bfloat16S0_LN4vllm18Fp8KVCacheDataTypeE0EhLi16ELi64ELi256ELb1ELi8EEvPKT_PKT0_S8_ifPKiSA_SA_iPKfiiiPfSD_PS3_PT2_iSC_SC_
__PRETTY_FUNCTION__._Z39paged_attention_ll4mi_QKV_mfma16_kernelI14__hip_bfloat16S0_LN4vllm18Fp8KVCacheDataTypeE0EhLi16ELi64ELi256ELb1ELi8EEvPKT_PKT0_S8_ifPKiSA_SA_iPKfiiiPfSD_PS3_PT2_iSC_SC_:
	.asciz	"void paged_attention_ll4mi_QKV_mfma16_kernel(const scalar_t *__restrict, const cache_t *__restrict, const cache_t *__restrict, const int, const float, const int *__restrict, const int *__restrict, const int *__restrict, const int, const float *__restrict, const int, const int, const int, float *__restrict, float *__restrict, scalar_t *__restrict, OUTT *__restrict, int, const float *, const float *) [scalar_t = __hip_bfloat16, cache_t = __hip_bfloat16, KV_DTYPE = vllm::Fp8KVCacheDataType::kAuto, OUTT = unsigned char, BLOCK_SIZE = 16, HEAD_SIZE = 64, NUM_THREADS = 256, ALIBI_ENABLED = true, GQA_RATIO = 8]"
	.size	__PRETTY_FUNCTION__._Z39paged_attention_ll4mi_QKV_mfma16_kernelI14__hip_bfloat16S0_LN4vllm18Fp8KVCacheDataTypeE0EhLi16ELi64ELi256ELb1ELi8EEvPKT_PKT0_S8_ifPKiSA_SA_iPKfiiiPfSD_PS3_PT2_iSC_SC_, 611

	.type	__PRETTY_FUNCTION__._Z39paged_attention_ll4mi_QKV_mfma16_kernelI14__hip_bfloat16S0_LN4vllm18Fp8KVCacheDataTypeE0EhLi16ELi64ELi256ELb1ELi9EEvPKT_PKT0_S8_ifPKiSA_SA_iPKfiiiPfSD_PS3_PT2_iSC_SC_,@object ; @__PRETTY_FUNCTION__._Z39paged_attention_ll4mi_QKV_mfma16_kernelI14__hip_bfloat16S0_LN4vllm18Fp8KVCacheDataTypeE0EhLi16ELi64ELi256ELb1ELi9EEvPKT_PKT0_S8_ifPKiSA_SA_iPKfiiiPfSD_PS3_PT2_iSC_SC_
__PRETTY_FUNCTION__._Z39paged_attention_ll4mi_QKV_mfma16_kernelI14__hip_bfloat16S0_LN4vllm18Fp8KVCacheDataTypeE0EhLi16ELi64ELi256ELb1ELi9EEvPKT_PKT0_S8_ifPKiSA_SA_iPKfiiiPfSD_PS3_PT2_iSC_SC_:
	.asciz	"void paged_attention_ll4mi_QKV_mfma16_kernel(const scalar_t *__restrict, const cache_t *__restrict, const cache_t *__restrict, const int, const float, const int *__restrict, const int *__restrict, const int *__restrict, const int, const float *__restrict, const int, const int, const int, float *__restrict, float *__restrict, scalar_t *__restrict, OUTT *__restrict, int, const float *, const float *) [scalar_t = __hip_bfloat16, cache_t = __hip_bfloat16, KV_DTYPE = vllm::Fp8KVCacheDataType::kAuto, OUTT = unsigned char, BLOCK_SIZE = 16, HEAD_SIZE = 64, NUM_THREADS = 256, ALIBI_ENABLED = true, GQA_RATIO = 9]"
	.size	__PRETTY_FUNCTION__._Z39paged_attention_ll4mi_QKV_mfma16_kernelI14__hip_bfloat16S0_LN4vllm18Fp8KVCacheDataTypeE0EhLi16ELi64ELi256ELb1ELi9EEvPKT_PKT0_S8_ifPKiSA_SA_iPKfiiiPfSD_PS3_PT2_iSC_SC_, 611

	.type	__PRETTY_FUNCTION__._Z39paged_attention_ll4mi_QKV_mfma16_kernelI14__hip_bfloat16S0_LN4vllm18Fp8KVCacheDataTypeE0EhLi16ELi64ELi256ELb1ELi10EEvPKT_PKT0_S8_ifPKiSA_SA_iPKfiiiPfSD_PS3_PT2_iSC_SC_,@object ; @__PRETTY_FUNCTION__._Z39paged_attention_ll4mi_QKV_mfma16_kernelI14__hip_bfloat16S0_LN4vllm18Fp8KVCacheDataTypeE0EhLi16ELi64ELi256ELb1ELi10EEvPKT_PKT0_S8_ifPKiSA_SA_iPKfiiiPfSD_PS3_PT2_iSC_SC_
__PRETTY_FUNCTION__._Z39paged_attention_ll4mi_QKV_mfma16_kernelI14__hip_bfloat16S0_LN4vllm18Fp8KVCacheDataTypeE0EhLi16ELi64ELi256ELb1ELi10EEvPKT_PKT0_S8_ifPKiSA_SA_iPKfiiiPfSD_PS3_PT2_iSC_SC_:
	.asciz	"void paged_attention_ll4mi_QKV_mfma16_kernel(const scalar_t *__restrict, const cache_t *__restrict, const cache_t *__restrict, const int, const float, const int *__restrict, const int *__restrict, const int *__restrict, const int, const float *__restrict, const int, const int, const int, float *__restrict, float *__restrict, scalar_t *__restrict, OUTT *__restrict, int, const float *, const float *) [scalar_t = __hip_bfloat16, cache_t = __hip_bfloat16, KV_DTYPE = vllm::Fp8KVCacheDataType::kAuto, OUTT = unsigned char, BLOCK_SIZE = 16, HEAD_SIZE = 64, NUM_THREADS = 256, ALIBI_ENABLED = true, GQA_RATIO = 10]"
	.size	__PRETTY_FUNCTION__._Z39paged_attention_ll4mi_QKV_mfma16_kernelI14__hip_bfloat16S0_LN4vllm18Fp8KVCacheDataTypeE0EhLi16ELi64ELi256ELb1ELi10EEvPKT_PKT0_S8_ifPKiSA_SA_iPKfiiiPfSD_PS3_PT2_iSC_SC_, 612

	.type	__PRETTY_FUNCTION__._Z39paged_attention_ll4mi_QKV_mfma16_kernelI14__hip_bfloat16S0_LN4vllm18Fp8KVCacheDataTypeE0EhLi16ELi64ELi256ELb1ELi11EEvPKT_PKT0_S8_ifPKiSA_SA_iPKfiiiPfSD_PS3_PT2_iSC_SC_,@object ; @__PRETTY_FUNCTION__._Z39paged_attention_ll4mi_QKV_mfma16_kernelI14__hip_bfloat16S0_LN4vllm18Fp8KVCacheDataTypeE0EhLi16ELi64ELi256ELb1ELi11EEvPKT_PKT0_S8_ifPKiSA_SA_iPKfiiiPfSD_PS3_PT2_iSC_SC_
__PRETTY_FUNCTION__._Z39paged_attention_ll4mi_QKV_mfma16_kernelI14__hip_bfloat16S0_LN4vllm18Fp8KVCacheDataTypeE0EhLi16ELi64ELi256ELb1ELi11EEvPKT_PKT0_S8_ifPKiSA_SA_iPKfiiiPfSD_PS3_PT2_iSC_SC_:
	.asciz	"void paged_attention_ll4mi_QKV_mfma16_kernel(const scalar_t *__restrict, const cache_t *__restrict, const cache_t *__restrict, const int, const float, const int *__restrict, const int *__restrict, const int *__restrict, const int, const float *__restrict, const int, const int, const int, float *__restrict, float *__restrict, scalar_t *__restrict, OUTT *__restrict, int, const float *, const float *) [scalar_t = __hip_bfloat16, cache_t = __hip_bfloat16, KV_DTYPE = vllm::Fp8KVCacheDataType::kAuto, OUTT = unsigned char, BLOCK_SIZE = 16, HEAD_SIZE = 64, NUM_THREADS = 256, ALIBI_ENABLED = true, GQA_RATIO = 11]"
	.size	__PRETTY_FUNCTION__._Z39paged_attention_ll4mi_QKV_mfma16_kernelI14__hip_bfloat16S0_LN4vllm18Fp8KVCacheDataTypeE0EhLi16ELi64ELi256ELb1ELi11EEvPKT_PKT0_S8_ifPKiSA_SA_iPKfiiiPfSD_PS3_PT2_iSC_SC_, 612

	.type	__PRETTY_FUNCTION__._Z39paged_attention_ll4mi_QKV_mfma16_kernelI14__hip_bfloat16S0_LN4vllm18Fp8KVCacheDataTypeE0EhLi16ELi64ELi256ELb1ELi12EEvPKT_PKT0_S8_ifPKiSA_SA_iPKfiiiPfSD_PS3_PT2_iSC_SC_,@object ; @__PRETTY_FUNCTION__._Z39paged_attention_ll4mi_QKV_mfma16_kernelI14__hip_bfloat16S0_LN4vllm18Fp8KVCacheDataTypeE0EhLi16ELi64ELi256ELb1ELi12EEvPKT_PKT0_S8_ifPKiSA_SA_iPKfiiiPfSD_PS3_PT2_iSC_SC_
__PRETTY_FUNCTION__._Z39paged_attention_ll4mi_QKV_mfma16_kernelI14__hip_bfloat16S0_LN4vllm18Fp8KVCacheDataTypeE0EhLi16ELi64ELi256ELb1ELi12EEvPKT_PKT0_S8_ifPKiSA_SA_iPKfiiiPfSD_PS3_PT2_iSC_SC_:
	.asciz	"void paged_attention_ll4mi_QKV_mfma16_kernel(const scalar_t *__restrict, const cache_t *__restrict, const cache_t *__restrict, const int, const float, const int *__restrict, const int *__restrict, const int *__restrict, const int, const float *__restrict, const int, const int, const int, float *__restrict, float *__restrict, scalar_t *__restrict, OUTT *__restrict, int, const float *, const float *) [scalar_t = __hip_bfloat16, cache_t = __hip_bfloat16, KV_DTYPE = vllm::Fp8KVCacheDataType::kAuto, OUTT = unsigned char, BLOCK_SIZE = 16, HEAD_SIZE = 64, NUM_THREADS = 256, ALIBI_ENABLED = true, GQA_RATIO = 12]"
	.size	__PRETTY_FUNCTION__._Z39paged_attention_ll4mi_QKV_mfma16_kernelI14__hip_bfloat16S0_LN4vllm18Fp8KVCacheDataTypeE0EhLi16ELi64ELi256ELb1ELi12EEvPKT_PKT0_S8_ifPKiSA_SA_iPKfiiiPfSD_PS3_PT2_iSC_SC_, 612

	.type	__PRETTY_FUNCTION__._Z39paged_attention_ll4mi_QKV_mfma16_kernelI14__hip_bfloat16S0_LN4vllm18Fp8KVCacheDataTypeE0EhLi16ELi64ELi256ELb1ELi13EEvPKT_PKT0_S8_ifPKiSA_SA_iPKfiiiPfSD_PS3_PT2_iSC_SC_,@object ; @__PRETTY_FUNCTION__._Z39paged_attention_ll4mi_QKV_mfma16_kernelI14__hip_bfloat16S0_LN4vllm18Fp8KVCacheDataTypeE0EhLi16ELi64ELi256ELb1ELi13EEvPKT_PKT0_S8_ifPKiSA_SA_iPKfiiiPfSD_PS3_PT2_iSC_SC_
__PRETTY_FUNCTION__._Z39paged_attention_ll4mi_QKV_mfma16_kernelI14__hip_bfloat16S0_LN4vllm18Fp8KVCacheDataTypeE0EhLi16ELi64ELi256ELb1ELi13EEvPKT_PKT0_S8_ifPKiSA_SA_iPKfiiiPfSD_PS3_PT2_iSC_SC_:
	.asciz	"void paged_attention_ll4mi_QKV_mfma16_kernel(const scalar_t *__restrict, const cache_t *__restrict, const cache_t *__restrict, const int, const float, const int *__restrict, const int *__restrict, const int *__restrict, const int, const float *__restrict, const int, const int, const int, float *__restrict, float *__restrict, scalar_t *__restrict, OUTT *__restrict, int, const float *, const float *) [scalar_t = __hip_bfloat16, cache_t = __hip_bfloat16, KV_DTYPE = vllm::Fp8KVCacheDataType::kAuto, OUTT = unsigned char, BLOCK_SIZE = 16, HEAD_SIZE = 64, NUM_THREADS = 256, ALIBI_ENABLED = true, GQA_RATIO = 13]"
	.size	__PRETTY_FUNCTION__._Z39paged_attention_ll4mi_QKV_mfma16_kernelI14__hip_bfloat16S0_LN4vllm18Fp8KVCacheDataTypeE0EhLi16ELi64ELi256ELb1ELi13EEvPKT_PKT0_S8_ifPKiSA_SA_iPKfiiiPfSD_PS3_PT2_iSC_SC_, 612

	.type	__PRETTY_FUNCTION__._Z39paged_attention_ll4mi_QKV_mfma16_kernelI14__hip_bfloat16S0_LN4vllm18Fp8KVCacheDataTypeE0EhLi16ELi64ELi256ELb1ELi14EEvPKT_PKT0_S8_ifPKiSA_SA_iPKfiiiPfSD_PS3_PT2_iSC_SC_,@object ; @__PRETTY_FUNCTION__._Z39paged_attention_ll4mi_QKV_mfma16_kernelI14__hip_bfloat16S0_LN4vllm18Fp8KVCacheDataTypeE0EhLi16ELi64ELi256ELb1ELi14EEvPKT_PKT0_S8_ifPKiSA_SA_iPKfiiiPfSD_PS3_PT2_iSC_SC_
__PRETTY_FUNCTION__._Z39paged_attention_ll4mi_QKV_mfma16_kernelI14__hip_bfloat16S0_LN4vllm18Fp8KVCacheDataTypeE0EhLi16ELi64ELi256ELb1ELi14EEvPKT_PKT0_S8_ifPKiSA_SA_iPKfiiiPfSD_PS3_PT2_iSC_SC_:
	.asciz	"void paged_attention_ll4mi_QKV_mfma16_kernel(const scalar_t *__restrict, const cache_t *__restrict, const cache_t *__restrict, const int, const float, const int *__restrict, const int *__restrict, const int *__restrict, const int, const float *__restrict, const int, const int, const int, float *__restrict, float *__restrict, scalar_t *__restrict, OUTT *__restrict, int, const float *, const float *) [scalar_t = __hip_bfloat16, cache_t = __hip_bfloat16, KV_DTYPE = vllm::Fp8KVCacheDataType::kAuto, OUTT = unsigned char, BLOCK_SIZE = 16, HEAD_SIZE = 64, NUM_THREADS = 256, ALIBI_ENABLED = true, GQA_RATIO = 14]"
	.size	__PRETTY_FUNCTION__._Z39paged_attention_ll4mi_QKV_mfma16_kernelI14__hip_bfloat16S0_LN4vllm18Fp8KVCacheDataTypeE0EhLi16ELi64ELi256ELb1ELi14EEvPKT_PKT0_S8_ifPKiSA_SA_iPKfiiiPfSD_PS3_PT2_iSC_SC_, 612

	.type	__PRETTY_FUNCTION__._Z39paged_attention_ll4mi_QKV_mfma16_kernelI14__hip_bfloat16S0_LN4vllm18Fp8KVCacheDataTypeE0EhLi16ELi64ELi256ELb1ELi15EEvPKT_PKT0_S8_ifPKiSA_SA_iPKfiiiPfSD_PS3_PT2_iSC_SC_,@object ; @__PRETTY_FUNCTION__._Z39paged_attention_ll4mi_QKV_mfma16_kernelI14__hip_bfloat16S0_LN4vllm18Fp8KVCacheDataTypeE0EhLi16ELi64ELi256ELb1ELi15EEvPKT_PKT0_S8_ifPKiSA_SA_iPKfiiiPfSD_PS3_PT2_iSC_SC_
__PRETTY_FUNCTION__._Z39paged_attention_ll4mi_QKV_mfma16_kernelI14__hip_bfloat16S0_LN4vllm18Fp8KVCacheDataTypeE0EhLi16ELi64ELi256ELb1ELi15EEvPKT_PKT0_S8_ifPKiSA_SA_iPKfiiiPfSD_PS3_PT2_iSC_SC_:
	.asciz	"void paged_attention_ll4mi_QKV_mfma16_kernel(const scalar_t *__restrict, const cache_t *__restrict, const cache_t *__restrict, const int, const float, const int *__restrict, const int *__restrict, const int *__restrict, const int, const float *__restrict, const int, const int, const int, float *__restrict, float *__restrict, scalar_t *__restrict, OUTT *__restrict, int, const float *, const float *) [scalar_t = __hip_bfloat16, cache_t = __hip_bfloat16, KV_DTYPE = vllm::Fp8KVCacheDataType::kAuto, OUTT = unsigned char, BLOCK_SIZE = 16, HEAD_SIZE = 64, NUM_THREADS = 256, ALIBI_ENABLED = true, GQA_RATIO = 15]"
	.size	__PRETTY_FUNCTION__._Z39paged_attention_ll4mi_QKV_mfma16_kernelI14__hip_bfloat16S0_LN4vllm18Fp8KVCacheDataTypeE0EhLi16ELi64ELi256ELb1ELi15EEvPKT_PKT0_S8_ifPKiSA_SA_iPKfiiiPfSD_PS3_PT2_iSC_SC_, 612

	.type	__PRETTY_FUNCTION__._Z39paged_attention_ll4mi_QKV_mfma16_kernelI14__hip_bfloat16S0_LN4vllm18Fp8KVCacheDataTypeE0EhLi16ELi64ELi256ELb1ELi16EEvPKT_PKT0_S8_ifPKiSA_SA_iPKfiiiPfSD_PS3_PT2_iSC_SC_,@object ; @__PRETTY_FUNCTION__._Z39paged_attention_ll4mi_QKV_mfma16_kernelI14__hip_bfloat16S0_LN4vllm18Fp8KVCacheDataTypeE0EhLi16ELi64ELi256ELb1ELi16EEvPKT_PKT0_S8_ifPKiSA_SA_iPKfiiiPfSD_PS3_PT2_iSC_SC_
__PRETTY_FUNCTION__._Z39paged_attention_ll4mi_QKV_mfma16_kernelI14__hip_bfloat16S0_LN4vllm18Fp8KVCacheDataTypeE0EhLi16ELi64ELi256ELb1ELi16EEvPKT_PKT0_S8_ifPKiSA_SA_iPKfiiiPfSD_PS3_PT2_iSC_SC_:
	.asciz	"void paged_attention_ll4mi_QKV_mfma16_kernel(const scalar_t *__restrict, const cache_t *__restrict, const cache_t *__restrict, const int, const float, const int *__restrict, const int *__restrict, const int *__restrict, const int, const float *__restrict, const int, const int, const int, float *__restrict, float *__restrict, scalar_t *__restrict, OUTT *__restrict, int, const float *, const float *) [scalar_t = __hip_bfloat16, cache_t = __hip_bfloat16, KV_DTYPE = vllm::Fp8KVCacheDataType::kAuto, OUTT = unsigned char, BLOCK_SIZE = 16, HEAD_SIZE = 64, NUM_THREADS = 256, ALIBI_ENABLED = true, GQA_RATIO = 16]"
	.size	__PRETTY_FUNCTION__._Z39paged_attention_ll4mi_QKV_mfma16_kernelI14__hip_bfloat16S0_LN4vllm18Fp8KVCacheDataTypeE0EhLi16ELi64ELi256ELb1ELi16EEvPKT_PKT0_S8_ifPKiSA_SA_iPKfiiiPfSD_PS3_PT2_iSC_SC_, 612

	.type	__PRETTY_FUNCTION__._Z35paged_attention_ll4mi_reduce_kernelI14__hip_bfloat16hLi64ELi64ELi256ELi1EEvPT0_PKfS4_PKT_PKiS9_iS4_,@object ; @__PRETTY_FUNCTION__._Z35paged_attention_ll4mi_reduce_kernelI14__hip_bfloat16hLi64ELi64ELi256ELi1EEvPT0_PKfS4_PKT_PKiS9_iS4_
__PRETTY_FUNCTION__._Z35paged_attention_ll4mi_reduce_kernelI14__hip_bfloat16hLi64ELi64ELi256ELi1EEvPT0_PKfS4_PKT_PKiS9_iS4_:
	.asciz	"void paged_attention_ll4mi_reduce_kernel(OUTT *__restrict, const float *__restrict, const float *__restrict, const scalar_t *__restrict, const int *__restrict, const int *__restrict, const int, const float *__restrict) [scalar_t = __hip_bfloat16, OUTT = unsigned char, HEAD_SIZE = 64, NUM_THREADS = 64, PARTITION_SIZE = 256, NPAR_LOOPS = 1]"
	.size	__PRETTY_FUNCTION__._Z35paged_attention_ll4mi_reduce_kernelI14__hip_bfloat16hLi64ELi64ELi256ELi1EEvPT0_PKfS4_PKT_PKiS9_iS4_, 341

	.type	__PRETTY_FUNCTION__._Z35paged_attention_ll4mi_reduce_kernelI14__hip_bfloat16hLi64ELi64ELi256ELi2EEvPT0_PKfS4_PKT_PKiS9_iS4_,@object ; @__PRETTY_FUNCTION__._Z35paged_attention_ll4mi_reduce_kernelI14__hip_bfloat16hLi64ELi64ELi256ELi2EEvPT0_PKfS4_PKT_PKiS9_iS4_
__PRETTY_FUNCTION__._Z35paged_attention_ll4mi_reduce_kernelI14__hip_bfloat16hLi64ELi64ELi256ELi2EEvPT0_PKfS4_PKT_PKiS9_iS4_:
	.asciz	"void paged_attention_ll4mi_reduce_kernel(OUTT *__restrict, const float *__restrict, const float *__restrict, const scalar_t *__restrict, const int *__restrict, const int *__restrict, const int, const float *__restrict) [scalar_t = __hip_bfloat16, OUTT = unsigned char, HEAD_SIZE = 64, NUM_THREADS = 64, PARTITION_SIZE = 256, NPAR_LOOPS = 2]"
	.size	__PRETTY_FUNCTION__._Z35paged_attention_ll4mi_reduce_kernelI14__hip_bfloat16hLi64ELi64ELi256ELi2EEvPT0_PKfS4_PKT_PKiS9_iS4_, 341

	.type	__PRETTY_FUNCTION__._Z35paged_attention_ll4mi_reduce_kernelI14__hip_bfloat16hLi64ELi64ELi256ELi3EEvPT0_PKfS4_PKT_PKiS9_iS4_,@object ; @__PRETTY_FUNCTION__._Z35paged_attention_ll4mi_reduce_kernelI14__hip_bfloat16hLi64ELi64ELi256ELi3EEvPT0_PKfS4_PKT_PKiS9_iS4_
__PRETTY_FUNCTION__._Z35paged_attention_ll4mi_reduce_kernelI14__hip_bfloat16hLi64ELi64ELi256ELi3EEvPT0_PKfS4_PKT_PKiS9_iS4_:
	.asciz	"void paged_attention_ll4mi_reduce_kernel(OUTT *__restrict, const float *__restrict, const float *__restrict, const scalar_t *__restrict, const int *__restrict, const int *__restrict, const int, const float *__restrict) [scalar_t = __hip_bfloat16, OUTT = unsigned char, HEAD_SIZE = 64, NUM_THREADS = 64, PARTITION_SIZE = 256, NPAR_LOOPS = 3]"
	.size	__PRETTY_FUNCTION__._Z35paged_attention_ll4mi_reduce_kernelI14__hip_bfloat16hLi64ELi64ELi256ELi3EEvPT0_PKfS4_PKT_PKiS9_iS4_, 341

	.type	__PRETTY_FUNCTION__._Z35paged_attention_ll4mi_reduce_kernelI14__hip_bfloat16hLi64ELi64ELi256ELi4EEvPT0_PKfS4_PKT_PKiS9_iS4_,@object ; @__PRETTY_FUNCTION__._Z35paged_attention_ll4mi_reduce_kernelI14__hip_bfloat16hLi64ELi64ELi256ELi4EEvPT0_PKfS4_PKT_PKiS9_iS4_
__PRETTY_FUNCTION__._Z35paged_attention_ll4mi_reduce_kernelI14__hip_bfloat16hLi64ELi64ELi256ELi4EEvPT0_PKfS4_PKT_PKiS9_iS4_:
	.asciz	"void paged_attention_ll4mi_reduce_kernel(OUTT *__restrict, const float *__restrict, const float *__restrict, const scalar_t *__restrict, const int *__restrict, const int *__restrict, const int, const float *__restrict) [scalar_t = __hip_bfloat16, OUTT = unsigned char, HEAD_SIZE = 64, NUM_THREADS = 64, PARTITION_SIZE = 256, NPAR_LOOPS = 4]"
	.size	__PRETTY_FUNCTION__._Z35paged_attention_ll4mi_reduce_kernelI14__hip_bfloat16hLi64ELi64ELi256ELi4EEvPT0_PKfS4_PKT_PKiS9_iS4_, 341

	.type	__PRETTY_FUNCTION__._Z35paged_attention_ll4mi_reduce_kernelI14__hip_bfloat16hLi64ELi64ELi256ELi5EEvPT0_PKfS4_PKT_PKiS9_iS4_,@object ; @__PRETTY_FUNCTION__._Z35paged_attention_ll4mi_reduce_kernelI14__hip_bfloat16hLi64ELi64ELi256ELi5EEvPT0_PKfS4_PKT_PKiS9_iS4_
__PRETTY_FUNCTION__._Z35paged_attention_ll4mi_reduce_kernelI14__hip_bfloat16hLi64ELi64ELi256ELi5EEvPT0_PKfS4_PKT_PKiS9_iS4_:
	.asciz	"void paged_attention_ll4mi_reduce_kernel(OUTT *__restrict, const float *__restrict, const float *__restrict, const scalar_t *__restrict, const int *__restrict, const int *__restrict, const int, const float *__restrict) [scalar_t = __hip_bfloat16, OUTT = unsigned char, HEAD_SIZE = 64, NUM_THREADS = 64, PARTITION_SIZE = 256, NPAR_LOOPS = 5]"
	.size	__PRETTY_FUNCTION__._Z35paged_attention_ll4mi_reduce_kernelI14__hip_bfloat16hLi64ELi64ELi256ELi5EEvPT0_PKfS4_PKT_PKiS9_iS4_, 341

	.type	__PRETTY_FUNCTION__._Z35paged_attention_ll4mi_reduce_kernelI14__hip_bfloat16hLi64ELi64ELi256ELi6EEvPT0_PKfS4_PKT_PKiS9_iS4_,@object ; @__PRETTY_FUNCTION__._Z35paged_attention_ll4mi_reduce_kernelI14__hip_bfloat16hLi64ELi64ELi256ELi6EEvPT0_PKfS4_PKT_PKiS9_iS4_
__PRETTY_FUNCTION__._Z35paged_attention_ll4mi_reduce_kernelI14__hip_bfloat16hLi64ELi64ELi256ELi6EEvPT0_PKfS4_PKT_PKiS9_iS4_:
	.asciz	"void paged_attention_ll4mi_reduce_kernel(OUTT *__restrict, const float *__restrict, const float *__restrict, const scalar_t *__restrict, const int *__restrict, const int *__restrict, const int, const float *__restrict) [scalar_t = __hip_bfloat16, OUTT = unsigned char, HEAD_SIZE = 64, NUM_THREADS = 64, PARTITION_SIZE = 256, NPAR_LOOPS = 6]"
	.size	__PRETTY_FUNCTION__._Z35paged_attention_ll4mi_reduce_kernelI14__hip_bfloat16hLi64ELi64ELi256ELi6EEvPT0_PKfS4_PKT_PKiS9_iS4_, 341

	.type	__PRETTY_FUNCTION__._Z35paged_attention_ll4mi_reduce_kernelI14__hip_bfloat16hLi64ELi64ELi256ELi7EEvPT0_PKfS4_PKT_PKiS9_iS4_,@object ; @__PRETTY_FUNCTION__._Z35paged_attention_ll4mi_reduce_kernelI14__hip_bfloat16hLi64ELi64ELi256ELi7EEvPT0_PKfS4_PKT_PKiS9_iS4_
__PRETTY_FUNCTION__._Z35paged_attention_ll4mi_reduce_kernelI14__hip_bfloat16hLi64ELi64ELi256ELi7EEvPT0_PKfS4_PKT_PKiS9_iS4_:
	.asciz	"void paged_attention_ll4mi_reduce_kernel(OUTT *__restrict, const float *__restrict, const float *__restrict, const scalar_t *__restrict, const int *__restrict, const int *__restrict, const int, const float *__restrict) [scalar_t = __hip_bfloat16, OUTT = unsigned char, HEAD_SIZE = 64, NUM_THREADS = 64, PARTITION_SIZE = 256, NPAR_LOOPS = 7]"
	.size	__PRETTY_FUNCTION__._Z35paged_attention_ll4mi_reduce_kernelI14__hip_bfloat16hLi64ELi64ELi256ELi7EEvPT0_PKfS4_PKT_PKiS9_iS4_, 341

	.type	__PRETTY_FUNCTION__._Z35paged_attention_ll4mi_reduce_kernelI14__hip_bfloat16hLi64ELi64ELi256ELi8EEvPT0_PKfS4_PKT_PKiS9_iS4_,@object ; @__PRETTY_FUNCTION__._Z35paged_attention_ll4mi_reduce_kernelI14__hip_bfloat16hLi64ELi64ELi256ELi8EEvPT0_PKfS4_PKT_PKiS9_iS4_
__PRETTY_FUNCTION__._Z35paged_attention_ll4mi_reduce_kernelI14__hip_bfloat16hLi64ELi64ELi256ELi8EEvPT0_PKfS4_PKT_PKiS9_iS4_:
	.asciz	"void paged_attention_ll4mi_reduce_kernel(OUTT *__restrict, const float *__restrict, const float *__restrict, const scalar_t *__restrict, const int *__restrict, const int *__restrict, const int, const float *__restrict) [scalar_t = __hip_bfloat16, OUTT = unsigned char, HEAD_SIZE = 64, NUM_THREADS = 64, PARTITION_SIZE = 256, NPAR_LOOPS = 8]"
	.size	__PRETTY_FUNCTION__._Z35paged_attention_ll4mi_reduce_kernelI14__hip_bfloat16hLi64ELi64ELi256ELi8EEvPT0_PKfS4_PKT_PKiS9_iS4_, 341

	.type	__PRETTY_FUNCTION__._Z39paged_attention_ll4mi_QKV_mfma16_kernelI14__hip_bfloat16S0_LN4vllm18Fp8KVCacheDataTypeE0EhLi16ELi64ELi256ELb1ELi1EEvPKT_PKT0_S8_ifPKiSA_SA_iPKfiiiPfSD_PS3_PT2_iSC_SC_,@object ; @__PRETTY_FUNCTION__._Z39paged_attention_ll4mi_QKV_mfma16_kernelI14__hip_bfloat16S0_LN4vllm18Fp8KVCacheDataTypeE0EhLi16ELi64ELi256ELb1ELi1EEvPKT_PKT0_S8_ifPKiSA_SA_iPKfiiiPfSD_PS3_PT2_iSC_SC_
__PRETTY_FUNCTION__._Z39paged_attention_ll4mi_QKV_mfma16_kernelI14__hip_bfloat16S0_LN4vllm18Fp8KVCacheDataTypeE0EhLi16ELi64ELi256ELb1ELi1EEvPKT_PKT0_S8_ifPKiSA_SA_iPKfiiiPfSD_PS3_PT2_iSC_SC_:
	.asciz	"void paged_attention_ll4mi_QKV_mfma16_kernel(const scalar_t *__restrict, const cache_t *__restrict, const cache_t *__restrict, const int, const float, const int *__restrict, const int *__restrict, const int *__restrict, const int, const float *__restrict, const int, const int, const int, float *__restrict, float *__restrict, scalar_t *__restrict, OUTT *__restrict, int, const float *, const float *) [scalar_t = __hip_bfloat16, cache_t = __hip_bfloat16, KV_DTYPE = vllm::Fp8KVCacheDataType::kAuto, OUTT = unsigned char, BLOCK_SIZE = 16, HEAD_SIZE = 64, NUM_THREADS = 256, ALIBI_ENABLED = true, GQA_RATIO = 1]"
	.size	__PRETTY_FUNCTION__._Z39paged_attention_ll4mi_QKV_mfma16_kernelI14__hip_bfloat16S0_LN4vllm18Fp8KVCacheDataTypeE0EhLi16ELi64ELi256ELb1ELi1EEvPKT_PKT0_S8_ifPKiSA_SA_iPKfiiiPfSD_PS3_PT2_iSC_SC_, 611

	.type	__PRETTY_FUNCTION__._Z39paged_attention_ll4mi_QKV_mfma16_kernelI14__hip_bfloat16S0_LN4vllm18Fp8KVCacheDataTypeE0EhLi16ELi64ELi256ELb1ELi2EEvPKT_PKT0_S8_ifPKiSA_SA_iPKfiiiPfSD_PS3_PT2_iSC_SC_,@object ; @__PRETTY_FUNCTION__._Z39paged_attention_ll4mi_QKV_mfma16_kernelI14__hip_bfloat16S0_LN4vllm18Fp8KVCacheDataTypeE0EhLi16ELi64ELi256ELb1ELi2EEvPKT_PKT0_S8_ifPKiSA_SA_iPKfiiiPfSD_PS3_PT2_iSC_SC_
__PRETTY_FUNCTION__._Z39paged_attention_ll4mi_QKV_mfma16_kernelI14__hip_bfloat16S0_LN4vllm18Fp8KVCacheDataTypeE0EhLi16ELi64ELi256ELb1ELi2EEvPKT_PKT0_S8_ifPKiSA_SA_iPKfiiiPfSD_PS3_PT2_iSC_SC_:
	.asciz	"void paged_attention_ll4mi_QKV_mfma16_kernel(const scalar_t *__restrict, const cache_t *__restrict, const cache_t *__restrict, const int, const float, const int *__restrict, const int *__restrict, const int *__restrict, const int, const float *__restrict, const int, const int, const int, float *__restrict, float *__restrict, scalar_t *__restrict, OUTT *__restrict, int, const float *, const float *) [scalar_t = __hip_bfloat16, cache_t = __hip_bfloat16, KV_DTYPE = vllm::Fp8KVCacheDataType::kAuto, OUTT = unsigned char, BLOCK_SIZE = 16, HEAD_SIZE = 64, NUM_THREADS = 256, ALIBI_ENABLED = true, GQA_RATIO = 2]"
	.size	__PRETTY_FUNCTION__._Z39paged_attention_ll4mi_QKV_mfma16_kernelI14__hip_bfloat16S0_LN4vllm18Fp8KVCacheDataTypeE0EhLi16ELi64ELi256ELb1ELi2EEvPKT_PKT0_S8_ifPKiSA_SA_iPKfiiiPfSD_PS3_PT2_iSC_SC_, 611

	.type	__PRETTY_FUNCTION__._Z39paged_attention_ll4mi_QKV_mfma16_kernelI14__hip_bfloat16S0_LN4vllm18Fp8KVCacheDataTypeE0EhLi16ELi64ELi256ELb1ELi3EEvPKT_PKT0_S8_ifPKiSA_SA_iPKfiiiPfSD_PS3_PT2_iSC_SC_,@object ; @__PRETTY_FUNCTION__._Z39paged_attention_ll4mi_QKV_mfma16_kernelI14__hip_bfloat16S0_LN4vllm18Fp8KVCacheDataTypeE0EhLi16ELi64ELi256ELb1ELi3EEvPKT_PKT0_S8_ifPKiSA_SA_iPKfiiiPfSD_PS3_PT2_iSC_SC_
__PRETTY_FUNCTION__._Z39paged_attention_ll4mi_QKV_mfma16_kernelI14__hip_bfloat16S0_LN4vllm18Fp8KVCacheDataTypeE0EhLi16ELi64ELi256ELb1ELi3EEvPKT_PKT0_S8_ifPKiSA_SA_iPKfiiiPfSD_PS3_PT2_iSC_SC_:
	.asciz	"void paged_attention_ll4mi_QKV_mfma16_kernel(const scalar_t *__restrict, const cache_t *__restrict, const cache_t *__restrict, const int, const float, const int *__restrict, const int *__restrict, const int *__restrict, const int, const float *__restrict, const int, const int, const int, float *__restrict, float *__restrict, scalar_t *__restrict, OUTT *__restrict, int, const float *, const float *) [scalar_t = __hip_bfloat16, cache_t = __hip_bfloat16, KV_DTYPE = vllm::Fp8KVCacheDataType::kAuto, OUTT = unsigned char, BLOCK_SIZE = 16, HEAD_SIZE = 64, NUM_THREADS = 256, ALIBI_ENABLED = true, GQA_RATIO = 3]"
	.size	__PRETTY_FUNCTION__._Z39paged_attention_ll4mi_QKV_mfma16_kernelI14__hip_bfloat16S0_LN4vllm18Fp8KVCacheDataTypeE0EhLi16ELi64ELi256ELb1ELi3EEvPKT_PKT0_S8_ifPKiSA_SA_iPKfiiiPfSD_PS3_PT2_iSC_SC_, 611

	.type	__PRETTY_FUNCTION__._Z39paged_attention_ll4mi_QKV_mfma16_kernelI14__hip_bfloat16S0_LN4vllm18Fp8KVCacheDataTypeE0EhLi16ELi64ELi256ELb1ELi4EEvPKT_PKT0_S8_ifPKiSA_SA_iPKfiiiPfSD_PS3_PT2_iSC_SC_,@object ; @__PRETTY_FUNCTION__._Z39paged_attention_ll4mi_QKV_mfma16_kernelI14__hip_bfloat16S0_LN4vllm18Fp8KVCacheDataTypeE0EhLi16ELi64ELi256ELb1ELi4EEvPKT_PKT0_S8_ifPKiSA_SA_iPKfiiiPfSD_PS3_PT2_iSC_SC_
__PRETTY_FUNCTION__._Z39paged_attention_ll4mi_QKV_mfma16_kernelI14__hip_bfloat16S0_LN4vllm18Fp8KVCacheDataTypeE0EhLi16ELi64ELi256ELb1ELi4EEvPKT_PKT0_S8_ifPKiSA_SA_iPKfiiiPfSD_PS3_PT2_iSC_SC_:
	.asciz	"void paged_attention_ll4mi_QKV_mfma16_kernel(const scalar_t *__restrict, const cache_t *__restrict, const cache_t *__restrict, const int, const float, const int *__restrict, const int *__restrict, const int *__restrict, const int, const float *__restrict, const int, const int, const int, float *__restrict, float *__restrict, scalar_t *__restrict, OUTT *__restrict, int, const float *, const float *) [scalar_t = __hip_bfloat16, cache_t = __hip_bfloat16, KV_DTYPE = vllm::Fp8KVCacheDataType::kAuto, OUTT = unsigned char, BLOCK_SIZE = 16, HEAD_SIZE = 64, NUM_THREADS = 256, ALIBI_ENABLED = true, GQA_RATIO = 4]"
	.size	__PRETTY_FUNCTION__._Z39paged_attention_ll4mi_QKV_mfma16_kernelI14__hip_bfloat16S0_LN4vllm18Fp8KVCacheDataTypeE0EhLi16ELi64ELi256ELb1ELi4EEvPKT_PKT0_S8_ifPKiSA_SA_iPKfiiiPfSD_PS3_PT2_iSC_SC_, 611

	.type	__PRETTY_FUNCTION__._Z35paged_attention_ll4mi_reduce_kernelI14__hip_bfloat16hLi64ELi64ELi256ELi9EEvPT0_PKfS4_PKT_PKiS9_iS4_,@object ; @__PRETTY_FUNCTION__._Z35paged_attention_ll4mi_reduce_kernelI14__hip_bfloat16hLi64ELi64ELi256ELi9EEvPT0_PKfS4_PKT_PKiS9_iS4_
__PRETTY_FUNCTION__._Z35paged_attention_ll4mi_reduce_kernelI14__hip_bfloat16hLi64ELi64ELi256ELi9EEvPT0_PKfS4_PKT_PKiS9_iS4_:
	.asciz	"void paged_attention_ll4mi_reduce_kernel(OUTT *__restrict, const float *__restrict, const float *__restrict, const scalar_t *__restrict, const int *__restrict, const int *__restrict, const int, const float *__restrict) [scalar_t = __hip_bfloat16, OUTT = unsigned char, HEAD_SIZE = 64, NUM_THREADS = 64, PARTITION_SIZE = 256, NPAR_LOOPS = 9]"
	.size	__PRETTY_FUNCTION__._Z35paged_attention_ll4mi_reduce_kernelI14__hip_bfloat16hLi64ELi64ELi256ELi9EEvPT0_PKfS4_PKT_PKiS9_iS4_, 341

	.type	__PRETTY_FUNCTION__._Z35paged_attention_ll4mi_reduce_kernelI14__hip_bfloat16hLi64ELi64ELi256ELi10EEvPT0_PKfS4_PKT_PKiS9_iS4_,@object ; @__PRETTY_FUNCTION__._Z35paged_attention_ll4mi_reduce_kernelI14__hip_bfloat16hLi64ELi64ELi256ELi10EEvPT0_PKfS4_PKT_PKiS9_iS4_
__PRETTY_FUNCTION__._Z35paged_attention_ll4mi_reduce_kernelI14__hip_bfloat16hLi64ELi64ELi256ELi10EEvPT0_PKfS4_PKT_PKiS9_iS4_:
	.asciz	"void paged_attention_ll4mi_reduce_kernel(OUTT *__restrict, const float *__restrict, const float *__restrict, const scalar_t *__restrict, const int *__restrict, const int *__restrict, const int, const float *__restrict) [scalar_t = __hip_bfloat16, OUTT = unsigned char, HEAD_SIZE = 64, NUM_THREADS = 64, PARTITION_SIZE = 256, NPAR_LOOPS = 10]"
	.size	__PRETTY_FUNCTION__._Z35paged_attention_ll4mi_reduce_kernelI14__hip_bfloat16hLi64ELi64ELi256ELi10EEvPT0_PKfS4_PKT_PKiS9_iS4_, 342

	.type	__PRETTY_FUNCTION__._Z35paged_attention_ll4mi_reduce_kernelI14__hip_bfloat16hLi64ELi64ELi256ELi11EEvPT0_PKfS4_PKT_PKiS9_iS4_,@object ; @__PRETTY_FUNCTION__._Z35paged_attention_ll4mi_reduce_kernelI14__hip_bfloat16hLi64ELi64ELi256ELi11EEvPT0_PKfS4_PKT_PKiS9_iS4_
__PRETTY_FUNCTION__._Z35paged_attention_ll4mi_reduce_kernelI14__hip_bfloat16hLi64ELi64ELi256ELi11EEvPT0_PKfS4_PKT_PKiS9_iS4_:
	.asciz	"void paged_attention_ll4mi_reduce_kernel(OUTT *__restrict, const float *__restrict, const float *__restrict, const scalar_t *__restrict, const int *__restrict, const int *__restrict, const int, const float *__restrict) [scalar_t = __hip_bfloat16, OUTT = unsigned char, HEAD_SIZE = 64, NUM_THREADS = 64, PARTITION_SIZE = 256, NPAR_LOOPS = 11]"
	.size	__PRETTY_FUNCTION__._Z35paged_attention_ll4mi_reduce_kernelI14__hip_bfloat16hLi64ELi64ELi256ELi11EEvPT0_PKfS4_PKT_PKiS9_iS4_, 342

	.type	__PRETTY_FUNCTION__._Z35paged_attention_ll4mi_reduce_kernelI14__hip_bfloat16hLi64ELi64ELi256ELi12EEvPT0_PKfS4_PKT_PKiS9_iS4_,@object ; @__PRETTY_FUNCTION__._Z35paged_attention_ll4mi_reduce_kernelI14__hip_bfloat16hLi64ELi64ELi256ELi12EEvPT0_PKfS4_PKT_PKiS9_iS4_
__PRETTY_FUNCTION__._Z35paged_attention_ll4mi_reduce_kernelI14__hip_bfloat16hLi64ELi64ELi256ELi12EEvPT0_PKfS4_PKT_PKiS9_iS4_:
	.asciz	"void paged_attention_ll4mi_reduce_kernel(OUTT *__restrict, const float *__restrict, const float *__restrict, const scalar_t *__restrict, const int *__restrict, const int *__restrict, const int, const float *__restrict) [scalar_t = __hip_bfloat16, OUTT = unsigned char, HEAD_SIZE = 64, NUM_THREADS = 64, PARTITION_SIZE = 256, NPAR_LOOPS = 12]"
	.size	__PRETTY_FUNCTION__._Z35paged_attention_ll4mi_reduce_kernelI14__hip_bfloat16hLi64ELi64ELi256ELi12EEvPT0_PKfS4_PKT_PKiS9_iS4_, 342

	.type	__PRETTY_FUNCTION__._Z35paged_attention_ll4mi_reduce_kernelI14__hip_bfloat16hLi64ELi64ELi256ELi13EEvPT0_PKfS4_PKT_PKiS9_iS4_,@object ; @__PRETTY_FUNCTION__._Z35paged_attention_ll4mi_reduce_kernelI14__hip_bfloat16hLi64ELi64ELi256ELi13EEvPT0_PKfS4_PKT_PKiS9_iS4_
__PRETTY_FUNCTION__._Z35paged_attention_ll4mi_reduce_kernelI14__hip_bfloat16hLi64ELi64ELi256ELi13EEvPT0_PKfS4_PKT_PKiS9_iS4_:
	.asciz	"void paged_attention_ll4mi_reduce_kernel(OUTT *__restrict, const float *__restrict, const float *__restrict, const scalar_t *__restrict, const int *__restrict, const int *__restrict, const int, const float *__restrict) [scalar_t = __hip_bfloat16, OUTT = unsigned char, HEAD_SIZE = 64, NUM_THREADS = 64, PARTITION_SIZE = 256, NPAR_LOOPS = 13]"
	.size	__PRETTY_FUNCTION__._Z35paged_attention_ll4mi_reduce_kernelI14__hip_bfloat16hLi64ELi64ELi256ELi13EEvPT0_PKfS4_PKT_PKiS9_iS4_, 342

	.type	__PRETTY_FUNCTION__._Z35paged_attention_ll4mi_reduce_kernelI14__hip_bfloat16hLi64ELi64ELi256ELi14EEvPT0_PKfS4_PKT_PKiS9_iS4_,@object ; @__PRETTY_FUNCTION__._Z35paged_attention_ll4mi_reduce_kernelI14__hip_bfloat16hLi64ELi64ELi256ELi14EEvPT0_PKfS4_PKT_PKiS9_iS4_
__PRETTY_FUNCTION__._Z35paged_attention_ll4mi_reduce_kernelI14__hip_bfloat16hLi64ELi64ELi256ELi14EEvPT0_PKfS4_PKT_PKiS9_iS4_:
	.asciz	"void paged_attention_ll4mi_reduce_kernel(OUTT *__restrict, const float *__restrict, const float *__restrict, const scalar_t *__restrict, const int *__restrict, const int *__restrict, const int, const float *__restrict) [scalar_t = __hip_bfloat16, OUTT = unsigned char, HEAD_SIZE = 64, NUM_THREADS = 64, PARTITION_SIZE = 256, NPAR_LOOPS = 14]"
	.size	__PRETTY_FUNCTION__._Z35paged_attention_ll4mi_reduce_kernelI14__hip_bfloat16hLi64ELi64ELi256ELi14EEvPT0_PKfS4_PKT_PKiS9_iS4_, 342

	.type	__PRETTY_FUNCTION__._Z35paged_attention_ll4mi_reduce_kernelI14__hip_bfloat16hLi64ELi64ELi256ELi15EEvPT0_PKfS4_PKT_PKiS9_iS4_,@object ; @__PRETTY_FUNCTION__._Z35paged_attention_ll4mi_reduce_kernelI14__hip_bfloat16hLi64ELi64ELi256ELi15EEvPT0_PKfS4_PKT_PKiS9_iS4_
__PRETTY_FUNCTION__._Z35paged_attention_ll4mi_reduce_kernelI14__hip_bfloat16hLi64ELi64ELi256ELi15EEvPT0_PKfS4_PKT_PKiS9_iS4_:
	.asciz	"void paged_attention_ll4mi_reduce_kernel(OUTT *__restrict, const float *__restrict, const float *__restrict, const scalar_t *__restrict, const int *__restrict, const int *__restrict, const int, const float *__restrict) [scalar_t = __hip_bfloat16, OUTT = unsigned char, HEAD_SIZE = 64, NUM_THREADS = 64, PARTITION_SIZE = 256, NPAR_LOOPS = 15]"
	.size	__PRETTY_FUNCTION__._Z35paged_attention_ll4mi_reduce_kernelI14__hip_bfloat16hLi64ELi64ELi256ELi15EEvPT0_PKfS4_PKT_PKiS9_iS4_, 342

	.type	__PRETTY_FUNCTION__._Z35paged_attention_ll4mi_reduce_kernelI14__hip_bfloat16hLi64ELi64ELi256ELi16EEvPT0_PKfS4_PKT_PKiS9_iS4_,@object ; @__PRETTY_FUNCTION__._Z35paged_attention_ll4mi_reduce_kernelI14__hip_bfloat16hLi64ELi64ELi256ELi16EEvPT0_PKfS4_PKT_PKiS9_iS4_
__PRETTY_FUNCTION__._Z35paged_attention_ll4mi_reduce_kernelI14__hip_bfloat16hLi64ELi64ELi256ELi16EEvPT0_PKfS4_PKT_PKiS9_iS4_:
	.asciz	"void paged_attention_ll4mi_reduce_kernel(OUTT *__restrict, const float *__restrict, const float *__restrict, const scalar_t *__restrict, const int *__restrict, const int *__restrict, const int, const float *__restrict) [scalar_t = __hip_bfloat16, OUTT = unsigned char, HEAD_SIZE = 64, NUM_THREADS = 64, PARTITION_SIZE = 256, NPAR_LOOPS = 16]"
	.size	__PRETTY_FUNCTION__._Z35paged_attention_ll4mi_reduce_kernelI14__hip_bfloat16hLi64ELi64ELi256ELi16EEvPT0_PKfS4_PKT_PKiS9_iS4_, 342

	.type	__PRETTY_FUNCTION__._Z38paged_attention_ll4mi_QKV_mfma4_kernelI14__hip_bfloat16S0_LN4vllm18Fp8KVCacheDataTypeE0EhLi16ELi64ELi256ELb0ELi1EEvPKT_PKT0_S8_ifPKiSA_SA_iPKfiiiPfSD_PS3_PT2_iSC_SC_,@object ; @__PRETTY_FUNCTION__._Z38paged_attention_ll4mi_QKV_mfma4_kernelI14__hip_bfloat16S0_LN4vllm18Fp8KVCacheDataTypeE0EhLi16ELi64ELi256ELb0ELi1EEvPKT_PKT0_S8_ifPKiSA_SA_iPKfiiiPfSD_PS3_PT2_iSC_SC_
__PRETTY_FUNCTION__._Z38paged_attention_ll4mi_QKV_mfma4_kernelI14__hip_bfloat16S0_LN4vllm18Fp8KVCacheDataTypeE0EhLi16ELi64ELi256ELb0ELi1EEvPKT_PKT0_S8_ifPKiSA_SA_iPKfiiiPfSD_PS3_PT2_iSC_SC_:
	.asciz	"void paged_attention_ll4mi_QKV_mfma4_kernel(const scalar_t *__restrict, const cache_t *__restrict, const cache_t *__restrict, const int, const float, const int *__restrict, const int *__restrict, const int *__restrict, const int, const float *__restrict, const int, const int, const int, float *__restrict, float *__restrict, scalar_t *__restrict, OUTT *__restrict, int, const float *, const float *) [scalar_t = __hip_bfloat16, cache_t = __hip_bfloat16, KV_DTYPE = vllm::Fp8KVCacheDataType::kAuto, OUTT = unsigned char, BLOCK_SIZE = 16, HEAD_SIZE = 64, NUM_THREADS = 256, ALIBI_ENABLED = false, GQA_RATIO = 1]"
	.size	__PRETTY_FUNCTION__._Z38paged_attention_ll4mi_QKV_mfma4_kernelI14__hip_bfloat16S0_LN4vllm18Fp8KVCacheDataTypeE0EhLi16ELi64ELi256ELb0ELi1EEvPKT_PKT0_S8_ifPKiSA_SA_iPKfiiiPfSD_PS3_PT2_iSC_SC_, 611

	.type	__PRETTY_FUNCTION__._Z38paged_attention_ll4mi_QKV_mfma4_kernelI14__hip_bfloat16S0_LN4vllm18Fp8KVCacheDataTypeE0EhLi16ELi64ELi256ELb0ELi2EEvPKT_PKT0_S8_ifPKiSA_SA_iPKfiiiPfSD_PS3_PT2_iSC_SC_,@object ; @__PRETTY_FUNCTION__._Z38paged_attention_ll4mi_QKV_mfma4_kernelI14__hip_bfloat16S0_LN4vllm18Fp8KVCacheDataTypeE0EhLi16ELi64ELi256ELb0ELi2EEvPKT_PKT0_S8_ifPKiSA_SA_iPKfiiiPfSD_PS3_PT2_iSC_SC_
__PRETTY_FUNCTION__._Z38paged_attention_ll4mi_QKV_mfma4_kernelI14__hip_bfloat16S0_LN4vllm18Fp8KVCacheDataTypeE0EhLi16ELi64ELi256ELb0ELi2EEvPKT_PKT0_S8_ifPKiSA_SA_iPKfiiiPfSD_PS3_PT2_iSC_SC_:
	.asciz	"void paged_attention_ll4mi_QKV_mfma4_kernel(const scalar_t *__restrict, const cache_t *__restrict, const cache_t *__restrict, const int, const float, const int *__restrict, const int *__restrict, const int *__restrict, const int, const float *__restrict, const int, const int, const int, float *__restrict, float *__restrict, scalar_t *__restrict, OUTT *__restrict, int, const float *, const float *) [scalar_t = __hip_bfloat16, cache_t = __hip_bfloat16, KV_DTYPE = vllm::Fp8KVCacheDataType::kAuto, OUTT = unsigned char, BLOCK_SIZE = 16, HEAD_SIZE = 64, NUM_THREADS = 256, ALIBI_ENABLED = false, GQA_RATIO = 2]"
	.size	__PRETTY_FUNCTION__._Z38paged_attention_ll4mi_QKV_mfma4_kernelI14__hip_bfloat16S0_LN4vllm18Fp8KVCacheDataTypeE0EhLi16ELi64ELi256ELb0ELi2EEvPKT_PKT0_S8_ifPKiSA_SA_iPKfiiiPfSD_PS3_PT2_iSC_SC_, 611

	.type	__PRETTY_FUNCTION__._Z38paged_attention_ll4mi_QKV_mfma4_kernelI14__hip_bfloat16S0_LN4vllm18Fp8KVCacheDataTypeE0EhLi16ELi64ELi256ELb0ELi3EEvPKT_PKT0_S8_ifPKiSA_SA_iPKfiiiPfSD_PS3_PT2_iSC_SC_,@object ; @__PRETTY_FUNCTION__._Z38paged_attention_ll4mi_QKV_mfma4_kernelI14__hip_bfloat16S0_LN4vllm18Fp8KVCacheDataTypeE0EhLi16ELi64ELi256ELb0ELi3EEvPKT_PKT0_S8_ifPKiSA_SA_iPKfiiiPfSD_PS3_PT2_iSC_SC_
__PRETTY_FUNCTION__._Z38paged_attention_ll4mi_QKV_mfma4_kernelI14__hip_bfloat16S0_LN4vllm18Fp8KVCacheDataTypeE0EhLi16ELi64ELi256ELb0ELi3EEvPKT_PKT0_S8_ifPKiSA_SA_iPKfiiiPfSD_PS3_PT2_iSC_SC_:
	.asciz	"void paged_attention_ll4mi_QKV_mfma4_kernel(const scalar_t *__restrict, const cache_t *__restrict, const cache_t *__restrict, const int, const float, const int *__restrict, const int *__restrict, const int *__restrict, const int, const float *__restrict, const int, const int, const int, float *__restrict, float *__restrict, scalar_t *__restrict, OUTT *__restrict, int, const float *, const float *) [scalar_t = __hip_bfloat16, cache_t = __hip_bfloat16, KV_DTYPE = vllm::Fp8KVCacheDataType::kAuto, OUTT = unsigned char, BLOCK_SIZE = 16, HEAD_SIZE = 64, NUM_THREADS = 256, ALIBI_ENABLED = false, GQA_RATIO = 3]"
	.size	__PRETTY_FUNCTION__._Z38paged_attention_ll4mi_QKV_mfma4_kernelI14__hip_bfloat16S0_LN4vllm18Fp8KVCacheDataTypeE0EhLi16ELi64ELi256ELb0ELi3EEvPKT_PKT0_S8_ifPKiSA_SA_iPKfiiiPfSD_PS3_PT2_iSC_SC_, 611

	.type	__PRETTY_FUNCTION__._Z38paged_attention_ll4mi_QKV_mfma4_kernelI14__hip_bfloat16S0_LN4vllm18Fp8KVCacheDataTypeE0EhLi16ELi64ELi256ELb0ELi4EEvPKT_PKT0_S8_ifPKiSA_SA_iPKfiiiPfSD_PS3_PT2_iSC_SC_,@object ; @__PRETTY_FUNCTION__._Z38paged_attention_ll4mi_QKV_mfma4_kernelI14__hip_bfloat16S0_LN4vllm18Fp8KVCacheDataTypeE0EhLi16ELi64ELi256ELb0ELi4EEvPKT_PKT0_S8_ifPKiSA_SA_iPKfiiiPfSD_PS3_PT2_iSC_SC_
__PRETTY_FUNCTION__._Z38paged_attention_ll4mi_QKV_mfma4_kernelI14__hip_bfloat16S0_LN4vllm18Fp8KVCacheDataTypeE0EhLi16ELi64ELi256ELb0ELi4EEvPKT_PKT0_S8_ifPKiSA_SA_iPKfiiiPfSD_PS3_PT2_iSC_SC_:
	.asciz	"void paged_attention_ll4mi_QKV_mfma4_kernel(const scalar_t *__restrict, const cache_t *__restrict, const cache_t *__restrict, const int, const float, const int *__restrict, const int *__restrict, const int *__restrict, const int, const float *__restrict, const int, const int, const int, float *__restrict, float *__restrict, scalar_t *__restrict, OUTT *__restrict, int, const float *, const float *) [scalar_t = __hip_bfloat16, cache_t = __hip_bfloat16, KV_DTYPE = vllm::Fp8KVCacheDataType::kAuto, OUTT = unsigned char, BLOCK_SIZE = 16, HEAD_SIZE = 64, NUM_THREADS = 256, ALIBI_ENABLED = false, GQA_RATIO = 4]"
	.size	__PRETTY_FUNCTION__._Z38paged_attention_ll4mi_QKV_mfma4_kernelI14__hip_bfloat16S0_LN4vllm18Fp8KVCacheDataTypeE0EhLi16ELi64ELi256ELb0ELi4EEvPKT_PKT0_S8_ifPKiSA_SA_iPKfiiiPfSD_PS3_PT2_iSC_SC_, 611

	.type	__PRETTY_FUNCTION__._Z39paged_attention_ll4mi_QKV_mfma16_kernelI14__hip_bfloat16S0_LN4vllm18Fp8KVCacheDataTypeE0EhLi16ELi64ELi256ELb0ELi5EEvPKT_PKT0_S8_ifPKiSA_SA_iPKfiiiPfSD_PS3_PT2_iSC_SC_,@object ; @__PRETTY_FUNCTION__._Z39paged_attention_ll4mi_QKV_mfma16_kernelI14__hip_bfloat16S0_LN4vllm18Fp8KVCacheDataTypeE0EhLi16ELi64ELi256ELb0ELi5EEvPKT_PKT0_S8_ifPKiSA_SA_iPKfiiiPfSD_PS3_PT2_iSC_SC_
__PRETTY_FUNCTION__._Z39paged_attention_ll4mi_QKV_mfma16_kernelI14__hip_bfloat16S0_LN4vllm18Fp8KVCacheDataTypeE0EhLi16ELi64ELi256ELb0ELi5EEvPKT_PKT0_S8_ifPKiSA_SA_iPKfiiiPfSD_PS3_PT2_iSC_SC_:
	.asciz	"void paged_attention_ll4mi_QKV_mfma16_kernel(const scalar_t *__restrict, const cache_t *__restrict, const cache_t *__restrict, const int, const float, const int *__restrict, const int *__restrict, const int *__restrict, const int, const float *__restrict, const int, const int, const int, float *__restrict, float *__restrict, scalar_t *__restrict, OUTT *__restrict, int, const float *, const float *) [scalar_t = __hip_bfloat16, cache_t = __hip_bfloat16, KV_DTYPE = vllm::Fp8KVCacheDataType::kAuto, OUTT = unsigned char, BLOCK_SIZE = 16, HEAD_SIZE = 64, NUM_THREADS = 256, ALIBI_ENABLED = false, GQA_RATIO = 5]"
	.size	__PRETTY_FUNCTION__._Z39paged_attention_ll4mi_QKV_mfma16_kernelI14__hip_bfloat16S0_LN4vllm18Fp8KVCacheDataTypeE0EhLi16ELi64ELi256ELb0ELi5EEvPKT_PKT0_S8_ifPKiSA_SA_iPKfiiiPfSD_PS3_PT2_iSC_SC_, 612

	.type	__PRETTY_FUNCTION__._Z39paged_attention_ll4mi_QKV_mfma16_kernelI14__hip_bfloat16S0_LN4vllm18Fp8KVCacheDataTypeE0EhLi16ELi64ELi256ELb0ELi6EEvPKT_PKT0_S8_ifPKiSA_SA_iPKfiiiPfSD_PS3_PT2_iSC_SC_,@object ; @__PRETTY_FUNCTION__._Z39paged_attention_ll4mi_QKV_mfma16_kernelI14__hip_bfloat16S0_LN4vllm18Fp8KVCacheDataTypeE0EhLi16ELi64ELi256ELb0ELi6EEvPKT_PKT0_S8_ifPKiSA_SA_iPKfiiiPfSD_PS3_PT2_iSC_SC_
__PRETTY_FUNCTION__._Z39paged_attention_ll4mi_QKV_mfma16_kernelI14__hip_bfloat16S0_LN4vllm18Fp8KVCacheDataTypeE0EhLi16ELi64ELi256ELb0ELi6EEvPKT_PKT0_S8_ifPKiSA_SA_iPKfiiiPfSD_PS3_PT2_iSC_SC_:
	.asciz	"void paged_attention_ll4mi_QKV_mfma16_kernel(const scalar_t *__restrict, const cache_t *__restrict, const cache_t *__restrict, const int, const float, const int *__restrict, const int *__restrict, const int *__restrict, const int, const float *__restrict, const int, const int, const int, float *__restrict, float *__restrict, scalar_t *__restrict, OUTT *__restrict, int, const float *, const float *) [scalar_t = __hip_bfloat16, cache_t = __hip_bfloat16, KV_DTYPE = vllm::Fp8KVCacheDataType::kAuto, OUTT = unsigned char, BLOCK_SIZE = 16, HEAD_SIZE = 64, NUM_THREADS = 256, ALIBI_ENABLED = false, GQA_RATIO = 6]"
	.size	__PRETTY_FUNCTION__._Z39paged_attention_ll4mi_QKV_mfma16_kernelI14__hip_bfloat16S0_LN4vllm18Fp8KVCacheDataTypeE0EhLi16ELi64ELi256ELb0ELi6EEvPKT_PKT0_S8_ifPKiSA_SA_iPKfiiiPfSD_PS3_PT2_iSC_SC_, 612

	.type	__PRETTY_FUNCTION__._Z39paged_attention_ll4mi_QKV_mfma16_kernelI14__hip_bfloat16S0_LN4vllm18Fp8KVCacheDataTypeE0EhLi16ELi64ELi256ELb0ELi7EEvPKT_PKT0_S8_ifPKiSA_SA_iPKfiiiPfSD_PS3_PT2_iSC_SC_,@object ; @__PRETTY_FUNCTION__._Z39paged_attention_ll4mi_QKV_mfma16_kernelI14__hip_bfloat16S0_LN4vllm18Fp8KVCacheDataTypeE0EhLi16ELi64ELi256ELb0ELi7EEvPKT_PKT0_S8_ifPKiSA_SA_iPKfiiiPfSD_PS3_PT2_iSC_SC_
__PRETTY_FUNCTION__._Z39paged_attention_ll4mi_QKV_mfma16_kernelI14__hip_bfloat16S0_LN4vllm18Fp8KVCacheDataTypeE0EhLi16ELi64ELi256ELb0ELi7EEvPKT_PKT0_S8_ifPKiSA_SA_iPKfiiiPfSD_PS3_PT2_iSC_SC_:
	.asciz	"void paged_attention_ll4mi_QKV_mfma16_kernel(const scalar_t *__restrict, const cache_t *__restrict, const cache_t *__restrict, const int, const float, const int *__restrict, const int *__restrict, const int *__restrict, const int, const float *__restrict, const int, const int, const int, float *__restrict, float *__restrict, scalar_t *__restrict, OUTT *__restrict, int, const float *, const float *) [scalar_t = __hip_bfloat16, cache_t = __hip_bfloat16, KV_DTYPE = vllm::Fp8KVCacheDataType::kAuto, OUTT = unsigned char, BLOCK_SIZE = 16, HEAD_SIZE = 64, NUM_THREADS = 256, ALIBI_ENABLED = false, GQA_RATIO = 7]"
	.size	__PRETTY_FUNCTION__._Z39paged_attention_ll4mi_QKV_mfma16_kernelI14__hip_bfloat16S0_LN4vllm18Fp8KVCacheDataTypeE0EhLi16ELi64ELi256ELb0ELi7EEvPKT_PKT0_S8_ifPKiSA_SA_iPKfiiiPfSD_PS3_PT2_iSC_SC_, 612

	.type	__PRETTY_FUNCTION__._Z39paged_attention_ll4mi_QKV_mfma16_kernelI14__hip_bfloat16S0_LN4vllm18Fp8KVCacheDataTypeE0EhLi16ELi64ELi256ELb0ELi8EEvPKT_PKT0_S8_ifPKiSA_SA_iPKfiiiPfSD_PS3_PT2_iSC_SC_,@object ; @__PRETTY_FUNCTION__._Z39paged_attention_ll4mi_QKV_mfma16_kernelI14__hip_bfloat16S0_LN4vllm18Fp8KVCacheDataTypeE0EhLi16ELi64ELi256ELb0ELi8EEvPKT_PKT0_S8_ifPKiSA_SA_iPKfiiiPfSD_PS3_PT2_iSC_SC_
__PRETTY_FUNCTION__._Z39paged_attention_ll4mi_QKV_mfma16_kernelI14__hip_bfloat16S0_LN4vllm18Fp8KVCacheDataTypeE0EhLi16ELi64ELi256ELb0ELi8EEvPKT_PKT0_S8_ifPKiSA_SA_iPKfiiiPfSD_PS3_PT2_iSC_SC_:
	.asciz	"void paged_attention_ll4mi_QKV_mfma16_kernel(const scalar_t *__restrict, const cache_t *__restrict, const cache_t *__restrict, const int, const float, const int *__restrict, const int *__restrict, const int *__restrict, const int, const float *__restrict, const int, const int, const int, float *__restrict, float *__restrict, scalar_t *__restrict, OUTT *__restrict, int, const float *, const float *) [scalar_t = __hip_bfloat16, cache_t = __hip_bfloat16, KV_DTYPE = vllm::Fp8KVCacheDataType::kAuto, OUTT = unsigned char, BLOCK_SIZE = 16, HEAD_SIZE = 64, NUM_THREADS = 256, ALIBI_ENABLED = false, GQA_RATIO = 8]"
	.size	__PRETTY_FUNCTION__._Z39paged_attention_ll4mi_QKV_mfma16_kernelI14__hip_bfloat16S0_LN4vllm18Fp8KVCacheDataTypeE0EhLi16ELi64ELi256ELb0ELi8EEvPKT_PKT0_S8_ifPKiSA_SA_iPKfiiiPfSD_PS3_PT2_iSC_SC_, 612

	.type	__PRETTY_FUNCTION__._Z39paged_attention_ll4mi_QKV_mfma16_kernelI14__hip_bfloat16S0_LN4vllm18Fp8KVCacheDataTypeE0EhLi16ELi64ELi256ELb0ELi9EEvPKT_PKT0_S8_ifPKiSA_SA_iPKfiiiPfSD_PS3_PT2_iSC_SC_,@object ; @__PRETTY_FUNCTION__._Z39paged_attention_ll4mi_QKV_mfma16_kernelI14__hip_bfloat16S0_LN4vllm18Fp8KVCacheDataTypeE0EhLi16ELi64ELi256ELb0ELi9EEvPKT_PKT0_S8_ifPKiSA_SA_iPKfiiiPfSD_PS3_PT2_iSC_SC_
__PRETTY_FUNCTION__._Z39paged_attention_ll4mi_QKV_mfma16_kernelI14__hip_bfloat16S0_LN4vllm18Fp8KVCacheDataTypeE0EhLi16ELi64ELi256ELb0ELi9EEvPKT_PKT0_S8_ifPKiSA_SA_iPKfiiiPfSD_PS3_PT2_iSC_SC_:
	.asciz	"void paged_attention_ll4mi_QKV_mfma16_kernel(const scalar_t *__restrict, const cache_t *__restrict, const cache_t *__restrict, const int, const float, const int *__restrict, const int *__restrict, const int *__restrict, const int, const float *__restrict, const int, const int, const int, float *__restrict, float *__restrict, scalar_t *__restrict, OUTT *__restrict, int, const float *, const float *) [scalar_t = __hip_bfloat16, cache_t = __hip_bfloat16, KV_DTYPE = vllm::Fp8KVCacheDataType::kAuto, OUTT = unsigned char, BLOCK_SIZE = 16, HEAD_SIZE = 64, NUM_THREADS = 256, ALIBI_ENABLED = false, GQA_RATIO = 9]"
	.size	__PRETTY_FUNCTION__._Z39paged_attention_ll4mi_QKV_mfma16_kernelI14__hip_bfloat16S0_LN4vllm18Fp8KVCacheDataTypeE0EhLi16ELi64ELi256ELb0ELi9EEvPKT_PKT0_S8_ifPKiSA_SA_iPKfiiiPfSD_PS3_PT2_iSC_SC_, 612

	.type	__PRETTY_FUNCTION__._Z39paged_attention_ll4mi_QKV_mfma16_kernelI14__hip_bfloat16S0_LN4vllm18Fp8KVCacheDataTypeE0EhLi16ELi64ELi256ELb0ELi10EEvPKT_PKT0_S8_ifPKiSA_SA_iPKfiiiPfSD_PS3_PT2_iSC_SC_,@object ; @__PRETTY_FUNCTION__._Z39paged_attention_ll4mi_QKV_mfma16_kernelI14__hip_bfloat16S0_LN4vllm18Fp8KVCacheDataTypeE0EhLi16ELi64ELi256ELb0ELi10EEvPKT_PKT0_S8_ifPKiSA_SA_iPKfiiiPfSD_PS3_PT2_iSC_SC_
__PRETTY_FUNCTION__._Z39paged_attention_ll4mi_QKV_mfma16_kernelI14__hip_bfloat16S0_LN4vllm18Fp8KVCacheDataTypeE0EhLi16ELi64ELi256ELb0ELi10EEvPKT_PKT0_S8_ifPKiSA_SA_iPKfiiiPfSD_PS3_PT2_iSC_SC_:
	.asciz	"void paged_attention_ll4mi_QKV_mfma16_kernel(const scalar_t *__restrict, const cache_t *__restrict, const cache_t *__restrict, const int, const float, const int *__restrict, const int *__restrict, const int *__restrict, const int, const float *__restrict, const int, const int, const int, float *__restrict, float *__restrict, scalar_t *__restrict, OUTT *__restrict, int, const float *, const float *) [scalar_t = __hip_bfloat16, cache_t = __hip_bfloat16, KV_DTYPE = vllm::Fp8KVCacheDataType::kAuto, OUTT = unsigned char, BLOCK_SIZE = 16, HEAD_SIZE = 64, NUM_THREADS = 256, ALIBI_ENABLED = false, GQA_RATIO = 10]"
	.size	__PRETTY_FUNCTION__._Z39paged_attention_ll4mi_QKV_mfma16_kernelI14__hip_bfloat16S0_LN4vllm18Fp8KVCacheDataTypeE0EhLi16ELi64ELi256ELb0ELi10EEvPKT_PKT0_S8_ifPKiSA_SA_iPKfiiiPfSD_PS3_PT2_iSC_SC_, 613

	.type	__PRETTY_FUNCTION__._Z39paged_attention_ll4mi_QKV_mfma16_kernelI14__hip_bfloat16S0_LN4vllm18Fp8KVCacheDataTypeE0EhLi16ELi64ELi256ELb0ELi11EEvPKT_PKT0_S8_ifPKiSA_SA_iPKfiiiPfSD_PS3_PT2_iSC_SC_,@object ; @__PRETTY_FUNCTION__._Z39paged_attention_ll4mi_QKV_mfma16_kernelI14__hip_bfloat16S0_LN4vllm18Fp8KVCacheDataTypeE0EhLi16ELi64ELi256ELb0ELi11EEvPKT_PKT0_S8_ifPKiSA_SA_iPKfiiiPfSD_PS3_PT2_iSC_SC_
__PRETTY_FUNCTION__._Z39paged_attention_ll4mi_QKV_mfma16_kernelI14__hip_bfloat16S0_LN4vllm18Fp8KVCacheDataTypeE0EhLi16ELi64ELi256ELb0ELi11EEvPKT_PKT0_S8_ifPKiSA_SA_iPKfiiiPfSD_PS3_PT2_iSC_SC_:
	.asciz	"void paged_attention_ll4mi_QKV_mfma16_kernel(const scalar_t *__restrict, const cache_t *__restrict, const cache_t *__restrict, const int, const float, const int *__restrict, const int *__restrict, const int *__restrict, const int, const float *__restrict, const int, const int, const int, float *__restrict, float *__restrict, scalar_t *__restrict, OUTT *__restrict, int, const float *, const float *) [scalar_t = __hip_bfloat16, cache_t = __hip_bfloat16, KV_DTYPE = vllm::Fp8KVCacheDataType::kAuto, OUTT = unsigned char, BLOCK_SIZE = 16, HEAD_SIZE = 64, NUM_THREADS = 256, ALIBI_ENABLED = false, GQA_RATIO = 11]"
	.size	__PRETTY_FUNCTION__._Z39paged_attention_ll4mi_QKV_mfma16_kernelI14__hip_bfloat16S0_LN4vllm18Fp8KVCacheDataTypeE0EhLi16ELi64ELi256ELb0ELi11EEvPKT_PKT0_S8_ifPKiSA_SA_iPKfiiiPfSD_PS3_PT2_iSC_SC_, 613

	.type	__PRETTY_FUNCTION__._Z39paged_attention_ll4mi_QKV_mfma16_kernelI14__hip_bfloat16S0_LN4vllm18Fp8KVCacheDataTypeE0EhLi16ELi64ELi256ELb0ELi12EEvPKT_PKT0_S8_ifPKiSA_SA_iPKfiiiPfSD_PS3_PT2_iSC_SC_,@object ; @__PRETTY_FUNCTION__._Z39paged_attention_ll4mi_QKV_mfma16_kernelI14__hip_bfloat16S0_LN4vllm18Fp8KVCacheDataTypeE0EhLi16ELi64ELi256ELb0ELi12EEvPKT_PKT0_S8_ifPKiSA_SA_iPKfiiiPfSD_PS3_PT2_iSC_SC_
__PRETTY_FUNCTION__._Z39paged_attention_ll4mi_QKV_mfma16_kernelI14__hip_bfloat16S0_LN4vllm18Fp8KVCacheDataTypeE0EhLi16ELi64ELi256ELb0ELi12EEvPKT_PKT0_S8_ifPKiSA_SA_iPKfiiiPfSD_PS3_PT2_iSC_SC_:
	.asciz	"void paged_attention_ll4mi_QKV_mfma16_kernel(const scalar_t *__restrict, const cache_t *__restrict, const cache_t *__restrict, const int, const float, const int *__restrict, const int *__restrict, const int *__restrict, const int, const float *__restrict, const int, const int, const int, float *__restrict, float *__restrict, scalar_t *__restrict, OUTT *__restrict, int, const float *, const float *) [scalar_t = __hip_bfloat16, cache_t = __hip_bfloat16, KV_DTYPE = vllm::Fp8KVCacheDataType::kAuto, OUTT = unsigned char, BLOCK_SIZE = 16, HEAD_SIZE = 64, NUM_THREADS = 256, ALIBI_ENABLED = false, GQA_RATIO = 12]"
	.size	__PRETTY_FUNCTION__._Z39paged_attention_ll4mi_QKV_mfma16_kernelI14__hip_bfloat16S0_LN4vllm18Fp8KVCacheDataTypeE0EhLi16ELi64ELi256ELb0ELi12EEvPKT_PKT0_S8_ifPKiSA_SA_iPKfiiiPfSD_PS3_PT2_iSC_SC_, 613

	.type	__PRETTY_FUNCTION__._Z39paged_attention_ll4mi_QKV_mfma16_kernelI14__hip_bfloat16S0_LN4vllm18Fp8KVCacheDataTypeE0EhLi16ELi64ELi256ELb0ELi13EEvPKT_PKT0_S8_ifPKiSA_SA_iPKfiiiPfSD_PS3_PT2_iSC_SC_,@object ; @__PRETTY_FUNCTION__._Z39paged_attention_ll4mi_QKV_mfma16_kernelI14__hip_bfloat16S0_LN4vllm18Fp8KVCacheDataTypeE0EhLi16ELi64ELi256ELb0ELi13EEvPKT_PKT0_S8_ifPKiSA_SA_iPKfiiiPfSD_PS3_PT2_iSC_SC_
__PRETTY_FUNCTION__._Z39paged_attention_ll4mi_QKV_mfma16_kernelI14__hip_bfloat16S0_LN4vllm18Fp8KVCacheDataTypeE0EhLi16ELi64ELi256ELb0ELi13EEvPKT_PKT0_S8_ifPKiSA_SA_iPKfiiiPfSD_PS3_PT2_iSC_SC_:
	.asciz	"void paged_attention_ll4mi_QKV_mfma16_kernel(const scalar_t *__restrict, const cache_t *__restrict, const cache_t *__restrict, const int, const float, const int *__restrict, const int *__restrict, const int *__restrict, const int, const float *__restrict, const int, const int, const int, float *__restrict, float *__restrict, scalar_t *__restrict, OUTT *__restrict, int, const float *, const float *) [scalar_t = __hip_bfloat16, cache_t = __hip_bfloat16, KV_DTYPE = vllm::Fp8KVCacheDataType::kAuto, OUTT = unsigned char, BLOCK_SIZE = 16, HEAD_SIZE = 64, NUM_THREADS = 256, ALIBI_ENABLED = false, GQA_RATIO = 13]"
	.size	__PRETTY_FUNCTION__._Z39paged_attention_ll4mi_QKV_mfma16_kernelI14__hip_bfloat16S0_LN4vllm18Fp8KVCacheDataTypeE0EhLi16ELi64ELi256ELb0ELi13EEvPKT_PKT0_S8_ifPKiSA_SA_iPKfiiiPfSD_PS3_PT2_iSC_SC_, 613

	.type	__PRETTY_FUNCTION__._Z39paged_attention_ll4mi_QKV_mfma16_kernelI14__hip_bfloat16S0_LN4vllm18Fp8KVCacheDataTypeE0EhLi16ELi64ELi256ELb0ELi14EEvPKT_PKT0_S8_ifPKiSA_SA_iPKfiiiPfSD_PS3_PT2_iSC_SC_,@object ; @__PRETTY_FUNCTION__._Z39paged_attention_ll4mi_QKV_mfma16_kernelI14__hip_bfloat16S0_LN4vllm18Fp8KVCacheDataTypeE0EhLi16ELi64ELi256ELb0ELi14EEvPKT_PKT0_S8_ifPKiSA_SA_iPKfiiiPfSD_PS3_PT2_iSC_SC_
__PRETTY_FUNCTION__._Z39paged_attention_ll4mi_QKV_mfma16_kernelI14__hip_bfloat16S0_LN4vllm18Fp8KVCacheDataTypeE0EhLi16ELi64ELi256ELb0ELi14EEvPKT_PKT0_S8_ifPKiSA_SA_iPKfiiiPfSD_PS3_PT2_iSC_SC_:
	.asciz	"void paged_attention_ll4mi_QKV_mfma16_kernel(const scalar_t *__restrict, const cache_t *__restrict, const cache_t *__restrict, const int, const float, const int *__restrict, const int *__restrict, const int *__restrict, const int, const float *__restrict, const int, const int, const int, float *__restrict, float *__restrict, scalar_t *__restrict, OUTT *__restrict, int, const float *, const float *) [scalar_t = __hip_bfloat16, cache_t = __hip_bfloat16, KV_DTYPE = vllm::Fp8KVCacheDataType::kAuto, OUTT = unsigned char, BLOCK_SIZE = 16, HEAD_SIZE = 64, NUM_THREADS = 256, ALIBI_ENABLED = false, GQA_RATIO = 14]"
	.size	__PRETTY_FUNCTION__._Z39paged_attention_ll4mi_QKV_mfma16_kernelI14__hip_bfloat16S0_LN4vllm18Fp8KVCacheDataTypeE0EhLi16ELi64ELi256ELb0ELi14EEvPKT_PKT0_S8_ifPKiSA_SA_iPKfiiiPfSD_PS3_PT2_iSC_SC_, 613

	.type	__PRETTY_FUNCTION__._Z39paged_attention_ll4mi_QKV_mfma16_kernelI14__hip_bfloat16S0_LN4vllm18Fp8KVCacheDataTypeE0EhLi16ELi64ELi256ELb0ELi15EEvPKT_PKT0_S8_ifPKiSA_SA_iPKfiiiPfSD_PS3_PT2_iSC_SC_,@object ; @__PRETTY_FUNCTION__._Z39paged_attention_ll4mi_QKV_mfma16_kernelI14__hip_bfloat16S0_LN4vllm18Fp8KVCacheDataTypeE0EhLi16ELi64ELi256ELb0ELi15EEvPKT_PKT0_S8_ifPKiSA_SA_iPKfiiiPfSD_PS3_PT2_iSC_SC_
__PRETTY_FUNCTION__._Z39paged_attention_ll4mi_QKV_mfma16_kernelI14__hip_bfloat16S0_LN4vllm18Fp8KVCacheDataTypeE0EhLi16ELi64ELi256ELb0ELi15EEvPKT_PKT0_S8_ifPKiSA_SA_iPKfiiiPfSD_PS3_PT2_iSC_SC_:
	.asciz	"void paged_attention_ll4mi_QKV_mfma16_kernel(const scalar_t *__restrict, const cache_t *__restrict, const cache_t *__restrict, const int, const float, const int *__restrict, const int *__restrict, const int *__restrict, const int, const float *__restrict, const int, const int, const int, float *__restrict, float *__restrict, scalar_t *__restrict, OUTT *__restrict, int, const float *, const float *) [scalar_t = __hip_bfloat16, cache_t = __hip_bfloat16, KV_DTYPE = vllm::Fp8KVCacheDataType::kAuto, OUTT = unsigned char, BLOCK_SIZE = 16, HEAD_SIZE = 64, NUM_THREADS = 256, ALIBI_ENABLED = false, GQA_RATIO = 15]"
	.size	__PRETTY_FUNCTION__._Z39paged_attention_ll4mi_QKV_mfma16_kernelI14__hip_bfloat16S0_LN4vllm18Fp8KVCacheDataTypeE0EhLi16ELi64ELi256ELb0ELi15EEvPKT_PKT0_S8_ifPKiSA_SA_iPKfiiiPfSD_PS3_PT2_iSC_SC_, 613

	.type	__PRETTY_FUNCTION__._Z39paged_attention_ll4mi_QKV_mfma16_kernelI14__hip_bfloat16S0_LN4vllm18Fp8KVCacheDataTypeE0EhLi16ELi64ELi256ELb0ELi16EEvPKT_PKT0_S8_ifPKiSA_SA_iPKfiiiPfSD_PS3_PT2_iSC_SC_,@object ; @__PRETTY_FUNCTION__._Z39paged_attention_ll4mi_QKV_mfma16_kernelI14__hip_bfloat16S0_LN4vllm18Fp8KVCacheDataTypeE0EhLi16ELi64ELi256ELb0ELi16EEvPKT_PKT0_S8_ifPKiSA_SA_iPKfiiiPfSD_PS3_PT2_iSC_SC_
__PRETTY_FUNCTION__._Z39paged_attention_ll4mi_QKV_mfma16_kernelI14__hip_bfloat16S0_LN4vllm18Fp8KVCacheDataTypeE0EhLi16ELi64ELi256ELb0ELi16EEvPKT_PKT0_S8_ifPKiSA_SA_iPKfiiiPfSD_PS3_PT2_iSC_SC_:
	.asciz	"void paged_attention_ll4mi_QKV_mfma16_kernel(const scalar_t *__restrict, const cache_t *__restrict, const cache_t *__restrict, const int, const float, const int *__restrict, const int *__restrict, const int *__restrict, const int, const float *__restrict, const int, const int, const int, float *__restrict, float *__restrict, scalar_t *__restrict, OUTT *__restrict, int, const float *, const float *) [scalar_t = __hip_bfloat16, cache_t = __hip_bfloat16, KV_DTYPE = vllm::Fp8KVCacheDataType::kAuto, OUTT = unsigned char, BLOCK_SIZE = 16, HEAD_SIZE = 64, NUM_THREADS = 256, ALIBI_ENABLED = false, GQA_RATIO = 16]"
	.size	__PRETTY_FUNCTION__._Z39paged_attention_ll4mi_QKV_mfma16_kernelI14__hip_bfloat16S0_LN4vllm18Fp8KVCacheDataTypeE0EhLi16ELi64ELi256ELb0ELi16EEvPKT_PKT0_S8_ifPKiSA_SA_iPKfiiiPfSD_PS3_PT2_iSC_SC_, 613

	.type	__PRETTY_FUNCTION__._Z39paged_attention_ll4mi_QKV_mfma16_kernelI14__hip_bfloat16S0_LN4vllm18Fp8KVCacheDataTypeE0EhLi16ELi64ELi256ELb0ELi1EEvPKT_PKT0_S8_ifPKiSA_SA_iPKfiiiPfSD_PS3_PT2_iSC_SC_,@object ; @__PRETTY_FUNCTION__._Z39paged_attention_ll4mi_QKV_mfma16_kernelI14__hip_bfloat16S0_LN4vllm18Fp8KVCacheDataTypeE0EhLi16ELi64ELi256ELb0ELi1EEvPKT_PKT0_S8_ifPKiSA_SA_iPKfiiiPfSD_PS3_PT2_iSC_SC_
__PRETTY_FUNCTION__._Z39paged_attention_ll4mi_QKV_mfma16_kernelI14__hip_bfloat16S0_LN4vllm18Fp8KVCacheDataTypeE0EhLi16ELi64ELi256ELb0ELi1EEvPKT_PKT0_S8_ifPKiSA_SA_iPKfiiiPfSD_PS3_PT2_iSC_SC_:
	.asciz	"void paged_attention_ll4mi_QKV_mfma16_kernel(const scalar_t *__restrict, const cache_t *__restrict, const cache_t *__restrict, const int, const float, const int *__restrict, const int *__restrict, const int *__restrict, const int, const float *__restrict, const int, const int, const int, float *__restrict, float *__restrict, scalar_t *__restrict, OUTT *__restrict, int, const float *, const float *) [scalar_t = __hip_bfloat16, cache_t = __hip_bfloat16, KV_DTYPE = vllm::Fp8KVCacheDataType::kAuto, OUTT = unsigned char, BLOCK_SIZE = 16, HEAD_SIZE = 64, NUM_THREADS = 256, ALIBI_ENABLED = false, GQA_RATIO = 1]"
	.size	__PRETTY_FUNCTION__._Z39paged_attention_ll4mi_QKV_mfma16_kernelI14__hip_bfloat16S0_LN4vllm18Fp8KVCacheDataTypeE0EhLi16ELi64ELi256ELb0ELi1EEvPKT_PKT0_S8_ifPKiSA_SA_iPKfiiiPfSD_PS3_PT2_iSC_SC_, 612

	.type	__PRETTY_FUNCTION__._Z39paged_attention_ll4mi_QKV_mfma16_kernelI14__hip_bfloat16S0_LN4vllm18Fp8KVCacheDataTypeE0EhLi16ELi64ELi256ELb0ELi2EEvPKT_PKT0_S8_ifPKiSA_SA_iPKfiiiPfSD_PS3_PT2_iSC_SC_,@object ; @__PRETTY_FUNCTION__._Z39paged_attention_ll4mi_QKV_mfma16_kernelI14__hip_bfloat16S0_LN4vllm18Fp8KVCacheDataTypeE0EhLi16ELi64ELi256ELb0ELi2EEvPKT_PKT0_S8_ifPKiSA_SA_iPKfiiiPfSD_PS3_PT2_iSC_SC_
__PRETTY_FUNCTION__._Z39paged_attention_ll4mi_QKV_mfma16_kernelI14__hip_bfloat16S0_LN4vllm18Fp8KVCacheDataTypeE0EhLi16ELi64ELi256ELb0ELi2EEvPKT_PKT0_S8_ifPKiSA_SA_iPKfiiiPfSD_PS3_PT2_iSC_SC_:
	.asciz	"void paged_attention_ll4mi_QKV_mfma16_kernel(const scalar_t *__restrict, const cache_t *__restrict, const cache_t *__restrict, const int, const float, const int *__restrict, const int *__restrict, const int *__restrict, const int, const float *__restrict, const int, const int, const int, float *__restrict, float *__restrict, scalar_t *__restrict, OUTT *__restrict, int, const float *, const float *) [scalar_t = __hip_bfloat16, cache_t = __hip_bfloat16, KV_DTYPE = vllm::Fp8KVCacheDataType::kAuto, OUTT = unsigned char, BLOCK_SIZE = 16, HEAD_SIZE = 64, NUM_THREADS = 256, ALIBI_ENABLED = false, GQA_RATIO = 2]"
	.size	__PRETTY_FUNCTION__._Z39paged_attention_ll4mi_QKV_mfma16_kernelI14__hip_bfloat16S0_LN4vllm18Fp8KVCacheDataTypeE0EhLi16ELi64ELi256ELb0ELi2EEvPKT_PKT0_S8_ifPKiSA_SA_iPKfiiiPfSD_PS3_PT2_iSC_SC_, 612

	.type	__PRETTY_FUNCTION__._Z39paged_attention_ll4mi_QKV_mfma16_kernelI14__hip_bfloat16S0_LN4vllm18Fp8KVCacheDataTypeE0EhLi16ELi64ELi256ELb0ELi3EEvPKT_PKT0_S8_ifPKiSA_SA_iPKfiiiPfSD_PS3_PT2_iSC_SC_,@object ; @__PRETTY_FUNCTION__._Z39paged_attention_ll4mi_QKV_mfma16_kernelI14__hip_bfloat16S0_LN4vllm18Fp8KVCacheDataTypeE0EhLi16ELi64ELi256ELb0ELi3EEvPKT_PKT0_S8_ifPKiSA_SA_iPKfiiiPfSD_PS3_PT2_iSC_SC_
__PRETTY_FUNCTION__._Z39paged_attention_ll4mi_QKV_mfma16_kernelI14__hip_bfloat16S0_LN4vllm18Fp8KVCacheDataTypeE0EhLi16ELi64ELi256ELb0ELi3EEvPKT_PKT0_S8_ifPKiSA_SA_iPKfiiiPfSD_PS3_PT2_iSC_SC_:
	.asciz	"void paged_attention_ll4mi_QKV_mfma16_kernel(const scalar_t *__restrict, const cache_t *__restrict, const cache_t *__restrict, const int, const float, const int *__restrict, const int *__restrict, const int *__restrict, const int, const float *__restrict, const int, const int, const int, float *__restrict, float *__restrict, scalar_t *__restrict, OUTT *__restrict, int, const float *, const float *) [scalar_t = __hip_bfloat16, cache_t = __hip_bfloat16, KV_DTYPE = vllm::Fp8KVCacheDataType::kAuto, OUTT = unsigned char, BLOCK_SIZE = 16, HEAD_SIZE = 64, NUM_THREADS = 256, ALIBI_ENABLED = false, GQA_RATIO = 3]"
	.size	__PRETTY_FUNCTION__._Z39paged_attention_ll4mi_QKV_mfma16_kernelI14__hip_bfloat16S0_LN4vllm18Fp8KVCacheDataTypeE0EhLi16ELi64ELi256ELb0ELi3EEvPKT_PKT0_S8_ifPKiSA_SA_iPKfiiiPfSD_PS3_PT2_iSC_SC_, 612

	.type	__PRETTY_FUNCTION__._Z39paged_attention_ll4mi_QKV_mfma16_kernelI14__hip_bfloat16S0_LN4vllm18Fp8KVCacheDataTypeE0EhLi16ELi64ELi256ELb0ELi4EEvPKT_PKT0_S8_ifPKiSA_SA_iPKfiiiPfSD_PS3_PT2_iSC_SC_,@object ; @__PRETTY_FUNCTION__._Z39paged_attention_ll4mi_QKV_mfma16_kernelI14__hip_bfloat16S0_LN4vllm18Fp8KVCacheDataTypeE0EhLi16ELi64ELi256ELb0ELi4EEvPKT_PKT0_S8_ifPKiSA_SA_iPKfiiiPfSD_PS3_PT2_iSC_SC_
__PRETTY_FUNCTION__._Z39paged_attention_ll4mi_QKV_mfma16_kernelI14__hip_bfloat16S0_LN4vllm18Fp8KVCacheDataTypeE0EhLi16ELi64ELi256ELb0ELi4EEvPKT_PKT0_S8_ifPKiSA_SA_iPKfiiiPfSD_PS3_PT2_iSC_SC_:
	.asciz	"void paged_attention_ll4mi_QKV_mfma16_kernel(const scalar_t *__restrict, const cache_t *__restrict, const cache_t *__restrict, const int, const float, const int *__restrict, const int *__restrict, const int *__restrict, const int, const float *__restrict, const int, const int, const int, float *__restrict, float *__restrict, scalar_t *__restrict, OUTT *__restrict, int, const float *, const float *) [scalar_t = __hip_bfloat16, cache_t = __hip_bfloat16, KV_DTYPE = vllm::Fp8KVCacheDataType::kAuto, OUTT = unsigned char, BLOCK_SIZE = 16, HEAD_SIZE = 64, NUM_THREADS = 256, ALIBI_ENABLED = false, GQA_RATIO = 4]"
	.size	__PRETTY_FUNCTION__._Z39paged_attention_ll4mi_QKV_mfma16_kernelI14__hip_bfloat16S0_LN4vllm18Fp8KVCacheDataTypeE0EhLi16ELi64ELi256ELb0ELi4EEvPKT_PKT0_S8_ifPKiSA_SA_iPKfiiiPfSD_PS3_PT2_iSC_SC_, 612

	.type	__PRETTY_FUNCTION__._Z38paged_attention_ll4mi_QKV_mfma4_kernelI14__hip_bfloat16S0_LN4vllm18Fp8KVCacheDataTypeE0ES0_Li16ELi64ELi256ELb1ELi1EEvPKT_PKT0_S8_ifPKiSA_SA_iPKfiiiPfSD_PS3_PT2_iSC_SC_,@object ; @__PRETTY_FUNCTION__._Z38paged_attention_ll4mi_QKV_mfma4_kernelI14__hip_bfloat16S0_LN4vllm18Fp8KVCacheDataTypeE0ES0_Li16ELi64ELi256ELb1ELi1EEvPKT_PKT0_S8_ifPKiSA_SA_iPKfiiiPfSD_PS3_PT2_iSC_SC_
__PRETTY_FUNCTION__._Z38paged_attention_ll4mi_QKV_mfma4_kernelI14__hip_bfloat16S0_LN4vllm18Fp8KVCacheDataTypeE0ES0_Li16ELi64ELi256ELb1ELi1EEvPKT_PKT0_S8_ifPKiSA_SA_iPKfiiiPfSD_PS3_PT2_iSC_SC_:
	.asciz	"void paged_attention_ll4mi_QKV_mfma4_kernel(const scalar_t *__restrict, const cache_t *__restrict, const cache_t *__restrict, const int, const float, const int *__restrict, const int *__restrict, const int *__restrict, const int, const float *__restrict, const int, const int, const int, float *__restrict, float *__restrict, scalar_t *__restrict, OUTT *__restrict, int, const float *, const float *) [scalar_t = __hip_bfloat16, cache_t = __hip_bfloat16, KV_DTYPE = vllm::Fp8KVCacheDataType::kAuto, OUTT = __hip_bfloat16, BLOCK_SIZE = 16, HEAD_SIZE = 64, NUM_THREADS = 256, ALIBI_ENABLED = true, GQA_RATIO = 1]"
	.size	__PRETTY_FUNCTION__._Z38paged_attention_ll4mi_QKV_mfma4_kernelI14__hip_bfloat16S0_LN4vllm18Fp8KVCacheDataTypeE0ES0_Li16ELi64ELi256ELb1ELi1EEvPKT_PKT0_S8_ifPKiSA_SA_iPKfiiiPfSD_PS3_PT2_iSC_SC_, 611

	.type	__PRETTY_FUNCTION__._Z38paged_attention_ll4mi_QKV_mfma4_kernelI14__hip_bfloat16S0_LN4vllm18Fp8KVCacheDataTypeE0ES0_Li16ELi64ELi256ELb1ELi2EEvPKT_PKT0_S8_ifPKiSA_SA_iPKfiiiPfSD_PS3_PT2_iSC_SC_,@object ; @__PRETTY_FUNCTION__._Z38paged_attention_ll4mi_QKV_mfma4_kernelI14__hip_bfloat16S0_LN4vllm18Fp8KVCacheDataTypeE0ES0_Li16ELi64ELi256ELb1ELi2EEvPKT_PKT0_S8_ifPKiSA_SA_iPKfiiiPfSD_PS3_PT2_iSC_SC_
__PRETTY_FUNCTION__._Z38paged_attention_ll4mi_QKV_mfma4_kernelI14__hip_bfloat16S0_LN4vllm18Fp8KVCacheDataTypeE0ES0_Li16ELi64ELi256ELb1ELi2EEvPKT_PKT0_S8_ifPKiSA_SA_iPKfiiiPfSD_PS3_PT2_iSC_SC_:
	.asciz	"void paged_attention_ll4mi_QKV_mfma4_kernel(const scalar_t *__restrict, const cache_t *__restrict, const cache_t *__restrict, const int, const float, const int *__restrict, const int *__restrict, const int *__restrict, const int, const float *__restrict, const int, const int, const int, float *__restrict, float *__restrict, scalar_t *__restrict, OUTT *__restrict, int, const float *, const float *) [scalar_t = __hip_bfloat16, cache_t = __hip_bfloat16, KV_DTYPE = vllm::Fp8KVCacheDataType::kAuto, OUTT = __hip_bfloat16, BLOCK_SIZE = 16, HEAD_SIZE = 64, NUM_THREADS = 256, ALIBI_ENABLED = true, GQA_RATIO = 2]"
	.size	__PRETTY_FUNCTION__._Z38paged_attention_ll4mi_QKV_mfma4_kernelI14__hip_bfloat16S0_LN4vllm18Fp8KVCacheDataTypeE0ES0_Li16ELi64ELi256ELb1ELi2EEvPKT_PKT0_S8_ifPKiSA_SA_iPKfiiiPfSD_PS3_PT2_iSC_SC_, 611

	.type	__PRETTY_FUNCTION__._Z38paged_attention_ll4mi_QKV_mfma4_kernelI14__hip_bfloat16S0_LN4vllm18Fp8KVCacheDataTypeE0ES0_Li16ELi64ELi256ELb1ELi3EEvPKT_PKT0_S8_ifPKiSA_SA_iPKfiiiPfSD_PS3_PT2_iSC_SC_,@object ; @__PRETTY_FUNCTION__._Z38paged_attention_ll4mi_QKV_mfma4_kernelI14__hip_bfloat16S0_LN4vllm18Fp8KVCacheDataTypeE0ES0_Li16ELi64ELi256ELb1ELi3EEvPKT_PKT0_S8_ifPKiSA_SA_iPKfiiiPfSD_PS3_PT2_iSC_SC_
__PRETTY_FUNCTION__._Z38paged_attention_ll4mi_QKV_mfma4_kernelI14__hip_bfloat16S0_LN4vllm18Fp8KVCacheDataTypeE0ES0_Li16ELi64ELi256ELb1ELi3EEvPKT_PKT0_S8_ifPKiSA_SA_iPKfiiiPfSD_PS3_PT2_iSC_SC_:
	.asciz	"void paged_attention_ll4mi_QKV_mfma4_kernel(const scalar_t *__restrict, const cache_t *__restrict, const cache_t *__restrict, const int, const float, const int *__restrict, const int *__restrict, const int *__restrict, const int, const float *__restrict, const int, const int, const int, float *__restrict, float *__restrict, scalar_t *__restrict, OUTT *__restrict, int, const float *, const float *) [scalar_t = __hip_bfloat16, cache_t = __hip_bfloat16, KV_DTYPE = vllm::Fp8KVCacheDataType::kAuto, OUTT = __hip_bfloat16, BLOCK_SIZE = 16, HEAD_SIZE = 64, NUM_THREADS = 256, ALIBI_ENABLED = true, GQA_RATIO = 3]"
	.size	__PRETTY_FUNCTION__._Z38paged_attention_ll4mi_QKV_mfma4_kernelI14__hip_bfloat16S0_LN4vllm18Fp8KVCacheDataTypeE0ES0_Li16ELi64ELi256ELb1ELi3EEvPKT_PKT0_S8_ifPKiSA_SA_iPKfiiiPfSD_PS3_PT2_iSC_SC_, 611

	.type	__PRETTY_FUNCTION__._Z38paged_attention_ll4mi_QKV_mfma4_kernelI14__hip_bfloat16S0_LN4vllm18Fp8KVCacheDataTypeE0ES0_Li16ELi64ELi256ELb1ELi4EEvPKT_PKT0_S8_ifPKiSA_SA_iPKfiiiPfSD_PS3_PT2_iSC_SC_,@object ; @__PRETTY_FUNCTION__._Z38paged_attention_ll4mi_QKV_mfma4_kernelI14__hip_bfloat16S0_LN4vllm18Fp8KVCacheDataTypeE0ES0_Li16ELi64ELi256ELb1ELi4EEvPKT_PKT0_S8_ifPKiSA_SA_iPKfiiiPfSD_PS3_PT2_iSC_SC_
__PRETTY_FUNCTION__._Z38paged_attention_ll4mi_QKV_mfma4_kernelI14__hip_bfloat16S0_LN4vllm18Fp8KVCacheDataTypeE0ES0_Li16ELi64ELi256ELb1ELi4EEvPKT_PKT0_S8_ifPKiSA_SA_iPKfiiiPfSD_PS3_PT2_iSC_SC_:
	.asciz	"void paged_attention_ll4mi_QKV_mfma4_kernel(const scalar_t *__restrict, const cache_t *__restrict, const cache_t *__restrict, const int, const float, const int *__restrict, const int *__restrict, const int *__restrict, const int, const float *__restrict, const int, const int, const int, float *__restrict, float *__restrict, scalar_t *__restrict, OUTT *__restrict, int, const float *, const float *) [scalar_t = __hip_bfloat16, cache_t = __hip_bfloat16, KV_DTYPE = vllm::Fp8KVCacheDataType::kAuto, OUTT = __hip_bfloat16, BLOCK_SIZE = 16, HEAD_SIZE = 64, NUM_THREADS = 256, ALIBI_ENABLED = true, GQA_RATIO = 4]"
	.size	__PRETTY_FUNCTION__._Z38paged_attention_ll4mi_QKV_mfma4_kernelI14__hip_bfloat16S0_LN4vllm18Fp8KVCacheDataTypeE0ES0_Li16ELi64ELi256ELb1ELi4EEvPKT_PKT0_S8_ifPKiSA_SA_iPKfiiiPfSD_PS3_PT2_iSC_SC_, 611

	.type	__PRETTY_FUNCTION__._Z39paged_attention_ll4mi_QKV_mfma16_kernelI14__hip_bfloat16S0_LN4vllm18Fp8KVCacheDataTypeE0ES0_Li16ELi64ELi256ELb1ELi5EEvPKT_PKT0_S8_ifPKiSA_SA_iPKfiiiPfSD_PS3_PT2_iSC_SC_,@object ; @__PRETTY_FUNCTION__._Z39paged_attention_ll4mi_QKV_mfma16_kernelI14__hip_bfloat16S0_LN4vllm18Fp8KVCacheDataTypeE0ES0_Li16ELi64ELi256ELb1ELi5EEvPKT_PKT0_S8_ifPKiSA_SA_iPKfiiiPfSD_PS3_PT2_iSC_SC_
__PRETTY_FUNCTION__._Z39paged_attention_ll4mi_QKV_mfma16_kernelI14__hip_bfloat16S0_LN4vllm18Fp8KVCacheDataTypeE0ES0_Li16ELi64ELi256ELb1ELi5EEvPKT_PKT0_S8_ifPKiSA_SA_iPKfiiiPfSD_PS3_PT2_iSC_SC_:
	.asciz	"void paged_attention_ll4mi_QKV_mfma16_kernel(const scalar_t *__restrict, const cache_t *__restrict, const cache_t *__restrict, const int, const float, const int *__restrict, const int *__restrict, const int *__restrict, const int, const float *__restrict, const int, const int, const int, float *__restrict, float *__restrict, scalar_t *__restrict, OUTT *__restrict, int, const float *, const float *) [scalar_t = __hip_bfloat16, cache_t = __hip_bfloat16, KV_DTYPE = vllm::Fp8KVCacheDataType::kAuto, OUTT = __hip_bfloat16, BLOCK_SIZE = 16, HEAD_SIZE = 64, NUM_THREADS = 256, ALIBI_ENABLED = true, GQA_RATIO = 5]"
	.size	__PRETTY_FUNCTION__._Z39paged_attention_ll4mi_QKV_mfma16_kernelI14__hip_bfloat16S0_LN4vllm18Fp8KVCacheDataTypeE0ES0_Li16ELi64ELi256ELb1ELi5EEvPKT_PKT0_S8_ifPKiSA_SA_iPKfiiiPfSD_PS3_PT2_iSC_SC_, 612

	.type	__PRETTY_FUNCTION__._Z39paged_attention_ll4mi_QKV_mfma16_kernelI14__hip_bfloat16S0_LN4vllm18Fp8KVCacheDataTypeE0ES0_Li16ELi64ELi256ELb1ELi6EEvPKT_PKT0_S8_ifPKiSA_SA_iPKfiiiPfSD_PS3_PT2_iSC_SC_,@object ; @__PRETTY_FUNCTION__._Z39paged_attention_ll4mi_QKV_mfma16_kernelI14__hip_bfloat16S0_LN4vllm18Fp8KVCacheDataTypeE0ES0_Li16ELi64ELi256ELb1ELi6EEvPKT_PKT0_S8_ifPKiSA_SA_iPKfiiiPfSD_PS3_PT2_iSC_SC_
__PRETTY_FUNCTION__._Z39paged_attention_ll4mi_QKV_mfma16_kernelI14__hip_bfloat16S0_LN4vllm18Fp8KVCacheDataTypeE0ES0_Li16ELi64ELi256ELb1ELi6EEvPKT_PKT0_S8_ifPKiSA_SA_iPKfiiiPfSD_PS3_PT2_iSC_SC_:
	.asciz	"void paged_attention_ll4mi_QKV_mfma16_kernel(const scalar_t *__restrict, const cache_t *__restrict, const cache_t *__restrict, const int, const float, const int *__restrict, const int *__restrict, const int *__restrict, const int, const float *__restrict, const int, const int, const int, float *__restrict, float *__restrict, scalar_t *__restrict, OUTT *__restrict, int, const float *, const float *) [scalar_t = __hip_bfloat16, cache_t = __hip_bfloat16, KV_DTYPE = vllm::Fp8KVCacheDataType::kAuto, OUTT = __hip_bfloat16, BLOCK_SIZE = 16, HEAD_SIZE = 64, NUM_THREADS = 256, ALIBI_ENABLED = true, GQA_RATIO = 6]"
	.size	__PRETTY_FUNCTION__._Z39paged_attention_ll4mi_QKV_mfma16_kernelI14__hip_bfloat16S0_LN4vllm18Fp8KVCacheDataTypeE0ES0_Li16ELi64ELi256ELb1ELi6EEvPKT_PKT0_S8_ifPKiSA_SA_iPKfiiiPfSD_PS3_PT2_iSC_SC_, 612

	.type	__PRETTY_FUNCTION__._Z39paged_attention_ll4mi_QKV_mfma16_kernelI14__hip_bfloat16S0_LN4vllm18Fp8KVCacheDataTypeE0ES0_Li16ELi64ELi256ELb1ELi7EEvPKT_PKT0_S8_ifPKiSA_SA_iPKfiiiPfSD_PS3_PT2_iSC_SC_,@object ; @__PRETTY_FUNCTION__._Z39paged_attention_ll4mi_QKV_mfma16_kernelI14__hip_bfloat16S0_LN4vllm18Fp8KVCacheDataTypeE0ES0_Li16ELi64ELi256ELb1ELi7EEvPKT_PKT0_S8_ifPKiSA_SA_iPKfiiiPfSD_PS3_PT2_iSC_SC_
__PRETTY_FUNCTION__._Z39paged_attention_ll4mi_QKV_mfma16_kernelI14__hip_bfloat16S0_LN4vllm18Fp8KVCacheDataTypeE0ES0_Li16ELi64ELi256ELb1ELi7EEvPKT_PKT0_S8_ifPKiSA_SA_iPKfiiiPfSD_PS3_PT2_iSC_SC_:
	.asciz	"void paged_attention_ll4mi_QKV_mfma16_kernel(const scalar_t *__restrict, const cache_t *__restrict, const cache_t *__restrict, const int, const float, const int *__restrict, const int *__restrict, const int *__restrict, const int, const float *__restrict, const int, const int, const int, float *__restrict, float *__restrict, scalar_t *__restrict, OUTT *__restrict, int, const float *, const float *) [scalar_t = __hip_bfloat16, cache_t = __hip_bfloat16, KV_DTYPE = vllm::Fp8KVCacheDataType::kAuto, OUTT = __hip_bfloat16, BLOCK_SIZE = 16, HEAD_SIZE = 64, NUM_THREADS = 256, ALIBI_ENABLED = true, GQA_RATIO = 7]"
	.size	__PRETTY_FUNCTION__._Z39paged_attention_ll4mi_QKV_mfma16_kernelI14__hip_bfloat16S0_LN4vllm18Fp8KVCacheDataTypeE0ES0_Li16ELi64ELi256ELb1ELi7EEvPKT_PKT0_S8_ifPKiSA_SA_iPKfiiiPfSD_PS3_PT2_iSC_SC_, 612

	.type	__PRETTY_FUNCTION__._Z39paged_attention_ll4mi_QKV_mfma16_kernelI14__hip_bfloat16S0_LN4vllm18Fp8KVCacheDataTypeE0ES0_Li16ELi64ELi256ELb1ELi8EEvPKT_PKT0_S8_ifPKiSA_SA_iPKfiiiPfSD_PS3_PT2_iSC_SC_,@object ; @__PRETTY_FUNCTION__._Z39paged_attention_ll4mi_QKV_mfma16_kernelI14__hip_bfloat16S0_LN4vllm18Fp8KVCacheDataTypeE0ES0_Li16ELi64ELi256ELb1ELi8EEvPKT_PKT0_S8_ifPKiSA_SA_iPKfiiiPfSD_PS3_PT2_iSC_SC_
__PRETTY_FUNCTION__._Z39paged_attention_ll4mi_QKV_mfma16_kernelI14__hip_bfloat16S0_LN4vllm18Fp8KVCacheDataTypeE0ES0_Li16ELi64ELi256ELb1ELi8EEvPKT_PKT0_S8_ifPKiSA_SA_iPKfiiiPfSD_PS3_PT2_iSC_SC_:
	.asciz	"void paged_attention_ll4mi_QKV_mfma16_kernel(const scalar_t *__restrict, const cache_t *__restrict, const cache_t *__restrict, const int, const float, const int *__restrict, const int *__restrict, const int *__restrict, const int, const float *__restrict, const int, const int, const int, float *__restrict, float *__restrict, scalar_t *__restrict, OUTT *__restrict, int, const float *, const float *) [scalar_t = __hip_bfloat16, cache_t = __hip_bfloat16, KV_DTYPE = vllm::Fp8KVCacheDataType::kAuto, OUTT = __hip_bfloat16, BLOCK_SIZE = 16, HEAD_SIZE = 64, NUM_THREADS = 256, ALIBI_ENABLED = true, GQA_RATIO = 8]"
	.size	__PRETTY_FUNCTION__._Z39paged_attention_ll4mi_QKV_mfma16_kernelI14__hip_bfloat16S0_LN4vllm18Fp8KVCacheDataTypeE0ES0_Li16ELi64ELi256ELb1ELi8EEvPKT_PKT0_S8_ifPKiSA_SA_iPKfiiiPfSD_PS3_PT2_iSC_SC_, 612

	.type	__PRETTY_FUNCTION__._Z39paged_attention_ll4mi_QKV_mfma16_kernelI14__hip_bfloat16S0_LN4vllm18Fp8KVCacheDataTypeE0ES0_Li16ELi64ELi256ELb1ELi9EEvPKT_PKT0_S8_ifPKiSA_SA_iPKfiiiPfSD_PS3_PT2_iSC_SC_,@object ; @__PRETTY_FUNCTION__._Z39paged_attention_ll4mi_QKV_mfma16_kernelI14__hip_bfloat16S0_LN4vllm18Fp8KVCacheDataTypeE0ES0_Li16ELi64ELi256ELb1ELi9EEvPKT_PKT0_S8_ifPKiSA_SA_iPKfiiiPfSD_PS3_PT2_iSC_SC_
__PRETTY_FUNCTION__._Z39paged_attention_ll4mi_QKV_mfma16_kernelI14__hip_bfloat16S0_LN4vllm18Fp8KVCacheDataTypeE0ES0_Li16ELi64ELi256ELb1ELi9EEvPKT_PKT0_S8_ifPKiSA_SA_iPKfiiiPfSD_PS3_PT2_iSC_SC_:
	.asciz	"void paged_attention_ll4mi_QKV_mfma16_kernel(const scalar_t *__restrict, const cache_t *__restrict, const cache_t *__restrict, const int, const float, const int *__restrict, const int *__restrict, const int *__restrict, const int, const float *__restrict, const int, const int, const int, float *__restrict, float *__restrict, scalar_t *__restrict, OUTT *__restrict, int, const float *, const float *) [scalar_t = __hip_bfloat16, cache_t = __hip_bfloat16, KV_DTYPE = vllm::Fp8KVCacheDataType::kAuto, OUTT = __hip_bfloat16, BLOCK_SIZE = 16, HEAD_SIZE = 64, NUM_THREADS = 256, ALIBI_ENABLED = true, GQA_RATIO = 9]"
	.size	__PRETTY_FUNCTION__._Z39paged_attention_ll4mi_QKV_mfma16_kernelI14__hip_bfloat16S0_LN4vllm18Fp8KVCacheDataTypeE0ES0_Li16ELi64ELi256ELb1ELi9EEvPKT_PKT0_S8_ifPKiSA_SA_iPKfiiiPfSD_PS3_PT2_iSC_SC_, 612

	.type	__PRETTY_FUNCTION__._Z39paged_attention_ll4mi_QKV_mfma16_kernelI14__hip_bfloat16S0_LN4vllm18Fp8KVCacheDataTypeE0ES0_Li16ELi64ELi256ELb1ELi10EEvPKT_PKT0_S8_ifPKiSA_SA_iPKfiiiPfSD_PS3_PT2_iSC_SC_,@object ; @__PRETTY_FUNCTION__._Z39paged_attention_ll4mi_QKV_mfma16_kernelI14__hip_bfloat16S0_LN4vllm18Fp8KVCacheDataTypeE0ES0_Li16ELi64ELi256ELb1ELi10EEvPKT_PKT0_S8_ifPKiSA_SA_iPKfiiiPfSD_PS3_PT2_iSC_SC_
__PRETTY_FUNCTION__._Z39paged_attention_ll4mi_QKV_mfma16_kernelI14__hip_bfloat16S0_LN4vllm18Fp8KVCacheDataTypeE0ES0_Li16ELi64ELi256ELb1ELi10EEvPKT_PKT0_S8_ifPKiSA_SA_iPKfiiiPfSD_PS3_PT2_iSC_SC_:
	.asciz	"void paged_attention_ll4mi_QKV_mfma16_kernel(const scalar_t *__restrict, const cache_t *__restrict, const cache_t *__restrict, const int, const float, const int *__restrict, const int *__restrict, const int *__restrict, const int, const float *__restrict, const int, const int, const int, float *__restrict, float *__restrict, scalar_t *__restrict, OUTT *__restrict, int, const float *, const float *) [scalar_t = __hip_bfloat16, cache_t = __hip_bfloat16, KV_DTYPE = vllm::Fp8KVCacheDataType::kAuto, OUTT = __hip_bfloat16, BLOCK_SIZE = 16, HEAD_SIZE = 64, NUM_THREADS = 256, ALIBI_ENABLED = true, GQA_RATIO = 10]"
	.size	__PRETTY_FUNCTION__._Z39paged_attention_ll4mi_QKV_mfma16_kernelI14__hip_bfloat16S0_LN4vllm18Fp8KVCacheDataTypeE0ES0_Li16ELi64ELi256ELb1ELi10EEvPKT_PKT0_S8_ifPKiSA_SA_iPKfiiiPfSD_PS3_PT2_iSC_SC_, 613

	.type	__PRETTY_FUNCTION__._Z39paged_attention_ll4mi_QKV_mfma16_kernelI14__hip_bfloat16S0_LN4vllm18Fp8KVCacheDataTypeE0ES0_Li16ELi64ELi256ELb1ELi11EEvPKT_PKT0_S8_ifPKiSA_SA_iPKfiiiPfSD_PS3_PT2_iSC_SC_,@object ; @__PRETTY_FUNCTION__._Z39paged_attention_ll4mi_QKV_mfma16_kernelI14__hip_bfloat16S0_LN4vllm18Fp8KVCacheDataTypeE0ES0_Li16ELi64ELi256ELb1ELi11EEvPKT_PKT0_S8_ifPKiSA_SA_iPKfiiiPfSD_PS3_PT2_iSC_SC_
__PRETTY_FUNCTION__._Z39paged_attention_ll4mi_QKV_mfma16_kernelI14__hip_bfloat16S0_LN4vllm18Fp8KVCacheDataTypeE0ES0_Li16ELi64ELi256ELb1ELi11EEvPKT_PKT0_S8_ifPKiSA_SA_iPKfiiiPfSD_PS3_PT2_iSC_SC_:
	.asciz	"void paged_attention_ll4mi_QKV_mfma16_kernel(const scalar_t *__restrict, const cache_t *__restrict, const cache_t *__restrict, const int, const float, const int *__restrict, const int *__restrict, const int *__restrict, const int, const float *__restrict, const int, const int, const int, float *__restrict, float *__restrict, scalar_t *__restrict, OUTT *__restrict, int, const float *, const float *) [scalar_t = __hip_bfloat16, cache_t = __hip_bfloat16, KV_DTYPE = vllm::Fp8KVCacheDataType::kAuto, OUTT = __hip_bfloat16, BLOCK_SIZE = 16, HEAD_SIZE = 64, NUM_THREADS = 256, ALIBI_ENABLED = true, GQA_RATIO = 11]"
	.size	__PRETTY_FUNCTION__._Z39paged_attention_ll4mi_QKV_mfma16_kernelI14__hip_bfloat16S0_LN4vllm18Fp8KVCacheDataTypeE0ES0_Li16ELi64ELi256ELb1ELi11EEvPKT_PKT0_S8_ifPKiSA_SA_iPKfiiiPfSD_PS3_PT2_iSC_SC_, 613

	.type	__PRETTY_FUNCTION__._Z39paged_attention_ll4mi_QKV_mfma16_kernelI14__hip_bfloat16S0_LN4vllm18Fp8KVCacheDataTypeE0ES0_Li16ELi64ELi256ELb1ELi12EEvPKT_PKT0_S8_ifPKiSA_SA_iPKfiiiPfSD_PS3_PT2_iSC_SC_,@object ; @__PRETTY_FUNCTION__._Z39paged_attention_ll4mi_QKV_mfma16_kernelI14__hip_bfloat16S0_LN4vllm18Fp8KVCacheDataTypeE0ES0_Li16ELi64ELi256ELb1ELi12EEvPKT_PKT0_S8_ifPKiSA_SA_iPKfiiiPfSD_PS3_PT2_iSC_SC_
__PRETTY_FUNCTION__._Z39paged_attention_ll4mi_QKV_mfma16_kernelI14__hip_bfloat16S0_LN4vllm18Fp8KVCacheDataTypeE0ES0_Li16ELi64ELi256ELb1ELi12EEvPKT_PKT0_S8_ifPKiSA_SA_iPKfiiiPfSD_PS3_PT2_iSC_SC_:
	.asciz	"void paged_attention_ll4mi_QKV_mfma16_kernel(const scalar_t *__restrict, const cache_t *__restrict, const cache_t *__restrict, const int, const float, const int *__restrict, const int *__restrict, const int *__restrict, const int, const float *__restrict, const int, const int, const int, float *__restrict, float *__restrict, scalar_t *__restrict, OUTT *__restrict, int, const float *, const float *) [scalar_t = __hip_bfloat16, cache_t = __hip_bfloat16, KV_DTYPE = vllm::Fp8KVCacheDataType::kAuto, OUTT = __hip_bfloat16, BLOCK_SIZE = 16, HEAD_SIZE = 64, NUM_THREADS = 256, ALIBI_ENABLED = true, GQA_RATIO = 12]"
	.size	__PRETTY_FUNCTION__._Z39paged_attention_ll4mi_QKV_mfma16_kernelI14__hip_bfloat16S0_LN4vllm18Fp8KVCacheDataTypeE0ES0_Li16ELi64ELi256ELb1ELi12EEvPKT_PKT0_S8_ifPKiSA_SA_iPKfiiiPfSD_PS3_PT2_iSC_SC_, 613

	.type	__PRETTY_FUNCTION__._Z39paged_attention_ll4mi_QKV_mfma16_kernelI14__hip_bfloat16S0_LN4vllm18Fp8KVCacheDataTypeE0ES0_Li16ELi64ELi256ELb1ELi13EEvPKT_PKT0_S8_ifPKiSA_SA_iPKfiiiPfSD_PS3_PT2_iSC_SC_,@object ; @__PRETTY_FUNCTION__._Z39paged_attention_ll4mi_QKV_mfma16_kernelI14__hip_bfloat16S0_LN4vllm18Fp8KVCacheDataTypeE0ES0_Li16ELi64ELi256ELb1ELi13EEvPKT_PKT0_S8_ifPKiSA_SA_iPKfiiiPfSD_PS3_PT2_iSC_SC_
__PRETTY_FUNCTION__._Z39paged_attention_ll4mi_QKV_mfma16_kernelI14__hip_bfloat16S0_LN4vllm18Fp8KVCacheDataTypeE0ES0_Li16ELi64ELi256ELb1ELi13EEvPKT_PKT0_S8_ifPKiSA_SA_iPKfiiiPfSD_PS3_PT2_iSC_SC_:
	.asciz	"void paged_attention_ll4mi_QKV_mfma16_kernel(const scalar_t *__restrict, const cache_t *__restrict, const cache_t *__restrict, const int, const float, const int *__restrict, const int *__restrict, const int *__restrict, const int, const float *__restrict, const int, const int, const int, float *__restrict, float *__restrict, scalar_t *__restrict, OUTT *__restrict, int, const float *, const float *) [scalar_t = __hip_bfloat16, cache_t = __hip_bfloat16, KV_DTYPE = vllm::Fp8KVCacheDataType::kAuto, OUTT = __hip_bfloat16, BLOCK_SIZE = 16, HEAD_SIZE = 64, NUM_THREADS = 256, ALIBI_ENABLED = true, GQA_RATIO = 13]"
	.size	__PRETTY_FUNCTION__._Z39paged_attention_ll4mi_QKV_mfma16_kernelI14__hip_bfloat16S0_LN4vllm18Fp8KVCacheDataTypeE0ES0_Li16ELi64ELi256ELb1ELi13EEvPKT_PKT0_S8_ifPKiSA_SA_iPKfiiiPfSD_PS3_PT2_iSC_SC_, 613

	.type	__PRETTY_FUNCTION__._Z39paged_attention_ll4mi_QKV_mfma16_kernelI14__hip_bfloat16S0_LN4vllm18Fp8KVCacheDataTypeE0ES0_Li16ELi64ELi256ELb1ELi14EEvPKT_PKT0_S8_ifPKiSA_SA_iPKfiiiPfSD_PS3_PT2_iSC_SC_,@object ; @__PRETTY_FUNCTION__._Z39paged_attention_ll4mi_QKV_mfma16_kernelI14__hip_bfloat16S0_LN4vllm18Fp8KVCacheDataTypeE0ES0_Li16ELi64ELi256ELb1ELi14EEvPKT_PKT0_S8_ifPKiSA_SA_iPKfiiiPfSD_PS3_PT2_iSC_SC_
__PRETTY_FUNCTION__._Z39paged_attention_ll4mi_QKV_mfma16_kernelI14__hip_bfloat16S0_LN4vllm18Fp8KVCacheDataTypeE0ES0_Li16ELi64ELi256ELb1ELi14EEvPKT_PKT0_S8_ifPKiSA_SA_iPKfiiiPfSD_PS3_PT2_iSC_SC_:
	.asciz	"void paged_attention_ll4mi_QKV_mfma16_kernel(const scalar_t *__restrict, const cache_t *__restrict, const cache_t *__restrict, const int, const float, const int *__restrict, const int *__restrict, const int *__restrict, const int, const float *__restrict, const int, const int, const int, float *__restrict, float *__restrict, scalar_t *__restrict, OUTT *__restrict, int, const float *, const float *) [scalar_t = __hip_bfloat16, cache_t = __hip_bfloat16, KV_DTYPE = vllm::Fp8KVCacheDataType::kAuto, OUTT = __hip_bfloat16, BLOCK_SIZE = 16, HEAD_SIZE = 64, NUM_THREADS = 256, ALIBI_ENABLED = true, GQA_RATIO = 14]"
	.size	__PRETTY_FUNCTION__._Z39paged_attention_ll4mi_QKV_mfma16_kernelI14__hip_bfloat16S0_LN4vllm18Fp8KVCacheDataTypeE0ES0_Li16ELi64ELi256ELb1ELi14EEvPKT_PKT0_S8_ifPKiSA_SA_iPKfiiiPfSD_PS3_PT2_iSC_SC_, 613

	.type	__PRETTY_FUNCTION__._Z39paged_attention_ll4mi_QKV_mfma16_kernelI14__hip_bfloat16S0_LN4vllm18Fp8KVCacheDataTypeE0ES0_Li16ELi64ELi256ELb1ELi15EEvPKT_PKT0_S8_ifPKiSA_SA_iPKfiiiPfSD_PS3_PT2_iSC_SC_,@object ; @__PRETTY_FUNCTION__._Z39paged_attention_ll4mi_QKV_mfma16_kernelI14__hip_bfloat16S0_LN4vllm18Fp8KVCacheDataTypeE0ES0_Li16ELi64ELi256ELb1ELi15EEvPKT_PKT0_S8_ifPKiSA_SA_iPKfiiiPfSD_PS3_PT2_iSC_SC_
__PRETTY_FUNCTION__._Z39paged_attention_ll4mi_QKV_mfma16_kernelI14__hip_bfloat16S0_LN4vllm18Fp8KVCacheDataTypeE0ES0_Li16ELi64ELi256ELb1ELi15EEvPKT_PKT0_S8_ifPKiSA_SA_iPKfiiiPfSD_PS3_PT2_iSC_SC_:
	.asciz	"void paged_attention_ll4mi_QKV_mfma16_kernel(const scalar_t *__restrict, const cache_t *__restrict, const cache_t *__restrict, const int, const float, const int *__restrict, const int *__restrict, const int *__restrict, const int, const float *__restrict, const int, const int, const int, float *__restrict, float *__restrict, scalar_t *__restrict, OUTT *__restrict, int, const float *, const float *) [scalar_t = __hip_bfloat16, cache_t = __hip_bfloat16, KV_DTYPE = vllm::Fp8KVCacheDataType::kAuto, OUTT = __hip_bfloat16, BLOCK_SIZE = 16, HEAD_SIZE = 64, NUM_THREADS = 256, ALIBI_ENABLED = true, GQA_RATIO = 15]"
	.size	__PRETTY_FUNCTION__._Z39paged_attention_ll4mi_QKV_mfma16_kernelI14__hip_bfloat16S0_LN4vllm18Fp8KVCacheDataTypeE0ES0_Li16ELi64ELi256ELb1ELi15EEvPKT_PKT0_S8_ifPKiSA_SA_iPKfiiiPfSD_PS3_PT2_iSC_SC_, 613

	.type	__PRETTY_FUNCTION__._Z39paged_attention_ll4mi_QKV_mfma16_kernelI14__hip_bfloat16S0_LN4vllm18Fp8KVCacheDataTypeE0ES0_Li16ELi64ELi256ELb1ELi16EEvPKT_PKT0_S8_ifPKiSA_SA_iPKfiiiPfSD_PS3_PT2_iSC_SC_,@object ; @__PRETTY_FUNCTION__._Z39paged_attention_ll4mi_QKV_mfma16_kernelI14__hip_bfloat16S0_LN4vllm18Fp8KVCacheDataTypeE0ES0_Li16ELi64ELi256ELb1ELi16EEvPKT_PKT0_S8_ifPKiSA_SA_iPKfiiiPfSD_PS3_PT2_iSC_SC_
__PRETTY_FUNCTION__._Z39paged_attention_ll4mi_QKV_mfma16_kernelI14__hip_bfloat16S0_LN4vllm18Fp8KVCacheDataTypeE0ES0_Li16ELi64ELi256ELb1ELi16EEvPKT_PKT0_S8_ifPKiSA_SA_iPKfiiiPfSD_PS3_PT2_iSC_SC_:
	.asciz	"void paged_attention_ll4mi_QKV_mfma16_kernel(const scalar_t *__restrict, const cache_t *__restrict, const cache_t *__restrict, const int, const float, const int *__restrict, const int *__restrict, const int *__restrict, const int, const float *__restrict, const int, const int, const int, float *__restrict, float *__restrict, scalar_t *__restrict, OUTT *__restrict, int, const float *, const float *) [scalar_t = __hip_bfloat16, cache_t = __hip_bfloat16, KV_DTYPE = vllm::Fp8KVCacheDataType::kAuto, OUTT = __hip_bfloat16, BLOCK_SIZE = 16, HEAD_SIZE = 64, NUM_THREADS = 256, ALIBI_ENABLED = true, GQA_RATIO = 16]"
	.size	__PRETTY_FUNCTION__._Z39paged_attention_ll4mi_QKV_mfma16_kernelI14__hip_bfloat16S0_LN4vllm18Fp8KVCacheDataTypeE0ES0_Li16ELi64ELi256ELb1ELi16EEvPKT_PKT0_S8_ifPKiSA_SA_iPKfiiiPfSD_PS3_PT2_iSC_SC_, 613

	.type	__PRETTY_FUNCTION__._Z35paged_attention_ll4mi_reduce_kernelI14__hip_bfloat16S0_Li64ELi64ELi256ELi1EEvPT0_PKfS4_PKT_PKiS9_iS4_,@object ; @__PRETTY_FUNCTION__._Z35paged_attention_ll4mi_reduce_kernelI14__hip_bfloat16S0_Li64ELi64ELi256ELi1EEvPT0_PKfS4_PKT_PKiS9_iS4_
__PRETTY_FUNCTION__._Z35paged_attention_ll4mi_reduce_kernelI14__hip_bfloat16S0_Li64ELi64ELi256ELi1EEvPT0_PKfS4_PKT_PKiS9_iS4_:
	.asciz	"void paged_attention_ll4mi_reduce_kernel(OUTT *__restrict, const float *__restrict, const float *__restrict, const scalar_t *__restrict, const int *__restrict, const int *__restrict, const int, const float *__restrict) [scalar_t = __hip_bfloat16, OUTT = __hip_bfloat16, HEAD_SIZE = 64, NUM_THREADS = 64, PARTITION_SIZE = 256, NPAR_LOOPS = 1]"
	.size	__PRETTY_FUNCTION__._Z35paged_attention_ll4mi_reduce_kernelI14__hip_bfloat16S0_Li64ELi64ELi256ELi1EEvPT0_PKfS4_PKT_PKiS9_iS4_, 342

	.type	__PRETTY_FUNCTION__._Z35paged_attention_ll4mi_reduce_kernelI14__hip_bfloat16S0_Li64ELi64ELi256ELi2EEvPT0_PKfS4_PKT_PKiS9_iS4_,@object ; @__PRETTY_FUNCTION__._Z35paged_attention_ll4mi_reduce_kernelI14__hip_bfloat16S0_Li64ELi64ELi256ELi2EEvPT0_PKfS4_PKT_PKiS9_iS4_
__PRETTY_FUNCTION__._Z35paged_attention_ll4mi_reduce_kernelI14__hip_bfloat16S0_Li64ELi64ELi256ELi2EEvPT0_PKfS4_PKT_PKiS9_iS4_:
	.asciz	"void paged_attention_ll4mi_reduce_kernel(OUTT *__restrict, const float *__restrict, const float *__restrict, const scalar_t *__restrict, const int *__restrict, const int *__restrict, const int, const float *__restrict) [scalar_t = __hip_bfloat16, OUTT = __hip_bfloat16, HEAD_SIZE = 64, NUM_THREADS = 64, PARTITION_SIZE = 256, NPAR_LOOPS = 2]"
	.size	__PRETTY_FUNCTION__._Z35paged_attention_ll4mi_reduce_kernelI14__hip_bfloat16S0_Li64ELi64ELi256ELi2EEvPT0_PKfS4_PKT_PKiS9_iS4_, 342

	.type	__PRETTY_FUNCTION__._Z35paged_attention_ll4mi_reduce_kernelI14__hip_bfloat16S0_Li64ELi64ELi256ELi3EEvPT0_PKfS4_PKT_PKiS9_iS4_,@object ; @__PRETTY_FUNCTION__._Z35paged_attention_ll4mi_reduce_kernelI14__hip_bfloat16S0_Li64ELi64ELi256ELi3EEvPT0_PKfS4_PKT_PKiS9_iS4_
__PRETTY_FUNCTION__._Z35paged_attention_ll4mi_reduce_kernelI14__hip_bfloat16S0_Li64ELi64ELi256ELi3EEvPT0_PKfS4_PKT_PKiS9_iS4_:
	.asciz	"void paged_attention_ll4mi_reduce_kernel(OUTT *__restrict, const float *__restrict, const float *__restrict, const scalar_t *__restrict, const int *__restrict, const int *__restrict, const int, const float *__restrict) [scalar_t = __hip_bfloat16, OUTT = __hip_bfloat16, HEAD_SIZE = 64, NUM_THREADS = 64, PARTITION_SIZE = 256, NPAR_LOOPS = 3]"
	.size	__PRETTY_FUNCTION__._Z35paged_attention_ll4mi_reduce_kernelI14__hip_bfloat16S0_Li64ELi64ELi256ELi3EEvPT0_PKfS4_PKT_PKiS9_iS4_, 342

	.type	__PRETTY_FUNCTION__._Z35paged_attention_ll4mi_reduce_kernelI14__hip_bfloat16S0_Li64ELi64ELi256ELi4EEvPT0_PKfS4_PKT_PKiS9_iS4_,@object ; @__PRETTY_FUNCTION__._Z35paged_attention_ll4mi_reduce_kernelI14__hip_bfloat16S0_Li64ELi64ELi256ELi4EEvPT0_PKfS4_PKT_PKiS9_iS4_
__PRETTY_FUNCTION__._Z35paged_attention_ll4mi_reduce_kernelI14__hip_bfloat16S0_Li64ELi64ELi256ELi4EEvPT0_PKfS4_PKT_PKiS9_iS4_:
	.asciz	"void paged_attention_ll4mi_reduce_kernel(OUTT *__restrict, const float *__restrict, const float *__restrict, const scalar_t *__restrict, const int *__restrict, const int *__restrict, const int, const float *__restrict) [scalar_t = __hip_bfloat16, OUTT = __hip_bfloat16, HEAD_SIZE = 64, NUM_THREADS = 64, PARTITION_SIZE = 256, NPAR_LOOPS = 4]"
	.size	__PRETTY_FUNCTION__._Z35paged_attention_ll4mi_reduce_kernelI14__hip_bfloat16S0_Li64ELi64ELi256ELi4EEvPT0_PKfS4_PKT_PKiS9_iS4_, 342

	.type	__PRETTY_FUNCTION__._Z35paged_attention_ll4mi_reduce_kernelI14__hip_bfloat16S0_Li64ELi64ELi256ELi5EEvPT0_PKfS4_PKT_PKiS9_iS4_,@object ; @__PRETTY_FUNCTION__._Z35paged_attention_ll4mi_reduce_kernelI14__hip_bfloat16S0_Li64ELi64ELi256ELi5EEvPT0_PKfS4_PKT_PKiS9_iS4_
__PRETTY_FUNCTION__._Z35paged_attention_ll4mi_reduce_kernelI14__hip_bfloat16S0_Li64ELi64ELi256ELi5EEvPT0_PKfS4_PKT_PKiS9_iS4_:
	.asciz	"void paged_attention_ll4mi_reduce_kernel(OUTT *__restrict, const float *__restrict, const float *__restrict, const scalar_t *__restrict, const int *__restrict, const int *__restrict, const int, const float *__restrict) [scalar_t = __hip_bfloat16, OUTT = __hip_bfloat16, HEAD_SIZE = 64, NUM_THREADS = 64, PARTITION_SIZE = 256, NPAR_LOOPS = 5]"
	.size	__PRETTY_FUNCTION__._Z35paged_attention_ll4mi_reduce_kernelI14__hip_bfloat16S0_Li64ELi64ELi256ELi5EEvPT0_PKfS4_PKT_PKiS9_iS4_, 342

	.type	__PRETTY_FUNCTION__._Z35paged_attention_ll4mi_reduce_kernelI14__hip_bfloat16S0_Li64ELi64ELi256ELi6EEvPT0_PKfS4_PKT_PKiS9_iS4_,@object ; @__PRETTY_FUNCTION__._Z35paged_attention_ll4mi_reduce_kernelI14__hip_bfloat16S0_Li64ELi64ELi256ELi6EEvPT0_PKfS4_PKT_PKiS9_iS4_
__PRETTY_FUNCTION__._Z35paged_attention_ll4mi_reduce_kernelI14__hip_bfloat16S0_Li64ELi64ELi256ELi6EEvPT0_PKfS4_PKT_PKiS9_iS4_:
	.asciz	"void paged_attention_ll4mi_reduce_kernel(OUTT *__restrict, const float *__restrict, const float *__restrict, const scalar_t *__restrict, const int *__restrict, const int *__restrict, const int, const float *__restrict) [scalar_t = __hip_bfloat16, OUTT = __hip_bfloat16, HEAD_SIZE = 64, NUM_THREADS = 64, PARTITION_SIZE = 256, NPAR_LOOPS = 6]"
	.size	__PRETTY_FUNCTION__._Z35paged_attention_ll4mi_reduce_kernelI14__hip_bfloat16S0_Li64ELi64ELi256ELi6EEvPT0_PKfS4_PKT_PKiS9_iS4_, 342

	.type	__PRETTY_FUNCTION__._Z35paged_attention_ll4mi_reduce_kernelI14__hip_bfloat16S0_Li64ELi64ELi256ELi7EEvPT0_PKfS4_PKT_PKiS9_iS4_,@object ; @__PRETTY_FUNCTION__._Z35paged_attention_ll4mi_reduce_kernelI14__hip_bfloat16S0_Li64ELi64ELi256ELi7EEvPT0_PKfS4_PKT_PKiS9_iS4_
__PRETTY_FUNCTION__._Z35paged_attention_ll4mi_reduce_kernelI14__hip_bfloat16S0_Li64ELi64ELi256ELi7EEvPT0_PKfS4_PKT_PKiS9_iS4_:
	.asciz	"void paged_attention_ll4mi_reduce_kernel(OUTT *__restrict, const float *__restrict, const float *__restrict, const scalar_t *__restrict, const int *__restrict, const int *__restrict, const int, const float *__restrict) [scalar_t = __hip_bfloat16, OUTT = __hip_bfloat16, HEAD_SIZE = 64, NUM_THREADS = 64, PARTITION_SIZE = 256, NPAR_LOOPS = 7]"
	.size	__PRETTY_FUNCTION__._Z35paged_attention_ll4mi_reduce_kernelI14__hip_bfloat16S0_Li64ELi64ELi256ELi7EEvPT0_PKfS4_PKT_PKiS9_iS4_, 342

	.type	__PRETTY_FUNCTION__._Z35paged_attention_ll4mi_reduce_kernelI14__hip_bfloat16S0_Li64ELi64ELi256ELi8EEvPT0_PKfS4_PKT_PKiS9_iS4_,@object ; @__PRETTY_FUNCTION__._Z35paged_attention_ll4mi_reduce_kernelI14__hip_bfloat16S0_Li64ELi64ELi256ELi8EEvPT0_PKfS4_PKT_PKiS9_iS4_
__PRETTY_FUNCTION__._Z35paged_attention_ll4mi_reduce_kernelI14__hip_bfloat16S0_Li64ELi64ELi256ELi8EEvPT0_PKfS4_PKT_PKiS9_iS4_:
	.asciz	"void paged_attention_ll4mi_reduce_kernel(OUTT *__restrict, const float *__restrict, const float *__restrict, const scalar_t *__restrict, const int *__restrict, const int *__restrict, const int, const float *__restrict) [scalar_t = __hip_bfloat16, OUTT = __hip_bfloat16, HEAD_SIZE = 64, NUM_THREADS = 64, PARTITION_SIZE = 256, NPAR_LOOPS = 8]"
	.size	__PRETTY_FUNCTION__._Z35paged_attention_ll4mi_reduce_kernelI14__hip_bfloat16S0_Li64ELi64ELi256ELi8EEvPT0_PKfS4_PKT_PKiS9_iS4_, 342

	.type	__PRETTY_FUNCTION__._Z39paged_attention_ll4mi_QKV_mfma16_kernelI14__hip_bfloat16S0_LN4vllm18Fp8KVCacheDataTypeE0ES0_Li16ELi64ELi256ELb1ELi1EEvPKT_PKT0_S8_ifPKiSA_SA_iPKfiiiPfSD_PS3_PT2_iSC_SC_,@object ; @__PRETTY_FUNCTION__._Z39paged_attention_ll4mi_QKV_mfma16_kernelI14__hip_bfloat16S0_LN4vllm18Fp8KVCacheDataTypeE0ES0_Li16ELi64ELi256ELb1ELi1EEvPKT_PKT0_S8_ifPKiSA_SA_iPKfiiiPfSD_PS3_PT2_iSC_SC_
__PRETTY_FUNCTION__._Z39paged_attention_ll4mi_QKV_mfma16_kernelI14__hip_bfloat16S0_LN4vllm18Fp8KVCacheDataTypeE0ES0_Li16ELi64ELi256ELb1ELi1EEvPKT_PKT0_S8_ifPKiSA_SA_iPKfiiiPfSD_PS3_PT2_iSC_SC_:
	.asciz	"void paged_attention_ll4mi_QKV_mfma16_kernel(const scalar_t *__restrict, const cache_t *__restrict, const cache_t *__restrict, const int, const float, const int *__restrict, const int *__restrict, const int *__restrict, const int, const float *__restrict, const int, const int, const int, float *__restrict, float *__restrict, scalar_t *__restrict, OUTT *__restrict, int, const float *, const float *) [scalar_t = __hip_bfloat16, cache_t = __hip_bfloat16, KV_DTYPE = vllm::Fp8KVCacheDataType::kAuto, OUTT = __hip_bfloat16, BLOCK_SIZE = 16, HEAD_SIZE = 64, NUM_THREADS = 256, ALIBI_ENABLED = true, GQA_RATIO = 1]"
	.size	__PRETTY_FUNCTION__._Z39paged_attention_ll4mi_QKV_mfma16_kernelI14__hip_bfloat16S0_LN4vllm18Fp8KVCacheDataTypeE0ES0_Li16ELi64ELi256ELb1ELi1EEvPKT_PKT0_S8_ifPKiSA_SA_iPKfiiiPfSD_PS3_PT2_iSC_SC_, 612

	.type	__PRETTY_FUNCTION__._Z39paged_attention_ll4mi_QKV_mfma16_kernelI14__hip_bfloat16S0_LN4vllm18Fp8KVCacheDataTypeE0ES0_Li16ELi64ELi256ELb1ELi2EEvPKT_PKT0_S8_ifPKiSA_SA_iPKfiiiPfSD_PS3_PT2_iSC_SC_,@object ; @__PRETTY_FUNCTION__._Z39paged_attention_ll4mi_QKV_mfma16_kernelI14__hip_bfloat16S0_LN4vllm18Fp8KVCacheDataTypeE0ES0_Li16ELi64ELi256ELb1ELi2EEvPKT_PKT0_S8_ifPKiSA_SA_iPKfiiiPfSD_PS3_PT2_iSC_SC_
__PRETTY_FUNCTION__._Z39paged_attention_ll4mi_QKV_mfma16_kernelI14__hip_bfloat16S0_LN4vllm18Fp8KVCacheDataTypeE0ES0_Li16ELi64ELi256ELb1ELi2EEvPKT_PKT0_S8_ifPKiSA_SA_iPKfiiiPfSD_PS3_PT2_iSC_SC_:
	.asciz	"void paged_attention_ll4mi_QKV_mfma16_kernel(const scalar_t *__restrict, const cache_t *__restrict, const cache_t *__restrict, const int, const float, const int *__restrict, const int *__restrict, const int *__restrict, const int, const float *__restrict, const int, const int, const int, float *__restrict, float *__restrict, scalar_t *__restrict, OUTT *__restrict, int, const float *, const float *) [scalar_t = __hip_bfloat16, cache_t = __hip_bfloat16, KV_DTYPE = vllm::Fp8KVCacheDataType::kAuto, OUTT = __hip_bfloat16, BLOCK_SIZE = 16, HEAD_SIZE = 64, NUM_THREADS = 256, ALIBI_ENABLED = true, GQA_RATIO = 2]"
	.size	__PRETTY_FUNCTION__._Z39paged_attention_ll4mi_QKV_mfma16_kernelI14__hip_bfloat16S0_LN4vllm18Fp8KVCacheDataTypeE0ES0_Li16ELi64ELi256ELb1ELi2EEvPKT_PKT0_S8_ifPKiSA_SA_iPKfiiiPfSD_PS3_PT2_iSC_SC_, 612

	.type	__PRETTY_FUNCTION__._Z39paged_attention_ll4mi_QKV_mfma16_kernelI14__hip_bfloat16S0_LN4vllm18Fp8KVCacheDataTypeE0ES0_Li16ELi64ELi256ELb1ELi3EEvPKT_PKT0_S8_ifPKiSA_SA_iPKfiiiPfSD_PS3_PT2_iSC_SC_,@object ; @__PRETTY_FUNCTION__._Z39paged_attention_ll4mi_QKV_mfma16_kernelI14__hip_bfloat16S0_LN4vllm18Fp8KVCacheDataTypeE0ES0_Li16ELi64ELi256ELb1ELi3EEvPKT_PKT0_S8_ifPKiSA_SA_iPKfiiiPfSD_PS3_PT2_iSC_SC_
__PRETTY_FUNCTION__._Z39paged_attention_ll4mi_QKV_mfma16_kernelI14__hip_bfloat16S0_LN4vllm18Fp8KVCacheDataTypeE0ES0_Li16ELi64ELi256ELb1ELi3EEvPKT_PKT0_S8_ifPKiSA_SA_iPKfiiiPfSD_PS3_PT2_iSC_SC_:
	.asciz	"void paged_attention_ll4mi_QKV_mfma16_kernel(const scalar_t *__restrict, const cache_t *__restrict, const cache_t *__restrict, const int, const float, const int *__restrict, const int *__restrict, const int *__restrict, const int, const float *__restrict, const int, const int, const int, float *__restrict, float *__restrict, scalar_t *__restrict, OUTT *__restrict, int, const float *, const float *) [scalar_t = __hip_bfloat16, cache_t = __hip_bfloat16, KV_DTYPE = vllm::Fp8KVCacheDataType::kAuto, OUTT = __hip_bfloat16, BLOCK_SIZE = 16, HEAD_SIZE = 64, NUM_THREADS = 256, ALIBI_ENABLED = true, GQA_RATIO = 3]"
	.size	__PRETTY_FUNCTION__._Z39paged_attention_ll4mi_QKV_mfma16_kernelI14__hip_bfloat16S0_LN4vllm18Fp8KVCacheDataTypeE0ES0_Li16ELi64ELi256ELb1ELi3EEvPKT_PKT0_S8_ifPKiSA_SA_iPKfiiiPfSD_PS3_PT2_iSC_SC_, 612

	.type	__PRETTY_FUNCTION__._Z39paged_attention_ll4mi_QKV_mfma16_kernelI14__hip_bfloat16S0_LN4vllm18Fp8KVCacheDataTypeE0ES0_Li16ELi64ELi256ELb1ELi4EEvPKT_PKT0_S8_ifPKiSA_SA_iPKfiiiPfSD_PS3_PT2_iSC_SC_,@object ; @__PRETTY_FUNCTION__._Z39paged_attention_ll4mi_QKV_mfma16_kernelI14__hip_bfloat16S0_LN4vllm18Fp8KVCacheDataTypeE0ES0_Li16ELi64ELi256ELb1ELi4EEvPKT_PKT0_S8_ifPKiSA_SA_iPKfiiiPfSD_PS3_PT2_iSC_SC_
__PRETTY_FUNCTION__._Z39paged_attention_ll4mi_QKV_mfma16_kernelI14__hip_bfloat16S0_LN4vllm18Fp8KVCacheDataTypeE0ES0_Li16ELi64ELi256ELb1ELi4EEvPKT_PKT0_S8_ifPKiSA_SA_iPKfiiiPfSD_PS3_PT2_iSC_SC_:
	.asciz	"void paged_attention_ll4mi_QKV_mfma16_kernel(const scalar_t *__restrict, const cache_t *__restrict, const cache_t *__restrict, const int, const float, const int *__restrict, const int *__restrict, const int *__restrict, const int, const float *__restrict, const int, const int, const int, float *__restrict, float *__restrict, scalar_t *__restrict, OUTT *__restrict, int, const float *, const float *) [scalar_t = __hip_bfloat16, cache_t = __hip_bfloat16, KV_DTYPE = vllm::Fp8KVCacheDataType::kAuto, OUTT = __hip_bfloat16, BLOCK_SIZE = 16, HEAD_SIZE = 64, NUM_THREADS = 256, ALIBI_ENABLED = true, GQA_RATIO = 4]"
	.size	__PRETTY_FUNCTION__._Z39paged_attention_ll4mi_QKV_mfma16_kernelI14__hip_bfloat16S0_LN4vllm18Fp8KVCacheDataTypeE0ES0_Li16ELi64ELi256ELb1ELi4EEvPKT_PKT0_S8_ifPKiSA_SA_iPKfiiiPfSD_PS3_PT2_iSC_SC_, 612

	.type	__PRETTY_FUNCTION__._Z35paged_attention_ll4mi_reduce_kernelI14__hip_bfloat16S0_Li64ELi64ELi256ELi9EEvPT0_PKfS4_PKT_PKiS9_iS4_,@object ; @__PRETTY_FUNCTION__._Z35paged_attention_ll4mi_reduce_kernelI14__hip_bfloat16S0_Li64ELi64ELi256ELi9EEvPT0_PKfS4_PKT_PKiS9_iS4_
__PRETTY_FUNCTION__._Z35paged_attention_ll4mi_reduce_kernelI14__hip_bfloat16S0_Li64ELi64ELi256ELi9EEvPT0_PKfS4_PKT_PKiS9_iS4_:
	.asciz	"void paged_attention_ll4mi_reduce_kernel(OUTT *__restrict, const float *__restrict, const float *__restrict, const scalar_t *__restrict, const int *__restrict, const int *__restrict, const int, const float *__restrict) [scalar_t = __hip_bfloat16, OUTT = __hip_bfloat16, HEAD_SIZE = 64, NUM_THREADS = 64, PARTITION_SIZE = 256, NPAR_LOOPS = 9]"
	.size	__PRETTY_FUNCTION__._Z35paged_attention_ll4mi_reduce_kernelI14__hip_bfloat16S0_Li64ELi64ELi256ELi9EEvPT0_PKfS4_PKT_PKiS9_iS4_, 342

	.type	__PRETTY_FUNCTION__._Z35paged_attention_ll4mi_reduce_kernelI14__hip_bfloat16S0_Li64ELi64ELi256ELi10EEvPT0_PKfS4_PKT_PKiS9_iS4_,@object ; @__PRETTY_FUNCTION__._Z35paged_attention_ll4mi_reduce_kernelI14__hip_bfloat16S0_Li64ELi64ELi256ELi10EEvPT0_PKfS4_PKT_PKiS9_iS4_
__PRETTY_FUNCTION__._Z35paged_attention_ll4mi_reduce_kernelI14__hip_bfloat16S0_Li64ELi64ELi256ELi10EEvPT0_PKfS4_PKT_PKiS9_iS4_:
	.asciz	"void paged_attention_ll4mi_reduce_kernel(OUTT *__restrict, const float *__restrict, const float *__restrict, const scalar_t *__restrict, const int *__restrict, const int *__restrict, const int, const float *__restrict) [scalar_t = __hip_bfloat16, OUTT = __hip_bfloat16, HEAD_SIZE = 64, NUM_THREADS = 64, PARTITION_SIZE = 256, NPAR_LOOPS = 10]"
	.size	__PRETTY_FUNCTION__._Z35paged_attention_ll4mi_reduce_kernelI14__hip_bfloat16S0_Li64ELi64ELi256ELi10EEvPT0_PKfS4_PKT_PKiS9_iS4_, 343

	.type	__PRETTY_FUNCTION__._Z35paged_attention_ll4mi_reduce_kernelI14__hip_bfloat16S0_Li64ELi64ELi256ELi11EEvPT0_PKfS4_PKT_PKiS9_iS4_,@object ; @__PRETTY_FUNCTION__._Z35paged_attention_ll4mi_reduce_kernelI14__hip_bfloat16S0_Li64ELi64ELi256ELi11EEvPT0_PKfS4_PKT_PKiS9_iS4_
__PRETTY_FUNCTION__._Z35paged_attention_ll4mi_reduce_kernelI14__hip_bfloat16S0_Li64ELi64ELi256ELi11EEvPT0_PKfS4_PKT_PKiS9_iS4_:
	.asciz	"void paged_attention_ll4mi_reduce_kernel(OUTT *__restrict, const float *__restrict, const float *__restrict, const scalar_t *__restrict, const int *__restrict, const int *__restrict, const int, const float *__restrict) [scalar_t = __hip_bfloat16, OUTT = __hip_bfloat16, HEAD_SIZE = 64, NUM_THREADS = 64, PARTITION_SIZE = 256, NPAR_LOOPS = 11]"
	.size	__PRETTY_FUNCTION__._Z35paged_attention_ll4mi_reduce_kernelI14__hip_bfloat16S0_Li64ELi64ELi256ELi11EEvPT0_PKfS4_PKT_PKiS9_iS4_, 343

	.type	__PRETTY_FUNCTION__._Z35paged_attention_ll4mi_reduce_kernelI14__hip_bfloat16S0_Li64ELi64ELi256ELi12EEvPT0_PKfS4_PKT_PKiS9_iS4_,@object ; @__PRETTY_FUNCTION__._Z35paged_attention_ll4mi_reduce_kernelI14__hip_bfloat16S0_Li64ELi64ELi256ELi12EEvPT0_PKfS4_PKT_PKiS9_iS4_
__PRETTY_FUNCTION__._Z35paged_attention_ll4mi_reduce_kernelI14__hip_bfloat16S0_Li64ELi64ELi256ELi12EEvPT0_PKfS4_PKT_PKiS9_iS4_:
	.asciz	"void paged_attention_ll4mi_reduce_kernel(OUTT *__restrict, const float *__restrict, const float *__restrict, const scalar_t *__restrict, const int *__restrict, const int *__restrict, const int, const float *__restrict) [scalar_t = __hip_bfloat16, OUTT = __hip_bfloat16, HEAD_SIZE = 64, NUM_THREADS = 64, PARTITION_SIZE = 256, NPAR_LOOPS = 12]"
	.size	__PRETTY_FUNCTION__._Z35paged_attention_ll4mi_reduce_kernelI14__hip_bfloat16S0_Li64ELi64ELi256ELi12EEvPT0_PKfS4_PKT_PKiS9_iS4_, 343

	.type	__PRETTY_FUNCTION__._Z35paged_attention_ll4mi_reduce_kernelI14__hip_bfloat16S0_Li64ELi64ELi256ELi13EEvPT0_PKfS4_PKT_PKiS9_iS4_,@object ; @__PRETTY_FUNCTION__._Z35paged_attention_ll4mi_reduce_kernelI14__hip_bfloat16S0_Li64ELi64ELi256ELi13EEvPT0_PKfS4_PKT_PKiS9_iS4_
__PRETTY_FUNCTION__._Z35paged_attention_ll4mi_reduce_kernelI14__hip_bfloat16S0_Li64ELi64ELi256ELi13EEvPT0_PKfS4_PKT_PKiS9_iS4_:
	.asciz	"void paged_attention_ll4mi_reduce_kernel(OUTT *__restrict, const float *__restrict, const float *__restrict, const scalar_t *__restrict, const int *__restrict, const int *__restrict, const int, const float *__restrict) [scalar_t = __hip_bfloat16, OUTT = __hip_bfloat16, HEAD_SIZE = 64, NUM_THREADS = 64, PARTITION_SIZE = 256, NPAR_LOOPS = 13]"
	.size	__PRETTY_FUNCTION__._Z35paged_attention_ll4mi_reduce_kernelI14__hip_bfloat16S0_Li64ELi64ELi256ELi13EEvPT0_PKfS4_PKT_PKiS9_iS4_, 343

	.type	__PRETTY_FUNCTION__._Z35paged_attention_ll4mi_reduce_kernelI14__hip_bfloat16S0_Li64ELi64ELi256ELi14EEvPT0_PKfS4_PKT_PKiS9_iS4_,@object ; @__PRETTY_FUNCTION__._Z35paged_attention_ll4mi_reduce_kernelI14__hip_bfloat16S0_Li64ELi64ELi256ELi14EEvPT0_PKfS4_PKT_PKiS9_iS4_
__PRETTY_FUNCTION__._Z35paged_attention_ll4mi_reduce_kernelI14__hip_bfloat16S0_Li64ELi64ELi256ELi14EEvPT0_PKfS4_PKT_PKiS9_iS4_:
	.asciz	"void paged_attention_ll4mi_reduce_kernel(OUTT *__restrict, const float *__restrict, const float *__restrict, const scalar_t *__restrict, const int *__restrict, const int *__restrict, const int, const float *__restrict) [scalar_t = __hip_bfloat16, OUTT = __hip_bfloat16, HEAD_SIZE = 64, NUM_THREADS = 64, PARTITION_SIZE = 256, NPAR_LOOPS = 14]"
	.size	__PRETTY_FUNCTION__._Z35paged_attention_ll4mi_reduce_kernelI14__hip_bfloat16S0_Li64ELi64ELi256ELi14EEvPT0_PKfS4_PKT_PKiS9_iS4_, 343

	.type	__PRETTY_FUNCTION__._Z35paged_attention_ll4mi_reduce_kernelI14__hip_bfloat16S0_Li64ELi64ELi256ELi15EEvPT0_PKfS4_PKT_PKiS9_iS4_,@object ; @__PRETTY_FUNCTION__._Z35paged_attention_ll4mi_reduce_kernelI14__hip_bfloat16S0_Li64ELi64ELi256ELi15EEvPT0_PKfS4_PKT_PKiS9_iS4_
__PRETTY_FUNCTION__._Z35paged_attention_ll4mi_reduce_kernelI14__hip_bfloat16S0_Li64ELi64ELi256ELi15EEvPT0_PKfS4_PKT_PKiS9_iS4_:
	.asciz	"void paged_attention_ll4mi_reduce_kernel(OUTT *__restrict, const float *__restrict, const float *__restrict, const scalar_t *__restrict, const int *__restrict, const int *__restrict, const int, const float *__restrict) [scalar_t = __hip_bfloat16, OUTT = __hip_bfloat16, HEAD_SIZE = 64, NUM_THREADS = 64, PARTITION_SIZE = 256, NPAR_LOOPS = 15]"
	.size	__PRETTY_FUNCTION__._Z35paged_attention_ll4mi_reduce_kernelI14__hip_bfloat16S0_Li64ELi64ELi256ELi15EEvPT0_PKfS4_PKT_PKiS9_iS4_, 343

	.type	__PRETTY_FUNCTION__._Z35paged_attention_ll4mi_reduce_kernelI14__hip_bfloat16S0_Li64ELi64ELi256ELi16EEvPT0_PKfS4_PKT_PKiS9_iS4_,@object ; @__PRETTY_FUNCTION__._Z35paged_attention_ll4mi_reduce_kernelI14__hip_bfloat16S0_Li64ELi64ELi256ELi16EEvPT0_PKfS4_PKT_PKiS9_iS4_
__PRETTY_FUNCTION__._Z35paged_attention_ll4mi_reduce_kernelI14__hip_bfloat16S0_Li64ELi64ELi256ELi16EEvPT0_PKfS4_PKT_PKiS9_iS4_:
	.asciz	"void paged_attention_ll4mi_reduce_kernel(OUTT *__restrict, const float *__restrict, const float *__restrict, const scalar_t *__restrict, const int *__restrict, const int *__restrict, const int, const float *__restrict) [scalar_t = __hip_bfloat16, OUTT = __hip_bfloat16, HEAD_SIZE = 64, NUM_THREADS = 64, PARTITION_SIZE = 256, NPAR_LOOPS = 16]"
	.size	__PRETTY_FUNCTION__._Z35paged_attention_ll4mi_reduce_kernelI14__hip_bfloat16S0_Li64ELi64ELi256ELi16EEvPT0_PKfS4_PKT_PKiS9_iS4_, 343

	.type	__PRETTY_FUNCTION__._Z38paged_attention_ll4mi_QKV_mfma4_kernelI14__hip_bfloat16S0_LN4vllm18Fp8KVCacheDataTypeE0ES0_Li16ELi64ELi256ELb0ELi1EEvPKT_PKT0_S8_ifPKiSA_SA_iPKfiiiPfSD_PS3_PT2_iSC_SC_,@object ; @__PRETTY_FUNCTION__._Z38paged_attention_ll4mi_QKV_mfma4_kernelI14__hip_bfloat16S0_LN4vllm18Fp8KVCacheDataTypeE0ES0_Li16ELi64ELi256ELb0ELi1EEvPKT_PKT0_S8_ifPKiSA_SA_iPKfiiiPfSD_PS3_PT2_iSC_SC_
__PRETTY_FUNCTION__._Z38paged_attention_ll4mi_QKV_mfma4_kernelI14__hip_bfloat16S0_LN4vllm18Fp8KVCacheDataTypeE0ES0_Li16ELi64ELi256ELb0ELi1EEvPKT_PKT0_S8_ifPKiSA_SA_iPKfiiiPfSD_PS3_PT2_iSC_SC_:
	.asciz	"void paged_attention_ll4mi_QKV_mfma4_kernel(const scalar_t *__restrict, const cache_t *__restrict, const cache_t *__restrict, const int, const float, const int *__restrict, const int *__restrict, const int *__restrict, const int, const float *__restrict, const int, const int, const int, float *__restrict, float *__restrict, scalar_t *__restrict, OUTT *__restrict, int, const float *, const float *) [scalar_t = __hip_bfloat16, cache_t = __hip_bfloat16, KV_DTYPE = vllm::Fp8KVCacheDataType::kAuto, OUTT = __hip_bfloat16, BLOCK_SIZE = 16, HEAD_SIZE = 64, NUM_THREADS = 256, ALIBI_ENABLED = false, GQA_RATIO = 1]"
	.size	__PRETTY_FUNCTION__._Z38paged_attention_ll4mi_QKV_mfma4_kernelI14__hip_bfloat16S0_LN4vllm18Fp8KVCacheDataTypeE0ES0_Li16ELi64ELi256ELb0ELi1EEvPKT_PKT0_S8_ifPKiSA_SA_iPKfiiiPfSD_PS3_PT2_iSC_SC_, 612

	.type	__PRETTY_FUNCTION__._Z38paged_attention_ll4mi_QKV_mfma4_kernelI14__hip_bfloat16S0_LN4vllm18Fp8KVCacheDataTypeE0ES0_Li16ELi64ELi256ELb0ELi2EEvPKT_PKT0_S8_ifPKiSA_SA_iPKfiiiPfSD_PS3_PT2_iSC_SC_,@object ; @__PRETTY_FUNCTION__._Z38paged_attention_ll4mi_QKV_mfma4_kernelI14__hip_bfloat16S0_LN4vllm18Fp8KVCacheDataTypeE0ES0_Li16ELi64ELi256ELb0ELi2EEvPKT_PKT0_S8_ifPKiSA_SA_iPKfiiiPfSD_PS3_PT2_iSC_SC_
__PRETTY_FUNCTION__._Z38paged_attention_ll4mi_QKV_mfma4_kernelI14__hip_bfloat16S0_LN4vllm18Fp8KVCacheDataTypeE0ES0_Li16ELi64ELi256ELb0ELi2EEvPKT_PKT0_S8_ifPKiSA_SA_iPKfiiiPfSD_PS3_PT2_iSC_SC_:
	.asciz	"void paged_attention_ll4mi_QKV_mfma4_kernel(const scalar_t *__restrict, const cache_t *__restrict, const cache_t *__restrict, const int, const float, const int *__restrict, const int *__restrict, const int *__restrict, const int, const float *__restrict, const int, const int, const int, float *__restrict, float *__restrict, scalar_t *__restrict, OUTT *__restrict, int, const float *, const float *) [scalar_t = __hip_bfloat16, cache_t = __hip_bfloat16, KV_DTYPE = vllm::Fp8KVCacheDataType::kAuto, OUTT = __hip_bfloat16, BLOCK_SIZE = 16, HEAD_SIZE = 64, NUM_THREADS = 256, ALIBI_ENABLED = false, GQA_RATIO = 2]"
	.size	__PRETTY_FUNCTION__._Z38paged_attention_ll4mi_QKV_mfma4_kernelI14__hip_bfloat16S0_LN4vllm18Fp8KVCacheDataTypeE0ES0_Li16ELi64ELi256ELb0ELi2EEvPKT_PKT0_S8_ifPKiSA_SA_iPKfiiiPfSD_PS3_PT2_iSC_SC_, 612

	.type	__PRETTY_FUNCTION__._Z38paged_attention_ll4mi_QKV_mfma4_kernelI14__hip_bfloat16S0_LN4vllm18Fp8KVCacheDataTypeE0ES0_Li16ELi64ELi256ELb0ELi3EEvPKT_PKT0_S8_ifPKiSA_SA_iPKfiiiPfSD_PS3_PT2_iSC_SC_,@object ; @__PRETTY_FUNCTION__._Z38paged_attention_ll4mi_QKV_mfma4_kernelI14__hip_bfloat16S0_LN4vllm18Fp8KVCacheDataTypeE0ES0_Li16ELi64ELi256ELb0ELi3EEvPKT_PKT0_S8_ifPKiSA_SA_iPKfiiiPfSD_PS3_PT2_iSC_SC_
__PRETTY_FUNCTION__._Z38paged_attention_ll4mi_QKV_mfma4_kernelI14__hip_bfloat16S0_LN4vllm18Fp8KVCacheDataTypeE0ES0_Li16ELi64ELi256ELb0ELi3EEvPKT_PKT0_S8_ifPKiSA_SA_iPKfiiiPfSD_PS3_PT2_iSC_SC_:
	.asciz	"void paged_attention_ll4mi_QKV_mfma4_kernel(const scalar_t *__restrict, const cache_t *__restrict, const cache_t *__restrict, const int, const float, const int *__restrict, const int *__restrict, const int *__restrict, const int, const float *__restrict, const int, const int, const int, float *__restrict, float *__restrict, scalar_t *__restrict, OUTT *__restrict, int, const float *, const float *) [scalar_t = __hip_bfloat16, cache_t = __hip_bfloat16, KV_DTYPE = vllm::Fp8KVCacheDataType::kAuto, OUTT = __hip_bfloat16, BLOCK_SIZE = 16, HEAD_SIZE = 64, NUM_THREADS = 256, ALIBI_ENABLED = false, GQA_RATIO = 3]"
	.size	__PRETTY_FUNCTION__._Z38paged_attention_ll4mi_QKV_mfma4_kernelI14__hip_bfloat16S0_LN4vllm18Fp8KVCacheDataTypeE0ES0_Li16ELi64ELi256ELb0ELi3EEvPKT_PKT0_S8_ifPKiSA_SA_iPKfiiiPfSD_PS3_PT2_iSC_SC_, 612

	.type	__PRETTY_FUNCTION__._Z38paged_attention_ll4mi_QKV_mfma4_kernelI14__hip_bfloat16S0_LN4vllm18Fp8KVCacheDataTypeE0ES0_Li16ELi64ELi256ELb0ELi4EEvPKT_PKT0_S8_ifPKiSA_SA_iPKfiiiPfSD_PS3_PT2_iSC_SC_,@object ; @__PRETTY_FUNCTION__._Z38paged_attention_ll4mi_QKV_mfma4_kernelI14__hip_bfloat16S0_LN4vllm18Fp8KVCacheDataTypeE0ES0_Li16ELi64ELi256ELb0ELi4EEvPKT_PKT0_S8_ifPKiSA_SA_iPKfiiiPfSD_PS3_PT2_iSC_SC_
__PRETTY_FUNCTION__._Z38paged_attention_ll4mi_QKV_mfma4_kernelI14__hip_bfloat16S0_LN4vllm18Fp8KVCacheDataTypeE0ES0_Li16ELi64ELi256ELb0ELi4EEvPKT_PKT0_S8_ifPKiSA_SA_iPKfiiiPfSD_PS3_PT2_iSC_SC_:
	.asciz	"void paged_attention_ll4mi_QKV_mfma4_kernel(const scalar_t *__restrict, const cache_t *__restrict, const cache_t *__restrict, const int, const float, const int *__restrict, const int *__restrict, const int *__restrict, const int, const float *__restrict, const int, const int, const int, float *__restrict, float *__restrict, scalar_t *__restrict, OUTT *__restrict, int, const float *, const float *) [scalar_t = __hip_bfloat16, cache_t = __hip_bfloat16, KV_DTYPE = vllm::Fp8KVCacheDataType::kAuto, OUTT = __hip_bfloat16, BLOCK_SIZE = 16, HEAD_SIZE = 64, NUM_THREADS = 256, ALIBI_ENABLED = false, GQA_RATIO = 4]"
	.size	__PRETTY_FUNCTION__._Z38paged_attention_ll4mi_QKV_mfma4_kernelI14__hip_bfloat16S0_LN4vllm18Fp8KVCacheDataTypeE0ES0_Li16ELi64ELi256ELb0ELi4EEvPKT_PKT0_S8_ifPKiSA_SA_iPKfiiiPfSD_PS3_PT2_iSC_SC_, 612

	.type	__PRETTY_FUNCTION__._Z39paged_attention_ll4mi_QKV_mfma16_kernelI14__hip_bfloat16S0_LN4vllm18Fp8KVCacheDataTypeE0ES0_Li16ELi64ELi256ELb0ELi5EEvPKT_PKT0_S8_ifPKiSA_SA_iPKfiiiPfSD_PS3_PT2_iSC_SC_,@object ; @__PRETTY_FUNCTION__._Z39paged_attention_ll4mi_QKV_mfma16_kernelI14__hip_bfloat16S0_LN4vllm18Fp8KVCacheDataTypeE0ES0_Li16ELi64ELi256ELb0ELi5EEvPKT_PKT0_S8_ifPKiSA_SA_iPKfiiiPfSD_PS3_PT2_iSC_SC_
__PRETTY_FUNCTION__._Z39paged_attention_ll4mi_QKV_mfma16_kernelI14__hip_bfloat16S0_LN4vllm18Fp8KVCacheDataTypeE0ES0_Li16ELi64ELi256ELb0ELi5EEvPKT_PKT0_S8_ifPKiSA_SA_iPKfiiiPfSD_PS3_PT2_iSC_SC_:
	.asciz	"void paged_attention_ll4mi_QKV_mfma16_kernel(const scalar_t *__restrict, const cache_t *__restrict, const cache_t *__restrict, const int, const float, const int *__restrict, const int *__restrict, const int *__restrict, const int, const float *__restrict, const int, const int, const int, float *__restrict, float *__restrict, scalar_t *__restrict, OUTT *__restrict, int, const float *, const float *) [scalar_t = __hip_bfloat16, cache_t = __hip_bfloat16, KV_DTYPE = vllm::Fp8KVCacheDataType::kAuto, OUTT = __hip_bfloat16, BLOCK_SIZE = 16, HEAD_SIZE = 64, NUM_THREADS = 256, ALIBI_ENABLED = false, GQA_RATIO = 5]"
	.size	__PRETTY_FUNCTION__._Z39paged_attention_ll4mi_QKV_mfma16_kernelI14__hip_bfloat16S0_LN4vllm18Fp8KVCacheDataTypeE0ES0_Li16ELi64ELi256ELb0ELi5EEvPKT_PKT0_S8_ifPKiSA_SA_iPKfiiiPfSD_PS3_PT2_iSC_SC_, 613

	.type	__PRETTY_FUNCTION__._Z39paged_attention_ll4mi_QKV_mfma16_kernelI14__hip_bfloat16S0_LN4vllm18Fp8KVCacheDataTypeE0ES0_Li16ELi64ELi256ELb0ELi6EEvPKT_PKT0_S8_ifPKiSA_SA_iPKfiiiPfSD_PS3_PT2_iSC_SC_,@object ; @__PRETTY_FUNCTION__._Z39paged_attention_ll4mi_QKV_mfma16_kernelI14__hip_bfloat16S0_LN4vllm18Fp8KVCacheDataTypeE0ES0_Li16ELi64ELi256ELb0ELi6EEvPKT_PKT0_S8_ifPKiSA_SA_iPKfiiiPfSD_PS3_PT2_iSC_SC_
__PRETTY_FUNCTION__._Z39paged_attention_ll4mi_QKV_mfma16_kernelI14__hip_bfloat16S0_LN4vllm18Fp8KVCacheDataTypeE0ES0_Li16ELi64ELi256ELb0ELi6EEvPKT_PKT0_S8_ifPKiSA_SA_iPKfiiiPfSD_PS3_PT2_iSC_SC_:
	.asciz	"void paged_attention_ll4mi_QKV_mfma16_kernel(const scalar_t *__restrict, const cache_t *__restrict, const cache_t *__restrict, const int, const float, const int *__restrict, const int *__restrict, const int *__restrict, const int, const float *__restrict, const int, const int, const int, float *__restrict, float *__restrict, scalar_t *__restrict, OUTT *__restrict, int, const float *, const float *) [scalar_t = __hip_bfloat16, cache_t = __hip_bfloat16, KV_DTYPE = vllm::Fp8KVCacheDataType::kAuto, OUTT = __hip_bfloat16, BLOCK_SIZE = 16, HEAD_SIZE = 64, NUM_THREADS = 256, ALIBI_ENABLED = false, GQA_RATIO = 6]"
	.size	__PRETTY_FUNCTION__._Z39paged_attention_ll4mi_QKV_mfma16_kernelI14__hip_bfloat16S0_LN4vllm18Fp8KVCacheDataTypeE0ES0_Li16ELi64ELi256ELb0ELi6EEvPKT_PKT0_S8_ifPKiSA_SA_iPKfiiiPfSD_PS3_PT2_iSC_SC_, 613

	.type	__PRETTY_FUNCTION__._Z39paged_attention_ll4mi_QKV_mfma16_kernelI14__hip_bfloat16S0_LN4vllm18Fp8KVCacheDataTypeE0ES0_Li16ELi64ELi256ELb0ELi7EEvPKT_PKT0_S8_ifPKiSA_SA_iPKfiiiPfSD_PS3_PT2_iSC_SC_,@object ; @__PRETTY_FUNCTION__._Z39paged_attention_ll4mi_QKV_mfma16_kernelI14__hip_bfloat16S0_LN4vllm18Fp8KVCacheDataTypeE0ES0_Li16ELi64ELi256ELb0ELi7EEvPKT_PKT0_S8_ifPKiSA_SA_iPKfiiiPfSD_PS3_PT2_iSC_SC_
__PRETTY_FUNCTION__._Z39paged_attention_ll4mi_QKV_mfma16_kernelI14__hip_bfloat16S0_LN4vllm18Fp8KVCacheDataTypeE0ES0_Li16ELi64ELi256ELb0ELi7EEvPKT_PKT0_S8_ifPKiSA_SA_iPKfiiiPfSD_PS3_PT2_iSC_SC_:
	.asciz	"void paged_attention_ll4mi_QKV_mfma16_kernel(const scalar_t *__restrict, const cache_t *__restrict, const cache_t *__restrict, const int, const float, const int *__restrict, const int *__restrict, const int *__restrict, const int, const float *__restrict, const int, const int, const int, float *__restrict, float *__restrict, scalar_t *__restrict, OUTT *__restrict, int, const float *, const float *) [scalar_t = __hip_bfloat16, cache_t = __hip_bfloat16, KV_DTYPE = vllm::Fp8KVCacheDataType::kAuto, OUTT = __hip_bfloat16, BLOCK_SIZE = 16, HEAD_SIZE = 64, NUM_THREADS = 256, ALIBI_ENABLED = false, GQA_RATIO = 7]"
	.size	__PRETTY_FUNCTION__._Z39paged_attention_ll4mi_QKV_mfma16_kernelI14__hip_bfloat16S0_LN4vllm18Fp8KVCacheDataTypeE0ES0_Li16ELi64ELi256ELb0ELi7EEvPKT_PKT0_S8_ifPKiSA_SA_iPKfiiiPfSD_PS3_PT2_iSC_SC_, 613

	.type	__PRETTY_FUNCTION__._Z39paged_attention_ll4mi_QKV_mfma16_kernelI14__hip_bfloat16S0_LN4vllm18Fp8KVCacheDataTypeE0ES0_Li16ELi64ELi256ELb0ELi8EEvPKT_PKT0_S8_ifPKiSA_SA_iPKfiiiPfSD_PS3_PT2_iSC_SC_,@object ; @__PRETTY_FUNCTION__._Z39paged_attention_ll4mi_QKV_mfma16_kernelI14__hip_bfloat16S0_LN4vllm18Fp8KVCacheDataTypeE0ES0_Li16ELi64ELi256ELb0ELi8EEvPKT_PKT0_S8_ifPKiSA_SA_iPKfiiiPfSD_PS3_PT2_iSC_SC_
__PRETTY_FUNCTION__._Z39paged_attention_ll4mi_QKV_mfma16_kernelI14__hip_bfloat16S0_LN4vllm18Fp8KVCacheDataTypeE0ES0_Li16ELi64ELi256ELb0ELi8EEvPKT_PKT0_S8_ifPKiSA_SA_iPKfiiiPfSD_PS3_PT2_iSC_SC_:
	.asciz	"void paged_attention_ll4mi_QKV_mfma16_kernel(const scalar_t *__restrict, const cache_t *__restrict, const cache_t *__restrict, const int, const float, const int *__restrict, const int *__restrict, const int *__restrict, const int, const float *__restrict, const int, const int, const int, float *__restrict, float *__restrict, scalar_t *__restrict, OUTT *__restrict, int, const float *, const float *) [scalar_t = __hip_bfloat16, cache_t = __hip_bfloat16, KV_DTYPE = vllm::Fp8KVCacheDataType::kAuto, OUTT = __hip_bfloat16, BLOCK_SIZE = 16, HEAD_SIZE = 64, NUM_THREADS = 256, ALIBI_ENABLED = false, GQA_RATIO = 8]"
	.size	__PRETTY_FUNCTION__._Z39paged_attention_ll4mi_QKV_mfma16_kernelI14__hip_bfloat16S0_LN4vllm18Fp8KVCacheDataTypeE0ES0_Li16ELi64ELi256ELb0ELi8EEvPKT_PKT0_S8_ifPKiSA_SA_iPKfiiiPfSD_PS3_PT2_iSC_SC_, 613

	.type	__PRETTY_FUNCTION__._Z39paged_attention_ll4mi_QKV_mfma16_kernelI14__hip_bfloat16S0_LN4vllm18Fp8KVCacheDataTypeE0ES0_Li16ELi64ELi256ELb0ELi9EEvPKT_PKT0_S8_ifPKiSA_SA_iPKfiiiPfSD_PS3_PT2_iSC_SC_,@object ; @__PRETTY_FUNCTION__._Z39paged_attention_ll4mi_QKV_mfma16_kernelI14__hip_bfloat16S0_LN4vllm18Fp8KVCacheDataTypeE0ES0_Li16ELi64ELi256ELb0ELi9EEvPKT_PKT0_S8_ifPKiSA_SA_iPKfiiiPfSD_PS3_PT2_iSC_SC_
__PRETTY_FUNCTION__._Z39paged_attention_ll4mi_QKV_mfma16_kernelI14__hip_bfloat16S0_LN4vllm18Fp8KVCacheDataTypeE0ES0_Li16ELi64ELi256ELb0ELi9EEvPKT_PKT0_S8_ifPKiSA_SA_iPKfiiiPfSD_PS3_PT2_iSC_SC_:
	.asciz	"void paged_attention_ll4mi_QKV_mfma16_kernel(const scalar_t *__restrict, const cache_t *__restrict, const cache_t *__restrict, const int, const float, const int *__restrict, const int *__restrict, const int *__restrict, const int, const float *__restrict, const int, const int, const int, float *__restrict, float *__restrict, scalar_t *__restrict, OUTT *__restrict, int, const float *, const float *) [scalar_t = __hip_bfloat16, cache_t = __hip_bfloat16, KV_DTYPE = vllm::Fp8KVCacheDataType::kAuto, OUTT = __hip_bfloat16, BLOCK_SIZE = 16, HEAD_SIZE = 64, NUM_THREADS = 256, ALIBI_ENABLED = false, GQA_RATIO = 9]"
	.size	__PRETTY_FUNCTION__._Z39paged_attention_ll4mi_QKV_mfma16_kernelI14__hip_bfloat16S0_LN4vllm18Fp8KVCacheDataTypeE0ES0_Li16ELi64ELi256ELb0ELi9EEvPKT_PKT0_S8_ifPKiSA_SA_iPKfiiiPfSD_PS3_PT2_iSC_SC_, 613

	.type	__PRETTY_FUNCTION__._Z39paged_attention_ll4mi_QKV_mfma16_kernelI14__hip_bfloat16S0_LN4vllm18Fp8KVCacheDataTypeE0ES0_Li16ELi64ELi256ELb0ELi10EEvPKT_PKT0_S8_ifPKiSA_SA_iPKfiiiPfSD_PS3_PT2_iSC_SC_,@object ; @__PRETTY_FUNCTION__._Z39paged_attention_ll4mi_QKV_mfma16_kernelI14__hip_bfloat16S0_LN4vllm18Fp8KVCacheDataTypeE0ES0_Li16ELi64ELi256ELb0ELi10EEvPKT_PKT0_S8_ifPKiSA_SA_iPKfiiiPfSD_PS3_PT2_iSC_SC_
__PRETTY_FUNCTION__._Z39paged_attention_ll4mi_QKV_mfma16_kernelI14__hip_bfloat16S0_LN4vllm18Fp8KVCacheDataTypeE0ES0_Li16ELi64ELi256ELb0ELi10EEvPKT_PKT0_S8_ifPKiSA_SA_iPKfiiiPfSD_PS3_PT2_iSC_SC_:
	.asciz	"void paged_attention_ll4mi_QKV_mfma16_kernel(const scalar_t *__restrict, const cache_t *__restrict, const cache_t *__restrict, const int, const float, const int *__restrict, const int *__restrict, const int *__restrict, const int, const float *__restrict, const int, const int, const int, float *__restrict, float *__restrict, scalar_t *__restrict, OUTT *__restrict, int, const float *, const float *) [scalar_t = __hip_bfloat16, cache_t = __hip_bfloat16, KV_DTYPE = vllm::Fp8KVCacheDataType::kAuto, OUTT = __hip_bfloat16, BLOCK_SIZE = 16, HEAD_SIZE = 64, NUM_THREADS = 256, ALIBI_ENABLED = false, GQA_RATIO = 10]"
	.size	__PRETTY_FUNCTION__._Z39paged_attention_ll4mi_QKV_mfma16_kernelI14__hip_bfloat16S0_LN4vllm18Fp8KVCacheDataTypeE0ES0_Li16ELi64ELi256ELb0ELi10EEvPKT_PKT0_S8_ifPKiSA_SA_iPKfiiiPfSD_PS3_PT2_iSC_SC_, 614

	.type	__PRETTY_FUNCTION__._Z39paged_attention_ll4mi_QKV_mfma16_kernelI14__hip_bfloat16S0_LN4vllm18Fp8KVCacheDataTypeE0ES0_Li16ELi64ELi256ELb0ELi11EEvPKT_PKT0_S8_ifPKiSA_SA_iPKfiiiPfSD_PS3_PT2_iSC_SC_,@object ; @__PRETTY_FUNCTION__._Z39paged_attention_ll4mi_QKV_mfma16_kernelI14__hip_bfloat16S0_LN4vllm18Fp8KVCacheDataTypeE0ES0_Li16ELi64ELi256ELb0ELi11EEvPKT_PKT0_S8_ifPKiSA_SA_iPKfiiiPfSD_PS3_PT2_iSC_SC_
__PRETTY_FUNCTION__._Z39paged_attention_ll4mi_QKV_mfma16_kernelI14__hip_bfloat16S0_LN4vllm18Fp8KVCacheDataTypeE0ES0_Li16ELi64ELi256ELb0ELi11EEvPKT_PKT0_S8_ifPKiSA_SA_iPKfiiiPfSD_PS3_PT2_iSC_SC_:
	.asciz	"void paged_attention_ll4mi_QKV_mfma16_kernel(const scalar_t *__restrict, const cache_t *__restrict, const cache_t *__restrict, const int, const float, const int *__restrict, const int *__restrict, const int *__restrict, const int, const float *__restrict, const int, const int, const int, float *__restrict, float *__restrict, scalar_t *__restrict, OUTT *__restrict, int, const float *, const float *) [scalar_t = __hip_bfloat16, cache_t = __hip_bfloat16, KV_DTYPE = vllm::Fp8KVCacheDataType::kAuto, OUTT = __hip_bfloat16, BLOCK_SIZE = 16, HEAD_SIZE = 64, NUM_THREADS = 256, ALIBI_ENABLED = false, GQA_RATIO = 11]"
	.size	__PRETTY_FUNCTION__._Z39paged_attention_ll4mi_QKV_mfma16_kernelI14__hip_bfloat16S0_LN4vllm18Fp8KVCacheDataTypeE0ES0_Li16ELi64ELi256ELb0ELi11EEvPKT_PKT0_S8_ifPKiSA_SA_iPKfiiiPfSD_PS3_PT2_iSC_SC_, 614

	.type	__PRETTY_FUNCTION__._Z39paged_attention_ll4mi_QKV_mfma16_kernelI14__hip_bfloat16S0_LN4vllm18Fp8KVCacheDataTypeE0ES0_Li16ELi64ELi256ELb0ELi12EEvPKT_PKT0_S8_ifPKiSA_SA_iPKfiiiPfSD_PS3_PT2_iSC_SC_,@object ; @__PRETTY_FUNCTION__._Z39paged_attention_ll4mi_QKV_mfma16_kernelI14__hip_bfloat16S0_LN4vllm18Fp8KVCacheDataTypeE0ES0_Li16ELi64ELi256ELb0ELi12EEvPKT_PKT0_S8_ifPKiSA_SA_iPKfiiiPfSD_PS3_PT2_iSC_SC_
__PRETTY_FUNCTION__._Z39paged_attention_ll4mi_QKV_mfma16_kernelI14__hip_bfloat16S0_LN4vllm18Fp8KVCacheDataTypeE0ES0_Li16ELi64ELi256ELb0ELi12EEvPKT_PKT0_S8_ifPKiSA_SA_iPKfiiiPfSD_PS3_PT2_iSC_SC_:
	.asciz	"void paged_attention_ll4mi_QKV_mfma16_kernel(const scalar_t *__restrict, const cache_t *__restrict, const cache_t *__restrict, const int, const float, const int *__restrict, const int *__restrict, const int *__restrict, const int, const float *__restrict, const int, const int, const int, float *__restrict, float *__restrict, scalar_t *__restrict, OUTT *__restrict, int, const float *, const float *) [scalar_t = __hip_bfloat16, cache_t = __hip_bfloat16, KV_DTYPE = vllm::Fp8KVCacheDataType::kAuto, OUTT = __hip_bfloat16, BLOCK_SIZE = 16, HEAD_SIZE = 64, NUM_THREADS = 256, ALIBI_ENABLED = false, GQA_RATIO = 12]"
	.size	__PRETTY_FUNCTION__._Z39paged_attention_ll4mi_QKV_mfma16_kernelI14__hip_bfloat16S0_LN4vllm18Fp8KVCacheDataTypeE0ES0_Li16ELi64ELi256ELb0ELi12EEvPKT_PKT0_S8_ifPKiSA_SA_iPKfiiiPfSD_PS3_PT2_iSC_SC_, 614

	.type	__PRETTY_FUNCTION__._Z39paged_attention_ll4mi_QKV_mfma16_kernelI14__hip_bfloat16S0_LN4vllm18Fp8KVCacheDataTypeE0ES0_Li16ELi64ELi256ELb0ELi13EEvPKT_PKT0_S8_ifPKiSA_SA_iPKfiiiPfSD_PS3_PT2_iSC_SC_,@object ; @__PRETTY_FUNCTION__._Z39paged_attention_ll4mi_QKV_mfma16_kernelI14__hip_bfloat16S0_LN4vllm18Fp8KVCacheDataTypeE0ES0_Li16ELi64ELi256ELb0ELi13EEvPKT_PKT0_S8_ifPKiSA_SA_iPKfiiiPfSD_PS3_PT2_iSC_SC_
__PRETTY_FUNCTION__._Z39paged_attention_ll4mi_QKV_mfma16_kernelI14__hip_bfloat16S0_LN4vllm18Fp8KVCacheDataTypeE0ES0_Li16ELi64ELi256ELb0ELi13EEvPKT_PKT0_S8_ifPKiSA_SA_iPKfiiiPfSD_PS3_PT2_iSC_SC_:
	.asciz	"void paged_attention_ll4mi_QKV_mfma16_kernel(const scalar_t *__restrict, const cache_t *__restrict, const cache_t *__restrict, const int, const float, const int *__restrict, const int *__restrict, const int *__restrict, const int, const float *__restrict, const int, const int, const int, float *__restrict, float *__restrict, scalar_t *__restrict, OUTT *__restrict, int, const float *, const float *) [scalar_t = __hip_bfloat16, cache_t = __hip_bfloat16, KV_DTYPE = vllm::Fp8KVCacheDataType::kAuto, OUTT = __hip_bfloat16, BLOCK_SIZE = 16, HEAD_SIZE = 64, NUM_THREADS = 256, ALIBI_ENABLED = false, GQA_RATIO = 13]"
	.size	__PRETTY_FUNCTION__._Z39paged_attention_ll4mi_QKV_mfma16_kernelI14__hip_bfloat16S0_LN4vllm18Fp8KVCacheDataTypeE0ES0_Li16ELi64ELi256ELb0ELi13EEvPKT_PKT0_S8_ifPKiSA_SA_iPKfiiiPfSD_PS3_PT2_iSC_SC_, 614

	.type	__PRETTY_FUNCTION__._Z39paged_attention_ll4mi_QKV_mfma16_kernelI14__hip_bfloat16S0_LN4vllm18Fp8KVCacheDataTypeE0ES0_Li16ELi64ELi256ELb0ELi14EEvPKT_PKT0_S8_ifPKiSA_SA_iPKfiiiPfSD_PS3_PT2_iSC_SC_,@object ; @__PRETTY_FUNCTION__._Z39paged_attention_ll4mi_QKV_mfma16_kernelI14__hip_bfloat16S0_LN4vllm18Fp8KVCacheDataTypeE0ES0_Li16ELi64ELi256ELb0ELi14EEvPKT_PKT0_S8_ifPKiSA_SA_iPKfiiiPfSD_PS3_PT2_iSC_SC_
__PRETTY_FUNCTION__._Z39paged_attention_ll4mi_QKV_mfma16_kernelI14__hip_bfloat16S0_LN4vllm18Fp8KVCacheDataTypeE0ES0_Li16ELi64ELi256ELb0ELi14EEvPKT_PKT0_S8_ifPKiSA_SA_iPKfiiiPfSD_PS3_PT2_iSC_SC_:
	.asciz	"void paged_attention_ll4mi_QKV_mfma16_kernel(const scalar_t *__restrict, const cache_t *__restrict, const cache_t *__restrict, const int, const float, const int *__restrict, const int *__restrict, const int *__restrict, const int, const float *__restrict, const int, const int, const int, float *__restrict, float *__restrict, scalar_t *__restrict, OUTT *__restrict, int, const float *, const float *) [scalar_t = __hip_bfloat16, cache_t = __hip_bfloat16, KV_DTYPE = vllm::Fp8KVCacheDataType::kAuto, OUTT = __hip_bfloat16, BLOCK_SIZE = 16, HEAD_SIZE = 64, NUM_THREADS = 256, ALIBI_ENABLED = false, GQA_RATIO = 14]"
	.size	__PRETTY_FUNCTION__._Z39paged_attention_ll4mi_QKV_mfma16_kernelI14__hip_bfloat16S0_LN4vllm18Fp8KVCacheDataTypeE0ES0_Li16ELi64ELi256ELb0ELi14EEvPKT_PKT0_S8_ifPKiSA_SA_iPKfiiiPfSD_PS3_PT2_iSC_SC_, 614

	.type	__PRETTY_FUNCTION__._Z39paged_attention_ll4mi_QKV_mfma16_kernelI14__hip_bfloat16S0_LN4vllm18Fp8KVCacheDataTypeE0ES0_Li16ELi64ELi256ELb0ELi15EEvPKT_PKT0_S8_ifPKiSA_SA_iPKfiiiPfSD_PS3_PT2_iSC_SC_,@object ; @__PRETTY_FUNCTION__._Z39paged_attention_ll4mi_QKV_mfma16_kernelI14__hip_bfloat16S0_LN4vllm18Fp8KVCacheDataTypeE0ES0_Li16ELi64ELi256ELb0ELi15EEvPKT_PKT0_S8_ifPKiSA_SA_iPKfiiiPfSD_PS3_PT2_iSC_SC_
__PRETTY_FUNCTION__._Z39paged_attention_ll4mi_QKV_mfma16_kernelI14__hip_bfloat16S0_LN4vllm18Fp8KVCacheDataTypeE0ES0_Li16ELi64ELi256ELb0ELi15EEvPKT_PKT0_S8_ifPKiSA_SA_iPKfiiiPfSD_PS3_PT2_iSC_SC_:
	.asciz	"void paged_attention_ll4mi_QKV_mfma16_kernel(const scalar_t *__restrict, const cache_t *__restrict, const cache_t *__restrict, const int, const float, const int *__restrict, const int *__restrict, const int *__restrict, const int, const float *__restrict, const int, const int, const int, float *__restrict, float *__restrict, scalar_t *__restrict, OUTT *__restrict, int, const float *, const float *) [scalar_t = __hip_bfloat16, cache_t = __hip_bfloat16, KV_DTYPE = vllm::Fp8KVCacheDataType::kAuto, OUTT = __hip_bfloat16, BLOCK_SIZE = 16, HEAD_SIZE = 64, NUM_THREADS = 256, ALIBI_ENABLED = false, GQA_RATIO = 15]"
	.size	__PRETTY_FUNCTION__._Z39paged_attention_ll4mi_QKV_mfma16_kernelI14__hip_bfloat16S0_LN4vllm18Fp8KVCacheDataTypeE0ES0_Li16ELi64ELi256ELb0ELi15EEvPKT_PKT0_S8_ifPKiSA_SA_iPKfiiiPfSD_PS3_PT2_iSC_SC_, 614

	.type	__PRETTY_FUNCTION__._Z39paged_attention_ll4mi_QKV_mfma16_kernelI14__hip_bfloat16S0_LN4vllm18Fp8KVCacheDataTypeE0ES0_Li16ELi64ELi256ELb0ELi16EEvPKT_PKT0_S8_ifPKiSA_SA_iPKfiiiPfSD_PS3_PT2_iSC_SC_,@object ; @__PRETTY_FUNCTION__._Z39paged_attention_ll4mi_QKV_mfma16_kernelI14__hip_bfloat16S0_LN4vllm18Fp8KVCacheDataTypeE0ES0_Li16ELi64ELi256ELb0ELi16EEvPKT_PKT0_S8_ifPKiSA_SA_iPKfiiiPfSD_PS3_PT2_iSC_SC_
__PRETTY_FUNCTION__._Z39paged_attention_ll4mi_QKV_mfma16_kernelI14__hip_bfloat16S0_LN4vllm18Fp8KVCacheDataTypeE0ES0_Li16ELi64ELi256ELb0ELi16EEvPKT_PKT0_S8_ifPKiSA_SA_iPKfiiiPfSD_PS3_PT2_iSC_SC_:
	.asciz	"void paged_attention_ll4mi_QKV_mfma16_kernel(const scalar_t *__restrict, const cache_t *__restrict, const cache_t *__restrict, const int, const float, const int *__restrict, const int *__restrict, const int *__restrict, const int, const float *__restrict, const int, const int, const int, float *__restrict, float *__restrict, scalar_t *__restrict, OUTT *__restrict, int, const float *, const float *) [scalar_t = __hip_bfloat16, cache_t = __hip_bfloat16, KV_DTYPE = vllm::Fp8KVCacheDataType::kAuto, OUTT = __hip_bfloat16, BLOCK_SIZE = 16, HEAD_SIZE = 64, NUM_THREADS = 256, ALIBI_ENABLED = false, GQA_RATIO = 16]"
	.size	__PRETTY_FUNCTION__._Z39paged_attention_ll4mi_QKV_mfma16_kernelI14__hip_bfloat16S0_LN4vllm18Fp8KVCacheDataTypeE0ES0_Li16ELi64ELi256ELb0ELi16EEvPKT_PKT0_S8_ifPKiSA_SA_iPKfiiiPfSD_PS3_PT2_iSC_SC_, 614

	.type	__PRETTY_FUNCTION__._Z39paged_attention_ll4mi_QKV_mfma16_kernelI14__hip_bfloat16S0_LN4vllm18Fp8KVCacheDataTypeE0ES0_Li16ELi64ELi256ELb0ELi1EEvPKT_PKT0_S8_ifPKiSA_SA_iPKfiiiPfSD_PS3_PT2_iSC_SC_,@object ; @__PRETTY_FUNCTION__._Z39paged_attention_ll4mi_QKV_mfma16_kernelI14__hip_bfloat16S0_LN4vllm18Fp8KVCacheDataTypeE0ES0_Li16ELi64ELi256ELb0ELi1EEvPKT_PKT0_S8_ifPKiSA_SA_iPKfiiiPfSD_PS3_PT2_iSC_SC_
__PRETTY_FUNCTION__._Z39paged_attention_ll4mi_QKV_mfma16_kernelI14__hip_bfloat16S0_LN4vllm18Fp8KVCacheDataTypeE0ES0_Li16ELi64ELi256ELb0ELi1EEvPKT_PKT0_S8_ifPKiSA_SA_iPKfiiiPfSD_PS3_PT2_iSC_SC_:
	.asciz	"void paged_attention_ll4mi_QKV_mfma16_kernel(const scalar_t *__restrict, const cache_t *__restrict, const cache_t *__restrict, const int, const float, const int *__restrict, const int *__restrict, const int *__restrict, const int, const float *__restrict, const int, const int, const int, float *__restrict, float *__restrict, scalar_t *__restrict, OUTT *__restrict, int, const float *, const float *) [scalar_t = __hip_bfloat16, cache_t = __hip_bfloat16, KV_DTYPE = vllm::Fp8KVCacheDataType::kAuto, OUTT = __hip_bfloat16, BLOCK_SIZE = 16, HEAD_SIZE = 64, NUM_THREADS = 256, ALIBI_ENABLED = false, GQA_RATIO = 1]"
	.size	__PRETTY_FUNCTION__._Z39paged_attention_ll4mi_QKV_mfma16_kernelI14__hip_bfloat16S0_LN4vllm18Fp8KVCacheDataTypeE0ES0_Li16ELi64ELi256ELb0ELi1EEvPKT_PKT0_S8_ifPKiSA_SA_iPKfiiiPfSD_PS3_PT2_iSC_SC_, 613

	.type	__PRETTY_FUNCTION__._Z39paged_attention_ll4mi_QKV_mfma16_kernelI14__hip_bfloat16S0_LN4vllm18Fp8KVCacheDataTypeE0ES0_Li16ELi64ELi256ELb0ELi2EEvPKT_PKT0_S8_ifPKiSA_SA_iPKfiiiPfSD_PS3_PT2_iSC_SC_,@object ; @__PRETTY_FUNCTION__._Z39paged_attention_ll4mi_QKV_mfma16_kernelI14__hip_bfloat16S0_LN4vllm18Fp8KVCacheDataTypeE0ES0_Li16ELi64ELi256ELb0ELi2EEvPKT_PKT0_S8_ifPKiSA_SA_iPKfiiiPfSD_PS3_PT2_iSC_SC_
__PRETTY_FUNCTION__._Z39paged_attention_ll4mi_QKV_mfma16_kernelI14__hip_bfloat16S0_LN4vllm18Fp8KVCacheDataTypeE0ES0_Li16ELi64ELi256ELb0ELi2EEvPKT_PKT0_S8_ifPKiSA_SA_iPKfiiiPfSD_PS3_PT2_iSC_SC_:
	.asciz	"void paged_attention_ll4mi_QKV_mfma16_kernel(const scalar_t *__restrict, const cache_t *__restrict, const cache_t *__restrict, const int, const float, const int *__restrict, const int *__restrict, const int *__restrict, const int, const float *__restrict, const int, const int, const int, float *__restrict, float *__restrict, scalar_t *__restrict, OUTT *__restrict, int, const float *, const float *) [scalar_t = __hip_bfloat16, cache_t = __hip_bfloat16, KV_DTYPE = vllm::Fp8KVCacheDataType::kAuto, OUTT = __hip_bfloat16, BLOCK_SIZE = 16, HEAD_SIZE = 64, NUM_THREADS = 256, ALIBI_ENABLED = false, GQA_RATIO = 2]"
	.size	__PRETTY_FUNCTION__._Z39paged_attention_ll4mi_QKV_mfma16_kernelI14__hip_bfloat16S0_LN4vllm18Fp8KVCacheDataTypeE0ES0_Li16ELi64ELi256ELb0ELi2EEvPKT_PKT0_S8_ifPKiSA_SA_iPKfiiiPfSD_PS3_PT2_iSC_SC_, 613

	.type	__PRETTY_FUNCTION__._Z39paged_attention_ll4mi_QKV_mfma16_kernelI14__hip_bfloat16S0_LN4vllm18Fp8KVCacheDataTypeE0ES0_Li16ELi64ELi256ELb0ELi3EEvPKT_PKT0_S8_ifPKiSA_SA_iPKfiiiPfSD_PS3_PT2_iSC_SC_,@object ; @__PRETTY_FUNCTION__._Z39paged_attention_ll4mi_QKV_mfma16_kernelI14__hip_bfloat16S0_LN4vllm18Fp8KVCacheDataTypeE0ES0_Li16ELi64ELi256ELb0ELi3EEvPKT_PKT0_S8_ifPKiSA_SA_iPKfiiiPfSD_PS3_PT2_iSC_SC_
__PRETTY_FUNCTION__._Z39paged_attention_ll4mi_QKV_mfma16_kernelI14__hip_bfloat16S0_LN4vllm18Fp8KVCacheDataTypeE0ES0_Li16ELi64ELi256ELb0ELi3EEvPKT_PKT0_S8_ifPKiSA_SA_iPKfiiiPfSD_PS3_PT2_iSC_SC_:
	.asciz	"void paged_attention_ll4mi_QKV_mfma16_kernel(const scalar_t *__restrict, const cache_t *__restrict, const cache_t *__restrict, const int, const float, const int *__restrict, const int *__restrict, const int *__restrict, const int, const float *__restrict, const int, const int, const int, float *__restrict, float *__restrict, scalar_t *__restrict, OUTT *__restrict, int, const float *, const float *) [scalar_t = __hip_bfloat16, cache_t = __hip_bfloat16, KV_DTYPE = vllm::Fp8KVCacheDataType::kAuto, OUTT = __hip_bfloat16, BLOCK_SIZE = 16, HEAD_SIZE = 64, NUM_THREADS = 256, ALIBI_ENABLED = false, GQA_RATIO = 3]"
	.size	__PRETTY_FUNCTION__._Z39paged_attention_ll4mi_QKV_mfma16_kernelI14__hip_bfloat16S0_LN4vllm18Fp8KVCacheDataTypeE0ES0_Li16ELi64ELi256ELb0ELi3EEvPKT_PKT0_S8_ifPKiSA_SA_iPKfiiiPfSD_PS3_PT2_iSC_SC_, 613

	.type	__PRETTY_FUNCTION__._Z39paged_attention_ll4mi_QKV_mfma16_kernelI14__hip_bfloat16S0_LN4vllm18Fp8KVCacheDataTypeE0ES0_Li16ELi64ELi256ELb0ELi4EEvPKT_PKT0_S8_ifPKiSA_SA_iPKfiiiPfSD_PS3_PT2_iSC_SC_,@object ; @__PRETTY_FUNCTION__._Z39paged_attention_ll4mi_QKV_mfma16_kernelI14__hip_bfloat16S0_LN4vllm18Fp8KVCacheDataTypeE0ES0_Li16ELi64ELi256ELb0ELi4EEvPKT_PKT0_S8_ifPKiSA_SA_iPKfiiiPfSD_PS3_PT2_iSC_SC_
__PRETTY_FUNCTION__._Z39paged_attention_ll4mi_QKV_mfma16_kernelI14__hip_bfloat16S0_LN4vllm18Fp8KVCacheDataTypeE0ES0_Li16ELi64ELi256ELb0ELi4EEvPKT_PKT0_S8_ifPKiSA_SA_iPKfiiiPfSD_PS3_PT2_iSC_SC_:
	.asciz	"void paged_attention_ll4mi_QKV_mfma16_kernel(const scalar_t *__restrict, const cache_t *__restrict, const cache_t *__restrict, const int, const float, const int *__restrict, const int *__restrict, const int *__restrict, const int, const float *__restrict, const int, const int, const int, float *__restrict, float *__restrict, scalar_t *__restrict, OUTT *__restrict, int, const float *, const float *) [scalar_t = __hip_bfloat16, cache_t = __hip_bfloat16, KV_DTYPE = vllm::Fp8KVCacheDataType::kAuto, OUTT = __hip_bfloat16, BLOCK_SIZE = 16, HEAD_SIZE = 64, NUM_THREADS = 256, ALIBI_ENABLED = false, GQA_RATIO = 4]"
	.size	__PRETTY_FUNCTION__._Z39paged_attention_ll4mi_QKV_mfma16_kernelI14__hip_bfloat16S0_LN4vllm18Fp8KVCacheDataTypeE0ES0_Li16ELi64ELi256ELb0ELi4EEvPKT_PKT0_S8_ifPKiSA_SA_iPKfiiiPfSD_PS3_PT2_iSC_SC_, 613

	.type	__PRETTY_FUNCTION__._Z38paged_attention_ll4mi_QKV_mfma4_kernelI14__hip_bfloat16S0_LN4vllm18Fp8KVCacheDataTypeE0EhLi32ELi64ELi256ELb1ELi1EEvPKT_PKT0_S8_ifPKiSA_SA_iPKfiiiPfSD_PS3_PT2_iSC_SC_,@object ; @__PRETTY_FUNCTION__._Z38paged_attention_ll4mi_QKV_mfma4_kernelI14__hip_bfloat16S0_LN4vllm18Fp8KVCacheDataTypeE0EhLi32ELi64ELi256ELb1ELi1EEvPKT_PKT0_S8_ifPKiSA_SA_iPKfiiiPfSD_PS3_PT2_iSC_SC_
__PRETTY_FUNCTION__._Z38paged_attention_ll4mi_QKV_mfma4_kernelI14__hip_bfloat16S0_LN4vllm18Fp8KVCacheDataTypeE0EhLi32ELi64ELi256ELb1ELi1EEvPKT_PKT0_S8_ifPKiSA_SA_iPKfiiiPfSD_PS3_PT2_iSC_SC_:
	.asciz	"void paged_attention_ll4mi_QKV_mfma4_kernel(const scalar_t *__restrict, const cache_t *__restrict, const cache_t *__restrict, const int, const float, const int *__restrict, const int *__restrict, const int *__restrict, const int, const float *__restrict, const int, const int, const int, float *__restrict, float *__restrict, scalar_t *__restrict, OUTT *__restrict, int, const float *, const float *) [scalar_t = __hip_bfloat16, cache_t = __hip_bfloat16, KV_DTYPE = vllm::Fp8KVCacheDataType::kAuto, OUTT = unsigned char, BLOCK_SIZE = 32, HEAD_SIZE = 64, NUM_THREADS = 256, ALIBI_ENABLED = true, GQA_RATIO = 1]"
	.size	__PRETTY_FUNCTION__._Z38paged_attention_ll4mi_QKV_mfma4_kernelI14__hip_bfloat16S0_LN4vllm18Fp8KVCacheDataTypeE0EhLi32ELi64ELi256ELb1ELi1EEvPKT_PKT0_S8_ifPKiSA_SA_iPKfiiiPfSD_PS3_PT2_iSC_SC_, 610

	.type	__PRETTY_FUNCTION__._Z38paged_attention_ll4mi_QKV_mfma4_kernelI14__hip_bfloat16S0_LN4vllm18Fp8KVCacheDataTypeE0EhLi32ELi64ELi256ELb1ELi2EEvPKT_PKT0_S8_ifPKiSA_SA_iPKfiiiPfSD_PS3_PT2_iSC_SC_,@object ; @__PRETTY_FUNCTION__._Z38paged_attention_ll4mi_QKV_mfma4_kernelI14__hip_bfloat16S0_LN4vllm18Fp8KVCacheDataTypeE0EhLi32ELi64ELi256ELb1ELi2EEvPKT_PKT0_S8_ifPKiSA_SA_iPKfiiiPfSD_PS3_PT2_iSC_SC_
__PRETTY_FUNCTION__._Z38paged_attention_ll4mi_QKV_mfma4_kernelI14__hip_bfloat16S0_LN4vllm18Fp8KVCacheDataTypeE0EhLi32ELi64ELi256ELb1ELi2EEvPKT_PKT0_S8_ifPKiSA_SA_iPKfiiiPfSD_PS3_PT2_iSC_SC_:
	.asciz	"void paged_attention_ll4mi_QKV_mfma4_kernel(const scalar_t *__restrict, const cache_t *__restrict, const cache_t *__restrict, const int, const float, const int *__restrict, const int *__restrict, const int *__restrict, const int, const float *__restrict, const int, const int, const int, float *__restrict, float *__restrict, scalar_t *__restrict, OUTT *__restrict, int, const float *, const float *) [scalar_t = __hip_bfloat16, cache_t = __hip_bfloat16, KV_DTYPE = vllm::Fp8KVCacheDataType::kAuto, OUTT = unsigned char, BLOCK_SIZE = 32, HEAD_SIZE = 64, NUM_THREADS = 256, ALIBI_ENABLED = true, GQA_RATIO = 2]"
	.size	__PRETTY_FUNCTION__._Z38paged_attention_ll4mi_QKV_mfma4_kernelI14__hip_bfloat16S0_LN4vllm18Fp8KVCacheDataTypeE0EhLi32ELi64ELi256ELb1ELi2EEvPKT_PKT0_S8_ifPKiSA_SA_iPKfiiiPfSD_PS3_PT2_iSC_SC_, 610

	.type	__PRETTY_FUNCTION__._Z38paged_attention_ll4mi_QKV_mfma4_kernelI14__hip_bfloat16S0_LN4vllm18Fp8KVCacheDataTypeE0EhLi32ELi64ELi256ELb1ELi3EEvPKT_PKT0_S8_ifPKiSA_SA_iPKfiiiPfSD_PS3_PT2_iSC_SC_,@object ; @__PRETTY_FUNCTION__._Z38paged_attention_ll4mi_QKV_mfma4_kernelI14__hip_bfloat16S0_LN4vllm18Fp8KVCacheDataTypeE0EhLi32ELi64ELi256ELb1ELi3EEvPKT_PKT0_S8_ifPKiSA_SA_iPKfiiiPfSD_PS3_PT2_iSC_SC_
__PRETTY_FUNCTION__._Z38paged_attention_ll4mi_QKV_mfma4_kernelI14__hip_bfloat16S0_LN4vllm18Fp8KVCacheDataTypeE0EhLi32ELi64ELi256ELb1ELi3EEvPKT_PKT0_S8_ifPKiSA_SA_iPKfiiiPfSD_PS3_PT2_iSC_SC_:
	.asciz	"void paged_attention_ll4mi_QKV_mfma4_kernel(const scalar_t *__restrict, const cache_t *__restrict, const cache_t *__restrict, const int, const float, const int *__restrict, const int *__restrict, const int *__restrict, const int, const float *__restrict, const int, const int, const int, float *__restrict, float *__restrict, scalar_t *__restrict, OUTT *__restrict, int, const float *, const float *) [scalar_t = __hip_bfloat16, cache_t = __hip_bfloat16, KV_DTYPE = vllm::Fp8KVCacheDataType::kAuto, OUTT = unsigned char, BLOCK_SIZE = 32, HEAD_SIZE = 64, NUM_THREADS = 256, ALIBI_ENABLED = true, GQA_RATIO = 3]"
	.size	__PRETTY_FUNCTION__._Z38paged_attention_ll4mi_QKV_mfma4_kernelI14__hip_bfloat16S0_LN4vllm18Fp8KVCacheDataTypeE0EhLi32ELi64ELi256ELb1ELi3EEvPKT_PKT0_S8_ifPKiSA_SA_iPKfiiiPfSD_PS3_PT2_iSC_SC_, 610

	.type	__PRETTY_FUNCTION__._Z38paged_attention_ll4mi_QKV_mfma4_kernelI14__hip_bfloat16S0_LN4vllm18Fp8KVCacheDataTypeE0EhLi32ELi64ELi256ELb1ELi4EEvPKT_PKT0_S8_ifPKiSA_SA_iPKfiiiPfSD_PS3_PT2_iSC_SC_,@object ; @__PRETTY_FUNCTION__._Z38paged_attention_ll4mi_QKV_mfma4_kernelI14__hip_bfloat16S0_LN4vllm18Fp8KVCacheDataTypeE0EhLi32ELi64ELi256ELb1ELi4EEvPKT_PKT0_S8_ifPKiSA_SA_iPKfiiiPfSD_PS3_PT2_iSC_SC_
__PRETTY_FUNCTION__._Z38paged_attention_ll4mi_QKV_mfma4_kernelI14__hip_bfloat16S0_LN4vllm18Fp8KVCacheDataTypeE0EhLi32ELi64ELi256ELb1ELi4EEvPKT_PKT0_S8_ifPKiSA_SA_iPKfiiiPfSD_PS3_PT2_iSC_SC_:
	.asciz	"void paged_attention_ll4mi_QKV_mfma4_kernel(const scalar_t *__restrict, const cache_t *__restrict, const cache_t *__restrict, const int, const float, const int *__restrict, const int *__restrict, const int *__restrict, const int, const float *__restrict, const int, const int, const int, float *__restrict, float *__restrict, scalar_t *__restrict, OUTT *__restrict, int, const float *, const float *) [scalar_t = __hip_bfloat16, cache_t = __hip_bfloat16, KV_DTYPE = vllm::Fp8KVCacheDataType::kAuto, OUTT = unsigned char, BLOCK_SIZE = 32, HEAD_SIZE = 64, NUM_THREADS = 256, ALIBI_ENABLED = true, GQA_RATIO = 4]"
	.size	__PRETTY_FUNCTION__._Z38paged_attention_ll4mi_QKV_mfma4_kernelI14__hip_bfloat16S0_LN4vllm18Fp8KVCacheDataTypeE0EhLi32ELi64ELi256ELb1ELi4EEvPKT_PKT0_S8_ifPKiSA_SA_iPKfiiiPfSD_PS3_PT2_iSC_SC_, 610

	.type	__PRETTY_FUNCTION__._Z39paged_attention_ll4mi_QKV_mfma16_kernelI14__hip_bfloat16S0_LN4vllm18Fp8KVCacheDataTypeE0EhLi32ELi64ELi256ELb1ELi5EEvPKT_PKT0_S8_ifPKiSA_SA_iPKfiiiPfSD_PS3_PT2_iSC_SC_,@object ; @__PRETTY_FUNCTION__._Z39paged_attention_ll4mi_QKV_mfma16_kernelI14__hip_bfloat16S0_LN4vllm18Fp8KVCacheDataTypeE0EhLi32ELi64ELi256ELb1ELi5EEvPKT_PKT0_S8_ifPKiSA_SA_iPKfiiiPfSD_PS3_PT2_iSC_SC_
__PRETTY_FUNCTION__._Z39paged_attention_ll4mi_QKV_mfma16_kernelI14__hip_bfloat16S0_LN4vllm18Fp8KVCacheDataTypeE0EhLi32ELi64ELi256ELb1ELi5EEvPKT_PKT0_S8_ifPKiSA_SA_iPKfiiiPfSD_PS3_PT2_iSC_SC_:
	.asciz	"void paged_attention_ll4mi_QKV_mfma16_kernel(const scalar_t *__restrict, const cache_t *__restrict, const cache_t *__restrict, const int, const float, const int *__restrict, const int *__restrict, const int *__restrict, const int, const float *__restrict, const int, const int, const int, float *__restrict, float *__restrict, scalar_t *__restrict, OUTT *__restrict, int, const float *, const float *) [scalar_t = __hip_bfloat16, cache_t = __hip_bfloat16, KV_DTYPE = vllm::Fp8KVCacheDataType::kAuto, OUTT = unsigned char, BLOCK_SIZE = 32, HEAD_SIZE = 64, NUM_THREADS = 256, ALIBI_ENABLED = true, GQA_RATIO = 5]"
	.size	__PRETTY_FUNCTION__._Z39paged_attention_ll4mi_QKV_mfma16_kernelI14__hip_bfloat16S0_LN4vllm18Fp8KVCacheDataTypeE0EhLi32ELi64ELi256ELb1ELi5EEvPKT_PKT0_S8_ifPKiSA_SA_iPKfiiiPfSD_PS3_PT2_iSC_SC_, 611

	.type	__PRETTY_FUNCTION__._Z39paged_attention_ll4mi_QKV_mfma16_kernelI14__hip_bfloat16S0_LN4vllm18Fp8KVCacheDataTypeE0EhLi32ELi64ELi256ELb1ELi6EEvPKT_PKT0_S8_ifPKiSA_SA_iPKfiiiPfSD_PS3_PT2_iSC_SC_,@object ; @__PRETTY_FUNCTION__._Z39paged_attention_ll4mi_QKV_mfma16_kernelI14__hip_bfloat16S0_LN4vllm18Fp8KVCacheDataTypeE0EhLi32ELi64ELi256ELb1ELi6EEvPKT_PKT0_S8_ifPKiSA_SA_iPKfiiiPfSD_PS3_PT2_iSC_SC_
__PRETTY_FUNCTION__._Z39paged_attention_ll4mi_QKV_mfma16_kernelI14__hip_bfloat16S0_LN4vllm18Fp8KVCacheDataTypeE0EhLi32ELi64ELi256ELb1ELi6EEvPKT_PKT0_S8_ifPKiSA_SA_iPKfiiiPfSD_PS3_PT2_iSC_SC_:
	.asciz	"void paged_attention_ll4mi_QKV_mfma16_kernel(const scalar_t *__restrict, const cache_t *__restrict, const cache_t *__restrict, const int, const float, const int *__restrict, const int *__restrict, const int *__restrict, const int, const float *__restrict, const int, const int, const int, float *__restrict, float *__restrict, scalar_t *__restrict, OUTT *__restrict, int, const float *, const float *) [scalar_t = __hip_bfloat16, cache_t = __hip_bfloat16, KV_DTYPE = vllm::Fp8KVCacheDataType::kAuto, OUTT = unsigned char, BLOCK_SIZE = 32, HEAD_SIZE = 64, NUM_THREADS = 256, ALIBI_ENABLED = true, GQA_RATIO = 6]"
	.size	__PRETTY_FUNCTION__._Z39paged_attention_ll4mi_QKV_mfma16_kernelI14__hip_bfloat16S0_LN4vllm18Fp8KVCacheDataTypeE0EhLi32ELi64ELi256ELb1ELi6EEvPKT_PKT0_S8_ifPKiSA_SA_iPKfiiiPfSD_PS3_PT2_iSC_SC_, 611

	.type	__PRETTY_FUNCTION__._Z39paged_attention_ll4mi_QKV_mfma16_kernelI14__hip_bfloat16S0_LN4vllm18Fp8KVCacheDataTypeE0EhLi32ELi64ELi256ELb1ELi7EEvPKT_PKT0_S8_ifPKiSA_SA_iPKfiiiPfSD_PS3_PT2_iSC_SC_,@object ; @__PRETTY_FUNCTION__._Z39paged_attention_ll4mi_QKV_mfma16_kernelI14__hip_bfloat16S0_LN4vllm18Fp8KVCacheDataTypeE0EhLi32ELi64ELi256ELb1ELi7EEvPKT_PKT0_S8_ifPKiSA_SA_iPKfiiiPfSD_PS3_PT2_iSC_SC_
__PRETTY_FUNCTION__._Z39paged_attention_ll4mi_QKV_mfma16_kernelI14__hip_bfloat16S0_LN4vllm18Fp8KVCacheDataTypeE0EhLi32ELi64ELi256ELb1ELi7EEvPKT_PKT0_S8_ifPKiSA_SA_iPKfiiiPfSD_PS3_PT2_iSC_SC_:
	.asciz	"void paged_attention_ll4mi_QKV_mfma16_kernel(const scalar_t *__restrict, const cache_t *__restrict, const cache_t *__restrict, const int, const float, const int *__restrict, const int *__restrict, const int *__restrict, const int, const float *__restrict, const int, const int, const int, float *__restrict, float *__restrict, scalar_t *__restrict, OUTT *__restrict, int, const float *, const float *) [scalar_t = __hip_bfloat16, cache_t = __hip_bfloat16, KV_DTYPE = vllm::Fp8KVCacheDataType::kAuto, OUTT = unsigned char, BLOCK_SIZE = 32, HEAD_SIZE = 64, NUM_THREADS = 256, ALIBI_ENABLED = true, GQA_RATIO = 7]"
	.size	__PRETTY_FUNCTION__._Z39paged_attention_ll4mi_QKV_mfma16_kernelI14__hip_bfloat16S0_LN4vllm18Fp8KVCacheDataTypeE0EhLi32ELi64ELi256ELb1ELi7EEvPKT_PKT0_S8_ifPKiSA_SA_iPKfiiiPfSD_PS3_PT2_iSC_SC_, 611

	.type	__PRETTY_FUNCTION__._Z39paged_attention_ll4mi_QKV_mfma16_kernelI14__hip_bfloat16S0_LN4vllm18Fp8KVCacheDataTypeE0EhLi32ELi64ELi256ELb1ELi8EEvPKT_PKT0_S8_ifPKiSA_SA_iPKfiiiPfSD_PS3_PT2_iSC_SC_,@object ; @__PRETTY_FUNCTION__._Z39paged_attention_ll4mi_QKV_mfma16_kernelI14__hip_bfloat16S0_LN4vllm18Fp8KVCacheDataTypeE0EhLi32ELi64ELi256ELb1ELi8EEvPKT_PKT0_S8_ifPKiSA_SA_iPKfiiiPfSD_PS3_PT2_iSC_SC_
__PRETTY_FUNCTION__._Z39paged_attention_ll4mi_QKV_mfma16_kernelI14__hip_bfloat16S0_LN4vllm18Fp8KVCacheDataTypeE0EhLi32ELi64ELi256ELb1ELi8EEvPKT_PKT0_S8_ifPKiSA_SA_iPKfiiiPfSD_PS3_PT2_iSC_SC_:
	.asciz	"void paged_attention_ll4mi_QKV_mfma16_kernel(const scalar_t *__restrict, const cache_t *__restrict, const cache_t *__restrict, const int, const float, const int *__restrict, const int *__restrict, const int *__restrict, const int, const float *__restrict, const int, const int, const int, float *__restrict, float *__restrict, scalar_t *__restrict, OUTT *__restrict, int, const float *, const float *) [scalar_t = __hip_bfloat16, cache_t = __hip_bfloat16, KV_DTYPE = vllm::Fp8KVCacheDataType::kAuto, OUTT = unsigned char, BLOCK_SIZE = 32, HEAD_SIZE = 64, NUM_THREADS = 256, ALIBI_ENABLED = true, GQA_RATIO = 8]"
	.size	__PRETTY_FUNCTION__._Z39paged_attention_ll4mi_QKV_mfma16_kernelI14__hip_bfloat16S0_LN4vllm18Fp8KVCacheDataTypeE0EhLi32ELi64ELi256ELb1ELi8EEvPKT_PKT0_S8_ifPKiSA_SA_iPKfiiiPfSD_PS3_PT2_iSC_SC_, 611

	.type	__PRETTY_FUNCTION__._Z39paged_attention_ll4mi_QKV_mfma16_kernelI14__hip_bfloat16S0_LN4vllm18Fp8KVCacheDataTypeE0EhLi32ELi64ELi256ELb1ELi9EEvPKT_PKT0_S8_ifPKiSA_SA_iPKfiiiPfSD_PS3_PT2_iSC_SC_,@object ; @__PRETTY_FUNCTION__._Z39paged_attention_ll4mi_QKV_mfma16_kernelI14__hip_bfloat16S0_LN4vllm18Fp8KVCacheDataTypeE0EhLi32ELi64ELi256ELb1ELi9EEvPKT_PKT0_S8_ifPKiSA_SA_iPKfiiiPfSD_PS3_PT2_iSC_SC_
__PRETTY_FUNCTION__._Z39paged_attention_ll4mi_QKV_mfma16_kernelI14__hip_bfloat16S0_LN4vllm18Fp8KVCacheDataTypeE0EhLi32ELi64ELi256ELb1ELi9EEvPKT_PKT0_S8_ifPKiSA_SA_iPKfiiiPfSD_PS3_PT2_iSC_SC_:
	.asciz	"void paged_attention_ll4mi_QKV_mfma16_kernel(const scalar_t *__restrict, const cache_t *__restrict, const cache_t *__restrict, const int, const float, const int *__restrict, const int *__restrict, const int *__restrict, const int, const float *__restrict, const int, const int, const int, float *__restrict, float *__restrict, scalar_t *__restrict, OUTT *__restrict, int, const float *, const float *) [scalar_t = __hip_bfloat16, cache_t = __hip_bfloat16, KV_DTYPE = vllm::Fp8KVCacheDataType::kAuto, OUTT = unsigned char, BLOCK_SIZE = 32, HEAD_SIZE = 64, NUM_THREADS = 256, ALIBI_ENABLED = true, GQA_RATIO = 9]"
	.size	__PRETTY_FUNCTION__._Z39paged_attention_ll4mi_QKV_mfma16_kernelI14__hip_bfloat16S0_LN4vllm18Fp8KVCacheDataTypeE0EhLi32ELi64ELi256ELb1ELi9EEvPKT_PKT0_S8_ifPKiSA_SA_iPKfiiiPfSD_PS3_PT2_iSC_SC_, 611

	.type	__PRETTY_FUNCTION__._Z39paged_attention_ll4mi_QKV_mfma16_kernelI14__hip_bfloat16S0_LN4vllm18Fp8KVCacheDataTypeE0EhLi32ELi64ELi256ELb1ELi10EEvPKT_PKT0_S8_ifPKiSA_SA_iPKfiiiPfSD_PS3_PT2_iSC_SC_,@object ; @__PRETTY_FUNCTION__._Z39paged_attention_ll4mi_QKV_mfma16_kernelI14__hip_bfloat16S0_LN4vllm18Fp8KVCacheDataTypeE0EhLi32ELi64ELi256ELb1ELi10EEvPKT_PKT0_S8_ifPKiSA_SA_iPKfiiiPfSD_PS3_PT2_iSC_SC_
__PRETTY_FUNCTION__._Z39paged_attention_ll4mi_QKV_mfma16_kernelI14__hip_bfloat16S0_LN4vllm18Fp8KVCacheDataTypeE0EhLi32ELi64ELi256ELb1ELi10EEvPKT_PKT0_S8_ifPKiSA_SA_iPKfiiiPfSD_PS3_PT2_iSC_SC_:
	.asciz	"void paged_attention_ll4mi_QKV_mfma16_kernel(const scalar_t *__restrict, const cache_t *__restrict, const cache_t *__restrict, const int, const float, const int *__restrict, const int *__restrict, const int *__restrict, const int, const float *__restrict, const int, const int, const int, float *__restrict, float *__restrict, scalar_t *__restrict, OUTT *__restrict, int, const float *, const float *) [scalar_t = __hip_bfloat16, cache_t = __hip_bfloat16, KV_DTYPE = vllm::Fp8KVCacheDataType::kAuto, OUTT = unsigned char, BLOCK_SIZE = 32, HEAD_SIZE = 64, NUM_THREADS = 256, ALIBI_ENABLED = true, GQA_RATIO = 10]"
	.size	__PRETTY_FUNCTION__._Z39paged_attention_ll4mi_QKV_mfma16_kernelI14__hip_bfloat16S0_LN4vllm18Fp8KVCacheDataTypeE0EhLi32ELi64ELi256ELb1ELi10EEvPKT_PKT0_S8_ifPKiSA_SA_iPKfiiiPfSD_PS3_PT2_iSC_SC_, 612

	.type	__PRETTY_FUNCTION__._Z39paged_attention_ll4mi_QKV_mfma16_kernelI14__hip_bfloat16S0_LN4vllm18Fp8KVCacheDataTypeE0EhLi32ELi64ELi256ELb1ELi11EEvPKT_PKT0_S8_ifPKiSA_SA_iPKfiiiPfSD_PS3_PT2_iSC_SC_,@object ; @__PRETTY_FUNCTION__._Z39paged_attention_ll4mi_QKV_mfma16_kernelI14__hip_bfloat16S0_LN4vllm18Fp8KVCacheDataTypeE0EhLi32ELi64ELi256ELb1ELi11EEvPKT_PKT0_S8_ifPKiSA_SA_iPKfiiiPfSD_PS3_PT2_iSC_SC_
__PRETTY_FUNCTION__._Z39paged_attention_ll4mi_QKV_mfma16_kernelI14__hip_bfloat16S0_LN4vllm18Fp8KVCacheDataTypeE0EhLi32ELi64ELi256ELb1ELi11EEvPKT_PKT0_S8_ifPKiSA_SA_iPKfiiiPfSD_PS3_PT2_iSC_SC_:
	.asciz	"void paged_attention_ll4mi_QKV_mfma16_kernel(const scalar_t *__restrict, const cache_t *__restrict, const cache_t *__restrict, const int, const float, const int *__restrict, const int *__restrict, const int *__restrict, const int, const float *__restrict, const int, const int, const int, float *__restrict, float *__restrict, scalar_t *__restrict, OUTT *__restrict, int, const float *, const float *) [scalar_t = __hip_bfloat16, cache_t = __hip_bfloat16, KV_DTYPE = vllm::Fp8KVCacheDataType::kAuto, OUTT = unsigned char, BLOCK_SIZE = 32, HEAD_SIZE = 64, NUM_THREADS = 256, ALIBI_ENABLED = true, GQA_RATIO = 11]"
	.size	__PRETTY_FUNCTION__._Z39paged_attention_ll4mi_QKV_mfma16_kernelI14__hip_bfloat16S0_LN4vllm18Fp8KVCacheDataTypeE0EhLi32ELi64ELi256ELb1ELi11EEvPKT_PKT0_S8_ifPKiSA_SA_iPKfiiiPfSD_PS3_PT2_iSC_SC_, 612

	.type	__PRETTY_FUNCTION__._Z39paged_attention_ll4mi_QKV_mfma16_kernelI14__hip_bfloat16S0_LN4vllm18Fp8KVCacheDataTypeE0EhLi32ELi64ELi256ELb1ELi12EEvPKT_PKT0_S8_ifPKiSA_SA_iPKfiiiPfSD_PS3_PT2_iSC_SC_,@object ; @__PRETTY_FUNCTION__._Z39paged_attention_ll4mi_QKV_mfma16_kernelI14__hip_bfloat16S0_LN4vllm18Fp8KVCacheDataTypeE0EhLi32ELi64ELi256ELb1ELi12EEvPKT_PKT0_S8_ifPKiSA_SA_iPKfiiiPfSD_PS3_PT2_iSC_SC_
__PRETTY_FUNCTION__._Z39paged_attention_ll4mi_QKV_mfma16_kernelI14__hip_bfloat16S0_LN4vllm18Fp8KVCacheDataTypeE0EhLi32ELi64ELi256ELb1ELi12EEvPKT_PKT0_S8_ifPKiSA_SA_iPKfiiiPfSD_PS3_PT2_iSC_SC_:
	.asciz	"void paged_attention_ll4mi_QKV_mfma16_kernel(const scalar_t *__restrict, const cache_t *__restrict, const cache_t *__restrict, const int, const float, const int *__restrict, const int *__restrict, const int *__restrict, const int, const float *__restrict, const int, const int, const int, float *__restrict, float *__restrict, scalar_t *__restrict, OUTT *__restrict, int, const float *, const float *) [scalar_t = __hip_bfloat16, cache_t = __hip_bfloat16, KV_DTYPE = vllm::Fp8KVCacheDataType::kAuto, OUTT = unsigned char, BLOCK_SIZE = 32, HEAD_SIZE = 64, NUM_THREADS = 256, ALIBI_ENABLED = true, GQA_RATIO = 12]"
	.size	__PRETTY_FUNCTION__._Z39paged_attention_ll4mi_QKV_mfma16_kernelI14__hip_bfloat16S0_LN4vllm18Fp8KVCacheDataTypeE0EhLi32ELi64ELi256ELb1ELi12EEvPKT_PKT0_S8_ifPKiSA_SA_iPKfiiiPfSD_PS3_PT2_iSC_SC_, 612

	.type	__PRETTY_FUNCTION__._Z39paged_attention_ll4mi_QKV_mfma16_kernelI14__hip_bfloat16S0_LN4vllm18Fp8KVCacheDataTypeE0EhLi32ELi64ELi256ELb1ELi13EEvPKT_PKT0_S8_ifPKiSA_SA_iPKfiiiPfSD_PS3_PT2_iSC_SC_,@object ; @__PRETTY_FUNCTION__._Z39paged_attention_ll4mi_QKV_mfma16_kernelI14__hip_bfloat16S0_LN4vllm18Fp8KVCacheDataTypeE0EhLi32ELi64ELi256ELb1ELi13EEvPKT_PKT0_S8_ifPKiSA_SA_iPKfiiiPfSD_PS3_PT2_iSC_SC_
__PRETTY_FUNCTION__._Z39paged_attention_ll4mi_QKV_mfma16_kernelI14__hip_bfloat16S0_LN4vllm18Fp8KVCacheDataTypeE0EhLi32ELi64ELi256ELb1ELi13EEvPKT_PKT0_S8_ifPKiSA_SA_iPKfiiiPfSD_PS3_PT2_iSC_SC_:
	.asciz	"void paged_attention_ll4mi_QKV_mfma16_kernel(const scalar_t *__restrict, const cache_t *__restrict, const cache_t *__restrict, const int, const float, const int *__restrict, const int *__restrict, const int *__restrict, const int, const float *__restrict, const int, const int, const int, float *__restrict, float *__restrict, scalar_t *__restrict, OUTT *__restrict, int, const float *, const float *) [scalar_t = __hip_bfloat16, cache_t = __hip_bfloat16, KV_DTYPE = vllm::Fp8KVCacheDataType::kAuto, OUTT = unsigned char, BLOCK_SIZE = 32, HEAD_SIZE = 64, NUM_THREADS = 256, ALIBI_ENABLED = true, GQA_RATIO = 13]"
	.size	__PRETTY_FUNCTION__._Z39paged_attention_ll4mi_QKV_mfma16_kernelI14__hip_bfloat16S0_LN4vllm18Fp8KVCacheDataTypeE0EhLi32ELi64ELi256ELb1ELi13EEvPKT_PKT0_S8_ifPKiSA_SA_iPKfiiiPfSD_PS3_PT2_iSC_SC_, 612

	.type	__PRETTY_FUNCTION__._Z39paged_attention_ll4mi_QKV_mfma16_kernelI14__hip_bfloat16S0_LN4vllm18Fp8KVCacheDataTypeE0EhLi32ELi64ELi256ELb1ELi14EEvPKT_PKT0_S8_ifPKiSA_SA_iPKfiiiPfSD_PS3_PT2_iSC_SC_,@object ; @__PRETTY_FUNCTION__._Z39paged_attention_ll4mi_QKV_mfma16_kernelI14__hip_bfloat16S0_LN4vllm18Fp8KVCacheDataTypeE0EhLi32ELi64ELi256ELb1ELi14EEvPKT_PKT0_S8_ifPKiSA_SA_iPKfiiiPfSD_PS3_PT2_iSC_SC_
__PRETTY_FUNCTION__._Z39paged_attention_ll4mi_QKV_mfma16_kernelI14__hip_bfloat16S0_LN4vllm18Fp8KVCacheDataTypeE0EhLi32ELi64ELi256ELb1ELi14EEvPKT_PKT0_S8_ifPKiSA_SA_iPKfiiiPfSD_PS3_PT2_iSC_SC_:
	.asciz	"void paged_attention_ll4mi_QKV_mfma16_kernel(const scalar_t *__restrict, const cache_t *__restrict, const cache_t *__restrict, const int, const float, const int *__restrict, const int *__restrict, const int *__restrict, const int, const float *__restrict, const int, const int, const int, float *__restrict, float *__restrict, scalar_t *__restrict, OUTT *__restrict, int, const float *, const float *) [scalar_t = __hip_bfloat16, cache_t = __hip_bfloat16, KV_DTYPE = vllm::Fp8KVCacheDataType::kAuto, OUTT = unsigned char, BLOCK_SIZE = 32, HEAD_SIZE = 64, NUM_THREADS = 256, ALIBI_ENABLED = true, GQA_RATIO = 14]"
	.size	__PRETTY_FUNCTION__._Z39paged_attention_ll4mi_QKV_mfma16_kernelI14__hip_bfloat16S0_LN4vllm18Fp8KVCacheDataTypeE0EhLi32ELi64ELi256ELb1ELi14EEvPKT_PKT0_S8_ifPKiSA_SA_iPKfiiiPfSD_PS3_PT2_iSC_SC_, 612

	.type	__PRETTY_FUNCTION__._Z39paged_attention_ll4mi_QKV_mfma16_kernelI14__hip_bfloat16S0_LN4vllm18Fp8KVCacheDataTypeE0EhLi32ELi64ELi256ELb1ELi15EEvPKT_PKT0_S8_ifPKiSA_SA_iPKfiiiPfSD_PS3_PT2_iSC_SC_,@object ; @__PRETTY_FUNCTION__._Z39paged_attention_ll4mi_QKV_mfma16_kernelI14__hip_bfloat16S0_LN4vllm18Fp8KVCacheDataTypeE0EhLi32ELi64ELi256ELb1ELi15EEvPKT_PKT0_S8_ifPKiSA_SA_iPKfiiiPfSD_PS3_PT2_iSC_SC_
__PRETTY_FUNCTION__._Z39paged_attention_ll4mi_QKV_mfma16_kernelI14__hip_bfloat16S0_LN4vllm18Fp8KVCacheDataTypeE0EhLi32ELi64ELi256ELb1ELi15EEvPKT_PKT0_S8_ifPKiSA_SA_iPKfiiiPfSD_PS3_PT2_iSC_SC_:
	.asciz	"void paged_attention_ll4mi_QKV_mfma16_kernel(const scalar_t *__restrict, const cache_t *__restrict, const cache_t *__restrict, const int, const float, const int *__restrict, const int *__restrict, const int *__restrict, const int, const float *__restrict, const int, const int, const int, float *__restrict, float *__restrict, scalar_t *__restrict, OUTT *__restrict, int, const float *, const float *) [scalar_t = __hip_bfloat16, cache_t = __hip_bfloat16, KV_DTYPE = vllm::Fp8KVCacheDataType::kAuto, OUTT = unsigned char, BLOCK_SIZE = 32, HEAD_SIZE = 64, NUM_THREADS = 256, ALIBI_ENABLED = true, GQA_RATIO = 15]"
	.size	__PRETTY_FUNCTION__._Z39paged_attention_ll4mi_QKV_mfma16_kernelI14__hip_bfloat16S0_LN4vllm18Fp8KVCacheDataTypeE0EhLi32ELi64ELi256ELb1ELi15EEvPKT_PKT0_S8_ifPKiSA_SA_iPKfiiiPfSD_PS3_PT2_iSC_SC_, 612

	.type	__PRETTY_FUNCTION__._Z39paged_attention_ll4mi_QKV_mfma16_kernelI14__hip_bfloat16S0_LN4vllm18Fp8KVCacheDataTypeE0EhLi32ELi64ELi256ELb1ELi16EEvPKT_PKT0_S8_ifPKiSA_SA_iPKfiiiPfSD_PS3_PT2_iSC_SC_,@object ; @__PRETTY_FUNCTION__._Z39paged_attention_ll4mi_QKV_mfma16_kernelI14__hip_bfloat16S0_LN4vllm18Fp8KVCacheDataTypeE0EhLi32ELi64ELi256ELb1ELi16EEvPKT_PKT0_S8_ifPKiSA_SA_iPKfiiiPfSD_PS3_PT2_iSC_SC_
__PRETTY_FUNCTION__._Z39paged_attention_ll4mi_QKV_mfma16_kernelI14__hip_bfloat16S0_LN4vllm18Fp8KVCacheDataTypeE0EhLi32ELi64ELi256ELb1ELi16EEvPKT_PKT0_S8_ifPKiSA_SA_iPKfiiiPfSD_PS3_PT2_iSC_SC_:
	.asciz	"void paged_attention_ll4mi_QKV_mfma16_kernel(const scalar_t *__restrict, const cache_t *__restrict, const cache_t *__restrict, const int, const float, const int *__restrict, const int *__restrict, const int *__restrict, const int, const float *__restrict, const int, const int, const int, float *__restrict, float *__restrict, scalar_t *__restrict, OUTT *__restrict, int, const float *, const float *) [scalar_t = __hip_bfloat16, cache_t = __hip_bfloat16, KV_DTYPE = vllm::Fp8KVCacheDataType::kAuto, OUTT = unsigned char, BLOCK_SIZE = 32, HEAD_SIZE = 64, NUM_THREADS = 256, ALIBI_ENABLED = true, GQA_RATIO = 16]"
	.size	__PRETTY_FUNCTION__._Z39paged_attention_ll4mi_QKV_mfma16_kernelI14__hip_bfloat16S0_LN4vllm18Fp8KVCacheDataTypeE0EhLi32ELi64ELi256ELb1ELi16EEvPKT_PKT0_S8_ifPKiSA_SA_iPKfiiiPfSD_PS3_PT2_iSC_SC_, 612

	.type	__PRETTY_FUNCTION__._Z39paged_attention_ll4mi_QKV_mfma16_kernelI14__hip_bfloat16S0_LN4vllm18Fp8KVCacheDataTypeE0EhLi32ELi64ELi256ELb1ELi1EEvPKT_PKT0_S8_ifPKiSA_SA_iPKfiiiPfSD_PS3_PT2_iSC_SC_,@object ; @__PRETTY_FUNCTION__._Z39paged_attention_ll4mi_QKV_mfma16_kernelI14__hip_bfloat16S0_LN4vllm18Fp8KVCacheDataTypeE0EhLi32ELi64ELi256ELb1ELi1EEvPKT_PKT0_S8_ifPKiSA_SA_iPKfiiiPfSD_PS3_PT2_iSC_SC_
__PRETTY_FUNCTION__._Z39paged_attention_ll4mi_QKV_mfma16_kernelI14__hip_bfloat16S0_LN4vllm18Fp8KVCacheDataTypeE0EhLi32ELi64ELi256ELb1ELi1EEvPKT_PKT0_S8_ifPKiSA_SA_iPKfiiiPfSD_PS3_PT2_iSC_SC_:
	.asciz	"void paged_attention_ll4mi_QKV_mfma16_kernel(const scalar_t *__restrict, const cache_t *__restrict, const cache_t *__restrict, const int, const float, const int *__restrict, const int *__restrict, const int *__restrict, const int, const float *__restrict, const int, const int, const int, float *__restrict, float *__restrict, scalar_t *__restrict, OUTT *__restrict, int, const float *, const float *) [scalar_t = __hip_bfloat16, cache_t = __hip_bfloat16, KV_DTYPE = vllm::Fp8KVCacheDataType::kAuto, OUTT = unsigned char, BLOCK_SIZE = 32, HEAD_SIZE = 64, NUM_THREADS = 256, ALIBI_ENABLED = true, GQA_RATIO = 1]"
	.size	__PRETTY_FUNCTION__._Z39paged_attention_ll4mi_QKV_mfma16_kernelI14__hip_bfloat16S0_LN4vllm18Fp8KVCacheDataTypeE0EhLi32ELi64ELi256ELb1ELi1EEvPKT_PKT0_S8_ifPKiSA_SA_iPKfiiiPfSD_PS3_PT2_iSC_SC_, 611

	.type	__PRETTY_FUNCTION__._Z39paged_attention_ll4mi_QKV_mfma16_kernelI14__hip_bfloat16S0_LN4vllm18Fp8KVCacheDataTypeE0EhLi32ELi64ELi256ELb1ELi2EEvPKT_PKT0_S8_ifPKiSA_SA_iPKfiiiPfSD_PS3_PT2_iSC_SC_,@object ; @__PRETTY_FUNCTION__._Z39paged_attention_ll4mi_QKV_mfma16_kernelI14__hip_bfloat16S0_LN4vllm18Fp8KVCacheDataTypeE0EhLi32ELi64ELi256ELb1ELi2EEvPKT_PKT0_S8_ifPKiSA_SA_iPKfiiiPfSD_PS3_PT2_iSC_SC_
__PRETTY_FUNCTION__._Z39paged_attention_ll4mi_QKV_mfma16_kernelI14__hip_bfloat16S0_LN4vllm18Fp8KVCacheDataTypeE0EhLi32ELi64ELi256ELb1ELi2EEvPKT_PKT0_S8_ifPKiSA_SA_iPKfiiiPfSD_PS3_PT2_iSC_SC_:
	.asciz	"void paged_attention_ll4mi_QKV_mfma16_kernel(const scalar_t *__restrict, const cache_t *__restrict, const cache_t *__restrict, const int, const float, const int *__restrict, const int *__restrict, const int *__restrict, const int, const float *__restrict, const int, const int, const int, float *__restrict, float *__restrict, scalar_t *__restrict, OUTT *__restrict, int, const float *, const float *) [scalar_t = __hip_bfloat16, cache_t = __hip_bfloat16, KV_DTYPE = vllm::Fp8KVCacheDataType::kAuto, OUTT = unsigned char, BLOCK_SIZE = 32, HEAD_SIZE = 64, NUM_THREADS = 256, ALIBI_ENABLED = true, GQA_RATIO = 2]"
	.size	__PRETTY_FUNCTION__._Z39paged_attention_ll4mi_QKV_mfma16_kernelI14__hip_bfloat16S0_LN4vllm18Fp8KVCacheDataTypeE0EhLi32ELi64ELi256ELb1ELi2EEvPKT_PKT0_S8_ifPKiSA_SA_iPKfiiiPfSD_PS3_PT2_iSC_SC_, 611

	.type	__PRETTY_FUNCTION__._Z39paged_attention_ll4mi_QKV_mfma16_kernelI14__hip_bfloat16S0_LN4vllm18Fp8KVCacheDataTypeE0EhLi32ELi64ELi256ELb1ELi3EEvPKT_PKT0_S8_ifPKiSA_SA_iPKfiiiPfSD_PS3_PT2_iSC_SC_,@object ; @__PRETTY_FUNCTION__._Z39paged_attention_ll4mi_QKV_mfma16_kernelI14__hip_bfloat16S0_LN4vllm18Fp8KVCacheDataTypeE0EhLi32ELi64ELi256ELb1ELi3EEvPKT_PKT0_S8_ifPKiSA_SA_iPKfiiiPfSD_PS3_PT2_iSC_SC_
__PRETTY_FUNCTION__._Z39paged_attention_ll4mi_QKV_mfma16_kernelI14__hip_bfloat16S0_LN4vllm18Fp8KVCacheDataTypeE0EhLi32ELi64ELi256ELb1ELi3EEvPKT_PKT0_S8_ifPKiSA_SA_iPKfiiiPfSD_PS3_PT2_iSC_SC_:
	.asciz	"void paged_attention_ll4mi_QKV_mfma16_kernel(const scalar_t *__restrict, const cache_t *__restrict, const cache_t *__restrict, const int, const float, const int *__restrict, const int *__restrict, const int *__restrict, const int, const float *__restrict, const int, const int, const int, float *__restrict, float *__restrict, scalar_t *__restrict, OUTT *__restrict, int, const float *, const float *) [scalar_t = __hip_bfloat16, cache_t = __hip_bfloat16, KV_DTYPE = vllm::Fp8KVCacheDataType::kAuto, OUTT = unsigned char, BLOCK_SIZE = 32, HEAD_SIZE = 64, NUM_THREADS = 256, ALIBI_ENABLED = true, GQA_RATIO = 3]"
	.size	__PRETTY_FUNCTION__._Z39paged_attention_ll4mi_QKV_mfma16_kernelI14__hip_bfloat16S0_LN4vllm18Fp8KVCacheDataTypeE0EhLi32ELi64ELi256ELb1ELi3EEvPKT_PKT0_S8_ifPKiSA_SA_iPKfiiiPfSD_PS3_PT2_iSC_SC_, 611

	.type	__PRETTY_FUNCTION__._Z39paged_attention_ll4mi_QKV_mfma16_kernelI14__hip_bfloat16S0_LN4vllm18Fp8KVCacheDataTypeE0EhLi32ELi64ELi256ELb1ELi4EEvPKT_PKT0_S8_ifPKiSA_SA_iPKfiiiPfSD_PS3_PT2_iSC_SC_,@object ; @__PRETTY_FUNCTION__._Z39paged_attention_ll4mi_QKV_mfma16_kernelI14__hip_bfloat16S0_LN4vllm18Fp8KVCacheDataTypeE0EhLi32ELi64ELi256ELb1ELi4EEvPKT_PKT0_S8_ifPKiSA_SA_iPKfiiiPfSD_PS3_PT2_iSC_SC_
__PRETTY_FUNCTION__._Z39paged_attention_ll4mi_QKV_mfma16_kernelI14__hip_bfloat16S0_LN4vllm18Fp8KVCacheDataTypeE0EhLi32ELi64ELi256ELb1ELi4EEvPKT_PKT0_S8_ifPKiSA_SA_iPKfiiiPfSD_PS3_PT2_iSC_SC_:
	.asciz	"void paged_attention_ll4mi_QKV_mfma16_kernel(const scalar_t *__restrict, const cache_t *__restrict, const cache_t *__restrict, const int, const float, const int *__restrict, const int *__restrict, const int *__restrict, const int, const float *__restrict, const int, const int, const int, float *__restrict, float *__restrict, scalar_t *__restrict, OUTT *__restrict, int, const float *, const float *) [scalar_t = __hip_bfloat16, cache_t = __hip_bfloat16, KV_DTYPE = vllm::Fp8KVCacheDataType::kAuto, OUTT = unsigned char, BLOCK_SIZE = 32, HEAD_SIZE = 64, NUM_THREADS = 256, ALIBI_ENABLED = true, GQA_RATIO = 4]"
	.size	__PRETTY_FUNCTION__._Z39paged_attention_ll4mi_QKV_mfma16_kernelI14__hip_bfloat16S0_LN4vllm18Fp8KVCacheDataTypeE0EhLi32ELi64ELi256ELb1ELi4EEvPKT_PKT0_S8_ifPKiSA_SA_iPKfiiiPfSD_PS3_PT2_iSC_SC_, 611

	.type	__PRETTY_FUNCTION__._Z38paged_attention_ll4mi_QKV_mfma4_kernelI14__hip_bfloat16S0_LN4vllm18Fp8KVCacheDataTypeE0EhLi32ELi64ELi256ELb0ELi1EEvPKT_PKT0_S8_ifPKiSA_SA_iPKfiiiPfSD_PS3_PT2_iSC_SC_,@object ; @__PRETTY_FUNCTION__._Z38paged_attention_ll4mi_QKV_mfma4_kernelI14__hip_bfloat16S0_LN4vllm18Fp8KVCacheDataTypeE0EhLi32ELi64ELi256ELb0ELi1EEvPKT_PKT0_S8_ifPKiSA_SA_iPKfiiiPfSD_PS3_PT2_iSC_SC_
__PRETTY_FUNCTION__._Z38paged_attention_ll4mi_QKV_mfma4_kernelI14__hip_bfloat16S0_LN4vllm18Fp8KVCacheDataTypeE0EhLi32ELi64ELi256ELb0ELi1EEvPKT_PKT0_S8_ifPKiSA_SA_iPKfiiiPfSD_PS3_PT2_iSC_SC_:
	.asciz	"void paged_attention_ll4mi_QKV_mfma4_kernel(const scalar_t *__restrict, const cache_t *__restrict, const cache_t *__restrict, const int, const float, const int *__restrict, const int *__restrict, const int *__restrict, const int, const float *__restrict, const int, const int, const int, float *__restrict, float *__restrict, scalar_t *__restrict, OUTT *__restrict, int, const float *, const float *) [scalar_t = __hip_bfloat16, cache_t = __hip_bfloat16, KV_DTYPE = vllm::Fp8KVCacheDataType::kAuto, OUTT = unsigned char, BLOCK_SIZE = 32, HEAD_SIZE = 64, NUM_THREADS = 256, ALIBI_ENABLED = false, GQA_RATIO = 1]"
	.size	__PRETTY_FUNCTION__._Z38paged_attention_ll4mi_QKV_mfma4_kernelI14__hip_bfloat16S0_LN4vllm18Fp8KVCacheDataTypeE0EhLi32ELi64ELi256ELb0ELi1EEvPKT_PKT0_S8_ifPKiSA_SA_iPKfiiiPfSD_PS3_PT2_iSC_SC_, 611

	.type	__PRETTY_FUNCTION__._Z38paged_attention_ll4mi_QKV_mfma4_kernelI14__hip_bfloat16S0_LN4vllm18Fp8KVCacheDataTypeE0EhLi32ELi64ELi256ELb0ELi2EEvPKT_PKT0_S8_ifPKiSA_SA_iPKfiiiPfSD_PS3_PT2_iSC_SC_,@object ; @__PRETTY_FUNCTION__._Z38paged_attention_ll4mi_QKV_mfma4_kernelI14__hip_bfloat16S0_LN4vllm18Fp8KVCacheDataTypeE0EhLi32ELi64ELi256ELb0ELi2EEvPKT_PKT0_S8_ifPKiSA_SA_iPKfiiiPfSD_PS3_PT2_iSC_SC_
__PRETTY_FUNCTION__._Z38paged_attention_ll4mi_QKV_mfma4_kernelI14__hip_bfloat16S0_LN4vllm18Fp8KVCacheDataTypeE0EhLi32ELi64ELi256ELb0ELi2EEvPKT_PKT0_S8_ifPKiSA_SA_iPKfiiiPfSD_PS3_PT2_iSC_SC_:
	.asciz	"void paged_attention_ll4mi_QKV_mfma4_kernel(const scalar_t *__restrict, const cache_t *__restrict, const cache_t *__restrict, const int, const float, const int *__restrict, const int *__restrict, const int *__restrict, const int, const float *__restrict, const int, const int, const int, float *__restrict, float *__restrict, scalar_t *__restrict, OUTT *__restrict, int, const float *, const float *) [scalar_t = __hip_bfloat16, cache_t = __hip_bfloat16, KV_DTYPE = vllm::Fp8KVCacheDataType::kAuto, OUTT = unsigned char, BLOCK_SIZE = 32, HEAD_SIZE = 64, NUM_THREADS = 256, ALIBI_ENABLED = false, GQA_RATIO = 2]"
	.size	__PRETTY_FUNCTION__._Z38paged_attention_ll4mi_QKV_mfma4_kernelI14__hip_bfloat16S0_LN4vllm18Fp8KVCacheDataTypeE0EhLi32ELi64ELi256ELb0ELi2EEvPKT_PKT0_S8_ifPKiSA_SA_iPKfiiiPfSD_PS3_PT2_iSC_SC_, 611

	.type	__PRETTY_FUNCTION__._Z38paged_attention_ll4mi_QKV_mfma4_kernelI14__hip_bfloat16S0_LN4vllm18Fp8KVCacheDataTypeE0EhLi32ELi64ELi256ELb0ELi3EEvPKT_PKT0_S8_ifPKiSA_SA_iPKfiiiPfSD_PS3_PT2_iSC_SC_,@object ; @__PRETTY_FUNCTION__._Z38paged_attention_ll4mi_QKV_mfma4_kernelI14__hip_bfloat16S0_LN4vllm18Fp8KVCacheDataTypeE0EhLi32ELi64ELi256ELb0ELi3EEvPKT_PKT0_S8_ifPKiSA_SA_iPKfiiiPfSD_PS3_PT2_iSC_SC_
__PRETTY_FUNCTION__._Z38paged_attention_ll4mi_QKV_mfma4_kernelI14__hip_bfloat16S0_LN4vllm18Fp8KVCacheDataTypeE0EhLi32ELi64ELi256ELb0ELi3EEvPKT_PKT0_S8_ifPKiSA_SA_iPKfiiiPfSD_PS3_PT2_iSC_SC_:
	.asciz	"void paged_attention_ll4mi_QKV_mfma4_kernel(const scalar_t *__restrict, const cache_t *__restrict, const cache_t *__restrict, const int, const float, const int *__restrict, const int *__restrict, const int *__restrict, const int, const float *__restrict, const int, const int, const int, float *__restrict, float *__restrict, scalar_t *__restrict, OUTT *__restrict, int, const float *, const float *) [scalar_t = __hip_bfloat16, cache_t = __hip_bfloat16, KV_DTYPE = vllm::Fp8KVCacheDataType::kAuto, OUTT = unsigned char, BLOCK_SIZE = 32, HEAD_SIZE = 64, NUM_THREADS = 256, ALIBI_ENABLED = false, GQA_RATIO = 3]"
	.size	__PRETTY_FUNCTION__._Z38paged_attention_ll4mi_QKV_mfma4_kernelI14__hip_bfloat16S0_LN4vllm18Fp8KVCacheDataTypeE0EhLi32ELi64ELi256ELb0ELi3EEvPKT_PKT0_S8_ifPKiSA_SA_iPKfiiiPfSD_PS3_PT2_iSC_SC_, 611

	.type	__PRETTY_FUNCTION__._Z38paged_attention_ll4mi_QKV_mfma4_kernelI14__hip_bfloat16S0_LN4vllm18Fp8KVCacheDataTypeE0EhLi32ELi64ELi256ELb0ELi4EEvPKT_PKT0_S8_ifPKiSA_SA_iPKfiiiPfSD_PS3_PT2_iSC_SC_,@object ; @__PRETTY_FUNCTION__._Z38paged_attention_ll4mi_QKV_mfma4_kernelI14__hip_bfloat16S0_LN4vllm18Fp8KVCacheDataTypeE0EhLi32ELi64ELi256ELb0ELi4EEvPKT_PKT0_S8_ifPKiSA_SA_iPKfiiiPfSD_PS3_PT2_iSC_SC_
__PRETTY_FUNCTION__._Z38paged_attention_ll4mi_QKV_mfma4_kernelI14__hip_bfloat16S0_LN4vllm18Fp8KVCacheDataTypeE0EhLi32ELi64ELi256ELb0ELi4EEvPKT_PKT0_S8_ifPKiSA_SA_iPKfiiiPfSD_PS3_PT2_iSC_SC_:
	.asciz	"void paged_attention_ll4mi_QKV_mfma4_kernel(const scalar_t *__restrict, const cache_t *__restrict, const cache_t *__restrict, const int, const float, const int *__restrict, const int *__restrict, const int *__restrict, const int, const float *__restrict, const int, const int, const int, float *__restrict, float *__restrict, scalar_t *__restrict, OUTT *__restrict, int, const float *, const float *) [scalar_t = __hip_bfloat16, cache_t = __hip_bfloat16, KV_DTYPE = vllm::Fp8KVCacheDataType::kAuto, OUTT = unsigned char, BLOCK_SIZE = 32, HEAD_SIZE = 64, NUM_THREADS = 256, ALIBI_ENABLED = false, GQA_RATIO = 4]"
	.size	__PRETTY_FUNCTION__._Z38paged_attention_ll4mi_QKV_mfma4_kernelI14__hip_bfloat16S0_LN4vllm18Fp8KVCacheDataTypeE0EhLi32ELi64ELi256ELb0ELi4EEvPKT_PKT0_S8_ifPKiSA_SA_iPKfiiiPfSD_PS3_PT2_iSC_SC_, 611

	.type	__PRETTY_FUNCTION__._Z39paged_attention_ll4mi_QKV_mfma16_kernelI14__hip_bfloat16S0_LN4vllm18Fp8KVCacheDataTypeE0EhLi32ELi64ELi256ELb0ELi5EEvPKT_PKT0_S8_ifPKiSA_SA_iPKfiiiPfSD_PS3_PT2_iSC_SC_,@object ; @__PRETTY_FUNCTION__._Z39paged_attention_ll4mi_QKV_mfma16_kernelI14__hip_bfloat16S0_LN4vllm18Fp8KVCacheDataTypeE0EhLi32ELi64ELi256ELb0ELi5EEvPKT_PKT0_S8_ifPKiSA_SA_iPKfiiiPfSD_PS3_PT2_iSC_SC_
__PRETTY_FUNCTION__._Z39paged_attention_ll4mi_QKV_mfma16_kernelI14__hip_bfloat16S0_LN4vllm18Fp8KVCacheDataTypeE0EhLi32ELi64ELi256ELb0ELi5EEvPKT_PKT0_S8_ifPKiSA_SA_iPKfiiiPfSD_PS3_PT2_iSC_SC_:
	.asciz	"void paged_attention_ll4mi_QKV_mfma16_kernel(const scalar_t *__restrict, const cache_t *__restrict, const cache_t *__restrict, const int, const float, const int *__restrict, const int *__restrict, const int *__restrict, const int, const float *__restrict, const int, const int, const int, float *__restrict, float *__restrict, scalar_t *__restrict, OUTT *__restrict, int, const float *, const float *) [scalar_t = __hip_bfloat16, cache_t = __hip_bfloat16, KV_DTYPE = vllm::Fp8KVCacheDataType::kAuto, OUTT = unsigned char, BLOCK_SIZE = 32, HEAD_SIZE = 64, NUM_THREADS = 256, ALIBI_ENABLED = false, GQA_RATIO = 5]"
	.size	__PRETTY_FUNCTION__._Z39paged_attention_ll4mi_QKV_mfma16_kernelI14__hip_bfloat16S0_LN4vllm18Fp8KVCacheDataTypeE0EhLi32ELi64ELi256ELb0ELi5EEvPKT_PKT0_S8_ifPKiSA_SA_iPKfiiiPfSD_PS3_PT2_iSC_SC_, 612

	.type	__PRETTY_FUNCTION__._Z39paged_attention_ll4mi_QKV_mfma16_kernelI14__hip_bfloat16S0_LN4vllm18Fp8KVCacheDataTypeE0EhLi32ELi64ELi256ELb0ELi6EEvPKT_PKT0_S8_ifPKiSA_SA_iPKfiiiPfSD_PS3_PT2_iSC_SC_,@object ; @__PRETTY_FUNCTION__._Z39paged_attention_ll4mi_QKV_mfma16_kernelI14__hip_bfloat16S0_LN4vllm18Fp8KVCacheDataTypeE0EhLi32ELi64ELi256ELb0ELi6EEvPKT_PKT0_S8_ifPKiSA_SA_iPKfiiiPfSD_PS3_PT2_iSC_SC_
__PRETTY_FUNCTION__._Z39paged_attention_ll4mi_QKV_mfma16_kernelI14__hip_bfloat16S0_LN4vllm18Fp8KVCacheDataTypeE0EhLi32ELi64ELi256ELb0ELi6EEvPKT_PKT0_S8_ifPKiSA_SA_iPKfiiiPfSD_PS3_PT2_iSC_SC_:
	.asciz	"void paged_attention_ll4mi_QKV_mfma16_kernel(const scalar_t *__restrict, const cache_t *__restrict, const cache_t *__restrict, const int, const float, const int *__restrict, const int *__restrict, const int *__restrict, const int, const float *__restrict, const int, const int, const int, float *__restrict, float *__restrict, scalar_t *__restrict, OUTT *__restrict, int, const float *, const float *) [scalar_t = __hip_bfloat16, cache_t = __hip_bfloat16, KV_DTYPE = vllm::Fp8KVCacheDataType::kAuto, OUTT = unsigned char, BLOCK_SIZE = 32, HEAD_SIZE = 64, NUM_THREADS = 256, ALIBI_ENABLED = false, GQA_RATIO = 6]"
	.size	__PRETTY_FUNCTION__._Z39paged_attention_ll4mi_QKV_mfma16_kernelI14__hip_bfloat16S0_LN4vllm18Fp8KVCacheDataTypeE0EhLi32ELi64ELi256ELb0ELi6EEvPKT_PKT0_S8_ifPKiSA_SA_iPKfiiiPfSD_PS3_PT2_iSC_SC_, 612

	.type	__PRETTY_FUNCTION__._Z39paged_attention_ll4mi_QKV_mfma16_kernelI14__hip_bfloat16S0_LN4vllm18Fp8KVCacheDataTypeE0EhLi32ELi64ELi256ELb0ELi7EEvPKT_PKT0_S8_ifPKiSA_SA_iPKfiiiPfSD_PS3_PT2_iSC_SC_,@object ; @__PRETTY_FUNCTION__._Z39paged_attention_ll4mi_QKV_mfma16_kernelI14__hip_bfloat16S0_LN4vllm18Fp8KVCacheDataTypeE0EhLi32ELi64ELi256ELb0ELi7EEvPKT_PKT0_S8_ifPKiSA_SA_iPKfiiiPfSD_PS3_PT2_iSC_SC_
__PRETTY_FUNCTION__._Z39paged_attention_ll4mi_QKV_mfma16_kernelI14__hip_bfloat16S0_LN4vllm18Fp8KVCacheDataTypeE0EhLi32ELi64ELi256ELb0ELi7EEvPKT_PKT0_S8_ifPKiSA_SA_iPKfiiiPfSD_PS3_PT2_iSC_SC_:
	.asciz	"void paged_attention_ll4mi_QKV_mfma16_kernel(const scalar_t *__restrict, const cache_t *__restrict, const cache_t *__restrict, const int, const float, const int *__restrict, const int *__restrict, const int *__restrict, const int, const float *__restrict, const int, const int, const int, float *__restrict, float *__restrict, scalar_t *__restrict, OUTT *__restrict, int, const float *, const float *) [scalar_t = __hip_bfloat16, cache_t = __hip_bfloat16, KV_DTYPE = vllm::Fp8KVCacheDataType::kAuto, OUTT = unsigned char, BLOCK_SIZE = 32, HEAD_SIZE = 64, NUM_THREADS = 256, ALIBI_ENABLED = false, GQA_RATIO = 7]"
	.size	__PRETTY_FUNCTION__._Z39paged_attention_ll4mi_QKV_mfma16_kernelI14__hip_bfloat16S0_LN4vllm18Fp8KVCacheDataTypeE0EhLi32ELi64ELi256ELb0ELi7EEvPKT_PKT0_S8_ifPKiSA_SA_iPKfiiiPfSD_PS3_PT2_iSC_SC_, 612

	.type	__PRETTY_FUNCTION__._Z39paged_attention_ll4mi_QKV_mfma16_kernelI14__hip_bfloat16S0_LN4vllm18Fp8KVCacheDataTypeE0EhLi32ELi64ELi256ELb0ELi8EEvPKT_PKT0_S8_ifPKiSA_SA_iPKfiiiPfSD_PS3_PT2_iSC_SC_,@object ; @__PRETTY_FUNCTION__._Z39paged_attention_ll4mi_QKV_mfma16_kernelI14__hip_bfloat16S0_LN4vllm18Fp8KVCacheDataTypeE0EhLi32ELi64ELi256ELb0ELi8EEvPKT_PKT0_S8_ifPKiSA_SA_iPKfiiiPfSD_PS3_PT2_iSC_SC_
__PRETTY_FUNCTION__._Z39paged_attention_ll4mi_QKV_mfma16_kernelI14__hip_bfloat16S0_LN4vllm18Fp8KVCacheDataTypeE0EhLi32ELi64ELi256ELb0ELi8EEvPKT_PKT0_S8_ifPKiSA_SA_iPKfiiiPfSD_PS3_PT2_iSC_SC_:
	.asciz	"void paged_attention_ll4mi_QKV_mfma16_kernel(const scalar_t *__restrict, const cache_t *__restrict, const cache_t *__restrict, const int, const float, const int *__restrict, const int *__restrict, const int *__restrict, const int, const float *__restrict, const int, const int, const int, float *__restrict, float *__restrict, scalar_t *__restrict, OUTT *__restrict, int, const float *, const float *) [scalar_t = __hip_bfloat16, cache_t = __hip_bfloat16, KV_DTYPE = vllm::Fp8KVCacheDataType::kAuto, OUTT = unsigned char, BLOCK_SIZE = 32, HEAD_SIZE = 64, NUM_THREADS = 256, ALIBI_ENABLED = false, GQA_RATIO = 8]"
	.size	__PRETTY_FUNCTION__._Z39paged_attention_ll4mi_QKV_mfma16_kernelI14__hip_bfloat16S0_LN4vllm18Fp8KVCacheDataTypeE0EhLi32ELi64ELi256ELb0ELi8EEvPKT_PKT0_S8_ifPKiSA_SA_iPKfiiiPfSD_PS3_PT2_iSC_SC_, 612

	.type	__PRETTY_FUNCTION__._Z39paged_attention_ll4mi_QKV_mfma16_kernelI14__hip_bfloat16S0_LN4vllm18Fp8KVCacheDataTypeE0EhLi32ELi64ELi256ELb0ELi9EEvPKT_PKT0_S8_ifPKiSA_SA_iPKfiiiPfSD_PS3_PT2_iSC_SC_,@object ; @__PRETTY_FUNCTION__._Z39paged_attention_ll4mi_QKV_mfma16_kernelI14__hip_bfloat16S0_LN4vllm18Fp8KVCacheDataTypeE0EhLi32ELi64ELi256ELb0ELi9EEvPKT_PKT0_S8_ifPKiSA_SA_iPKfiiiPfSD_PS3_PT2_iSC_SC_
__PRETTY_FUNCTION__._Z39paged_attention_ll4mi_QKV_mfma16_kernelI14__hip_bfloat16S0_LN4vllm18Fp8KVCacheDataTypeE0EhLi32ELi64ELi256ELb0ELi9EEvPKT_PKT0_S8_ifPKiSA_SA_iPKfiiiPfSD_PS3_PT2_iSC_SC_:
	.asciz	"void paged_attention_ll4mi_QKV_mfma16_kernel(const scalar_t *__restrict, const cache_t *__restrict, const cache_t *__restrict, const int, const float, const int *__restrict, const int *__restrict, const int *__restrict, const int, const float *__restrict, const int, const int, const int, float *__restrict, float *__restrict, scalar_t *__restrict, OUTT *__restrict, int, const float *, const float *) [scalar_t = __hip_bfloat16, cache_t = __hip_bfloat16, KV_DTYPE = vllm::Fp8KVCacheDataType::kAuto, OUTT = unsigned char, BLOCK_SIZE = 32, HEAD_SIZE = 64, NUM_THREADS = 256, ALIBI_ENABLED = false, GQA_RATIO = 9]"
	.size	__PRETTY_FUNCTION__._Z39paged_attention_ll4mi_QKV_mfma16_kernelI14__hip_bfloat16S0_LN4vllm18Fp8KVCacheDataTypeE0EhLi32ELi64ELi256ELb0ELi9EEvPKT_PKT0_S8_ifPKiSA_SA_iPKfiiiPfSD_PS3_PT2_iSC_SC_, 612

	.type	__PRETTY_FUNCTION__._Z39paged_attention_ll4mi_QKV_mfma16_kernelI14__hip_bfloat16S0_LN4vllm18Fp8KVCacheDataTypeE0EhLi32ELi64ELi256ELb0ELi10EEvPKT_PKT0_S8_ifPKiSA_SA_iPKfiiiPfSD_PS3_PT2_iSC_SC_,@object ; @__PRETTY_FUNCTION__._Z39paged_attention_ll4mi_QKV_mfma16_kernelI14__hip_bfloat16S0_LN4vllm18Fp8KVCacheDataTypeE0EhLi32ELi64ELi256ELb0ELi10EEvPKT_PKT0_S8_ifPKiSA_SA_iPKfiiiPfSD_PS3_PT2_iSC_SC_
__PRETTY_FUNCTION__._Z39paged_attention_ll4mi_QKV_mfma16_kernelI14__hip_bfloat16S0_LN4vllm18Fp8KVCacheDataTypeE0EhLi32ELi64ELi256ELb0ELi10EEvPKT_PKT0_S8_ifPKiSA_SA_iPKfiiiPfSD_PS3_PT2_iSC_SC_:
	.asciz	"void paged_attention_ll4mi_QKV_mfma16_kernel(const scalar_t *__restrict, const cache_t *__restrict, const cache_t *__restrict, const int, const float, const int *__restrict, const int *__restrict, const int *__restrict, const int, const float *__restrict, const int, const int, const int, float *__restrict, float *__restrict, scalar_t *__restrict, OUTT *__restrict, int, const float *, const float *) [scalar_t = __hip_bfloat16, cache_t = __hip_bfloat16, KV_DTYPE = vllm::Fp8KVCacheDataType::kAuto, OUTT = unsigned char, BLOCK_SIZE = 32, HEAD_SIZE = 64, NUM_THREADS = 256, ALIBI_ENABLED = false, GQA_RATIO = 10]"
	.size	__PRETTY_FUNCTION__._Z39paged_attention_ll4mi_QKV_mfma16_kernelI14__hip_bfloat16S0_LN4vllm18Fp8KVCacheDataTypeE0EhLi32ELi64ELi256ELb0ELi10EEvPKT_PKT0_S8_ifPKiSA_SA_iPKfiiiPfSD_PS3_PT2_iSC_SC_, 613

	.type	__PRETTY_FUNCTION__._Z39paged_attention_ll4mi_QKV_mfma16_kernelI14__hip_bfloat16S0_LN4vllm18Fp8KVCacheDataTypeE0EhLi32ELi64ELi256ELb0ELi11EEvPKT_PKT0_S8_ifPKiSA_SA_iPKfiiiPfSD_PS3_PT2_iSC_SC_,@object ; @__PRETTY_FUNCTION__._Z39paged_attention_ll4mi_QKV_mfma16_kernelI14__hip_bfloat16S0_LN4vllm18Fp8KVCacheDataTypeE0EhLi32ELi64ELi256ELb0ELi11EEvPKT_PKT0_S8_ifPKiSA_SA_iPKfiiiPfSD_PS3_PT2_iSC_SC_
__PRETTY_FUNCTION__._Z39paged_attention_ll4mi_QKV_mfma16_kernelI14__hip_bfloat16S0_LN4vllm18Fp8KVCacheDataTypeE0EhLi32ELi64ELi256ELb0ELi11EEvPKT_PKT0_S8_ifPKiSA_SA_iPKfiiiPfSD_PS3_PT2_iSC_SC_:
	.asciz	"void paged_attention_ll4mi_QKV_mfma16_kernel(const scalar_t *__restrict, const cache_t *__restrict, const cache_t *__restrict, const int, const float, const int *__restrict, const int *__restrict, const int *__restrict, const int, const float *__restrict, const int, const int, const int, float *__restrict, float *__restrict, scalar_t *__restrict, OUTT *__restrict, int, const float *, const float *) [scalar_t = __hip_bfloat16, cache_t = __hip_bfloat16, KV_DTYPE = vllm::Fp8KVCacheDataType::kAuto, OUTT = unsigned char, BLOCK_SIZE = 32, HEAD_SIZE = 64, NUM_THREADS = 256, ALIBI_ENABLED = false, GQA_RATIO = 11]"
	.size	__PRETTY_FUNCTION__._Z39paged_attention_ll4mi_QKV_mfma16_kernelI14__hip_bfloat16S0_LN4vllm18Fp8KVCacheDataTypeE0EhLi32ELi64ELi256ELb0ELi11EEvPKT_PKT0_S8_ifPKiSA_SA_iPKfiiiPfSD_PS3_PT2_iSC_SC_, 613

	.type	__PRETTY_FUNCTION__._Z39paged_attention_ll4mi_QKV_mfma16_kernelI14__hip_bfloat16S0_LN4vllm18Fp8KVCacheDataTypeE0EhLi32ELi64ELi256ELb0ELi12EEvPKT_PKT0_S8_ifPKiSA_SA_iPKfiiiPfSD_PS3_PT2_iSC_SC_,@object ; @__PRETTY_FUNCTION__._Z39paged_attention_ll4mi_QKV_mfma16_kernelI14__hip_bfloat16S0_LN4vllm18Fp8KVCacheDataTypeE0EhLi32ELi64ELi256ELb0ELi12EEvPKT_PKT0_S8_ifPKiSA_SA_iPKfiiiPfSD_PS3_PT2_iSC_SC_
__PRETTY_FUNCTION__._Z39paged_attention_ll4mi_QKV_mfma16_kernelI14__hip_bfloat16S0_LN4vllm18Fp8KVCacheDataTypeE0EhLi32ELi64ELi256ELb0ELi12EEvPKT_PKT0_S8_ifPKiSA_SA_iPKfiiiPfSD_PS3_PT2_iSC_SC_:
	.asciz	"void paged_attention_ll4mi_QKV_mfma16_kernel(const scalar_t *__restrict, const cache_t *__restrict, const cache_t *__restrict, const int, const float, const int *__restrict, const int *__restrict, const int *__restrict, const int, const float *__restrict, const int, const int, const int, float *__restrict, float *__restrict, scalar_t *__restrict, OUTT *__restrict, int, const float *, const float *) [scalar_t = __hip_bfloat16, cache_t = __hip_bfloat16, KV_DTYPE = vllm::Fp8KVCacheDataType::kAuto, OUTT = unsigned char, BLOCK_SIZE = 32, HEAD_SIZE = 64, NUM_THREADS = 256, ALIBI_ENABLED = false, GQA_RATIO = 12]"
	.size	__PRETTY_FUNCTION__._Z39paged_attention_ll4mi_QKV_mfma16_kernelI14__hip_bfloat16S0_LN4vllm18Fp8KVCacheDataTypeE0EhLi32ELi64ELi256ELb0ELi12EEvPKT_PKT0_S8_ifPKiSA_SA_iPKfiiiPfSD_PS3_PT2_iSC_SC_, 613

	.type	__PRETTY_FUNCTION__._Z39paged_attention_ll4mi_QKV_mfma16_kernelI14__hip_bfloat16S0_LN4vllm18Fp8KVCacheDataTypeE0EhLi32ELi64ELi256ELb0ELi13EEvPKT_PKT0_S8_ifPKiSA_SA_iPKfiiiPfSD_PS3_PT2_iSC_SC_,@object ; @__PRETTY_FUNCTION__._Z39paged_attention_ll4mi_QKV_mfma16_kernelI14__hip_bfloat16S0_LN4vllm18Fp8KVCacheDataTypeE0EhLi32ELi64ELi256ELb0ELi13EEvPKT_PKT0_S8_ifPKiSA_SA_iPKfiiiPfSD_PS3_PT2_iSC_SC_
__PRETTY_FUNCTION__._Z39paged_attention_ll4mi_QKV_mfma16_kernelI14__hip_bfloat16S0_LN4vllm18Fp8KVCacheDataTypeE0EhLi32ELi64ELi256ELb0ELi13EEvPKT_PKT0_S8_ifPKiSA_SA_iPKfiiiPfSD_PS3_PT2_iSC_SC_:
	.asciz	"void paged_attention_ll4mi_QKV_mfma16_kernel(const scalar_t *__restrict, const cache_t *__restrict, const cache_t *__restrict, const int, const float, const int *__restrict, const int *__restrict, const int *__restrict, const int, const float *__restrict, const int, const int, const int, float *__restrict, float *__restrict, scalar_t *__restrict, OUTT *__restrict, int, const float *, const float *) [scalar_t = __hip_bfloat16, cache_t = __hip_bfloat16, KV_DTYPE = vllm::Fp8KVCacheDataType::kAuto, OUTT = unsigned char, BLOCK_SIZE = 32, HEAD_SIZE = 64, NUM_THREADS = 256, ALIBI_ENABLED = false, GQA_RATIO = 13]"
	.size	__PRETTY_FUNCTION__._Z39paged_attention_ll4mi_QKV_mfma16_kernelI14__hip_bfloat16S0_LN4vllm18Fp8KVCacheDataTypeE0EhLi32ELi64ELi256ELb0ELi13EEvPKT_PKT0_S8_ifPKiSA_SA_iPKfiiiPfSD_PS3_PT2_iSC_SC_, 613

	.type	__PRETTY_FUNCTION__._Z39paged_attention_ll4mi_QKV_mfma16_kernelI14__hip_bfloat16S0_LN4vllm18Fp8KVCacheDataTypeE0EhLi32ELi64ELi256ELb0ELi14EEvPKT_PKT0_S8_ifPKiSA_SA_iPKfiiiPfSD_PS3_PT2_iSC_SC_,@object ; @__PRETTY_FUNCTION__._Z39paged_attention_ll4mi_QKV_mfma16_kernelI14__hip_bfloat16S0_LN4vllm18Fp8KVCacheDataTypeE0EhLi32ELi64ELi256ELb0ELi14EEvPKT_PKT0_S8_ifPKiSA_SA_iPKfiiiPfSD_PS3_PT2_iSC_SC_
__PRETTY_FUNCTION__._Z39paged_attention_ll4mi_QKV_mfma16_kernelI14__hip_bfloat16S0_LN4vllm18Fp8KVCacheDataTypeE0EhLi32ELi64ELi256ELb0ELi14EEvPKT_PKT0_S8_ifPKiSA_SA_iPKfiiiPfSD_PS3_PT2_iSC_SC_:
	.asciz	"void paged_attention_ll4mi_QKV_mfma16_kernel(const scalar_t *__restrict, const cache_t *__restrict, const cache_t *__restrict, const int, const float, const int *__restrict, const int *__restrict, const int *__restrict, const int, const float *__restrict, const int, const int, const int, float *__restrict, float *__restrict, scalar_t *__restrict, OUTT *__restrict, int, const float *, const float *) [scalar_t = __hip_bfloat16, cache_t = __hip_bfloat16, KV_DTYPE = vllm::Fp8KVCacheDataType::kAuto, OUTT = unsigned char, BLOCK_SIZE = 32, HEAD_SIZE = 64, NUM_THREADS = 256, ALIBI_ENABLED = false, GQA_RATIO = 14]"
	.size	__PRETTY_FUNCTION__._Z39paged_attention_ll4mi_QKV_mfma16_kernelI14__hip_bfloat16S0_LN4vllm18Fp8KVCacheDataTypeE0EhLi32ELi64ELi256ELb0ELi14EEvPKT_PKT0_S8_ifPKiSA_SA_iPKfiiiPfSD_PS3_PT2_iSC_SC_, 613

	.type	__PRETTY_FUNCTION__._Z39paged_attention_ll4mi_QKV_mfma16_kernelI14__hip_bfloat16S0_LN4vllm18Fp8KVCacheDataTypeE0EhLi32ELi64ELi256ELb0ELi15EEvPKT_PKT0_S8_ifPKiSA_SA_iPKfiiiPfSD_PS3_PT2_iSC_SC_,@object ; @__PRETTY_FUNCTION__._Z39paged_attention_ll4mi_QKV_mfma16_kernelI14__hip_bfloat16S0_LN4vllm18Fp8KVCacheDataTypeE0EhLi32ELi64ELi256ELb0ELi15EEvPKT_PKT0_S8_ifPKiSA_SA_iPKfiiiPfSD_PS3_PT2_iSC_SC_
__PRETTY_FUNCTION__._Z39paged_attention_ll4mi_QKV_mfma16_kernelI14__hip_bfloat16S0_LN4vllm18Fp8KVCacheDataTypeE0EhLi32ELi64ELi256ELb0ELi15EEvPKT_PKT0_S8_ifPKiSA_SA_iPKfiiiPfSD_PS3_PT2_iSC_SC_:
	.asciz	"void paged_attention_ll4mi_QKV_mfma16_kernel(const scalar_t *__restrict, const cache_t *__restrict, const cache_t *__restrict, const int, const float, const int *__restrict, const int *__restrict, const int *__restrict, const int, const float *__restrict, const int, const int, const int, float *__restrict, float *__restrict, scalar_t *__restrict, OUTT *__restrict, int, const float *, const float *) [scalar_t = __hip_bfloat16, cache_t = __hip_bfloat16, KV_DTYPE = vllm::Fp8KVCacheDataType::kAuto, OUTT = unsigned char, BLOCK_SIZE = 32, HEAD_SIZE = 64, NUM_THREADS = 256, ALIBI_ENABLED = false, GQA_RATIO = 15]"
	.size	__PRETTY_FUNCTION__._Z39paged_attention_ll4mi_QKV_mfma16_kernelI14__hip_bfloat16S0_LN4vllm18Fp8KVCacheDataTypeE0EhLi32ELi64ELi256ELb0ELi15EEvPKT_PKT0_S8_ifPKiSA_SA_iPKfiiiPfSD_PS3_PT2_iSC_SC_, 613

	.type	__PRETTY_FUNCTION__._Z39paged_attention_ll4mi_QKV_mfma16_kernelI14__hip_bfloat16S0_LN4vllm18Fp8KVCacheDataTypeE0EhLi32ELi64ELi256ELb0ELi16EEvPKT_PKT0_S8_ifPKiSA_SA_iPKfiiiPfSD_PS3_PT2_iSC_SC_,@object ; @__PRETTY_FUNCTION__._Z39paged_attention_ll4mi_QKV_mfma16_kernelI14__hip_bfloat16S0_LN4vllm18Fp8KVCacheDataTypeE0EhLi32ELi64ELi256ELb0ELi16EEvPKT_PKT0_S8_ifPKiSA_SA_iPKfiiiPfSD_PS3_PT2_iSC_SC_
__PRETTY_FUNCTION__._Z39paged_attention_ll4mi_QKV_mfma16_kernelI14__hip_bfloat16S0_LN4vllm18Fp8KVCacheDataTypeE0EhLi32ELi64ELi256ELb0ELi16EEvPKT_PKT0_S8_ifPKiSA_SA_iPKfiiiPfSD_PS3_PT2_iSC_SC_:
	.asciz	"void paged_attention_ll4mi_QKV_mfma16_kernel(const scalar_t *__restrict, const cache_t *__restrict, const cache_t *__restrict, const int, const float, const int *__restrict, const int *__restrict, const int *__restrict, const int, const float *__restrict, const int, const int, const int, float *__restrict, float *__restrict, scalar_t *__restrict, OUTT *__restrict, int, const float *, const float *) [scalar_t = __hip_bfloat16, cache_t = __hip_bfloat16, KV_DTYPE = vllm::Fp8KVCacheDataType::kAuto, OUTT = unsigned char, BLOCK_SIZE = 32, HEAD_SIZE = 64, NUM_THREADS = 256, ALIBI_ENABLED = false, GQA_RATIO = 16]"
	.size	__PRETTY_FUNCTION__._Z39paged_attention_ll4mi_QKV_mfma16_kernelI14__hip_bfloat16S0_LN4vllm18Fp8KVCacheDataTypeE0EhLi32ELi64ELi256ELb0ELi16EEvPKT_PKT0_S8_ifPKiSA_SA_iPKfiiiPfSD_PS3_PT2_iSC_SC_, 613

	.type	__PRETTY_FUNCTION__._Z39paged_attention_ll4mi_QKV_mfma16_kernelI14__hip_bfloat16S0_LN4vllm18Fp8KVCacheDataTypeE0EhLi32ELi64ELi256ELb0ELi1EEvPKT_PKT0_S8_ifPKiSA_SA_iPKfiiiPfSD_PS3_PT2_iSC_SC_,@object ; @__PRETTY_FUNCTION__._Z39paged_attention_ll4mi_QKV_mfma16_kernelI14__hip_bfloat16S0_LN4vllm18Fp8KVCacheDataTypeE0EhLi32ELi64ELi256ELb0ELi1EEvPKT_PKT0_S8_ifPKiSA_SA_iPKfiiiPfSD_PS3_PT2_iSC_SC_
__PRETTY_FUNCTION__._Z39paged_attention_ll4mi_QKV_mfma16_kernelI14__hip_bfloat16S0_LN4vllm18Fp8KVCacheDataTypeE0EhLi32ELi64ELi256ELb0ELi1EEvPKT_PKT0_S8_ifPKiSA_SA_iPKfiiiPfSD_PS3_PT2_iSC_SC_:
	.asciz	"void paged_attention_ll4mi_QKV_mfma16_kernel(const scalar_t *__restrict, const cache_t *__restrict, const cache_t *__restrict, const int, const float, const int *__restrict, const int *__restrict, const int *__restrict, const int, const float *__restrict, const int, const int, const int, float *__restrict, float *__restrict, scalar_t *__restrict, OUTT *__restrict, int, const float *, const float *) [scalar_t = __hip_bfloat16, cache_t = __hip_bfloat16, KV_DTYPE = vllm::Fp8KVCacheDataType::kAuto, OUTT = unsigned char, BLOCK_SIZE = 32, HEAD_SIZE = 64, NUM_THREADS = 256, ALIBI_ENABLED = false, GQA_RATIO = 1]"
	.size	__PRETTY_FUNCTION__._Z39paged_attention_ll4mi_QKV_mfma16_kernelI14__hip_bfloat16S0_LN4vllm18Fp8KVCacheDataTypeE0EhLi32ELi64ELi256ELb0ELi1EEvPKT_PKT0_S8_ifPKiSA_SA_iPKfiiiPfSD_PS3_PT2_iSC_SC_, 612

	.type	__PRETTY_FUNCTION__._Z39paged_attention_ll4mi_QKV_mfma16_kernelI14__hip_bfloat16S0_LN4vllm18Fp8KVCacheDataTypeE0EhLi32ELi64ELi256ELb0ELi2EEvPKT_PKT0_S8_ifPKiSA_SA_iPKfiiiPfSD_PS3_PT2_iSC_SC_,@object ; @__PRETTY_FUNCTION__._Z39paged_attention_ll4mi_QKV_mfma16_kernelI14__hip_bfloat16S0_LN4vllm18Fp8KVCacheDataTypeE0EhLi32ELi64ELi256ELb0ELi2EEvPKT_PKT0_S8_ifPKiSA_SA_iPKfiiiPfSD_PS3_PT2_iSC_SC_
__PRETTY_FUNCTION__._Z39paged_attention_ll4mi_QKV_mfma16_kernelI14__hip_bfloat16S0_LN4vllm18Fp8KVCacheDataTypeE0EhLi32ELi64ELi256ELb0ELi2EEvPKT_PKT0_S8_ifPKiSA_SA_iPKfiiiPfSD_PS3_PT2_iSC_SC_:
	.asciz	"void paged_attention_ll4mi_QKV_mfma16_kernel(const scalar_t *__restrict, const cache_t *__restrict, const cache_t *__restrict, const int, const float, const int *__restrict, const int *__restrict, const int *__restrict, const int, const float *__restrict, const int, const int, const int, float *__restrict, float *__restrict, scalar_t *__restrict, OUTT *__restrict, int, const float *, const float *) [scalar_t = __hip_bfloat16, cache_t = __hip_bfloat16, KV_DTYPE = vllm::Fp8KVCacheDataType::kAuto, OUTT = unsigned char, BLOCK_SIZE = 32, HEAD_SIZE = 64, NUM_THREADS = 256, ALIBI_ENABLED = false, GQA_RATIO = 2]"
	.size	__PRETTY_FUNCTION__._Z39paged_attention_ll4mi_QKV_mfma16_kernelI14__hip_bfloat16S0_LN4vllm18Fp8KVCacheDataTypeE0EhLi32ELi64ELi256ELb0ELi2EEvPKT_PKT0_S8_ifPKiSA_SA_iPKfiiiPfSD_PS3_PT2_iSC_SC_, 612

	.type	__PRETTY_FUNCTION__._Z39paged_attention_ll4mi_QKV_mfma16_kernelI14__hip_bfloat16S0_LN4vllm18Fp8KVCacheDataTypeE0EhLi32ELi64ELi256ELb0ELi3EEvPKT_PKT0_S8_ifPKiSA_SA_iPKfiiiPfSD_PS3_PT2_iSC_SC_,@object ; @__PRETTY_FUNCTION__._Z39paged_attention_ll4mi_QKV_mfma16_kernelI14__hip_bfloat16S0_LN4vllm18Fp8KVCacheDataTypeE0EhLi32ELi64ELi256ELb0ELi3EEvPKT_PKT0_S8_ifPKiSA_SA_iPKfiiiPfSD_PS3_PT2_iSC_SC_
__PRETTY_FUNCTION__._Z39paged_attention_ll4mi_QKV_mfma16_kernelI14__hip_bfloat16S0_LN4vllm18Fp8KVCacheDataTypeE0EhLi32ELi64ELi256ELb0ELi3EEvPKT_PKT0_S8_ifPKiSA_SA_iPKfiiiPfSD_PS3_PT2_iSC_SC_:
	.asciz	"void paged_attention_ll4mi_QKV_mfma16_kernel(const scalar_t *__restrict, const cache_t *__restrict, const cache_t *__restrict, const int, const float, const int *__restrict, const int *__restrict, const int *__restrict, const int, const float *__restrict, const int, const int, const int, float *__restrict, float *__restrict, scalar_t *__restrict, OUTT *__restrict, int, const float *, const float *) [scalar_t = __hip_bfloat16, cache_t = __hip_bfloat16, KV_DTYPE = vllm::Fp8KVCacheDataType::kAuto, OUTT = unsigned char, BLOCK_SIZE = 32, HEAD_SIZE = 64, NUM_THREADS = 256, ALIBI_ENABLED = false, GQA_RATIO = 3]"
	.size	__PRETTY_FUNCTION__._Z39paged_attention_ll4mi_QKV_mfma16_kernelI14__hip_bfloat16S0_LN4vllm18Fp8KVCacheDataTypeE0EhLi32ELi64ELi256ELb0ELi3EEvPKT_PKT0_S8_ifPKiSA_SA_iPKfiiiPfSD_PS3_PT2_iSC_SC_, 612

	.type	__PRETTY_FUNCTION__._Z39paged_attention_ll4mi_QKV_mfma16_kernelI14__hip_bfloat16S0_LN4vllm18Fp8KVCacheDataTypeE0EhLi32ELi64ELi256ELb0ELi4EEvPKT_PKT0_S8_ifPKiSA_SA_iPKfiiiPfSD_PS3_PT2_iSC_SC_,@object ; @__PRETTY_FUNCTION__._Z39paged_attention_ll4mi_QKV_mfma16_kernelI14__hip_bfloat16S0_LN4vllm18Fp8KVCacheDataTypeE0EhLi32ELi64ELi256ELb0ELi4EEvPKT_PKT0_S8_ifPKiSA_SA_iPKfiiiPfSD_PS3_PT2_iSC_SC_
__PRETTY_FUNCTION__._Z39paged_attention_ll4mi_QKV_mfma16_kernelI14__hip_bfloat16S0_LN4vllm18Fp8KVCacheDataTypeE0EhLi32ELi64ELi256ELb0ELi4EEvPKT_PKT0_S8_ifPKiSA_SA_iPKfiiiPfSD_PS3_PT2_iSC_SC_:
	.asciz	"void paged_attention_ll4mi_QKV_mfma16_kernel(const scalar_t *__restrict, const cache_t *__restrict, const cache_t *__restrict, const int, const float, const int *__restrict, const int *__restrict, const int *__restrict, const int, const float *__restrict, const int, const int, const int, float *__restrict, float *__restrict, scalar_t *__restrict, OUTT *__restrict, int, const float *, const float *) [scalar_t = __hip_bfloat16, cache_t = __hip_bfloat16, KV_DTYPE = vllm::Fp8KVCacheDataType::kAuto, OUTT = unsigned char, BLOCK_SIZE = 32, HEAD_SIZE = 64, NUM_THREADS = 256, ALIBI_ENABLED = false, GQA_RATIO = 4]"
	.size	__PRETTY_FUNCTION__._Z39paged_attention_ll4mi_QKV_mfma16_kernelI14__hip_bfloat16S0_LN4vllm18Fp8KVCacheDataTypeE0EhLi32ELi64ELi256ELb0ELi4EEvPKT_PKT0_S8_ifPKiSA_SA_iPKfiiiPfSD_PS3_PT2_iSC_SC_, 612

	.type	__PRETTY_FUNCTION__._Z38paged_attention_ll4mi_QKV_mfma4_kernelI14__hip_bfloat16S0_LN4vllm18Fp8KVCacheDataTypeE0ES0_Li32ELi64ELi256ELb1ELi1EEvPKT_PKT0_S8_ifPKiSA_SA_iPKfiiiPfSD_PS3_PT2_iSC_SC_,@object ; @__PRETTY_FUNCTION__._Z38paged_attention_ll4mi_QKV_mfma4_kernelI14__hip_bfloat16S0_LN4vllm18Fp8KVCacheDataTypeE0ES0_Li32ELi64ELi256ELb1ELi1EEvPKT_PKT0_S8_ifPKiSA_SA_iPKfiiiPfSD_PS3_PT2_iSC_SC_
__PRETTY_FUNCTION__._Z38paged_attention_ll4mi_QKV_mfma4_kernelI14__hip_bfloat16S0_LN4vllm18Fp8KVCacheDataTypeE0ES0_Li32ELi64ELi256ELb1ELi1EEvPKT_PKT0_S8_ifPKiSA_SA_iPKfiiiPfSD_PS3_PT2_iSC_SC_:
	.asciz	"void paged_attention_ll4mi_QKV_mfma4_kernel(const scalar_t *__restrict, const cache_t *__restrict, const cache_t *__restrict, const int, const float, const int *__restrict, const int *__restrict, const int *__restrict, const int, const float *__restrict, const int, const int, const int, float *__restrict, float *__restrict, scalar_t *__restrict, OUTT *__restrict, int, const float *, const float *) [scalar_t = __hip_bfloat16, cache_t = __hip_bfloat16, KV_DTYPE = vllm::Fp8KVCacheDataType::kAuto, OUTT = __hip_bfloat16, BLOCK_SIZE = 32, HEAD_SIZE = 64, NUM_THREADS = 256, ALIBI_ENABLED = true, GQA_RATIO = 1]"
	.size	__PRETTY_FUNCTION__._Z38paged_attention_ll4mi_QKV_mfma4_kernelI14__hip_bfloat16S0_LN4vllm18Fp8KVCacheDataTypeE0ES0_Li32ELi64ELi256ELb1ELi1EEvPKT_PKT0_S8_ifPKiSA_SA_iPKfiiiPfSD_PS3_PT2_iSC_SC_, 611

	.type	__PRETTY_FUNCTION__._Z38paged_attention_ll4mi_QKV_mfma4_kernelI14__hip_bfloat16S0_LN4vllm18Fp8KVCacheDataTypeE0ES0_Li32ELi64ELi256ELb1ELi2EEvPKT_PKT0_S8_ifPKiSA_SA_iPKfiiiPfSD_PS3_PT2_iSC_SC_,@object ; @__PRETTY_FUNCTION__._Z38paged_attention_ll4mi_QKV_mfma4_kernelI14__hip_bfloat16S0_LN4vllm18Fp8KVCacheDataTypeE0ES0_Li32ELi64ELi256ELb1ELi2EEvPKT_PKT0_S8_ifPKiSA_SA_iPKfiiiPfSD_PS3_PT2_iSC_SC_
__PRETTY_FUNCTION__._Z38paged_attention_ll4mi_QKV_mfma4_kernelI14__hip_bfloat16S0_LN4vllm18Fp8KVCacheDataTypeE0ES0_Li32ELi64ELi256ELb1ELi2EEvPKT_PKT0_S8_ifPKiSA_SA_iPKfiiiPfSD_PS3_PT2_iSC_SC_:
	.asciz	"void paged_attention_ll4mi_QKV_mfma4_kernel(const scalar_t *__restrict, const cache_t *__restrict, const cache_t *__restrict, const int, const float, const int *__restrict, const int *__restrict, const int *__restrict, const int, const float *__restrict, const int, const int, const int, float *__restrict, float *__restrict, scalar_t *__restrict, OUTT *__restrict, int, const float *, const float *) [scalar_t = __hip_bfloat16, cache_t = __hip_bfloat16, KV_DTYPE = vllm::Fp8KVCacheDataType::kAuto, OUTT = __hip_bfloat16, BLOCK_SIZE = 32, HEAD_SIZE = 64, NUM_THREADS = 256, ALIBI_ENABLED = true, GQA_RATIO = 2]"
	.size	__PRETTY_FUNCTION__._Z38paged_attention_ll4mi_QKV_mfma4_kernelI14__hip_bfloat16S0_LN4vllm18Fp8KVCacheDataTypeE0ES0_Li32ELi64ELi256ELb1ELi2EEvPKT_PKT0_S8_ifPKiSA_SA_iPKfiiiPfSD_PS3_PT2_iSC_SC_, 611

	.type	__PRETTY_FUNCTION__._Z38paged_attention_ll4mi_QKV_mfma4_kernelI14__hip_bfloat16S0_LN4vllm18Fp8KVCacheDataTypeE0ES0_Li32ELi64ELi256ELb1ELi3EEvPKT_PKT0_S8_ifPKiSA_SA_iPKfiiiPfSD_PS3_PT2_iSC_SC_,@object ; @__PRETTY_FUNCTION__._Z38paged_attention_ll4mi_QKV_mfma4_kernelI14__hip_bfloat16S0_LN4vllm18Fp8KVCacheDataTypeE0ES0_Li32ELi64ELi256ELb1ELi3EEvPKT_PKT0_S8_ifPKiSA_SA_iPKfiiiPfSD_PS3_PT2_iSC_SC_
__PRETTY_FUNCTION__._Z38paged_attention_ll4mi_QKV_mfma4_kernelI14__hip_bfloat16S0_LN4vllm18Fp8KVCacheDataTypeE0ES0_Li32ELi64ELi256ELb1ELi3EEvPKT_PKT0_S8_ifPKiSA_SA_iPKfiiiPfSD_PS3_PT2_iSC_SC_:
	.asciz	"void paged_attention_ll4mi_QKV_mfma4_kernel(const scalar_t *__restrict, const cache_t *__restrict, const cache_t *__restrict, const int, const float, const int *__restrict, const int *__restrict, const int *__restrict, const int, const float *__restrict, const int, const int, const int, float *__restrict, float *__restrict, scalar_t *__restrict, OUTT *__restrict, int, const float *, const float *) [scalar_t = __hip_bfloat16, cache_t = __hip_bfloat16, KV_DTYPE = vllm::Fp8KVCacheDataType::kAuto, OUTT = __hip_bfloat16, BLOCK_SIZE = 32, HEAD_SIZE = 64, NUM_THREADS = 256, ALIBI_ENABLED = true, GQA_RATIO = 3]"
	.size	__PRETTY_FUNCTION__._Z38paged_attention_ll4mi_QKV_mfma4_kernelI14__hip_bfloat16S0_LN4vllm18Fp8KVCacheDataTypeE0ES0_Li32ELi64ELi256ELb1ELi3EEvPKT_PKT0_S8_ifPKiSA_SA_iPKfiiiPfSD_PS3_PT2_iSC_SC_, 611

	.type	__PRETTY_FUNCTION__._Z38paged_attention_ll4mi_QKV_mfma4_kernelI14__hip_bfloat16S0_LN4vllm18Fp8KVCacheDataTypeE0ES0_Li32ELi64ELi256ELb1ELi4EEvPKT_PKT0_S8_ifPKiSA_SA_iPKfiiiPfSD_PS3_PT2_iSC_SC_,@object ; @__PRETTY_FUNCTION__._Z38paged_attention_ll4mi_QKV_mfma4_kernelI14__hip_bfloat16S0_LN4vllm18Fp8KVCacheDataTypeE0ES0_Li32ELi64ELi256ELb1ELi4EEvPKT_PKT0_S8_ifPKiSA_SA_iPKfiiiPfSD_PS3_PT2_iSC_SC_
__PRETTY_FUNCTION__._Z38paged_attention_ll4mi_QKV_mfma4_kernelI14__hip_bfloat16S0_LN4vllm18Fp8KVCacheDataTypeE0ES0_Li32ELi64ELi256ELb1ELi4EEvPKT_PKT0_S8_ifPKiSA_SA_iPKfiiiPfSD_PS3_PT2_iSC_SC_:
	.asciz	"void paged_attention_ll4mi_QKV_mfma4_kernel(const scalar_t *__restrict, const cache_t *__restrict, const cache_t *__restrict, const int, const float, const int *__restrict, const int *__restrict, const int *__restrict, const int, const float *__restrict, const int, const int, const int, float *__restrict, float *__restrict, scalar_t *__restrict, OUTT *__restrict, int, const float *, const float *) [scalar_t = __hip_bfloat16, cache_t = __hip_bfloat16, KV_DTYPE = vllm::Fp8KVCacheDataType::kAuto, OUTT = __hip_bfloat16, BLOCK_SIZE = 32, HEAD_SIZE = 64, NUM_THREADS = 256, ALIBI_ENABLED = true, GQA_RATIO = 4]"
	.size	__PRETTY_FUNCTION__._Z38paged_attention_ll4mi_QKV_mfma4_kernelI14__hip_bfloat16S0_LN4vllm18Fp8KVCacheDataTypeE0ES0_Li32ELi64ELi256ELb1ELi4EEvPKT_PKT0_S8_ifPKiSA_SA_iPKfiiiPfSD_PS3_PT2_iSC_SC_, 611

	.type	__PRETTY_FUNCTION__._Z39paged_attention_ll4mi_QKV_mfma16_kernelI14__hip_bfloat16S0_LN4vllm18Fp8KVCacheDataTypeE0ES0_Li32ELi64ELi256ELb1ELi5EEvPKT_PKT0_S8_ifPKiSA_SA_iPKfiiiPfSD_PS3_PT2_iSC_SC_,@object ; @__PRETTY_FUNCTION__._Z39paged_attention_ll4mi_QKV_mfma16_kernelI14__hip_bfloat16S0_LN4vllm18Fp8KVCacheDataTypeE0ES0_Li32ELi64ELi256ELb1ELi5EEvPKT_PKT0_S8_ifPKiSA_SA_iPKfiiiPfSD_PS3_PT2_iSC_SC_
__PRETTY_FUNCTION__._Z39paged_attention_ll4mi_QKV_mfma16_kernelI14__hip_bfloat16S0_LN4vllm18Fp8KVCacheDataTypeE0ES0_Li32ELi64ELi256ELb1ELi5EEvPKT_PKT0_S8_ifPKiSA_SA_iPKfiiiPfSD_PS3_PT2_iSC_SC_:
	.asciz	"void paged_attention_ll4mi_QKV_mfma16_kernel(const scalar_t *__restrict, const cache_t *__restrict, const cache_t *__restrict, const int, const float, const int *__restrict, const int *__restrict, const int *__restrict, const int, const float *__restrict, const int, const int, const int, float *__restrict, float *__restrict, scalar_t *__restrict, OUTT *__restrict, int, const float *, const float *) [scalar_t = __hip_bfloat16, cache_t = __hip_bfloat16, KV_DTYPE = vllm::Fp8KVCacheDataType::kAuto, OUTT = __hip_bfloat16, BLOCK_SIZE = 32, HEAD_SIZE = 64, NUM_THREADS = 256, ALIBI_ENABLED = true, GQA_RATIO = 5]"
	.size	__PRETTY_FUNCTION__._Z39paged_attention_ll4mi_QKV_mfma16_kernelI14__hip_bfloat16S0_LN4vllm18Fp8KVCacheDataTypeE0ES0_Li32ELi64ELi256ELb1ELi5EEvPKT_PKT0_S8_ifPKiSA_SA_iPKfiiiPfSD_PS3_PT2_iSC_SC_, 612

	.type	__PRETTY_FUNCTION__._Z39paged_attention_ll4mi_QKV_mfma16_kernelI14__hip_bfloat16S0_LN4vllm18Fp8KVCacheDataTypeE0ES0_Li32ELi64ELi256ELb1ELi6EEvPKT_PKT0_S8_ifPKiSA_SA_iPKfiiiPfSD_PS3_PT2_iSC_SC_,@object ; @__PRETTY_FUNCTION__._Z39paged_attention_ll4mi_QKV_mfma16_kernelI14__hip_bfloat16S0_LN4vllm18Fp8KVCacheDataTypeE0ES0_Li32ELi64ELi256ELb1ELi6EEvPKT_PKT0_S8_ifPKiSA_SA_iPKfiiiPfSD_PS3_PT2_iSC_SC_
__PRETTY_FUNCTION__._Z39paged_attention_ll4mi_QKV_mfma16_kernelI14__hip_bfloat16S0_LN4vllm18Fp8KVCacheDataTypeE0ES0_Li32ELi64ELi256ELb1ELi6EEvPKT_PKT0_S8_ifPKiSA_SA_iPKfiiiPfSD_PS3_PT2_iSC_SC_:
	.asciz	"void paged_attention_ll4mi_QKV_mfma16_kernel(const scalar_t *__restrict, const cache_t *__restrict, const cache_t *__restrict, const int, const float, const int *__restrict, const int *__restrict, const int *__restrict, const int, const float *__restrict, const int, const int, const int, float *__restrict, float *__restrict, scalar_t *__restrict, OUTT *__restrict, int, const float *, const float *) [scalar_t = __hip_bfloat16, cache_t = __hip_bfloat16, KV_DTYPE = vllm::Fp8KVCacheDataType::kAuto, OUTT = __hip_bfloat16, BLOCK_SIZE = 32, HEAD_SIZE = 64, NUM_THREADS = 256, ALIBI_ENABLED = true, GQA_RATIO = 6]"
	.size	__PRETTY_FUNCTION__._Z39paged_attention_ll4mi_QKV_mfma16_kernelI14__hip_bfloat16S0_LN4vllm18Fp8KVCacheDataTypeE0ES0_Li32ELi64ELi256ELb1ELi6EEvPKT_PKT0_S8_ifPKiSA_SA_iPKfiiiPfSD_PS3_PT2_iSC_SC_, 612

	.type	__PRETTY_FUNCTION__._Z39paged_attention_ll4mi_QKV_mfma16_kernelI14__hip_bfloat16S0_LN4vllm18Fp8KVCacheDataTypeE0ES0_Li32ELi64ELi256ELb1ELi7EEvPKT_PKT0_S8_ifPKiSA_SA_iPKfiiiPfSD_PS3_PT2_iSC_SC_,@object ; @__PRETTY_FUNCTION__._Z39paged_attention_ll4mi_QKV_mfma16_kernelI14__hip_bfloat16S0_LN4vllm18Fp8KVCacheDataTypeE0ES0_Li32ELi64ELi256ELb1ELi7EEvPKT_PKT0_S8_ifPKiSA_SA_iPKfiiiPfSD_PS3_PT2_iSC_SC_
__PRETTY_FUNCTION__._Z39paged_attention_ll4mi_QKV_mfma16_kernelI14__hip_bfloat16S0_LN4vllm18Fp8KVCacheDataTypeE0ES0_Li32ELi64ELi256ELb1ELi7EEvPKT_PKT0_S8_ifPKiSA_SA_iPKfiiiPfSD_PS3_PT2_iSC_SC_:
	.asciz	"void paged_attention_ll4mi_QKV_mfma16_kernel(const scalar_t *__restrict, const cache_t *__restrict, const cache_t *__restrict, const int, const float, const int *__restrict, const int *__restrict, const int *__restrict, const int, const float *__restrict, const int, const int, const int, float *__restrict, float *__restrict, scalar_t *__restrict, OUTT *__restrict, int, const float *, const float *) [scalar_t = __hip_bfloat16, cache_t = __hip_bfloat16, KV_DTYPE = vllm::Fp8KVCacheDataType::kAuto, OUTT = __hip_bfloat16, BLOCK_SIZE = 32, HEAD_SIZE = 64, NUM_THREADS = 256, ALIBI_ENABLED = true, GQA_RATIO = 7]"
	.size	__PRETTY_FUNCTION__._Z39paged_attention_ll4mi_QKV_mfma16_kernelI14__hip_bfloat16S0_LN4vllm18Fp8KVCacheDataTypeE0ES0_Li32ELi64ELi256ELb1ELi7EEvPKT_PKT0_S8_ifPKiSA_SA_iPKfiiiPfSD_PS3_PT2_iSC_SC_, 612

	.type	__PRETTY_FUNCTION__._Z39paged_attention_ll4mi_QKV_mfma16_kernelI14__hip_bfloat16S0_LN4vllm18Fp8KVCacheDataTypeE0ES0_Li32ELi64ELi256ELb1ELi8EEvPKT_PKT0_S8_ifPKiSA_SA_iPKfiiiPfSD_PS3_PT2_iSC_SC_,@object ; @__PRETTY_FUNCTION__._Z39paged_attention_ll4mi_QKV_mfma16_kernelI14__hip_bfloat16S0_LN4vllm18Fp8KVCacheDataTypeE0ES0_Li32ELi64ELi256ELb1ELi8EEvPKT_PKT0_S8_ifPKiSA_SA_iPKfiiiPfSD_PS3_PT2_iSC_SC_
__PRETTY_FUNCTION__._Z39paged_attention_ll4mi_QKV_mfma16_kernelI14__hip_bfloat16S0_LN4vllm18Fp8KVCacheDataTypeE0ES0_Li32ELi64ELi256ELb1ELi8EEvPKT_PKT0_S8_ifPKiSA_SA_iPKfiiiPfSD_PS3_PT2_iSC_SC_:
	.asciz	"void paged_attention_ll4mi_QKV_mfma16_kernel(const scalar_t *__restrict, const cache_t *__restrict, const cache_t *__restrict, const int, const float, const int *__restrict, const int *__restrict, const int *__restrict, const int, const float *__restrict, const int, const int, const int, float *__restrict, float *__restrict, scalar_t *__restrict, OUTT *__restrict, int, const float *, const float *) [scalar_t = __hip_bfloat16, cache_t = __hip_bfloat16, KV_DTYPE = vllm::Fp8KVCacheDataType::kAuto, OUTT = __hip_bfloat16, BLOCK_SIZE = 32, HEAD_SIZE = 64, NUM_THREADS = 256, ALIBI_ENABLED = true, GQA_RATIO = 8]"
	.size	__PRETTY_FUNCTION__._Z39paged_attention_ll4mi_QKV_mfma16_kernelI14__hip_bfloat16S0_LN4vllm18Fp8KVCacheDataTypeE0ES0_Li32ELi64ELi256ELb1ELi8EEvPKT_PKT0_S8_ifPKiSA_SA_iPKfiiiPfSD_PS3_PT2_iSC_SC_, 612

	.type	__PRETTY_FUNCTION__._Z39paged_attention_ll4mi_QKV_mfma16_kernelI14__hip_bfloat16S0_LN4vllm18Fp8KVCacheDataTypeE0ES0_Li32ELi64ELi256ELb1ELi9EEvPKT_PKT0_S8_ifPKiSA_SA_iPKfiiiPfSD_PS3_PT2_iSC_SC_,@object ; @__PRETTY_FUNCTION__._Z39paged_attention_ll4mi_QKV_mfma16_kernelI14__hip_bfloat16S0_LN4vllm18Fp8KVCacheDataTypeE0ES0_Li32ELi64ELi256ELb1ELi9EEvPKT_PKT0_S8_ifPKiSA_SA_iPKfiiiPfSD_PS3_PT2_iSC_SC_
__PRETTY_FUNCTION__._Z39paged_attention_ll4mi_QKV_mfma16_kernelI14__hip_bfloat16S0_LN4vllm18Fp8KVCacheDataTypeE0ES0_Li32ELi64ELi256ELb1ELi9EEvPKT_PKT0_S8_ifPKiSA_SA_iPKfiiiPfSD_PS3_PT2_iSC_SC_:
	.asciz	"void paged_attention_ll4mi_QKV_mfma16_kernel(const scalar_t *__restrict, const cache_t *__restrict, const cache_t *__restrict, const int, const float, const int *__restrict, const int *__restrict, const int *__restrict, const int, const float *__restrict, const int, const int, const int, float *__restrict, float *__restrict, scalar_t *__restrict, OUTT *__restrict, int, const float *, const float *) [scalar_t = __hip_bfloat16, cache_t = __hip_bfloat16, KV_DTYPE = vllm::Fp8KVCacheDataType::kAuto, OUTT = __hip_bfloat16, BLOCK_SIZE = 32, HEAD_SIZE = 64, NUM_THREADS = 256, ALIBI_ENABLED = true, GQA_RATIO = 9]"
	.size	__PRETTY_FUNCTION__._Z39paged_attention_ll4mi_QKV_mfma16_kernelI14__hip_bfloat16S0_LN4vllm18Fp8KVCacheDataTypeE0ES0_Li32ELi64ELi256ELb1ELi9EEvPKT_PKT0_S8_ifPKiSA_SA_iPKfiiiPfSD_PS3_PT2_iSC_SC_, 612

	.type	__PRETTY_FUNCTION__._Z39paged_attention_ll4mi_QKV_mfma16_kernelI14__hip_bfloat16S0_LN4vllm18Fp8KVCacheDataTypeE0ES0_Li32ELi64ELi256ELb1ELi10EEvPKT_PKT0_S8_ifPKiSA_SA_iPKfiiiPfSD_PS3_PT2_iSC_SC_,@object ; @__PRETTY_FUNCTION__._Z39paged_attention_ll4mi_QKV_mfma16_kernelI14__hip_bfloat16S0_LN4vllm18Fp8KVCacheDataTypeE0ES0_Li32ELi64ELi256ELb1ELi10EEvPKT_PKT0_S8_ifPKiSA_SA_iPKfiiiPfSD_PS3_PT2_iSC_SC_
__PRETTY_FUNCTION__._Z39paged_attention_ll4mi_QKV_mfma16_kernelI14__hip_bfloat16S0_LN4vllm18Fp8KVCacheDataTypeE0ES0_Li32ELi64ELi256ELb1ELi10EEvPKT_PKT0_S8_ifPKiSA_SA_iPKfiiiPfSD_PS3_PT2_iSC_SC_:
	.asciz	"void paged_attention_ll4mi_QKV_mfma16_kernel(const scalar_t *__restrict, const cache_t *__restrict, const cache_t *__restrict, const int, const float, const int *__restrict, const int *__restrict, const int *__restrict, const int, const float *__restrict, const int, const int, const int, float *__restrict, float *__restrict, scalar_t *__restrict, OUTT *__restrict, int, const float *, const float *) [scalar_t = __hip_bfloat16, cache_t = __hip_bfloat16, KV_DTYPE = vllm::Fp8KVCacheDataType::kAuto, OUTT = __hip_bfloat16, BLOCK_SIZE = 32, HEAD_SIZE = 64, NUM_THREADS = 256, ALIBI_ENABLED = true, GQA_RATIO = 10]"
	.size	__PRETTY_FUNCTION__._Z39paged_attention_ll4mi_QKV_mfma16_kernelI14__hip_bfloat16S0_LN4vllm18Fp8KVCacheDataTypeE0ES0_Li32ELi64ELi256ELb1ELi10EEvPKT_PKT0_S8_ifPKiSA_SA_iPKfiiiPfSD_PS3_PT2_iSC_SC_, 613

	.type	__PRETTY_FUNCTION__._Z39paged_attention_ll4mi_QKV_mfma16_kernelI14__hip_bfloat16S0_LN4vllm18Fp8KVCacheDataTypeE0ES0_Li32ELi64ELi256ELb1ELi11EEvPKT_PKT0_S8_ifPKiSA_SA_iPKfiiiPfSD_PS3_PT2_iSC_SC_,@object ; @__PRETTY_FUNCTION__._Z39paged_attention_ll4mi_QKV_mfma16_kernelI14__hip_bfloat16S0_LN4vllm18Fp8KVCacheDataTypeE0ES0_Li32ELi64ELi256ELb1ELi11EEvPKT_PKT0_S8_ifPKiSA_SA_iPKfiiiPfSD_PS3_PT2_iSC_SC_
__PRETTY_FUNCTION__._Z39paged_attention_ll4mi_QKV_mfma16_kernelI14__hip_bfloat16S0_LN4vllm18Fp8KVCacheDataTypeE0ES0_Li32ELi64ELi256ELb1ELi11EEvPKT_PKT0_S8_ifPKiSA_SA_iPKfiiiPfSD_PS3_PT2_iSC_SC_:
	.asciz	"void paged_attention_ll4mi_QKV_mfma16_kernel(const scalar_t *__restrict, const cache_t *__restrict, const cache_t *__restrict, const int, const float, const int *__restrict, const int *__restrict, const int *__restrict, const int, const float *__restrict, const int, const int, const int, float *__restrict, float *__restrict, scalar_t *__restrict, OUTT *__restrict, int, const float *, const float *) [scalar_t = __hip_bfloat16, cache_t = __hip_bfloat16, KV_DTYPE = vllm::Fp8KVCacheDataType::kAuto, OUTT = __hip_bfloat16, BLOCK_SIZE = 32, HEAD_SIZE = 64, NUM_THREADS = 256, ALIBI_ENABLED = true, GQA_RATIO = 11]"
	.size	__PRETTY_FUNCTION__._Z39paged_attention_ll4mi_QKV_mfma16_kernelI14__hip_bfloat16S0_LN4vllm18Fp8KVCacheDataTypeE0ES0_Li32ELi64ELi256ELb1ELi11EEvPKT_PKT0_S8_ifPKiSA_SA_iPKfiiiPfSD_PS3_PT2_iSC_SC_, 613

	.type	__PRETTY_FUNCTION__._Z39paged_attention_ll4mi_QKV_mfma16_kernelI14__hip_bfloat16S0_LN4vllm18Fp8KVCacheDataTypeE0ES0_Li32ELi64ELi256ELb1ELi12EEvPKT_PKT0_S8_ifPKiSA_SA_iPKfiiiPfSD_PS3_PT2_iSC_SC_,@object ; @__PRETTY_FUNCTION__._Z39paged_attention_ll4mi_QKV_mfma16_kernelI14__hip_bfloat16S0_LN4vllm18Fp8KVCacheDataTypeE0ES0_Li32ELi64ELi256ELb1ELi12EEvPKT_PKT0_S8_ifPKiSA_SA_iPKfiiiPfSD_PS3_PT2_iSC_SC_
__PRETTY_FUNCTION__._Z39paged_attention_ll4mi_QKV_mfma16_kernelI14__hip_bfloat16S0_LN4vllm18Fp8KVCacheDataTypeE0ES0_Li32ELi64ELi256ELb1ELi12EEvPKT_PKT0_S8_ifPKiSA_SA_iPKfiiiPfSD_PS3_PT2_iSC_SC_:
	.asciz	"void paged_attention_ll4mi_QKV_mfma16_kernel(const scalar_t *__restrict, const cache_t *__restrict, const cache_t *__restrict, const int, const float, const int *__restrict, const int *__restrict, const int *__restrict, const int, const float *__restrict, const int, const int, const int, float *__restrict, float *__restrict, scalar_t *__restrict, OUTT *__restrict, int, const float *, const float *) [scalar_t = __hip_bfloat16, cache_t = __hip_bfloat16, KV_DTYPE = vllm::Fp8KVCacheDataType::kAuto, OUTT = __hip_bfloat16, BLOCK_SIZE = 32, HEAD_SIZE = 64, NUM_THREADS = 256, ALIBI_ENABLED = true, GQA_RATIO = 12]"
	.size	__PRETTY_FUNCTION__._Z39paged_attention_ll4mi_QKV_mfma16_kernelI14__hip_bfloat16S0_LN4vllm18Fp8KVCacheDataTypeE0ES0_Li32ELi64ELi256ELb1ELi12EEvPKT_PKT0_S8_ifPKiSA_SA_iPKfiiiPfSD_PS3_PT2_iSC_SC_, 613

	.type	__PRETTY_FUNCTION__._Z39paged_attention_ll4mi_QKV_mfma16_kernelI14__hip_bfloat16S0_LN4vllm18Fp8KVCacheDataTypeE0ES0_Li32ELi64ELi256ELb1ELi13EEvPKT_PKT0_S8_ifPKiSA_SA_iPKfiiiPfSD_PS3_PT2_iSC_SC_,@object ; @__PRETTY_FUNCTION__._Z39paged_attention_ll4mi_QKV_mfma16_kernelI14__hip_bfloat16S0_LN4vllm18Fp8KVCacheDataTypeE0ES0_Li32ELi64ELi256ELb1ELi13EEvPKT_PKT0_S8_ifPKiSA_SA_iPKfiiiPfSD_PS3_PT2_iSC_SC_
__PRETTY_FUNCTION__._Z39paged_attention_ll4mi_QKV_mfma16_kernelI14__hip_bfloat16S0_LN4vllm18Fp8KVCacheDataTypeE0ES0_Li32ELi64ELi256ELb1ELi13EEvPKT_PKT0_S8_ifPKiSA_SA_iPKfiiiPfSD_PS3_PT2_iSC_SC_:
	.asciz	"void paged_attention_ll4mi_QKV_mfma16_kernel(const scalar_t *__restrict, const cache_t *__restrict, const cache_t *__restrict, const int, const float, const int *__restrict, const int *__restrict, const int *__restrict, const int, const float *__restrict, const int, const int, const int, float *__restrict, float *__restrict, scalar_t *__restrict, OUTT *__restrict, int, const float *, const float *) [scalar_t = __hip_bfloat16, cache_t = __hip_bfloat16, KV_DTYPE = vllm::Fp8KVCacheDataType::kAuto, OUTT = __hip_bfloat16, BLOCK_SIZE = 32, HEAD_SIZE = 64, NUM_THREADS = 256, ALIBI_ENABLED = true, GQA_RATIO = 13]"
	.size	__PRETTY_FUNCTION__._Z39paged_attention_ll4mi_QKV_mfma16_kernelI14__hip_bfloat16S0_LN4vllm18Fp8KVCacheDataTypeE0ES0_Li32ELi64ELi256ELb1ELi13EEvPKT_PKT0_S8_ifPKiSA_SA_iPKfiiiPfSD_PS3_PT2_iSC_SC_, 613

	.type	__PRETTY_FUNCTION__._Z39paged_attention_ll4mi_QKV_mfma16_kernelI14__hip_bfloat16S0_LN4vllm18Fp8KVCacheDataTypeE0ES0_Li32ELi64ELi256ELb1ELi14EEvPKT_PKT0_S8_ifPKiSA_SA_iPKfiiiPfSD_PS3_PT2_iSC_SC_,@object ; @__PRETTY_FUNCTION__._Z39paged_attention_ll4mi_QKV_mfma16_kernelI14__hip_bfloat16S0_LN4vllm18Fp8KVCacheDataTypeE0ES0_Li32ELi64ELi256ELb1ELi14EEvPKT_PKT0_S8_ifPKiSA_SA_iPKfiiiPfSD_PS3_PT2_iSC_SC_
__PRETTY_FUNCTION__._Z39paged_attention_ll4mi_QKV_mfma16_kernelI14__hip_bfloat16S0_LN4vllm18Fp8KVCacheDataTypeE0ES0_Li32ELi64ELi256ELb1ELi14EEvPKT_PKT0_S8_ifPKiSA_SA_iPKfiiiPfSD_PS3_PT2_iSC_SC_:
	.asciz	"void paged_attention_ll4mi_QKV_mfma16_kernel(const scalar_t *__restrict, const cache_t *__restrict, const cache_t *__restrict, const int, const float, const int *__restrict, const int *__restrict, const int *__restrict, const int, const float *__restrict, const int, const int, const int, float *__restrict, float *__restrict, scalar_t *__restrict, OUTT *__restrict, int, const float *, const float *) [scalar_t = __hip_bfloat16, cache_t = __hip_bfloat16, KV_DTYPE = vllm::Fp8KVCacheDataType::kAuto, OUTT = __hip_bfloat16, BLOCK_SIZE = 32, HEAD_SIZE = 64, NUM_THREADS = 256, ALIBI_ENABLED = true, GQA_RATIO = 14]"
	.size	__PRETTY_FUNCTION__._Z39paged_attention_ll4mi_QKV_mfma16_kernelI14__hip_bfloat16S0_LN4vllm18Fp8KVCacheDataTypeE0ES0_Li32ELi64ELi256ELb1ELi14EEvPKT_PKT0_S8_ifPKiSA_SA_iPKfiiiPfSD_PS3_PT2_iSC_SC_, 613

	.type	__PRETTY_FUNCTION__._Z39paged_attention_ll4mi_QKV_mfma16_kernelI14__hip_bfloat16S0_LN4vllm18Fp8KVCacheDataTypeE0ES0_Li32ELi64ELi256ELb1ELi15EEvPKT_PKT0_S8_ifPKiSA_SA_iPKfiiiPfSD_PS3_PT2_iSC_SC_,@object ; @__PRETTY_FUNCTION__._Z39paged_attention_ll4mi_QKV_mfma16_kernelI14__hip_bfloat16S0_LN4vllm18Fp8KVCacheDataTypeE0ES0_Li32ELi64ELi256ELb1ELi15EEvPKT_PKT0_S8_ifPKiSA_SA_iPKfiiiPfSD_PS3_PT2_iSC_SC_
__PRETTY_FUNCTION__._Z39paged_attention_ll4mi_QKV_mfma16_kernelI14__hip_bfloat16S0_LN4vllm18Fp8KVCacheDataTypeE0ES0_Li32ELi64ELi256ELb1ELi15EEvPKT_PKT0_S8_ifPKiSA_SA_iPKfiiiPfSD_PS3_PT2_iSC_SC_:
	.asciz	"void paged_attention_ll4mi_QKV_mfma16_kernel(const scalar_t *__restrict, const cache_t *__restrict, const cache_t *__restrict, const int, const float, const int *__restrict, const int *__restrict, const int *__restrict, const int, const float *__restrict, const int, const int, const int, float *__restrict, float *__restrict, scalar_t *__restrict, OUTT *__restrict, int, const float *, const float *) [scalar_t = __hip_bfloat16, cache_t = __hip_bfloat16, KV_DTYPE = vllm::Fp8KVCacheDataType::kAuto, OUTT = __hip_bfloat16, BLOCK_SIZE = 32, HEAD_SIZE = 64, NUM_THREADS = 256, ALIBI_ENABLED = true, GQA_RATIO = 15]"
	.size	__PRETTY_FUNCTION__._Z39paged_attention_ll4mi_QKV_mfma16_kernelI14__hip_bfloat16S0_LN4vllm18Fp8KVCacheDataTypeE0ES0_Li32ELi64ELi256ELb1ELi15EEvPKT_PKT0_S8_ifPKiSA_SA_iPKfiiiPfSD_PS3_PT2_iSC_SC_, 613

	.type	__PRETTY_FUNCTION__._Z39paged_attention_ll4mi_QKV_mfma16_kernelI14__hip_bfloat16S0_LN4vllm18Fp8KVCacheDataTypeE0ES0_Li32ELi64ELi256ELb1ELi16EEvPKT_PKT0_S8_ifPKiSA_SA_iPKfiiiPfSD_PS3_PT2_iSC_SC_,@object ; @__PRETTY_FUNCTION__._Z39paged_attention_ll4mi_QKV_mfma16_kernelI14__hip_bfloat16S0_LN4vllm18Fp8KVCacheDataTypeE0ES0_Li32ELi64ELi256ELb1ELi16EEvPKT_PKT0_S8_ifPKiSA_SA_iPKfiiiPfSD_PS3_PT2_iSC_SC_
__PRETTY_FUNCTION__._Z39paged_attention_ll4mi_QKV_mfma16_kernelI14__hip_bfloat16S0_LN4vllm18Fp8KVCacheDataTypeE0ES0_Li32ELi64ELi256ELb1ELi16EEvPKT_PKT0_S8_ifPKiSA_SA_iPKfiiiPfSD_PS3_PT2_iSC_SC_:
	.asciz	"void paged_attention_ll4mi_QKV_mfma16_kernel(const scalar_t *__restrict, const cache_t *__restrict, const cache_t *__restrict, const int, const float, const int *__restrict, const int *__restrict, const int *__restrict, const int, const float *__restrict, const int, const int, const int, float *__restrict, float *__restrict, scalar_t *__restrict, OUTT *__restrict, int, const float *, const float *) [scalar_t = __hip_bfloat16, cache_t = __hip_bfloat16, KV_DTYPE = vllm::Fp8KVCacheDataType::kAuto, OUTT = __hip_bfloat16, BLOCK_SIZE = 32, HEAD_SIZE = 64, NUM_THREADS = 256, ALIBI_ENABLED = true, GQA_RATIO = 16]"
	.size	__PRETTY_FUNCTION__._Z39paged_attention_ll4mi_QKV_mfma16_kernelI14__hip_bfloat16S0_LN4vllm18Fp8KVCacheDataTypeE0ES0_Li32ELi64ELi256ELb1ELi16EEvPKT_PKT0_S8_ifPKiSA_SA_iPKfiiiPfSD_PS3_PT2_iSC_SC_, 613

	.type	__PRETTY_FUNCTION__._Z39paged_attention_ll4mi_QKV_mfma16_kernelI14__hip_bfloat16S0_LN4vllm18Fp8KVCacheDataTypeE0ES0_Li32ELi64ELi256ELb1ELi1EEvPKT_PKT0_S8_ifPKiSA_SA_iPKfiiiPfSD_PS3_PT2_iSC_SC_,@object ; @__PRETTY_FUNCTION__._Z39paged_attention_ll4mi_QKV_mfma16_kernelI14__hip_bfloat16S0_LN4vllm18Fp8KVCacheDataTypeE0ES0_Li32ELi64ELi256ELb1ELi1EEvPKT_PKT0_S8_ifPKiSA_SA_iPKfiiiPfSD_PS3_PT2_iSC_SC_
__PRETTY_FUNCTION__._Z39paged_attention_ll4mi_QKV_mfma16_kernelI14__hip_bfloat16S0_LN4vllm18Fp8KVCacheDataTypeE0ES0_Li32ELi64ELi256ELb1ELi1EEvPKT_PKT0_S8_ifPKiSA_SA_iPKfiiiPfSD_PS3_PT2_iSC_SC_:
	.asciz	"void paged_attention_ll4mi_QKV_mfma16_kernel(const scalar_t *__restrict, const cache_t *__restrict, const cache_t *__restrict, const int, const float, const int *__restrict, const int *__restrict, const int *__restrict, const int, const float *__restrict, const int, const int, const int, float *__restrict, float *__restrict, scalar_t *__restrict, OUTT *__restrict, int, const float *, const float *) [scalar_t = __hip_bfloat16, cache_t = __hip_bfloat16, KV_DTYPE = vllm::Fp8KVCacheDataType::kAuto, OUTT = __hip_bfloat16, BLOCK_SIZE = 32, HEAD_SIZE = 64, NUM_THREADS = 256, ALIBI_ENABLED = true, GQA_RATIO = 1]"
	.size	__PRETTY_FUNCTION__._Z39paged_attention_ll4mi_QKV_mfma16_kernelI14__hip_bfloat16S0_LN4vllm18Fp8KVCacheDataTypeE0ES0_Li32ELi64ELi256ELb1ELi1EEvPKT_PKT0_S8_ifPKiSA_SA_iPKfiiiPfSD_PS3_PT2_iSC_SC_, 612

	.type	__PRETTY_FUNCTION__._Z39paged_attention_ll4mi_QKV_mfma16_kernelI14__hip_bfloat16S0_LN4vllm18Fp8KVCacheDataTypeE0ES0_Li32ELi64ELi256ELb1ELi2EEvPKT_PKT0_S8_ifPKiSA_SA_iPKfiiiPfSD_PS3_PT2_iSC_SC_,@object ; @__PRETTY_FUNCTION__._Z39paged_attention_ll4mi_QKV_mfma16_kernelI14__hip_bfloat16S0_LN4vllm18Fp8KVCacheDataTypeE0ES0_Li32ELi64ELi256ELb1ELi2EEvPKT_PKT0_S8_ifPKiSA_SA_iPKfiiiPfSD_PS3_PT2_iSC_SC_
__PRETTY_FUNCTION__._Z39paged_attention_ll4mi_QKV_mfma16_kernelI14__hip_bfloat16S0_LN4vllm18Fp8KVCacheDataTypeE0ES0_Li32ELi64ELi256ELb1ELi2EEvPKT_PKT0_S8_ifPKiSA_SA_iPKfiiiPfSD_PS3_PT2_iSC_SC_:
	.asciz	"void paged_attention_ll4mi_QKV_mfma16_kernel(const scalar_t *__restrict, const cache_t *__restrict, const cache_t *__restrict, const int, const float, const int *__restrict, const int *__restrict, const int *__restrict, const int, const float *__restrict, const int, const int, const int, float *__restrict, float *__restrict, scalar_t *__restrict, OUTT *__restrict, int, const float *, const float *) [scalar_t = __hip_bfloat16, cache_t = __hip_bfloat16, KV_DTYPE = vllm::Fp8KVCacheDataType::kAuto, OUTT = __hip_bfloat16, BLOCK_SIZE = 32, HEAD_SIZE = 64, NUM_THREADS = 256, ALIBI_ENABLED = true, GQA_RATIO = 2]"
	.size	__PRETTY_FUNCTION__._Z39paged_attention_ll4mi_QKV_mfma16_kernelI14__hip_bfloat16S0_LN4vllm18Fp8KVCacheDataTypeE0ES0_Li32ELi64ELi256ELb1ELi2EEvPKT_PKT0_S8_ifPKiSA_SA_iPKfiiiPfSD_PS3_PT2_iSC_SC_, 612

	.type	__PRETTY_FUNCTION__._Z39paged_attention_ll4mi_QKV_mfma16_kernelI14__hip_bfloat16S0_LN4vllm18Fp8KVCacheDataTypeE0ES0_Li32ELi64ELi256ELb1ELi3EEvPKT_PKT0_S8_ifPKiSA_SA_iPKfiiiPfSD_PS3_PT2_iSC_SC_,@object ; @__PRETTY_FUNCTION__._Z39paged_attention_ll4mi_QKV_mfma16_kernelI14__hip_bfloat16S0_LN4vllm18Fp8KVCacheDataTypeE0ES0_Li32ELi64ELi256ELb1ELi3EEvPKT_PKT0_S8_ifPKiSA_SA_iPKfiiiPfSD_PS3_PT2_iSC_SC_
__PRETTY_FUNCTION__._Z39paged_attention_ll4mi_QKV_mfma16_kernelI14__hip_bfloat16S0_LN4vllm18Fp8KVCacheDataTypeE0ES0_Li32ELi64ELi256ELb1ELi3EEvPKT_PKT0_S8_ifPKiSA_SA_iPKfiiiPfSD_PS3_PT2_iSC_SC_:
	.asciz	"void paged_attention_ll4mi_QKV_mfma16_kernel(const scalar_t *__restrict, const cache_t *__restrict, const cache_t *__restrict, const int, const float, const int *__restrict, const int *__restrict, const int *__restrict, const int, const float *__restrict, const int, const int, const int, float *__restrict, float *__restrict, scalar_t *__restrict, OUTT *__restrict, int, const float *, const float *) [scalar_t = __hip_bfloat16, cache_t = __hip_bfloat16, KV_DTYPE = vllm::Fp8KVCacheDataType::kAuto, OUTT = __hip_bfloat16, BLOCK_SIZE = 32, HEAD_SIZE = 64, NUM_THREADS = 256, ALIBI_ENABLED = true, GQA_RATIO = 3]"
	.size	__PRETTY_FUNCTION__._Z39paged_attention_ll4mi_QKV_mfma16_kernelI14__hip_bfloat16S0_LN4vllm18Fp8KVCacheDataTypeE0ES0_Li32ELi64ELi256ELb1ELi3EEvPKT_PKT0_S8_ifPKiSA_SA_iPKfiiiPfSD_PS3_PT2_iSC_SC_, 612

	.type	__PRETTY_FUNCTION__._Z39paged_attention_ll4mi_QKV_mfma16_kernelI14__hip_bfloat16S0_LN4vllm18Fp8KVCacheDataTypeE0ES0_Li32ELi64ELi256ELb1ELi4EEvPKT_PKT0_S8_ifPKiSA_SA_iPKfiiiPfSD_PS3_PT2_iSC_SC_,@object ; @__PRETTY_FUNCTION__._Z39paged_attention_ll4mi_QKV_mfma16_kernelI14__hip_bfloat16S0_LN4vllm18Fp8KVCacheDataTypeE0ES0_Li32ELi64ELi256ELb1ELi4EEvPKT_PKT0_S8_ifPKiSA_SA_iPKfiiiPfSD_PS3_PT2_iSC_SC_
__PRETTY_FUNCTION__._Z39paged_attention_ll4mi_QKV_mfma16_kernelI14__hip_bfloat16S0_LN4vllm18Fp8KVCacheDataTypeE0ES0_Li32ELi64ELi256ELb1ELi4EEvPKT_PKT0_S8_ifPKiSA_SA_iPKfiiiPfSD_PS3_PT2_iSC_SC_:
	.asciz	"void paged_attention_ll4mi_QKV_mfma16_kernel(const scalar_t *__restrict, const cache_t *__restrict, const cache_t *__restrict, const int, const float, const int *__restrict, const int *__restrict, const int *__restrict, const int, const float *__restrict, const int, const int, const int, float *__restrict, float *__restrict, scalar_t *__restrict, OUTT *__restrict, int, const float *, const float *) [scalar_t = __hip_bfloat16, cache_t = __hip_bfloat16, KV_DTYPE = vllm::Fp8KVCacheDataType::kAuto, OUTT = __hip_bfloat16, BLOCK_SIZE = 32, HEAD_SIZE = 64, NUM_THREADS = 256, ALIBI_ENABLED = true, GQA_RATIO = 4]"
	.size	__PRETTY_FUNCTION__._Z39paged_attention_ll4mi_QKV_mfma16_kernelI14__hip_bfloat16S0_LN4vllm18Fp8KVCacheDataTypeE0ES0_Li32ELi64ELi256ELb1ELi4EEvPKT_PKT0_S8_ifPKiSA_SA_iPKfiiiPfSD_PS3_PT2_iSC_SC_, 612

	.type	__PRETTY_FUNCTION__._Z38paged_attention_ll4mi_QKV_mfma4_kernelI14__hip_bfloat16S0_LN4vllm18Fp8KVCacheDataTypeE0ES0_Li32ELi64ELi256ELb0ELi1EEvPKT_PKT0_S8_ifPKiSA_SA_iPKfiiiPfSD_PS3_PT2_iSC_SC_,@object ; @__PRETTY_FUNCTION__._Z38paged_attention_ll4mi_QKV_mfma4_kernelI14__hip_bfloat16S0_LN4vllm18Fp8KVCacheDataTypeE0ES0_Li32ELi64ELi256ELb0ELi1EEvPKT_PKT0_S8_ifPKiSA_SA_iPKfiiiPfSD_PS3_PT2_iSC_SC_
__PRETTY_FUNCTION__._Z38paged_attention_ll4mi_QKV_mfma4_kernelI14__hip_bfloat16S0_LN4vllm18Fp8KVCacheDataTypeE0ES0_Li32ELi64ELi256ELb0ELi1EEvPKT_PKT0_S8_ifPKiSA_SA_iPKfiiiPfSD_PS3_PT2_iSC_SC_:
	.asciz	"void paged_attention_ll4mi_QKV_mfma4_kernel(const scalar_t *__restrict, const cache_t *__restrict, const cache_t *__restrict, const int, const float, const int *__restrict, const int *__restrict, const int *__restrict, const int, const float *__restrict, const int, const int, const int, float *__restrict, float *__restrict, scalar_t *__restrict, OUTT *__restrict, int, const float *, const float *) [scalar_t = __hip_bfloat16, cache_t = __hip_bfloat16, KV_DTYPE = vllm::Fp8KVCacheDataType::kAuto, OUTT = __hip_bfloat16, BLOCK_SIZE = 32, HEAD_SIZE = 64, NUM_THREADS = 256, ALIBI_ENABLED = false, GQA_RATIO = 1]"
	.size	__PRETTY_FUNCTION__._Z38paged_attention_ll4mi_QKV_mfma4_kernelI14__hip_bfloat16S0_LN4vllm18Fp8KVCacheDataTypeE0ES0_Li32ELi64ELi256ELb0ELi1EEvPKT_PKT0_S8_ifPKiSA_SA_iPKfiiiPfSD_PS3_PT2_iSC_SC_, 612

	.type	__PRETTY_FUNCTION__._Z38paged_attention_ll4mi_QKV_mfma4_kernelI14__hip_bfloat16S0_LN4vllm18Fp8KVCacheDataTypeE0ES0_Li32ELi64ELi256ELb0ELi2EEvPKT_PKT0_S8_ifPKiSA_SA_iPKfiiiPfSD_PS3_PT2_iSC_SC_,@object ; @__PRETTY_FUNCTION__._Z38paged_attention_ll4mi_QKV_mfma4_kernelI14__hip_bfloat16S0_LN4vllm18Fp8KVCacheDataTypeE0ES0_Li32ELi64ELi256ELb0ELi2EEvPKT_PKT0_S8_ifPKiSA_SA_iPKfiiiPfSD_PS3_PT2_iSC_SC_
__PRETTY_FUNCTION__._Z38paged_attention_ll4mi_QKV_mfma4_kernelI14__hip_bfloat16S0_LN4vllm18Fp8KVCacheDataTypeE0ES0_Li32ELi64ELi256ELb0ELi2EEvPKT_PKT0_S8_ifPKiSA_SA_iPKfiiiPfSD_PS3_PT2_iSC_SC_:
	.asciz	"void paged_attention_ll4mi_QKV_mfma4_kernel(const scalar_t *__restrict, const cache_t *__restrict, const cache_t *__restrict, const int, const float, const int *__restrict, const int *__restrict, const int *__restrict, const int, const float *__restrict, const int, const int, const int, float *__restrict, float *__restrict, scalar_t *__restrict, OUTT *__restrict, int, const float *, const float *) [scalar_t = __hip_bfloat16, cache_t = __hip_bfloat16, KV_DTYPE = vllm::Fp8KVCacheDataType::kAuto, OUTT = __hip_bfloat16, BLOCK_SIZE = 32, HEAD_SIZE = 64, NUM_THREADS = 256, ALIBI_ENABLED = false, GQA_RATIO = 2]"
	.size	__PRETTY_FUNCTION__._Z38paged_attention_ll4mi_QKV_mfma4_kernelI14__hip_bfloat16S0_LN4vllm18Fp8KVCacheDataTypeE0ES0_Li32ELi64ELi256ELb0ELi2EEvPKT_PKT0_S8_ifPKiSA_SA_iPKfiiiPfSD_PS3_PT2_iSC_SC_, 612

	.type	__PRETTY_FUNCTION__._Z38paged_attention_ll4mi_QKV_mfma4_kernelI14__hip_bfloat16S0_LN4vllm18Fp8KVCacheDataTypeE0ES0_Li32ELi64ELi256ELb0ELi3EEvPKT_PKT0_S8_ifPKiSA_SA_iPKfiiiPfSD_PS3_PT2_iSC_SC_,@object ; @__PRETTY_FUNCTION__._Z38paged_attention_ll4mi_QKV_mfma4_kernelI14__hip_bfloat16S0_LN4vllm18Fp8KVCacheDataTypeE0ES0_Li32ELi64ELi256ELb0ELi3EEvPKT_PKT0_S8_ifPKiSA_SA_iPKfiiiPfSD_PS3_PT2_iSC_SC_
__PRETTY_FUNCTION__._Z38paged_attention_ll4mi_QKV_mfma4_kernelI14__hip_bfloat16S0_LN4vllm18Fp8KVCacheDataTypeE0ES0_Li32ELi64ELi256ELb0ELi3EEvPKT_PKT0_S8_ifPKiSA_SA_iPKfiiiPfSD_PS3_PT2_iSC_SC_:
	.asciz	"void paged_attention_ll4mi_QKV_mfma4_kernel(const scalar_t *__restrict, const cache_t *__restrict, const cache_t *__restrict, const int, const float, const int *__restrict, const int *__restrict, const int *__restrict, const int, const float *__restrict, const int, const int, const int, float *__restrict, float *__restrict, scalar_t *__restrict, OUTT *__restrict, int, const float *, const float *) [scalar_t = __hip_bfloat16, cache_t = __hip_bfloat16, KV_DTYPE = vllm::Fp8KVCacheDataType::kAuto, OUTT = __hip_bfloat16, BLOCK_SIZE = 32, HEAD_SIZE = 64, NUM_THREADS = 256, ALIBI_ENABLED = false, GQA_RATIO = 3]"
	.size	__PRETTY_FUNCTION__._Z38paged_attention_ll4mi_QKV_mfma4_kernelI14__hip_bfloat16S0_LN4vllm18Fp8KVCacheDataTypeE0ES0_Li32ELi64ELi256ELb0ELi3EEvPKT_PKT0_S8_ifPKiSA_SA_iPKfiiiPfSD_PS3_PT2_iSC_SC_, 612

	.type	__PRETTY_FUNCTION__._Z38paged_attention_ll4mi_QKV_mfma4_kernelI14__hip_bfloat16S0_LN4vllm18Fp8KVCacheDataTypeE0ES0_Li32ELi64ELi256ELb0ELi4EEvPKT_PKT0_S8_ifPKiSA_SA_iPKfiiiPfSD_PS3_PT2_iSC_SC_,@object ; @__PRETTY_FUNCTION__._Z38paged_attention_ll4mi_QKV_mfma4_kernelI14__hip_bfloat16S0_LN4vllm18Fp8KVCacheDataTypeE0ES0_Li32ELi64ELi256ELb0ELi4EEvPKT_PKT0_S8_ifPKiSA_SA_iPKfiiiPfSD_PS3_PT2_iSC_SC_
__PRETTY_FUNCTION__._Z38paged_attention_ll4mi_QKV_mfma4_kernelI14__hip_bfloat16S0_LN4vllm18Fp8KVCacheDataTypeE0ES0_Li32ELi64ELi256ELb0ELi4EEvPKT_PKT0_S8_ifPKiSA_SA_iPKfiiiPfSD_PS3_PT2_iSC_SC_:
	.asciz	"void paged_attention_ll4mi_QKV_mfma4_kernel(const scalar_t *__restrict, const cache_t *__restrict, const cache_t *__restrict, const int, const float, const int *__restrict, const int *__restrict, const int *__restrict, const int, const float *__restrict, const int, const int, const int, float *__restrict, float *__restrict, scalar_t *__restrict, OUTT *__restrict, int, const float *, const float *) [scalar_t = __hip_bfloat16, cache_t = __hip_bfloat16, KV_DTYPE = vllm::Fp8KVCacheDataType::kAuto, OUTT = __hip_bfloat16, BLOCK_SIZE = 32, HEAD_SIZE = 64, NUM_THREADS = 256, ALIBI_ENABLED = false, GQA_RATIO = 4]"
	.size	__PRETTY_FUNCTION__._Z38paged_attention_ll4mi_QKV_mfma4_kernelI14__hip_bfloat16S0_LN4vllm18Fp8KVCacheDataTypeE0ES0_Li32ELi64ELi256ELb0ELi4EEvPKT_PKT0_S8_ifPKiSA_SA_iPKfiiiPfSD_PS3_PT2_iSC_SC_, 612

	.type	__PRETTY_FUNCTION__._Z39paged_attention_ll4mi_QKV_mfma16_kernelI14__hip_bfloat16S0_LN4vllm18Fp8KVCacheDataTypeE0ES0_Li32ELi64ELi256ELb0ELi5EEvPKT_PKT0_S8_ifPKiSA_SA_iPKfiiiPfSD_PS3_PT2_iSC_SC_,@object ; @__PRETTY_FUNCTION__._Z39paged_attention_ll4mi_QKV_mfma16_kernelI14__hip_bfloat16S0_LN4vllm18Fp8KVCacheDataTypeE0ES0_Li32ELi64ELi256ELb0ELi5EEvPKT_PKT0_S8_ifPKiSA_SA_iPKfiiiPfSD_PS3_PT2_iSC_SC_
__PRETTY_FUNCTION__._Z39paged_attention_ll4mi_QKV_mfma16_kernelI14__hip_bfloat16S0_LN4vllm18Fp8KVCacheDataTypeE0ES0_Li32ELi64ELi256ELb0ELi5EEvPKT_PKT0_S8_ifPKiSA_SA_iPKfiiiPfSD_PS3_PT2_iSC_SC_:
	.asciz	"void paged_attention_ll4mi_QKV_mfma16_kernel(const scalar_t *__restrict, const cache_t *__restrict, const cache_t *__restrict, const int, const float, const int *__restrict, const int *__restrict, const int *__restrict, const int, const float *__restrict, const int, const int, const int, float *__restrict, float *__restrict, scalar_t *__restrict, OUTT *__restrict, int, const float *, const float *) [scalar_t = __hip_bfloat16, cache_t = __hip_bfloat16, KV_DTYPE = vllm::Fp8KVCacheDataType::kAuto, OUTT = __hip_bfloat16, BLOCK_SIZE = 32, HEAD_SIZE = 64, NUM_THREADS = 256, ALIBI_ENABLED = false, GQA_RATIO = 5]"
	.size	__PRETTY_FUNCTION__._Z39paged_attention_ll4mi_QKV_mfma16_kernelI14__hip_bfloat16S0_LN4vllm18Fp8KVCacheDataTypeE0ES0_Li32ELi64ELi256ELb0ELi5EEvPKT_PKT0_S8_ifPKiSA_SA_iPKfiiiPfSD_PS3_PT2_iSC_SC_, 613

	.type	__PRETTY_FUNCTION__._Z39paged_attention_ll4mi_QKV_mfma16_kernelI14__hip_bfloat16S0_LN4vllm18Fp8KVCacheDataTypeE0ES0_Li32ELi64ELi256ELb0ELi6EEvPKT_PKT0_S8_ifPKiSA_SA_iPKfiiiPfSD_PS3_PT2_iSC_SC_,@object ; @__PRETTY_FUNCTION__._Z39paged_attention_ll4mi_QKV_mfma16_kernelI14__hip_bfloat16S0_LN4vllm18Fp8KVCacheDataTypeE0ES0_Li32ELi64ELi256ELb0ELi6EEvPKT_PKT0_S8_ifPKiSA_SA_iPKfiiiPfSD_PS3_PT2_iSC_SC_
__PRETTY_FUNCTION__._Z39paged_attention_ll4mi_QKV_mfma16_kernelI14__hip_bfloat16S0_LN4vllm18Fp8KVCacheDataTypeE0ES0_Li32ELi64ELi256ELb0ELi6EEvPKT_PKT0_S8_ifPKiSA_SA_iPKfiiiPfSD_PS3_PT2_iSC_SC_:
	.asciz	"void paged_attention_ll4mi_QKV_mfma16_kernel(const scalar_t *__restrict, const cache_t *__restrict, const cache_t *__restrict, const int, const float, const int *__restrict, const int *__restrict, const int *__restrict, const int, const float *__restrict, const int, const int, const int, float *__restrict, float *__restrict, scalar_t *__restrict, OUTT *__restrict, int, const float *, const float *) [scalar_t = __hip_bfloat16, cache_t = __hip_bfloat16, KV_DTYPE = vllm::Fp8KVCacheDataType::kAuto, OUTT = __hip_bfloat16, BLOCK_SIZE = 32, HEAD_SIZE = 64, NUM_THREADS = 256, ALIBI_ENABLED = false, GQA_RATIO = 6]"
	.size	__PRETTY_FUNCTION__._Z39paged_attention_ll4mi_QKV_mfma16_kernelI14__hip_bfloat16S0_LN4vllm18Fp8KVCacheDataTypeE0ES0_Li32ELi64ELi256ELb0ELi6EEvPKT_PKT0_S8_ifPKiSA_SA_iPKfiiiPfSD_PS3_PT2_iSC_SC_, 613

	.type	__PRETTY_FUNCTION__._Z39paged_attention_ll4mi_QKV_mfma16_kernelI14__hip_bfloat16S0_LN4vllm18Fp8KVCacheDataTypeE0ES0_Li32ELi64ELi256ELb0ELi7EEvPKT_PKT0_S8_ifPKiSA_SA_iPKfiiiPfSD_PS3_PT2_iSC_SC_,@object ; @__PRETTY_FUNCTION__._Z39paged_attention_ll4mi_QKV_mfma16_kernelI14__hip_bfloat16S0_LN4vllm18Fp8KVCacheDataTypeE0ES0_Li32ELi64ELi256ELb0ELi7EEvPKT_PKT0_S8_ifPKiSA_SA_iPKfiiiPfSD_PS3_PT2_iSC_SC_
__PRETTY_FUNCTION__._Z39paged_attention_ll4mi_QKV_mfma16_kernelI14__hip_bfloat16S0_LN4vllm18Fp8KVCacheDataTypeE0ES0_Li32ELi64ELi256ELb0ELi7EEvPKT_PKT0_S8_ifPKiSA_SA_iPKfiiiPfSD_PS3_PT2_iSC_SC_:
	.asciz	"void paged_attention_ll4mi_QKV_mfma16_kernel(const scalar_t *__restrict, const cache_t *__restrict, const cache_t *__restrict, const int, const float, const int *__restrict, const int *__restrict, const int *__restrict, const int, const float *__restrict, const int, const int, const int, float *__restrict, float *__restrict, scalar_t *__restrict, OUTT *__restrict, int, const float *, const float *) [scalar_t = __hip_bfloat16, cache_t = __hip_bfloat16, KV_DTYPE = vllm::Fp8KVCacheDataType::kAuto, OUTT = __hip_bfloat16, BLOCK_SIZE = 32, HEAD_SIZE = 64, NUM_THREADS = 256, ALIBI_ENABLED = false, GQA_RATIO = 7]"
	.size	__PRETTY_FUNCTION__._Z39paged_attention_ll4mi_QKV_mfma16_kernelI14__hip_bfloat16S0_LN4vllm18Fp8KVCacheDataTypeE0ES0_Li32ELi64ELi256ELb0ELi7EEvPKT_PKT0_S8_ifPKiSA_SA_iPKfiiiPfSD_PS3_PT2_iSC_SC_, 613

	.type	__PRETTY_FUNCTION__._Z39paged_attention_ll4mi_QKV_mfma16_kernelI14__hip_bfloat16S0_LN4vllm18Fp8KVCacheDataTypeE0ES0_Li32ELi64ELi256ELb0ELi8EEvPKT_PKT0_S8_ifPKiSA_SA_iPKfiiiPfSD_PS3_PT2_iSC_SC_,@object ; @__PRETTY_FUNCTION__._Z39paged_attention_ll4mi_QKV_mfma16_kernelI14__hip_bfloat16S0_LN4vllm18Fp8KVCacheDataTypeE0ES0_Li32ELi64ELi256ELb0ELi8EEvPKT_PKT0_S8_ifPKiSA_SA_iPKfiiiPfSD_PS3_PT2_iSC_SC_
__PRETTY_FUNCTION__._Z39paged_attention_ll4mi_QKV_mfma16_kernelI14__hip_bfloat16S0_LN4vllm18Fp8KVCacheDataTypeE0ES0_Li32ELi64ELi256ELb0ELi8EEvPKT_PKT0_S8_ifPKiSA_SA_iPKfiiiPfSD_PS3_PT2_iSC_SC_:
	.asciz	"void paged_attention_ll4mi_QKV_mfma16_kernel(const scalar_t *__restrict, const cache_t *__restrict, const cache_t *__restrict, const int, const float, const int *__restrict, const int *__restrict, const int *__restrict, const int, const float *__restrict, const int, const int, const int, float *__restrict, float *__restrict, scalar_t *__restrict, OUTT *__restrict, int, const float *, const float *) [scalar_t = __hip_bfloat16, cache_t = __hip_bfloat16, KV_DTYPE = vllm::Fp8KVCacheDataType::kAuto, OUTT = __hip_bfloat16, BLOCK_SIZE = 32, HEAD_SIZE = 64, NUM_THREADS = 256, ALIBI_ENABLED = false, GQA_RATIO = 8]"
	.size	__PRETTY_FUNCTION__._Z39paged_attention_ll4mi_QKV_mfma16_kernelI14__hip_bfloat16S0_LN4vllm18Fp8KVCacheDataTypeE0ES0_Li32ELi64ELi256ELb0ELi8EEvPKT_PKT0_S8_ifPKiSA_SA_iPKfiiiPfSD_PS3_PT2_iSC_SC_, 613

	.type	__PRETTY_FUNCTION__._Z39paged_attention_ll4mi_QKV_mfma16_kernelI14__hip_bfloat16S0_LN4vllm18Fp8KVCacheDataTypeE0ES0_Li32ELi64ELi256ELb0ELi9EEvPKT_PKT0_S8_ifPKiSA_SA_iPKfiiiPfSD_PS3_PT2_iSC_SC_,@object ; @__PRETTY_FUNCTION__._Z39paged_attention_ll4mi_QKV_mfma16_kernelI14__hip_bfloat16S0_LN4vllm18Fp8KVCacheDataTypeE0ES0_Li32ELi64ELi256ELb0ELi9EEvPKT_PKT0_S8_ifPKiSA_SA_iPKfiiiPfSD_PS3_PT2_iSC_SC_
__PRETTY_FUNCTION__._Z39paged_attention_ll4mi_QKV_mfma16_kernelI14__hip_bfloat16S0_LN4vllm18Fp8KVCacheDataTypeE0ES0_Li32ELi64ELi256ELb0ELi9EEvPKT_PKT0_S8_ifPKiSA_SA_iPKfiiiPfSD_PS3_PT2_iSC_SC_:
	.asciz	"void paged_attention_ll4mi_QKV_mfma16_kernel(const scalar_t *__restrict, const cache_t *__restrict, const cache_t *__restrict, const int, const float, const int *__restrict, const int *__restrict, const int *__restrict, const int, const float *__restrict, const int, const int, const int, float *__restrict, float *__restrict, scalar_t *__restrict, OUTT *__restrict, int, const float *, const float *) [scalar_t = __hip_bfloat16, cache_t = __hip_bfloat16, KV_DTYPE = vllm::Fp8KVCacheDataType::kAuto, OUTT = __hip_bfloat16, BLOCK_SIZE = 32, HEAD_SIZE = 64, NUM_THREADS = 256, ALIBI_ENABLED = false, GQA_RATIO = 9]"
	.size	__PRETTY_FUNCTION__._Z39paged_attention_ll4mi_QKV_mfma16_kernelI14__hip_bfloat16S0_LN4vllm18Fp8KVCacheDataTypeE0ES0_Li32ELi64ELi256ELb0ELi9EEvPKT_PKT0_S8_ifPKiSA_SA_iPKfiiiPfSD_PS3_PT2_iSC_SC_, 613

	.type	__PRETTY_FUNCTION__._Z39paged_attention_ll4mi_QKV_mfma16_kernelI14__hip_bfloat16S0_LN4vllm18Fp8KVCacheDataTypeE0ES0_Li32ELi64ELi256ELb0ELi10EEvPKT_PKT0_S8_ifPKiSA_SA_iPKfiiiPfSD_PS3_PT2_iSC_SC_,@object ; @__PRETTY_FUNCTION__._Z39paged_attention_ll4mi_QKV_mfma16_kernelI14__hip_bfloat16S0_LN4vllm18Fp8KVCacheDataTypeE0ES0_Li32ELi64ELi256ELb0ELi10EEvPKT_PKT0_S8_ifPKiSA_SA_iPKfiiiPfSD_PS3_PT2_iSC_SC_
__PRETTY_FUNCTION__._Z39paged_attention_ll4mi_QKV_mfma16_kernelI14__hip_bfloat16S0_LN4vllm18Fp8KVCacheDataTypeE0ES0_Li32ELi64ELi256ELb0ELi10EEvPKT_PKT0_S8_ifPKiSA_SA_iPKfiiiPfSD_PS3_PT2_iSC_SC_:
	.asciz	"void paged_attention_ll4mi_QKV_mfma16_kernel(const scalar_t *__restrict, const cache_t *__restrict, const cache_t *__restrict, const int, const float, const int *__restrict, const int *__restrict, const int *__restrict, const int, const float *__restrict, const int, const int, const int, float *__restrict, float *__restrict, scalar_t *__restrict, OUTT *__restrict, int, const float *, const float *) [scalar_t = __hip_bfloat16, cache_t = __hip_bfloat16, KV_DTYPE = vllm::Fp8KVCacheDataType::kAuto, OUTT = __hip_bfloat16, BLOCK_SIZE = 32, HEAD_SIZE = 64, NUM_THREADS = 256, ALIBI_ENABLED = false, GQA_RATIO = 10]"
	.size	__PRETTY_FUNCTION__._Z39paged_attention_ll4mi_QKV_mfma16_kernelI14__hip_bfloat16S0_LN4vllm18Fp8KVCacheDataTypeE0ES0_Li32ELi64ELi256ELb0ELi10EEvPKT_PKT0_S8_ifPKiSA_SA_iPKfiiiPfSD_PS3_PT2_iSC_SC_, 614

	.type	__PRETTY_FUNCTION__._Z39paged_attention_ll4mi_QKV_mfma16_kernelI14__hip_bfloat16S0_LN4vllm18Fp8KVCacheDataTypeE0ES0_Li32ELi64ELi256ELb0ELi11EEvPKT_PKT0_S8_ifPKiSA_SA_iPKfiiiPfSD_PS3_PT2_iSC_SC_,@object ; @__PRETTY_FUNCTION__._Z39paged_attention_ll4mi_QKV_mfma16_kernelI14__hip_bfloat16S0_LN4vllm18Fp8KVCacheDataTypeE0ES0_Li32ELi64ELi256ELb0ELi11EEvPKT_PKT0_S8_ifPKiSA_SA_iPKfiiiPfSD_PS3_PT2_iSC_SC_
__PRETTY_FUNCTION__._Z39paged_attention_ll4mi_QKV_mfma16_kernelI14__hip_bfloat16S0_LN4vllm18Fp8KVCacheDataTypeE0ES0_Li32ELi64ELi256ELb0ELi11EEvPKT_PKT0_S8_ifPKiSA_SA_iPKfiiiPfSD_PS3_PT2_iSC_SC_:
	.asciz	"void paged_attention_ll4mi_QKV_mfma16_kernel(const scalar_t *__restrict, const cache_t *__restrict, const cache_t *__restrict, const int, const float, const int *__restrict, const int *__restrict, const int *__restrict, const int, const float *__restrict, const int, const int, const int, float *__restrict, float *__restrict, scalar_t *__restrict, OUTT *__restrict, int, const float *, const float *) [scalar_t = __hip_bfloat16, cache_t = __hip_bfloat16, KV_DTYPE = vllm::Fp8KVCacheDataType::kAuto, OUTT = __hip_bfloat16, BLOCK_SIZE = 32, HEAD_SIZE = 64, NUM_THREADS = 256, ALIBI_ENABLED = false, GQA_RATIO = 11]"
	.size	__PRETTY_FUNCTION__._Z39paged_attention_ll4mi_QKV_mfma16_kernelI14__hip_bfloat16S0_LN4vllm18Fp8KVCacheDataTypeE0ES0_Li32ELi64ELi256ELb0ELi11EEvPKT_PKT0_S8_ifPKiSA_SA_iPKfiiiPfSD_PS3_PT2_iSC_SC_, 614

	.type	__PRETTY_FUNCTION__._Z39paged_attention_ll4mi_QKV_mfma16_kernelI14__hip_bfloat16S0_LN4vllm18Fp8KVCacheDataTypeE0ES0_Li32ELi64ELi256ELb0ELi12EEvPKT_PKT0_S8_ifPKiSA_SA_iPKfiiiPfSD_PS3_PT2_iSC_SC_,@object ; @__PRETTY_FUNCTION__._Z39paged_attention_ll4mi_QKV_mfma16_kernelI14__hip_bfloat16S0_LN4vllm18Fp8KVCacheDataTypeE0ES0_Li32ELi64ELi256ELb0ELi12EEvPKT_PKT0_S8_ifPKiSA_SA_iPKfiiiPfSD_PS3_PT2_iSC_SC_
__PRETTY_FUNCTION__._Z39paged_attention_ll4mi_QKV_mfma16_kernelI14__hip_bfloat16S0_LN4vllm18Fp8KVCacheDataTypeE0ES0_Li32ELi64ELi256ELb0ELi12EEvPKT_PKT0_S8_ifPKiSA_SA_iPKfiiiPfSD_PS3_PT2_iSC_SC_:
	.asciz	"void paged_attention_ll4mi_QKV_mfma16_kernel(const scalar_t *__restrict, const cache_t *__restrict, const cache_t *__restrict, const int, const float, const int *__restrict, const int *__restrict, const int *__restrict, const int, const float *__restrict, const int, const int, const int, float *__restrict, float *__restrict, scalar_t *__restrict, OUTT *__restrict, int, const float *, const float *) [scalar_t = __hip_bfloat16, cache_t = __hip_bfloat16, KV_DTYPE = vllm::Fp8KVCacheDataType::kAuto, OUTT = __hip_bfloat16, BLOCK_SIZE = 32, HEAD_SIZE = 64, NUM_THREADS = 256, ALIBI_ENABLED = false, GQA_RATIO = 12]"
	.size	__PRETTY_FUNCTION__._Z39paged_attention_ll4mi_QKV_mfma16_kernelI14__hip_bfloat16S0_LN4vllm18Fp8KVCacheDataTypeE0ES0_Li32ELi64ELi256ELb0ELi12EEvPKT_PKT0_S8_ifPKiSA_SA_iPKfiiiPfSD_PS3_PT2_iSC_SC_, 614

	.type	__PRETTY_FUNCTION__._Z39paged_attention_ll4mi_QKV_mfma16_kernelI14__hip_bfloat16S0_LN4vllm18Fp8KVCacheDataTypeE0ES0_Li32ELi64ELi256ELb0ELi13EEvPKT_PKT0_S8_ifPKiSA_SA_iPKfiiiPfSD_PS3_PT2_iSC_SC_,@object ; @__PRETTY_FUNCTION__._Z39paged_attention_ll4mi_QKV_mfma16_kernelI14__hip_bfloat16S0_LN4vllm18Fp8KVCacheDataTypeE0ES0_Li32ELi64ELi256ELb0ELi13EEvPKT_PKT0_S8_ifPKiSA_SA_iPKfiiiPfSD_PS3_PT2_iSC_SC_
__PRETTY_FUNCTION__._Z39paged_attention_ll4mi_QKV_mfma16_kernelI14__hip_bfloat16S0_LN4vllm18Fp8KVCacheDataTypeE0ES0_Li32ELi64ELi256ELb0ELi13EEvPKT_PKT0_S8_ifPKiSA_SA_iPKfiiiPfSD_PS3_PT2_iSC_SC_:
	.asciz	"void paged_attention_ll4mi_QKV_mfma16_kernel(const scalar_t *__restrict, const cache_t *__restrict, const cache_t *__restrict, const int, const float, const int *__restrict, const int *__restrict, const int *__restrict, const int, const float *__restrict, const int, const int, const int, float *__restrict, float *__restrict, scalar_t *__restrict, OUTT *__restrict, int, const float *, const float *) [scalar_t = __hip_bfloat16, cache_t = __hip_bfloat16, KV_DTYPE = vllm::Fp8KVCacheDataType::kAuto, OUTT = __hip_bfloat16, BLOCK_SIZE = 32, HEAD_SIZE = 64, NUM_THREADS = 256, ALIBI_ENABLED = false, GQA_RATIO = 13]"
	.size	__PRETTY_FUNCTION__._Z39paged_attention_ll4mi_QKV_mfma16_kernelI14__hip_bfloat16S0_LN4vllm18Fp8KVCacheDataTypeE0ES0_Li32ELi64ELi256ELb0ELi13EEvPKT_PKT0_S8_ifPKiSA_SA_iPKfiiiPfSD_PS3_PT2_iSC_SC_, 614

	.type	__PRETTY_FUNCTION__._Z39paged_attention_ll4mi_QKV_mfma16_kernelI14__hip_bfloat16S0_LN4vllm18Fp8KVCacheDataTypeE0ES0_Li32ELi64ELi256ELb0ELi14EEvPKT_PKT0_S8_ifPKiSA_SA_iPKfiiiPfSD_PS3_PT2_iSC_SC_,@object ; @__PRETTY_FUNCTION__._Z39paged_attention_ll4mi_QKV_mfma16_kernelI14__hip_bfloat16S0_LN4vllm18Fp8KVCacheDataTypeE0ES0_Li32ELi64ELi256ELb0ELi14EEvPKT_PKT0_S8_ifPKiSA_SA_iPKfiiiPfSD_PS3_PT2_iSC_SC_
__PRETTY_FUNCTION__._Z39paged_attention_ll4mi_QKV_mfma16_kernelI14__hip_bfloat16S0_LN4vllm18Fp8KVCacheDataTypeE0ES0_Li32ELi64ELi256ELb0ELi14EEvPKT_PKT0_S8_ifPKiSA_SA_iPKfiiiPfSD_PS3_PT2_iSC_SC_:
	.asciz	"void paged_attention_ll4mi_QKV_mfma16_kernel(const scalar_t *__restrict, const cache_t *__restrict, const cache_t *__restrict, const int, const float, const int *__restrict, const int *__restrict, const int *__restrict, const int, const float *__restrict, const int, const int, const int, float *__restrict, float *__restrict, scalar_t *__restrict, OUTT *__restrict, int, const float *, const float *) [scalar_t = __hip_bfloat16, cache_t = __hip_bfloat16, KV_DTYPE = vllm::Fp8KVCacheDataType::kAuto, OUTT = __hip_bfloat16, BLOCK_SIZE = 32, HEAD_SIZE = 64, NUM_THREADS = 256, ALIBI_ENABLED = false, GQA_RATIO = 14]"
	.size	__PRETTY_FUNCTION__._Z39paged_attention_ll4mi_QKV_mfma16_kernelI14__hip_bfloat16S0_LN4vllm18Fp8KVCacheDataTypeE0ES0_Li32ELi64ELi256ELb0ELi14EEvPKT_PKT0_S8_ifPKiSA_SA_iPKfiiiPfSD_PS3_PT2_iSC_SC_, 614

	.type	__PRETTY_FUNCTION__._Z39paged_attention_ll4mi_QKV_mfma16_kernelI14__hip_bfloat16S0_LN4vllm18Fp8KVCacheDataTypeE0ES0_Li32ELi64ELi256ELb0ELi15EEvPKT_PKT0_S8_ifPKiSA_SA_iPKfiiiPfSD_PS3_PT2_iSC_SC_,@object ; @__PRETTY_FUNCTION__._Z39paged_attention_ll4mi_QKV_mfma16_kernelI14__hip_bfloat16S0_LN4vllm18Fp8KVCacheDataTypeE0ES0_Li32ELi64ELi256ELb0ELi15EEvPKT_PKT0_S8_ifPKiSA_SA_iPKfiiiPfSD_PS3_PT2_iSC_SC_
__PRETTY_FUNCTION__._Z39paged_attention_ll4mi_QKV_mfma16_kernelI14__hip_bfloat16S0_LN4vllm18Fp8KVCacheDataTypeE0ES0_Li32ELi64ELi256ELb0ELi15EEvPKT_PKT0_S8_ifPKiSA_SA_iPKfiiiPfSD_PS3_PT2_iSC_SC_:
	.asciz	"void paged_attention_ll4mi_QKV_mfma16_kernel(const scalar_t *__restrict, const cache_t *__restrict, const cache_t *__restrict, const int, const float, const int *__restrict, const int *__restrict, const int *__restrict, const int, const float *__restrict, const int, const int, const int, float *__restrict, float *__restrict, scalar_t *__restrict, OUTT *__restrict, int, const float *, const float *) [scalar_t = __hip_bfloat16, cache_t = __hip_bfloat16, KV_DTYPE = vllm::Fp8KVCacheDataType::kAuto, OUTT = __hip_bfloat16, BLOCK_SIZE = 32, HEAD_SIZE = 64, NUM_THREADS = 256, ALIBI_ENABLED = false, GQA_RATIO = 15]"
	.size	__PRETTY_FUNCTION__._Z39paged_attention_ll4mi_QKV_mfma16_kernelI14__hip_bfloat16S0_LN4vllm18Fp8KVCacheDataTypeE0ES0_Li32ELi64ELi256ELb0ELi15EEvPKT_PKT0_S8_ifPKiSA_SA_iPKfiiiPfSD_PS3_PT2_iSC_SC_, 614

	.type	__PRETTY_FUNCTION__._Z39paged_attention_ll4mi_QKV_mfma16_kernelI14__hip_bfloat16S0_LN4vllm18Fp8KVCacheDataTypeE0ES0_Li32ELi64ELi256ELb0ELi16EEvPKT_PKT0_S8_ifPKiSA_SA_iPKfiiiPfSD_PS3_PT2_iSC_SC_,@object ; @__PRETTY_FUNCTION__._Z39paged_attention_ll4mi_QKV_mfma16_kernelI14__hip_bfloat16S0_LN4vllm18Fp8KVCacheDataTypeE0ES0_Li32ELi64ELi256ELb0ELi16EEvPKT_PKT0_S8_ifPKiSA_SA_iPKfiiiPfSD_PS3_PT2_iSC_SC_
__PRETTY_FUNCTION__._Z39paged_attention_ll4mi_QKV_mfma16_kernelI14__hip_bfloat16S0_LN4vllm18Fp8KVCacheDataTypeE0ES0_Li32ELi64ELi256ELb0ELi16EEvPKT_PKT0_S8_ifPKiSA_SA_iPKfiiiPfSD_PS3_PT2_iSC_SC_:
	.asciz	"void paged_attention_ll4mi_QKV_mfma16_kernel(const scalar_t *__restrict, const cache_t *__restrict, const cache_t *__restrict, const int, const float, const int *__restrict, const int *__restrict, const int *__restrict, const int, const float *__restrict, const int, const int, const int, float *__restrict, float *__restrict, scalar_t *__restrict, OUTT *__restrict, int, const float *, const float *) [scalar_t = __hip_bfloat16, cache_t = __hip_bfloat16, KV_DTYPE = vllm::Fp8KVCacheDataType::kAuto, OUTT = __hip_bfloat16, BLOCK_SIZE = 32, HEAD_SIZE = 64, NUM_THREADS = 256, ALIBI_ENABLED = false, GQA_RATIO = 16]"
	.size	__PRETTY_FUNCTION__._Z39paged_attention_ll4mi_QKV_mfma16_kernelI14__hip_bfloat16S0_LN4vllm18Fp8KVCacheDataTypeE0ES0_Li32ELi64ELi256ELb0ELi16EEvPKT_PKT0_S8_ifPKiSA_SA_iPKfiiiPfSD_PS3_PT2_iSC_SC_, 614

	.type	__PRETTY_FUNCTION__._Z39paged_attention_ll4mi_QKV_mfma16_kernelI14__hip_bfloat16S0_LN4vllm18Fp8KVCacheDataTypeE0ES0_Li32ELi64ELi256ELb0ELi1EEvPKT_PKT0_S8_ifPKiSA_SA_iPKfiiiPfSD_PS3_PT2_iSC_SC_,@object ; @__PRETTY_FUNCTION__._Z39paged_attention_ll4mi_QKV_mfma16_kernelI14__hip_bfloat16S0_LN4vllm18Fp8KVCacheDataTypeE0ES0_Li32ELi64ELi256ELb0ELi1EEvPKT_PKT0_S8_ifPKiSA_SA_iPKfiiiPfSD_PS3_PT2_iSC_SC_
__PRETTY_FUNCTION__._Z39paged_attention_ll4mi_QKV_mfma16_kernelI14__hip_bfloat16S0_LN4vllm18Fp8KVCacheDataTypeE0ES0_Li32ELi64ELi256ELb0ELi1EEvPKT_PKT0_S8_ifPKiSA_SA_iPKfiiiPfSD_PS3_PT2_iSC_SC_:
	.asciz	"void paged_attention_ll4mi_QKV_mfma16_kernel(const scalar_t *__restrict, const cache_t *__restrict, const cache_t *__restrict, const int, const float, const int *__restrict, const int *__restrict, const int *__restrict, const int, const float *__restrict, const int, const int, const int, float *__restrict, float *__restrict, scalar_t *__restrict, OUTT *__restrict, int, const float *, const float *) [scalar_t = __hip_bfloat16, cache_t = __hip_bfloat16, KV_DTYPE = vllm::Fp8KVCacheDataType::kAuto, OUTT = __hip_bfloat16, BLOCK_SIZE = 32, HEAD_SIZE = 64, NUM_THREADS = 256, ALIBI_ENABLED = false, GQA_RATIO = 1]"
	.size	__PRETTY_FUNCTION__._Z39paged_attention_ll4mi_QKV_mfma16_kernelI14__hip_bfloat16S0_LN4vllm18Fp8KVCacheDataTypeE0ES0_Li32ELi64ELi256ELb0ELi1EEvPKT_PKT0_S8_ifPKiSA_SA_iPKfiiiPfSD_PS3_PT2_iSC_SC_, 613

	.type	__PRETTY_FUNCTION__._Z39paged_attention_ll4mi_QKV_mfma16_kernelI14__hip_bfloat16S0_LN4vllm18Fp8KVCacheDataTypeE0ES0_Li32ELi64ELi256ELb0ELi2EEvPKT_PKT0_S8_ifPKiSA_SA_iPKfiiiPfSD_PS3_PT2_iSC_SC_,@object ; @__PRETTY_FUNCTION__._Z39paged_attention_ll4mi_QKV_mfma16_kernelI14__hip_bfloat16S0_LN4vllm18Fp8KVCacheDataTypeE0ES0_Li32ELi64ELi256ELb0ELi2EEvPKT_PKT0_S8_ifPKiSA_SA_iPKfiiiPfSD_PS3_PT2_iSC_SC_
__PRETTY_FUNCTION__._Z39paged_attention_ll4mi_QKV_mfma16_kernelI14__hip_bfloat16S0_LN4vllm18Fp8KVCacheDataTypeE0ES0_Li32ELi64ELi256ELb0ELi2EEvPKT_PKT0_S8_ifPKiSA_SA_iPKfiiiPfSD_PS3_PT2_iSC_SC_:
	.asciz	"void paged_attention_ll4mi_QKV_mfma16_kernel(const scalar_t *__restrict, const cache_t *__restrict, const cache_t *__restrict, const int, const float, const int *__restrict, const int *__restrict, const int *__restrict, const int, const float *__restrict, const int, const int, const int, float *__restrict, float *__restrict, scalar_t *__restrict, OUTT *__restrict, int, const float *, const float *) [scalar_t = __hip_bfloat16, cache_t = __hip_bfloat16, KV_DTYPE = vllm::Fp8KVCacheDataType::kAuto, OUTT = __hip_bfloat16, BLOCK_SIZE = 32, HEAD_SIZE = 64, NUM_THREADS = 256, ALIBI_ENABLED = false, GQA_RATIO = 2]"
	.size	__PRETTY_FUNCTION__._Z39paged_attention_ll4mi_QKV_mfma16_kernelI14__hip_bfloat16S0_LN4vllm18Fp8KVCacheDataTypeE0ES0_Li32ELi64ELi256ELb0ELi2EEvPKT_PKT0_S8_ifPKiSA_SA_iPKfiiiPfSD_PS3_PT2_iSC_SC_, 613

	.type	__PRETTY_FUNCTION__._Z39paged_attention_ll4mi_QKV_mfma16_kernelI14__hip_bfloat16S0_LN4vllm18Fp8KVCacheDataTypeE0ES0_Li32ELi64ELi256ELb0ELi3EEvPKT_PKT0_S8_ifPKiSA_SA_iPKfiiiPfSD_PS3_PT2_iSC_SC_,@object ; @__PRETTY_FUNCTION__._Z39paged_attention_ll4mi_QKV_mfma16_kernelI14__hip_bfloat16S0_LN4vllm18Fp8KVCacheDataTypeE0ES0_Li32ELi64ELi256ELb0ELi3EEvPKT_PKT0_S8_ifPKiSA_SA_iPKfiiiPfSD_PS3_PT2_iSC_SC_
__PRETTY_FUNCTION__._Z39paged_attention_ll4mi_QKV_mfma16_kernelI14__hip_bfloat16S0_LN4vllm18Fp8KVCacheDataTypeE0ES0_Li32ELi64ELi256ELb0ELi3EEvPKT_PKT0_S8_ifPKiSA_SA_iPKfiiiPfSD_PS3_PT2_iSC_SC_:
	.asciz	"void paged_attention_ll4mi_QKV_mfma16_kernel(const scalar_t *__restrict, const cache_t *__restrict, const cache_t *__restrict, const int, const float, const int *__restrict, const int *__restrict, const int *__restrict, const int, const float *__restrict, const int, const int, const int, float *__restrict, float *__restrict, scalar_t *__restrict, OUTT *__restrict, int, const float *, const float *) [scalar_t = __hip_bfloat16, cache_t = __hip_bfloat16, KV_DTYPE = vllm::Fp8KVCacheDataType::kAuto, OUTT = __hip_bfloat16, BLOCK_SIZE = 32, HEAD_SIZE = 64, NUM_THREADS = 256, ALIBI_ENABLED = false, GQA_RATIO = 3]"
	.size	__PRETTY_FUNCTION__._Z39paged_attention_ll4mi_QKV_mfma16_kernelI14__hip_bfloat16S0_LN4vllm18Fp8KVCacheDataTypeE0ES0_Li32ELi64ELi256ELb0ELi3EEvPKT_PKT0_S8_ifPKiSA_SA_iPKfiiiPfSD_PS3_PT2_iSC_SC_, 613

	.type	__PRETTY_FUNCTION__._Z39paged_attention_ll4mi_QKV_mfma16_kernelI14__hip_bfloat16S0_LN4vllm18Fp8KVCacheDataTypeE0ES0_Li32ELi64ELi256ELb0ELi4EEvPKT_PKT0_S8_ifPKiSA_SA_iPKfiiiPfSD_PS3_PT2_iSC_SC_,@object ; @__PRETTY_FUNCTION__._Z39paged_attention_ll4mi_QKV_mfma16_kernelI14__hip_bfloat16S0_LN4vllm18Fp8KVCacheDataTypeE0ES0_Li32ELi64ELi256ELb0ELi4EEvPKT_PKT0_S8_ifPKiSA_SA_iPKfiiiPfSD_PS3_PT2_iSC_SC_
__PRETTY_FUNCTION__._Z39paged_attention_ll4mi_QKV_mfma16_kernelI14__hip_bfloat16S0_LN4vllm18Fp8KVCacheDataTypeE0ES0_Li32ELi64ELi256ELb0ELi4EEvPKT_PKT0_S8_ifPKiSA_SA_iPKfiiiPfSD_PS3_PT2_iSC_SC_:
	.asciz	"void paged_attention_ll4mi_QKV_mfma16_kernel(const scalar_t *__restrict, const cache_t *__restrict, const cache_t *__restrict, const int, const float, const int *__restrict, const int *__restrict, const int *__restrict, const int, const float *__restrict, const int, const int, const int, float *__restrict, float *__restrict, scalar_t *__restrict, OUTT *__restrict, int, const float *, const float *) [scalar_t = __hip_bfloat16, cache_t = __hip_bfloat16, KV_DTYPE = vllm::Fp8KVCacheDataType::kAuto, OUTT = __hip_bfloat16, BLOCK_SIZE = 32, HEAD_SIZE = 64, NUM_THREADS = 256, ALIBI_ENABLED = false, GQA_RATIO = 4]"
	.size	__PRETTY_FUNCTION__._Z39paged_attention_ll4mi_QKV_mfma16_kernelI14__hip_bfloat16S0_LN4vllm18Fp8KVCacheDataTypeE0ES0_Li32ELi64ELi256ELb0ELi4EEvPKT_PKT0_S8_ifPKiSA_SA_iPKfiiiPfSD_PS3_PT2_iSC_SC_, 613

	.type	__PRETTY_FUNCTION__._Z38paged_attention_ll4mi_QKV_mfma4_kernelI14__hip_bfloat16S0_LN4vllm18Fp8KVCacheDataTypeE0EhLi16ELi128ELi256ELb1ELi1EEvPKT_PKT0_S8_ifPKiSA_SA_iPKfiiiPfSD_PS3_PT2_iSC_SC_,@object ; @__PRETTY_FUNCTION__._Z38paged_attention_ll4mi_QKV_mfma4_kernelI14__hip_bfloat16S0_LN4vllm18Fp8KVCacheDataTypeE0EhLi16ELi128ELi256ELb1ELi1EEvPKT_PKT0_S8_ifPKiSA_SA_iPKfiiiPfSD_PS3_PT2_iSC_SC_
__PRETTY_FUNCTION__._Z38paged_attention_ll4mi_QKV_mfma4_kernelI14__hip_bfloat16S0_LN4vllm18Fp8KVCacheDataTypeE0EhLi16ELi128ELi256ELb1ELi1EEvPKT_PKT0_S8_ifPKiSA_SA_iPKfiiiPfSD_PS3_PT2_iSC_SC_:
	.asciz	"void paged_attention_ll4mi_QKV_mfma4_kernel(const scalar_t *__restrict, const cache_t *__restrict, const cache_t *__restrict, const int, const float, const int *__restrict, const int *__restrict, const int *__restrict, const int, const float *__restrict, const int, const int, const int, float *__restrict, float *__restrict, scalar_t *__restrict, OUTT *__restrict, int, const float *, const float *) [scalar_t = __hip_bfloat16, cache_t = __hip_bfloat16, KV_DTYPE = vllm::Fp8KVCacheDataType::kAuto, OUTT = unsigned char, BLOCK_SIZE = 16, HEAD_SIZE = 128, NUM_THREADS = 256, ALIBI_ENABLED = true, GQA_RATIO = 1]"
	.size	__PRETTY_FUNCTION__._Z38paged_attention_ll4mi_QKV_mfma4_kernelI14__hip_bfloat16S0_LN4vllm18Fp8KVCacheDataTypeE0EhLi16ELi128ELi256ELb1ELi1EEvPKT_PKT0_S8_ifPKiSA_SA_iPKfiiiPfSD_PS3_PT2_iSC_SC_, 611

	.type	__PRETTY_FUNCTION__._Z38paged_attention_ll4mi_QKV_mfma4_kernelI14__hip_bfloat16S0_LN4vllm18Fp8KVCacheDataTypeE0EhLi16ELi128ELi256ELb1ELi2EEvPKT_PKT0_S8_ifPKiSA_SA_iPKfiiiPfSD_PS3_PT2_iSC_SC_,@object ; @__PRETTY_FUNCTION__._Z38paged_attention_ll4mi_QKV_mfma4_kernelI14__hip_bfloat16S0_LN4vllm18Fp8KVCacheDataTypeE0EhLi16ELi128ELi256ELb1ELi2EEvPKT_PKT0_S8_ifPKiSA_SA_iPKfiiiPfSD_PS3_PT2_iSC_SC_
__PRETTY_FUNCTION__._Z38paged_attention_ll4mi_QKV_mfma4_kernelI14__hip_bfloat16S0_LN4vllm18Fp8KVCacheDataTypeE0EhLi16ELi128ELi256ELb1ELi2EEvPKT_PKT0_S8_ifPKiSA_SA_iPKfiiiPfSD_PS3_PT2_iSC_SC_:
	.asciz	"void paged_attention_ll4mi_QKV_mfma4_kernel(const scalar_t *__restrict, const cache_t *__restrict, const cache_t *__restrict, const int, const float, const int *__restrict, const int *__restrict, const int *__restrict, const int, const float *__restrict, const int, const int, const int, float *__restrict, float *__restrict, scalar_t *__restrict, OUTT *__restrict, int, const float *, const float *) [scalar_t = __hip_bfloat16, cache_t = __hip_bfloat16, KV_DTYPE = vllm::Fp8KVCacheDataType::kAuto, OUTT = unsigned char, BLOCK_SIZE = 16, HEAD_SIZE = 128, NUM_THREADS = 256, ALIBI_ENABLED = true, GQA_RATIO = 2]"
	.size	__PRETTY_FUNCTION__._Z38paged_attention_ll4mi_QKV_mfma4_kernelI14__hip_bfloat16S0_LN4vllm18Fp8KVCacheDataTypeE0EhLi16ELi128ELi256ELb1ELi2EEvPKT_PKT0_S8_ifPKiSA_SA_iPKfiiiPfSD_PS3_PT2_iSC_SC_, 611

	.type	__PRETTY_FUNCTION__._Z38paged_attention_ll4mi_QKV_mfma4_kernelI14__hip_bfloat16S0_LN4vllm18Fp8KVCacheDataTypeE0EhLi16ELi128ELi256ELb1ELi3EEvPKT_PKT0_S8_ifPKiSA_SA_iPKfiiiPfSD_PS3_PT2_iSC_SC_,@object ; @__PRETTY_FUNCTION__._Z38paged_attention_ll4mi_QKV_mfma4_kernelI14__hip_bfloat16S0_LN4vllm18Fp8KVCacheDataTypeE0EhLi16ELi128ELi256ELb1ELi3EEvPKT_PKT0_S8_ifPKiSA_SA_iPKfiiiPfSD_PS3_PT2_iSC_SC_
__PRETTY_FUNCTION__._Z38paged_attention_ll4mi_QKV_mfma4_kernelI14__hip_bfloat16S0_LN4vllm18Fp8KVCacheDataTypeE0EhLi16ELi128ELi256ELb1ELi3EEvPKT_PKT0_S8_ifPKiSA_SA_iPKfiiiPfSD_PS3_PT2_iSC_SC_:
	.asciz	"void paged_attention_ll4mi_QKV_mfma4_kernel(const scalar_t *__restrict, const cache_t *__restrict, const cache_t *__restrict, const int, const float, const int *__restrict, const int *__restrict, const int *__restrict, const int, const float *__restrict, const int, const int, const int, float *__restrict, float *__restrict, scalar_t *__restrict, OUTT *__restrict, int, const float *, const float *) [scalar_t = __hip_bfloat16, cache_t = __hip_bfloat16, KV_DTYPE = vllm::Fp8KVCacheDataType::kAuto, OUTT = unsigned char, BLOCK_SIZE = 16, HEAD_SIZE = 128, NUM_THREADS = 256, ALIBI_ENABLED = true, GQA_RATIO = 3]"
	.size	__PRETTY_FUNCTION__._Z38paged_attention_ll4mi_QKV_mfma4_kernelI14__hip_bfloat16S0_LN4vllm18Fp8KVCacheDataTypeE0EhLi16ELi128ELi256ELb1ELi3EEvPKT_PKT0_S8_ifPKiSA_SA_iPKfiiiPfSD_PS3_PT2_iSC_SC_, 611

	.type	__PRETTY_FUNCTION__._Z38paged_attention_ll4mi_QKV_mfma4_kernelI14__hip_bfloat16S0_LN4vllm18Fp8KVCacheDataTypeE0EhLi16ELi128ELi256ELb1ELi4EEvPKT_PKT0_S8_ifPKiSA_SA_iPKfiiiPfSD_PS3_PT2_iSC_SC_,@object ; @__PRETTY_FUNCTION__._Z38paged_attention_ll4mi_QKV_mfma4_kernelI14__hip_bfloat16S0_LN4vllm18Fp8KVCacheDataTypeE0EhLi16ELi128ELi256ELb1ELi4EEvPKT_PKT0_S8_ifPKiSA_SA_iPKfiiiPfSD_PS3_PT2_iSC_SC_
__PRETTY_FUNCTION__._Z38paged_attention_ll4mi_QKV_mfma4_kernelI14__hip_bfloat16S0_LN4vllm18Fp8KVCacheDataTypeE0EhLi16ELi128ELi256ELb1ELi4EEvPKT_PKT0_S8_ifPKiSA_SA_iPKfiiiPfSD_PS3_PT2_iSC_SC_:
	.asciz	"void paged_attention_ll4mi_QKV_mfma4_kernel(const scalar_t *__restrict, const cache_t *__restrict, const cache_t *__restrict, const int, const float, const int *__restrict, const int *__restrict, const int *__restrict, const int, const float *__restrict, const int, const int, const int, float *__restrict, float *__restrict, scalar_t *__restrict, OUTT *__restrict, int, const float *, const float *) [scalar_t = __hip_bfloat16, cache_t = __hip_bfloat16, KV_DTYPE = vllm::Fp8KVCacheDataType::kAuto, OUTT = unsigned char, BLOCK_SIZE = 16, HEAD_SIZE = 128, NUM_THREADS = 256, ALIBI_ENABLED = true, GQA_RATIO = 4]"
	.size	__PRETTY_FUNCTION__._Z38paged_attention_ll4mi_QKV_mfma4_kernelI14__hip_bfloat16S0_LN4vllm18Fp8KVCacheDataTypeE0EhLi16ELi128ELi256ELb1ELi4EEvPKT_PKT0_S8_ifPKiSA_SA_iPKfiiiPfSD_PS3_PT2_iSC_SC_, 611

	.type	__PRETTY_FUNCTION__._Z39paged_attention_ll4mi_QKV_mfma16_kernelI14__hip_bfloat16S0_LN4vllm18Fp8KVCacheDataTypeE0EhLi16ELi128ELi256ELb1ELi5EEvPKT_PKT0_S8_ifPKiSA_SA_iPKfiiiPfSD_PS3_PT2_iSC_SC_,@object ; @__PRETTY_FUNCTION__._Z39paged_attention_ll4mi_QKV_mfma16_kernelI14__hip_bfloat16S0_LN4vllm18Fp8KVCacheDataTypeE0EhLi16ELi128ELi256ELb1ELi5EEvPKT_PKT0_S8_ifPKiSA_SA_iPKfiiiPfSD_PS3_PT2_iSC_SC_
__PRETTY_FUNCTION__._Z39paged_attention_ll4mi_QKV_mfma16_kernelI14__hip_bfloat16S0_LN4vllm18Fp8KVCacheDataTypeE0EhLi16ELi128ELi256ELb1ELi5EEvPKT_PKT0_S8_ifPKiSA_SA_iPKfiiiPfSD_PS3_PT2_iSC_SC_:
	.asciz	"void paged_attention_ll4mi_QKV_mfma16_kernel(const scalar_t *__restrict, const cache_t *__restrict, const cache_t *__restrict, const int, const float, const int *__restrict, const int *__restrict, const int *__restrict, const int, const float *__restrict, const int, const int, const int, float *__restrict, float *__restrict, scalar_t *__restrict, OUTT *__restrict, int, const float *, const float *) [scalar_t = __hip_bfloat16, cache_t = __hip_bfloat16, KV_DTYPE = vllm::Fp8KVCacheDataType::kAuto, OUTT = unsigned char, BLOCK_SIZE = 16, HEAD_SIZE = 128, NUM_THREADS = 256, ALIBI_ENABLED = true, GQA_RATIO = 5]"
	.size	__PRETTY_FUNCTION__._Z39paged_attention_ll4mi_QKV_mfma16_kernelI14__hip_bfloat16S0_LN4vllm18Fp8KVCacheDataTypeE0EhLi16ELi128ELi256ELb1ELi5EEvPKT_PKT0_S8_ifPKiSA_SA_iPKfiiiPfSD_PS3_PT2_iSC_SC_, 612

	.type	__PRETTY_FUNCTION__._Z39paged_attention_ll4mi_QKV_mfma16_kernelI14__hip_bfloat16S0_LN4vllm18Fp8KVCacheDataTypeE0EhLi16ELi128ELi256ELb1ELi6EEvPKT_PKT0_S8_ifPKiSA_SA_iPKfiiiPfSD_PS3_PT2_iSC_SC_,@object ; @__PRETTY_FUNCTION__._Z39paged_attention_ll4mi_QKV_mfma16_kernelI14__hip_bfloat16S0_LN4vllm18Fp8KVCacheDataTypeE0EhLi16ELi128ELi256ELb1ELi6EEvPKT_PKT0_S8_ifPKiSA_SA_iPKfiiiPfSD_PS3_PT2_iSC_SC_
__PRETTY_FUNCTION__._Z39paged_attention_ll4mi_QKV_mfma16_kernelI14__hip_bfloat16S0_LN4vllm18Fp8KVCacheDataTypeE0EhLi16ELi128ELi256ELb1ELi6EEvPKT_PKT0_S8_ifPKiSA_SA_iPKfiiiPfSD_PS3_PT2_iSC_SC_:
	.asciz	"void paged_attention_ll4mi_QKV_mfma16_kernel(const scalar_t *__restrict, const cache_t *__restrict, const cache_t *__restrict, const int, const float, const int *__restrict, const int *__restrict, const int *__restrict, const int, const float *__restrict, const int, const int, const int, float *__restrict, float *__restrict, scalar_t *__restrict, OUTT *__restrict, int, const float *, const float *) [scalar_t = __hip_bfloat16, cache_t = __hip_bfloat16, KV_DTYPE = vllm::Fp8KVCacheDataType::kAuto, OUTT = unsigned char, BLOCK_SIZE = 16, HEAD_SIZE = 128, NUM_THREADS = 256, ALIBI_ENABLED = true, GQA_RATIO = 6]"
	.size	__PRETTY_FUNCTION__._Z39paged_attention_ll4mi_QKV_mfma16_kernelI14__hip_bfloat16S0_LN4vllm18Fp8KVCacheDataTypeE0EhLi16ELi128ELi256ELb1ELi6EEvPKT_PKT0_S8_ifPKiSA_SA_iPKfiiiPfSD_PS3_PT2_iSC_SC_, 612

	.type	__PRETTY_FUNCTION__._Z39paged_attention_ll4mi_QKV_mfma16_kernelI14__hip_bfloat16S0_LN4vllm18Fp8KVCacheDataTypeE0EhLi16ELi128ELi256ELb1ELi7EEvPKT_PKT0_S8_ifPKiSA_SA_iPKfiiiPfSD_PS3_PT2_iSC_SC_,@object ; @__PRETTY_FUNCTION__._Z39paged_attention_ll4mi_QKV_mfma16_kernelI14__hip_bfloat16S0_LN4vllm18Fp8KVCacheDataTypeE0EhLi16ELi128ELi256ELb1ELi7EEvPKT_PKT0_S8_ifPKiSA_SA_iPKfiiiPfSD_PS3_PT2_iSC_SC_
__PRETTY_FUNCTION__._Z39paged_attention_ll4mi_QKV_mfma16_kernelI14__hip_bfloat16S0_LN4vllm18Fp8KVCacheDataTypeE0EhLi16ELi128ELi256ELb1ELi7EEvPKT_PKT0_S8_ifPKiSA_SA_iPKfiiiPfSD_PS3_PT2_iSC_SC_:
	.asciz	"void paged_attention_ll4mi_QKV_mfma16_kernel(const scalar_t *__restrict, const cache_t *__restrict, const cache_t *__restrict, const int, const float, const int *__restrict, const int *__restrict, const int *__restrict, const int, const float *__restrict, const int, const int, const int, float *__restrict, float *__restrict, scalar_t *__restrict, OUTT *__restrict, int, const float *, const float *) [scalar_t = __hip_bfloat16, cache_t = __hip_bfloat16, KV_DTYPE = vllm::Fp8KVCacheDataType::kAuto, OUTT = unsigned char, BLOCK_SIZE = 16, HEAD_SIZE = 128, NUM_THREADS = 256, ALIBI_ENABLED = true, GQA_RATIO = 7]"
	.size	__PRETTY_FUNCTION__._Z39paged_attention_ll4mi_QKV_mfma16_kernelI14__hip_bfloat16S0_LN4vllm18Fp8KVCacheDataTypeE0EhLi16ELi128ELi256ELb1ELi7EEvPKT_PKT0_S8_ifPKiSA_SA_iPKfiiiPfSD_PS3_PT2_iSC_SC_, 612

	.type	__PRETTY_FUNCTION__._Z39paged_attention_ll4mi_QKV_mfma16_kernelI14__hip_bfloat16S0_LN4vllm18Fp8KVCacheDataTypeE0EhLi16ELi128ELi256ELb1ELi8EEvPKT_PKT0_S8_ifPKiSA_SA_iPKfiiiPfSD_PS3_PT2_iSC_SC_,@object ; @__PRETTY_FUNCTION__._Z39paged_attention_ll4mi_QKV_mfma16_kernelI14__hip_bfloat16S0_LN4vllm18Fp8KVCacheDataTypeE0EhLi16ELi128ELi256ELb1ELi8EEvPKT_PKT0_S8_ifPKiSA_SA_iPKfiiiPfSD_PS3_PT2_iSC_SC_
__PRETTY_FUNCTION__._Z39paged_attention_ll4mi_QKV_mfma16_kernelI14__hip_bfloat16S0_LN4vllm18Fp8KVCacheDataTypeE0EhLi16ELi128ELi256ELb1ELi8EEvPKT_PKT0_S8_ifPKiSA_SA_iPKfiiiPfSD_PS3_PT2_iSC_SC_:
	.asciz	"void paged_attention_ll4mi_QKV_mfma16_kernel(const scalar_t *__restrict, const cache_t *__restrict, const cache_t *__restrict, const int, const float, const int *__restrict, const int *__restrict, const int *__restrict, const int, const float *__restrict, const int, const int, const int, float *__restrict, float *__restrict, scalar_t *__restrict, OUTT *__restrict, int, const float *, const float *) [scalar_t = __hip_bfloat16, cache_t = __hip_bfloat16, KV_DTYPE = vllm::Fp8KVCacheDataType::kAuto, OUTT = unsigned char, BLOCK_SIZE = 16, HEAD_SIZE = 128, NUM_THREADS = 256, ALIBI_ENABLED = true, GQA_RATIO = 8]"
	.size	__PRETTY_FUNCTION__._Z39paged_attention_ll4mi_QKV_mfma16_kernelI14__hip_bfloat16S0_LN4vllm18Fp8KVCacheDataTypeE0EhLi16ELi128ELi256ELb1ELi8EEvPKT_PKT0_S8_ifPKiSA_SA_iPKfiiiPfSD_PS3_PT2_iSC_SC_, 612

	.type	__PRETTY_FUNCTION__._Z39paged_attention_ll4mi_QKV_mfma16_kernelI14__hip_bfloat16S0_LN4vllm18Fp8KVCacheDataTypeE0EhLi16ELi128ELi256ELb1ELi9EEvPKT_PKT0_S8_ifPKiSA_SA_iPKfiiiPfSD_PS3_PT2_iSC_SC_,@object ; @__PRETTY_FUNCTION__._Z39paged_attention_ll4mi_QKV_mfma16_kernelI14__hip_bfloat16S0_LN4vllm18Fp8KVCacheDataTypeE0EhLi16ELi128ELi256ELb1ELi9EEvPKT_PKT0_S8_ifPKiSA_SA_iPKfiiiPfSD_PS3_PT2_iSC_SC_
__PRETTY_FUNCTION__._Z39paged_attention_ll4mi_QKV_mfma16_kernelI14__hip_bfloat16S0_LN4vllm18Fp8KVCacheDataTypeE0EhLi16ELi128ELi256ELb1ELi9EEvPKT_PKT0_S8_ifPKiSA_SA_iPKfiiiPfSD_PS3_PT2_iSC_SC_:
	.asciz	"void paged_attention_ll4mi_QKV_mfma16_kernel(const scalar_t *__restrict, const cache_t *__restrict, const cache_t *__restrict, const int, const float, const int *__restrict, const int *__restrict, const int *__restrict, const int, const float *__restrict, const int, const int, const int, float *__restrict, float *__restrict, scalar_t *__restrict, OUTT *__restrict, int, const float *, const float *) [scalar_t = __hip_bfloat16, cache_t = __hip_bfloat16, KV_DTYPE = vllm::Fp8KVCacheDataType::kAuto, OUTT = unsigned char, BLOCK_SIZE = 16, HEAD_SIZE = 128, NUM_THREADS = 256, ALIBI_ENABLED = true, GQA_RATIO = 9]"
	.size	__PRETTY_FUNCTION__._Z39paged_attention_ll4mi_QKV_mfma16_kernelI14__hip_bfloat16S0_LN4vllm18Fp8KVCacheDataTypeE0EhLi16ELi128ELi256ELb1ELi9EEvPKT_PKT0_S8_ifPKiSA_SA_iPKfiiiPfSD_PS3_PT2_iSC_SC_, 612

	.type	__PRETTY_FUNCTION__._Z39paged_attention_ll4mi_QKV_mfma16_kernelI14__hip_bfloat16S0_LN4vllm18Fp8KVCacheDataTypeE0EhLi16ELi128ELi256ELb1ELi10EEvPKT_PKT0_S8_ifPKiSA_SA_iPKfiiiPfSD_PS3_PT2_iSC_SC_,@object ; @__PRETTY_FUNCTION__._Z39paged_attention_ll4mi_QKV_mfma16_kernelI14__hip_bfloat16S0_LN4vllm18Fp8KVCacheDataTypeE0EhLi16ELi128ELi256ELb1ELi10EEvPKT_PKT0_S8_ifPKiSA_SA_iPKfiiiPfSD_PS3_PT2_iSC_SC_
__PRETTY_FUNCTION__._Z39paged_attention_ll4mi_QKV_mfma16_kernelI14__hip_bfloat16S0_LN4vllm18Fp8KVCacheDataTypeE0EhLi16ELi128ELi256ELb1ELi10EEvPKT_PKT0_S8_ifPKiSA_SA_iPKfiiiPfSD_PS3_PT2_iSC_SC_:
	.asciz	"void paged_attention_ll4mi_QKV_mfma16_kernel(const scalar_t *__restrict, const cache_t *__restrict, const cache_t *__restrict, const int, const float, const int *__restrict, const int *__restrict, const int *__restrict, const int, const float *__restrict, const int, const int, const int, float *__restrict, float *__restrict, scalar_t *__restrict, OUTT *__restrict, int, const float *, const float *) [scalar_t = __hip_bfloat16, cache_t = __hip_bfloat16, KV_DTYPE = vllm::Fp8KVCacheDataType::kAuto, OUTT = unsigned char, BLOCK_SIZE = 16, HEAD_SIZE = 128, NUM_THREADS = 256, ALIBI_ENABLED = true, GQA_RATIO = 10]"
	.size	__PRETTY_FUNCTION__._Z39paged_attention_ll4mi_QKV_mfma16_kernelI14__hip_bfloat16S0_LN4vllm18Fp8KVCacheDataTypeE0EhLi16ELi128ELi256ELb1ELi10EEvPKT_PKT0_S8_ifPKiSA_SA_iPKfiiiPfSD_PS3_PT2_iSC_SC_, 613

	.type	__PRETTY_FUNCTION__._Z39paged_attention_ll4mi_QKV_mfma16_kernelI14__hip_bfloat16S0_LN4vllm18Fp8KVCacheDataTypeE0EhLi16ELi128ELi256ELb1ELi11EEvPKT_PKT0_S8_ifPKiSA_SA_iPKfiiiPfSD_PS3_PT2_iSC_SC_,@object ; @__PRETTY_FUNCTION__._Z39paged_attention_ll4mi_QKV_mfma16_kernelI14__hip_bfloat16S0_LN4vllm18Fp8KVCacheDataTypeE0EhLi16ELi128ELi256ELb1ELi11EEvPKT_PKT0_S8_ifPKiSA_SA_iPKfiiiPfSD_PS3_PT2_iSC_SC_
__PRETTY_FUNCTION__._Z39paged_attention_ll4mi_QKV_mfma16_kernelI14__hip_bfloat16S0_LN4vllm18Fp8KVCacheDataTypeE0EhLi16ELi128ELi256ELb1ELi11EEvPKT_PKT0_S8_ifPKiSA_SA_iPKfiiiPfSD_PS3_PT2_iSC_SC_:
	.asciz	"void paged_attention_ll4mi_QKV_mfma16_kernel(const scalar_t *__restrict, const cache_t *__restrict, const cache_t *__restrict, const int, const float, const int *__restrict, const int *__restrict, const int *__restrict, const int, const float *__restrict, const int, const int, const int, float *__restrict, float *__restrict, scalar_t *__restrict, OUTT *__restrict, int, const float *, const float *) [scalar_t = __hip_bfloat16, cache_t = __hip_bfloat16, KV_DTYPE = vllm::Fp8KVCacheDataType::kAuto, OUTT = unsigned char, BLOCK_SIZE = 16, HEAD_SIZE = 128, NUM_THREADS = 256, ALIBI_ENABLED = true, GQA_RATIO = 11]"
	.size	__PRETTY_FUNCTION__._Z39paged_attention_ll4mi_QKV_mfma16_kernelI14__hip_bfloat16S0_LN4vllm18Fp8KVCacheDataTypeE0EhLi16ELi128ELi256ELb1ELi11EEvPKT_PKT0_S8_ifPKiSA_SA_iPKfiiiPfSD_PS3_PT2_iSC_SC_, 613

	.type	__PRETTY_FUNCTION__._Z39paged_attention_ll4mi_QKV_mfma16_kernelI14__hip_bfloat16S0_LN4vllm18Fp8KVCacheDataTypeE0EhLi16ELi128ELi256ELb1ELi12EEvPKT_PKT0_S8_ifPKiSA_SA_iPKfiiiPfSD_PS3_PT2_iSC_SC_,@object ; @__PRETTY_FUNCTION__._Z39paged_attention_ll4mi_QKV_mfma16_kernelI14__hip_bfloat16S0_LN4vllm18Fp8KVCacheDataTypeE0EhLi16ELi128ELi256ELb1ELi12EEvPKT_PKT0_S8_ifPKiSA_SA_iPKfiiiPfSD_PS3_PT2_iSC_SC_
__PRETTY_FUNCTION__._Z39paged_attention_ll4mi_QKV_mfma16_kernelI14__hip_bfloat16S0_LN4vllm18Fp8KVCacheDataTypeE0EhLi16ELi128ELi256ELb1ELi12EEvPKT_PKT0_S8_ifPKiSA_SA_iPKfiiiPfSD_PS3_PT2_iSC_SC_:
	.asciz	"void paged_attention_ll4mi_QKV_mfma16_kernel(const scalar_t *__restrict, const cache_t *__restrict, const cache_t *__restrict, const int, const float, const int *__restrict, const int *__restrict, const int *__restrict, const int, const float *__restrict, const int, const int, const int, float *__restrict, float *__restrict, scalar_t *__restrict, OUTT *__restrict, int, const float *, const float *) [scalar_t = __hip_bfloat16, cache_t = __hip_bfloat16, KV_DTYPE = vllm::Fp8KVCacheDataType::kAuto, OUTT = unsigned char, BLOCK_SIZE = 16, HEAD_SIZE = 128, NUM_THREADS = 256, ALIBI_ENABLED = true, GQA_RATIO = 12]"
	.size	__PRETTY_FUNCTION__._Z39paged_attention_ll4mi_QKV_mfma16_kernelI14__hip_bfloat16S0_LN4vllm18Fp8KVCacheDataTypeE0EhLi16ELi128ELi256ELb1ELi12EEvPKT_PKT0_S8_ifPKiSA_SA_iPKfiiiPfSD_PS3_PT2_iSC_SC_, 613

	.type	__PRETTY_FUNCTION__._Z39paged_attention_ll4mi_QKV_mfma16_kernelI14__hip_bfloat16S0_LN4vllm18Fp8KVCacheDataTypeE0EhLi16ELi128ELi256ELb1ELi13EEvPKT_PKT0_S8_ifPKiSA_SA_iPKfiiiPfSD_PS3_PT2_iSC_SC_,@object ; @__PRETTY_FUNCTION__._Z39paged_attention_ll4mi_QKV_mfma16_kernelI14__hip_bfloat16S0_LN4vllm18Fp8KVCacheDataTypeE0EhLi16ELi128ELi256ELb1ELi13EEvPKT_PKT0_S8_ifPKiSA_SA_iPKfiiiPfSD_PS3_PT2_iSC_SC_
__PRETTY_FUNCTION__._Z39paged_attention_ll4mi_QKV_mfma16_kernelI14__hip_bfloat16S0_LN4vllm18Fp8KVCacheDataTypeE0EhLi16ELi128ELi256ELb1ELi13EEvPKT_PKT0_S8_ifPKiSA_SA_iPKfiiiPfSD_PS3_PT2_iSC_SC_:
	.asciz	"void paged_attention_ll4mi_QKV_mfma16_kernel(const scalar_t *__restrict, const cache_t *__restrict, const cache_t *__restrict, const int, const float, const int *__restrict, const int *__restrict, const int *__restrict, const int, const float *__restrict, const int, const int, const int, float *__restrict, float *__restrict, scalar_t *__restrict, OUTT *__restrict, int, const float *, const float *) [scalar_t = __hip_bfloat16, cache_t = __hip_bfloat16, KV_DTYPE = vllm::Fp8KVCacheDataType::kAuto, OUTT = unsigned char, BLOCK_SIZE = 16, HEAD_SIZE = 128, NUM_THREADS = 256, ALIBI_ENABLED = true, GQA_RATIO = 13]"
	.size	__PRETTY_FUNCTION__._Z39paged_attention_ll4mi_QKV_mfma16_kernelI14__hip_bfloat16S0_LN4vllm18Fp8KVCacheDataTypeE0EhLi16ELi128ELi256ELb1ELi13EEvPKT_PKT0_S8_ifPKiSA_SA_iPKfiiiPfSD_PS3_PT2_iSC_SC_, 613

	.type	__PRETTY_FUNCTION__._Z39paged_attention_ll4mi_QKV_mfma16_kernelI14__hip_bfloat16S0_LN4vllm18Fp8KVCacheDataTypeE0EhLi16ELi128ELi256ELb1ELi14EEvPKT_PKT0_S8_ifPKiSA_SA_iPKfiiiPfSD_PS3_PT2_iSC_SC_,@object ; @__PRETTY_FUNCTION__._Z39paged_attention_ll4mi_QKV_mfma16_kernelI14__hip_bfloat16S0_LN4vllm18Fp8KVCacheDataTypeE0EhLi16ELi128ELi256ELb1ELi14EEvPKT_PKT0_S8_ifPKiSA_SA_iPKfiiiPfSD_PS3_PT2_iSC_SC_
__PRETTY_FUNCTION__._Z39paged_attention_ll4mi_QKV_mfma16_kernelI14__hip_bfloat16S0_LN4vllm18Fp8KVCacheDataTypeE0EhLi16ELi128ELi256ELb1ELi14EEvPKT_PKT0_S8_ifPKiSA_SA_iPKfiiiPfSD_PS3_PT2_iSC_SC_:
	.asciz	"void paged_attention_ll4mi_QKV_mfma16_kernel(const scalar_t *__restrict, const cache_t *__restrict, const cache_t *__restrict, const int, const float, const int *__restrict, const int *__restrict, const int *__restrict, const int, const float *__restrict, const int, const int, const int, float *__restrict, float *__restrict, scalar_t *__restrict, OUTT *__restrict, int, const float *, const float *) [scalar_t = __hip_bfloat16, cache_t = __hip_bfloat16, KV_DTYPE = vllm::Fp8KVCacheDataType::kAuto, OUTT = unsigned char, BLOCK_SIZE = 16, HEAD_SIZE = 128, NUM_THREADS = 256, ALIBI_ENABLED = true, GQA_RATIO = 14]"
	.size	__PRETTY_FUNCTION__._Z39paged_attention_ll4mi_QKV_mfma16_kernelI14__hip_bfloat16S0_LN4vllm18Fp8KVCacheDataTypeE0EhLi16ELi128ELi256ELb1ELi14EEvPKT_PKT0_S8_ifPKiSA_SA_iPKfiiiPfSD_PS3_PT2_iSC_SC_, 613

	.type	__PRETTY_FUNCTION__._Z39paged_attention_ll4mi_QKV_mfma16_kernelI14__hip_bfloat16S0_LN4vllm18Fp8KVCacheDataTypeE0EhLi16ELi128ELi256ELb1ELi15EEvPKT_PKT0_S8_ifPKiSA_SA_iPKfiiiPfSD_PS3_PT2_iSC_SC_,@object ; @__PRETTY_FUNCTION__._Z39paged_attention_ll4mi_QKV_mfma16_kernelI14__hip_bfloat16S0_LN4vllm18Fp8KVCacheDataTypeE0EhLi16ELi128ELi256ELb1ELi15EEvPKT_PKT0_S8_ifPKiSA_SA_iPKfiiiPfSD_PS3_PT2_iSC_SC_
__PRETTY_FUNCTION__._Z39paged_attention_ll4mi_QKV_mfma16_kernelI14__hip_bfloat16S0_LN4vllm18Fp8KVCacheDataTypeE0EhLi16ELi128ELi256ELb1ELi15EEvPKT_PKT0_S8_ifPKiSA_SA_iPKfiiiPfSD_PS3_PT2_iSC_SC_:
	.asciz	"void paged_attention_ll4mi_QKV_mfma16_kernel(const scalar_t *__restrict, const cache_t *__restrict, const cache_t *__restrict, const int, const float, const int *__restrict, const int *__restrict, const int *__restrict, const int, const float *__restrict, const int, const int, const int, float *__restrict, float *__restrict, scalar_t *__restrict, OUTT *__restrict, int, const float *, const float *) [scalar_t = __hip_bfloat16, cache_t = __hip_bfloat16, KV_DTYPE = vllm::Fp8KVCacheDataType::kAuto, OUTT = unsigned char, BLOCK_SIZE = 16, HEAD_SIZE = 128, NUM_THREADS = 256, ALIBI_ENABLED = true, GQA_RATIO = 15]"
	.size	__PRETTY_FUNCTION__._Z39paged_attention_ll4mi_QKV_mfma16_kernelI14__hip_bfloat16S0_LN4vllm18Fp8KVCacheDataTypeE0EhLi16ELi128ELi256ELb1ELi15EEvPKT_PKT0_S8_ifPKiSA_SA_iPKfiiiPfSD_PS3_PT2_iSC_SC_, 613

	.type	__PRETTY_FUNCTION__._Z39paged_attention_ll4mi_QKV_mfma16_kernelI14__hip_bfloat16S0_LN4vllm18Fp8KVCacheDataTypeE0EhLi16ELi128ELi256ELb1ELi16EEvPKT_PKT0_S8_ifPKiSA_SA_iPKfiiiPfSD_PS3_PT2_iSC_SC_,@object ; @__PRETTY_FUNCTION__._Z39paged_attention_ll4mi_QKV_mfma16_kernelI14__hip_bfloat16S0_LN4vllm18Fp8KVCacheDataTypeE0EhLi16ELi128ELi256ELb1ELi16EEvPKT_PKT0_S8_ifPKiSA_SA_iPKfiiiPfSD_PS3_PT2_iSC_SC_
__PRETTY_FUNCTION__._Z39paged_attention_ll4mi_QKV_mfma16_kernelI14__hip_bfloat16S0_LN4vllm18Fp8KVCacheDataTypeE0EhLi16ELi128ELi256ELb1ELi16EEvPKT_PKT0_S8_ifPKiSA_SA_iPKfiiiPfSD_PS3_PT2_iSC_SC_:
	.asciz	"void paged_attention_ll4mi_QKV_mfma16_kernel(const scalar_t *__restrict, const cache_t *__restrict, const cache_t *__restrict, const int, const float, const int *__restrict, const int *__restrict, const int *__restrict, const int, const float *__restrict, const int, const int, const int, float *__restrict, float *__restrict, scalar_t *__restrict, OUTT *__restrict, int, const float *, const float *) [scalar_t = __hip_bfloat16, cache_t = __hip_bfloat16, KV_DTYPE = vllm::Fp8KVCacheDataType::kAuto, OUTT = unsigned char, BLOCK_SIZE = 16, HEAD_SIZE = 128, NUM_THREADS = 256, ALIBI_ENABLED = true, GQA_RATIO = 16]"
	.size	__PRETTY_FUNCTION__._Z39paged_attention_ll4mi_QKV_mfma16_kernelI14__hip_bfloat16S0_LN4vllm18Fp8KVCacheDataTypeE0EhLi16ELi128ELi256ELb1ELi16EEvPKT_PKT0_S8_ifPKiSA_SA_iPKfiiiPfSD_PS3_PT2_iSC_SC_, 613

	.type	__PRETTY_FUNCTION__._Z35paged_attention_ll4mi_reduce_kernelI14__hip_bfloat16hLi128ELi128ELi256ELi1EEvPT0_PKfS4_PKT_PKiS9_iS4_,@object ; @__PRETTY_FUNCTION__._Z35paged_attention_ll4mi_reduce_kernelI14__hip_bfloat16hLi128ELi128ELi256ELi1EEvPT0_PKfS4_PKT_PKiS9_iS4_
__PRETTY_FUNCTION__._Z35paged_attention_ll4mi_reduce_kernelI14__hip_bfloat16hLi128ELi128ELi256ELi1EEvPT0_PKfS4_PKT_PKiS9_iS4_:
	.asciz	"void paged_attention_ll4mi_reduce_kernel(OUTT *__restrict, const float *__restrict, const float *__restrict, const scalar_t *__restrict, const int *__restrict, const int *__restrict, const int, const float *__restrict) [scalar_t = __hip_bfloat16, OUTT = unsigned char, HEAD_SIZE = 128, NUM_THREADS = 128, PARTITION_SIZE = 256, NPAR_LOOPS = 1]"
	.size	__PRETTY_FUNCTION__._Z35paged_attention_ll4mi_reduce_kernelI14__hip_bfloat16hLi128ELi128ELi256ELi1EEvPT0_PKfS4_PKT_PKiS9_iS4_, 343

	.type	__PRETTY_FUNCTION__._Z35paged_attention_ll4mi_reduce_kernelI14__hip_bfloat16hLi128ELi128ELi256ELi2EEvPT0_PKfS4_PKT_PKiS9_iS4_,@object ; @__PRETTY_FUNCTION__._Z35paged_attention_ll4mi_reduce_kernelI14__hip_bfloat16hLi128ELi128ELi256ELi2EEvPT0_PKfS4_PKT_PKiS9_iS4_
__PRETTY_FUNCTION__._Z35paged_attention_ll4mi_reduce_kernelI14__hip_bfloat16hLi128ELi128ELi256ELi2EEvPT0_PKfS4_PKT_PKiS9_iS4_:
	.asciz	"void paged_attention_ll4mi_reduce_kernel(OUTT *__restrict, const float *__restrict, const float *__restrict, const scalar_t *__restrict, const int *__restrict, const int *__restrict, const int, const float *__restrict) [scalar_t = __hip_bfloat16, OUTT = unsigned char, HEAD_SIZE = 128, NUM_THREADS = 128, PARTITION_SIZE = 256, NPAR_LOOPS = 2]"
	.size	__PRETTY_FUNCTION__._Z35paged_attention_ll4mi_reduce_kernelI14__hip_bfloat16hLi128ELi128ELi256ELi2EEvPT0_PKfS4_PKT_PKiS9_iS4_, 343

	.type	__PRETTY_FUNCTION__._Z35paged_attention_ll4mi_reduce_kernelI14__hip_bfloat16hLi128ELi128ELi256ELi3EEvPT0_PKfS4_PKT_PKiS9_iS4_,@object ; @__PRETTY_FUNCTION__._Z35paged_attention_ll4mi_reduce_kernelI14__hip_bfloat16hLi128ELi128ELi256ELi3EEvPT0_PKfS4_PKT_PKiS9_iS4_
__PRETTY_FUNCTION__._Z35paged_attention_ll4mi_reduce_kernelI14__hip_bfloat16hLi128ELi128ELi256ELi3EEvPT0_PKfS4_PKT_PKiS9_iS4_:
	.asciz	"void paged_attention_ll4mi_reduce_kernel(OUTT *__restrict, const float *__restrict, const float *__restrict, const scalar_t *__restrict, const int *__restrict, const int *__restrict, const int, const float *__restrict) [scalar_t = __hip_bfloat16, OUTT = unsigned char, HEAD_SIZE = 128, NUM_THREADS = 128, PARTITION_SIZE = 256, NPAR_LOOPS = 3]"
	.size	__PRETTY_FUNCTION__._Z35paged_attention_ll4mi_reduce_kernelI14__hip_bfloat16hLi128ELi128ELi256ELi3EEvPT0_PKfS4_PKT_PKiS9_iS4_, 343

	.type	__PRETTY_FUNCTION__._Z35paged_attention_ll4mi_reduce_kernelI14__hip_bfloat16hLi128ELi128ELi256ELi4EEvPT0_PKfS4_PKT_PKiS9_iS4_,@object ; @__PRETTY_FUNCTION__._Z35paged_attention_ll4mi_reduce_kernelI14__hip_bfloat16hLi128ELi128ELi256ELi4EEvPT0_PKfS4_PKT_PKiS9_iS4_
__PRETTY_FUNCTION__._Z35paged_attention_ll4mi_reduce_kernelI14__hip_bfloat16hLi128ELi128ELi256ELi4EEvPT0_PKfS4_PKT_PKiS9_iS4_:
	.asciz	"void paged_attention_ll4mi_reduce_kernel(OUTT *__restrict, const float *__restrict, const float *__restrict, const scalar_t *__restrict, const int *__restrict, const int *__restrict, const int, const float *__restrict) [scalar_t = __hip_bfloat16, OUTT = unsigned char, HEAD_SIZE = 128, NUM_THREADS = 128, PARTITION_SIZE = 256, NPAR_LOOPS = 4]"
	.size	__PRETTY_FUNCTION__._Z35paged_attention_ll4mi_reduce_kernelI14__hip_bfloat16hLi128ELi128ELi256ELi4EEvPT0_PKfS4_PKT_PKiS9_iS4_, 343

	.type	__PRETTY_FUNCTION__._Z35paged_attention_ll4mi_reduce_kernelI14__hip_bfloat16hLi128ELi128ELi256ELi5EEvPT0_PKfS4_PKT_PKiS9_iS4_,@object ; @__PRETTY_FUNCTION__._Z35paged_attention_ll4mi_reduce_kernelI14__hip_bfloat16hLi128ELi128ELi256ELi5EEvPT0_PKfS4_PKT_PKiS9_iS4_
__PRETTY_FUNCTION__._Z35paged_attention_ll4mi_reduce_kernelI14__hip_bfloat16hLi128ELi128ELi256ELi5EEvPT0_PKfS4_PKT_PKiS9_iS4_:
	.asciz	"void paged_attention_ll4mi_reduce_kernel(OUTT *__restrict, const float *__restrict, const float *__restrict, const scalar_t *__restrict, const int *__restrict, const int *__restrict, const int, const float *__restrict) [scalar_t = __hip_bfloat16, OUTT = unsigned char, HEAD_SIZE = 128, NUM_THREADS = 128, PARTITION_SIZE = 256, NPAR_LOOPS = 5]"
	.size	__PRETTY_FUNCTION__._Z35paged_attention_ll4mi_reduce_kernelI14__hip_bfloat16hLi128ELi128ELi256ELi5EEvPT0_PKfS4_PKT_PKiS9_iS4_, 343

	.type	__PRETTY_FUNCTION__._Z35paged_attention_ll4mi_reduce_kernelI14__hip_bfloat16hLi128ELi128ELi256ELi6EEvPT0_PKfS4_PKT_PKiS9_iS4_,@object ; @__PRETTY_FUNCTION__._Z35paged_attention_ll4mi_reduce_kernelI14__hip_bfloat16hLi128ELi128ELi256ELi6EEvPT0_PKfS4_PKT_PKiS9_iS4_
__PRETTY_FUNCTION__._Z35paged_attention_ll4mi_reduce_kernelI14__hip_bfloat16hLi128ELi128ELi256ELi6EEvPT0_PKfS4_PKT_PKiS9_iS4_:
	.asciz	"void paged_attention_ll4mi_reduce_kernel(OUTT *__restrict, const float *__restrict, const float *__restrict, const scalar_t *__restrict, const int *__restrict, const int *__restrict, const int, const float *__restrict) [scalar_t = __hip_bfloat16, OUTT = unsigned char, HEAD_SIZE = 128, NUM_THREADS = 128, PARTITION_SIZE = 256, NPAR_LOOPS = 6]"
	.size	__PRETTY_FUNCTION__._Z35paged_attention_ll4mi_reduce_kernelI14__hip_bfloat16hLi128ELi128ELi256ELi6EEvPT0_PKfS4_PKT_PKiS9_iS4_, 343

	.type	__PRETTY_FUNCTION__._Z35paged_attention_ll4mi_reduce_kernelI14__hip_bfloat16hLi128ELi128ELi256ELi7EEvPT0_PKfS4_PKT_PKiS9_iS4_,@object ; @__PRETTY_FUNCTION__._Z35paged_attention_ll4mi_reduce_kernelI14__hip_bfloat16hLi128ELi128ELi256ELi7EEvPT0_PKfS4_PKT_PKiS9_iS4_
__PRETTY_FUNCTION__._Z35paged_attention_ll4mi_reduce_kernelI14__hip_bfloat16hLi128ELi128ELi256ELi7EEvPT0_PKfS4_PKT_PKiS9_iS4_:
	.asciz	"void paged_attention_ll4mi_reduce_kernel(OUTT *__restrict, const float *__restrict, const float *__restrict, const scalar_t *__restrict, const int *__restrict, const int *__restrict, const int, const float *__restrict) [scalar_t = __hip_bfloat16, OUTT = unsigned char, HEAD_SIZE = 128, NUM_THREADS = 128, PARTITION_SIZE = 256, NPAR_LOOPS = 7]"
	.size	__PRETTY_FUNCTION__._Z35paged_attention_ll4mi_reduce_kernelI14__hip_bfloat16hLi128ELi128ELi256ELi7EEvPT0_PKfS4_PKT_PKiS9_iS4_, 343

	.type	__PRETTY_FUNCTION__._Z35paged_attention_ll4mi_reduce_kernelI14__hip_bfloat16hLi128ELi128ELi256ELi8EEvPT0_PKfS4_PKT_PKiS9_iS4_,@object ; @__PRETTY_FUNCTION__._Z35paged_attention_ll4mi_reduce_kernelI14__hip_bfloat16hLi128ELi128ELi256ELi8EEvPT0_PKfS4_PKT_PKiS9_iS4_
__PRETTY_FUNCTION__._Z35paged_attention_ll4mi_reduce_kernelI14__hip_bfloat16hLi128ELi128ELi256ELi8EEvPT0_PKfS4_PKT_PKiS9_iS4_:
	.asciz	"void paged_attention_ll4mi_reduce_kernel(OUTT *__restrict, const float *__restrict, const float *__restrict, const scalar_t *__restrict, const int *__restrict, const int *__restrict, const int, const float *__restrict) [scalar_t = __hip_bfloat16, OUTT = unsigned char, HEAD_SIZE = 128, NUM_THREADS = 128, PARTITION_SIZE = 256, NPAR_LOOPS = 8]"
	.size	__PRETTY_FUNCTION__._Z35paged_attention_ll4mi_reduce_kernelI14__hip_bfloat16hLi128ELi128ELi256ELi8EEvPT0_PKfS4_PKT_PKiS9_iS4_, 343

	.type	__PRETTY_FUNCTION__._Z39paged_attention_ll4mi_QKV_mfma16_kernelI14__hip_bfloat16S0_LN4vllm18Fp8KVCacheDataTypeE0EhLi16ELi128ELi256ELb1ELi1EEvPKT_PKT0_S8_ifPKiSA_SA_iPKfiiiPfSD_PS3_PT2_iSC_SC_,@object ; @__PRETTY_FUNCTION__._Z39paged_attention_ll4mi_QKV_mfma16_kernelI14__hip_bfloat16S0_LN4vllm18Fp8KVCacheDataTypeE0EhLi16ELi128ELi256ELb1ELi1EEvPKT_PKT0_S8_ifPKiSA_SA_iPKfiiiPfSD_PS3_PT2_iSC_SC_
__PRETTY_FUNCTION__._Z39paged_attention_ll4mi_QKV_mfma16_kernelI14__hip_bfloat16S0_LN4vllm18Fp8KVCacheDataTypeE0EhLi16ELi128ELi256ELb1ELi1EEvPKT_PKT0_S8_ifPKiSA_SA_iPKfiiiPfSD_PS3_PT2_iSC_SC_:
	.asciz	"void paged_attention_ll4mi_QKV_mfma16_kernel(const scalar_t *__restrict, const cache_t *__restrict, const cache_t *__restrict, const int, const float, const int *__restrict, const int *__restrict, const int *__restrict, const int, const float *__restrict, const int, const int, const int, float *__restrict, float *__restrict, scalar_t *__restrict, OUTT *__restrict, int, const float *, const float *) [scalar_t = __hip_bfloat16, cache_t = __hip_bfloat16, KV_DTYPE = vllm::Fp8KVCacheDataType::kAuto, OUTT = unsigned char, BLOCK_SIZE = 16, HEAD_SIZE = 128, NUM_THREADS = 256, ALIBI_ENABLED = true, GQA_RATIO = 1]"
	.size	__PRETTY_FUNCTION__._Z39paged_attention_ll4mi_QKV_mfma16_kernelI14__hip_bfloat16S0_LN4vllm18Fp8KVCacheDataTypeE0EhLi16ELi128ELi256ELb1ELi1EEvPKT_PKT0_S8_ifPKiSA_SA_iPKfiiiPfSD_PS3_PT2_iSC_SC_, 612

	.type	__PRETTY_FUNCTION__._Z39paged_attention_ll4mi_QKV_mfma16_kernelI14__hip_bfloat16S0_LN4vllm18Fp8KVCacheDataTypeE0EhLi16ELi128ELi256ELb1ELi2EEvPKT_PKT0_S8_ifPKiSA_SA_iPKfiiiPfSD_PS3_PT2_iSC_SC_,@object ; @__PRETTY_FUNCTION__._Z39paged_attention_ll4mi_QKV_mfma16_kernelI14__hip_bfloat16S0_LN4vllm18Fp8KVCacheDataTypeE0EhLi16ELi128ELi256ELb1ELi2EEvPKT_PKT0_S8_ifPKiSA_SA_iPKfiiiPfSD_PS3_PT2_iSC_SC_
__PRETTY_FUNCTION__._Z39paged_attention_ll4mi_QKV_mfma16_kernelI14__hip_bfloat16S0_LN4vllm18Fp8KVCacheDataTypeE0EhLi16ELi128ELi256ELb1ELi2EEvPKT_PKT0_S8_ifPKiSA_SA_iPKfiiiPfSD_PS3_PT2_iSC_SC_:
	.asciz	"void paged_attention_ll4mi_QKV_mfma16_kernel(const scalar_t *__restrict, const cache_t *__restrict, const cache_t *__restrict, const int, const float, const int *__restrict, const int *__restrict, const int *__restrict, const int, const float *__restrict, const int, const int, const int, float *__restrict, float *__restrict, scalar_t *__restrict, OUTT *__restrict, int, const float *, const float *) [scalar_t = __hip_bfloat16, cache_t = __hip_bfloat16, KV_DTYPE = vllm::Fp8KVCacheDataType::kAuto, OUTT = unsigned char, BLOCK_SIZE = 16, HEAD_SIZE = 128, NUM_THREADS = 256, ALIBI_ENABLED = true, GQA_RATIO = 2]"
	.size	__PRETTY_FUNCTION__._Z39paged_attention_ll4mi_QKV_mfma16_kernelI14__hip_bfloat16S0_LN4vllm18Fp8KVCacheDataTypeE0EhLi16ELi128ELi256ELb1ELi2EEvPKT_PKT0_S8_ifPKiSA_SA_iPKfiiiPfSD_PS3_PT2_iSC_SC_, 612

	.type	__PRETTY_FUNCTION__._Z39paged_attention_ll4mi_QKV_mfma16_kernelI14__hip_bfloat16S0_LN4vllm18Fp8KVCacheDataTypeE0EhLi16ELi128ELi256ELb1ELi3EEvPKT_PKT0_S8_ifPKiSA_SA_iPKfiiiPfSD_PS3_PT2_iSC_SC_,@object ; @__PRETTY_FUNCTION__._Z39paged_attention_ll4mi_QKV_mfma16_kernelI14__hip_bfloat16S0_LN4vllm18Fp8KVCacheDataTypeE0EhLi16ELi128ELi256ELb1ELi3EEvPKT_PKT0_S8_ifPKiSA_SA_iPKfiiiPfSD_PS3_PT2_iSC_SC_
__PRETTY_FUNCTION__._Z39paged_attention_ll4mi_QKV_mfma16_kernelI14__hip_bfloat16S0_LN4vllm18Fp8KVCacheDataTypeE0EhLi16ELi128ELi256ELb1ELi3EEvPKT_PKT0_S8_ifPKiSA_SA_iPKfiiiPfSD_PS3_PT2_iSC_SC_:
	.asciz	"void paged_attention_ll4mi_QKV_mfma16_kernel(const scalar_t *__restrict, const cache_t *__restrict, const cache_t *__restrict, const int, const float, const int *__restrict, const int *__restrict, const int *__restrict, const int, const float *__restrict, const int, const int, const int, float *__restrict, float *__restrict, scalar_t *__restrict, OUTT *__restrict, int, const float *, const float *) [scalar_t = __hip_bfloat16, cache_t = __hip_bfloat16, KV_DTYPE = vllm::Fp8KVCacheDataType::kAuto, OUTT = unsigned char, BLOCK_SIZE = 16, HEAD_SIZE = 128, NUM_THREADS = 256, ALIBI_ENABLED = true, GQA_RATIO = 3]"
	.size	__PRETTY_FUNCTION__._Z39paged_attention_ll4mi_QKV_mfma16_kernelI14__hip_bfloat16S0_LN4vllm18Fp8KVCacheDataTypeE0EhLi16ELi128ELi256ELb1ELi3EEvPKT_PKT0_S8_ifPKiSA_SA_iPKfiiiPfSD_PS3_PT2_iSC_SC_, 612

	.type	__PRETTY_FUNCTION__._Z39paged_attention_ll4mi_QKV_mfma16_kernelI14__hip_bfloat16S0_LN4vllm18Fp8KVCacheDataTypeE0EhLi16ELi128ELi256ELb1ELi4EEvPKT_PKT0_S8_ifPKiSA_SA_iPKfiiiPfSD_PS3_PT2_iSC_SC_,@object ; @__PRETTY_FUNCTION__._Z39paged_attention_ll4mi_QKV_mfma16_kernelI14__hip_bfloat16S0_LN4vllm18Fp8KVCacheDataTypeE0EhLi16ELi128ELi256ELb1ELi4EEvPKT_PKT0_S8_ifPKiSA_SA_iPKfiiiPfSD_PS3_PT2_iSC_SC_
__PRETTY_FUNCTION__._Z39paged_attention_ll4mi_QKV_mfma16_kernelI14__hip_bfloat16S0_LN4vllm18Fp8KVCacheDataTypeE0EhLi16ELi128ELi256ELb1ELi4EEvPKT_PKT0_S8_ifPKiSA_SA_iPKfiiiPfSD_PS3_PT2_iSC_SC_:
	.asciz	"void paged_attention_ll4mi_QKV_mfma16_kernel(const scalar_t *__restrict, const cache_t *__restrict, const cache_t *__restrict, const int, const float, const int *__restrict, const int *__restrict, const int *__restrict, const int, const float *__restrict, const int, const int, const int, float *__restrict, float *__restrict, scalar_t *__restrict, OUTT *__restrict, int, const float *, const float *) [scalar_t = __hip_bfloat16, cache_t = __hip_bfloat16, KV_DTYPE = vllm::Fp8KVCacheDataType::kAuto, OUTT = unsigned char, BLOCK_SIZE = 16, HEAD_SIZE = 128, NUM_THREADS = 256, ALIBI_ENABLED = true, GQA_RATIO = 4]"
	.size	__PRETTY_FUNCTION__._Z39paged_attention_ll4mi_QKV_mfma16_kernelI14__hip_bfloat16S0_LN4vllm18Fp8KVCacheDataTypeE0EhLi16ELi128ELi256ELb1ELi4EEvPKT_PKT0_S8_ifPKiSA_SA_iPKfiiiPfSD_PS3_PT2_iSC_SC_, 612

	.type	__PRETTY_FUNCTION__._Z35paged_attention_ll4mi_reduce_kernelI14__hip_bfloat16hLi128ELi128ELi256ELi9EEvPT0_PKfS4_PKT_PKiS9_iS4_,@object ; @__PRETTY_FUNCTION__._Z35paged_attention_ll4mi_reduce_kernelI14__hip_bfloat16hLi128ELi128ELi256ELi9EEvPT0_PKfS4_PKT_PKiS9_iS4_
__PRETTY_FUNCTION__._Z35paged_attention_ll4mi_reduce_kernelI14__hip_bfloat16hLi128ELi128ELi256ELi9EEvPT0_PKfS4_PKT_PKiS9_iS4_:
	.asciz	"void paged_attention_ll4mi_reduce_kernel(OUTT *__restrict, const float *__restrict, const float *__restrict, const scalar_t *__restrict, const int *__restrict, const int *__restrict, const int, const float *__restrict) [scalar_t = __hip_bfloat16, OUTT = unsigned char, HEAD_SIZE = 128, NUM_THREADS = 128, PARTITION_SIZE = 256, NPAR_LOOPS = 9]"
	.size	__PRETTY_FUNCTION__._Z35paged_attention_ll4mi_reduce_kernelI14__hip_bfloat16hLi128ELi128ELi256ELi9EEvPT0_PKfS4_PKT_PKiS9_iS4_, 343

	.type	__PRETTY_FUNCTION__._Z35paged_attention_ll4mi_reduce_kernelI14__hip_bfloat16hLi128ELi128ELi256ELi10EEvPT0_PKfS4_PKT_PKiS9_iS4_,@object ; @__PRETTY_FUNCTION__._Z35paged_attention_ll4mi_reduce_kernelI14__hip_bfloat16hLi128ELi128ELi256ELi10EEvPT0_PKfS4_PKT_PKiS9_iS4_
__PRETTY_FUNCTION__._Z35paged_attention_ll4mi_reduce_kernelI14__hip_bfloat16hLi128ELi128ELi256ELi10EEvPT0_PKfS4_PKT_PKiS9_iS4_:
	.asciz	"void paged_attention_ll4mi_reduce_kernel(OUTT *__restrict, const float *__restrict, const float *__restrict, const scalar_t *__restrict, const int *__restrict, const int *__restrict, const int, const float *__restrict) [scalar_t = __hip_bfloat16, OUTT = unsigned char, HEAD_SIZE = 128, NUM_THREADS = 128, PARTITION_SIZE = 256, NPAR_LOOPS = 10]"
	.size	__PRETTY_FUNCTION__._Z35paged_attention_ll4mi_reduce_kernelI14__hip_bfloat16hLi128ELi128ELi256ELi10EEvPT0_PKfS4_PKT_PKiS9_iS4_, 344

	.type	__PRETTY_FUNCTION__._Z35paged_attention_ll4mi_reduce_kernelI14__hip_bfloat16hLi128ELi128ELi256ELi11EEvPT0_PKfS4_PKT_PKiS9_iS4_,@object ; @__PRETTY_FUNCTION__._Z35paged_attention_ll4mi_reduce_kernelI14__hip_bfloat16hLi128ELi128ELi256ELi11EEvPT0_PKfS4_PKT_PKiS9_iS4_
__PRETTY_FUNCTION__._Z35paged_attention_ll4mi_reduce_kernelI14__hip_bfloat16hLi128ELi128ELi256ELi11EEvPT0_PKfS4_PKT_PKiS9_iS4_:
	.asciz	"void paged_attention_ll4mi_reduce_kernel(OUTT *__restrict, const float *__restrict, const float *__restrict, const scalar_t *__restrict, const int *__restrict, const int *__restrict, const int, const float *__restrict) [scalar_t = __hip_bfloat16, OUTT = unsigned char, HEAD_SIZE = 128, NUM_THREADS = 128, PARTITION_SIZE = 256, NPAR_LOOPS = 11]"
	.size	__PRETTY_FUNCTION__._Z35paged_attention_ll4mi_reduce_kernelI14__hip_bfloat16hLi128ELi128ELi256ELi11EEvPT0_PKfS4_PKT_PKiS9_iS4_, 344

	.type	__PRETTY_FUNCTION__._Z35paged_attention_ll4mi_reduce_kernelI14__hip_bfloat16hLi128ELi128ELi256ELi12EEvPT0_PKfS4_PKT_PKiS9_iS4_,@object ; @__PRETTY_FUNCTION__._Z35paged_attention_ll4mi_reduce_kernelI14__hip_bfloat16hLi128ELi128ELi256ELi12EEvPT0_PKfS4_PKT_PKiS9_iS4_
__PRETTY_FUNCTION__._Z35paged_attention_ll4mi_reduce_kernelI14__hip_bfloat16hLi128ELi128ELi256ELi12EEvPT0_PKfS4_PKT_PKiS9_iS4_:
	.asciz	"void paged_attention_ll4mi_reduce_kernel(OUTT *__restrict, const float *__restrict, const float *__restrict, const scalar_t *__restrict, const int *__restrict, const int *__restrict, const int, const float *__restrict) [scalar_t = __hip_bfloat16, OUTT = unsigned char, HEAD_SIZE = 128, NUM_THREADS = 128, PARTITION_SIZE = 256, NPAR_LOOPS = 12]"
	.size	__PRETTY_FUNCTION__._Z35paged_attention_ll4mi_reduce_kernelI14__hip_bfloat16hLi128ELi128ELi256ELi12EEvPT0_PKfS4_PKT_PKiS9_iS4_, 344

	.type	__PRETTY_FUNCTION__._Z35paged_attention_ll4mi_reduce_kernelI14__hip_bfloat16hLi128ELi128ELi256ELi13EEvPT0_PKfS4_PKT_PKiS9_iS4_,@object ; @__PRETTY_FUNCTION__._Z35paged_attention_ll4mi_reduce_kernelI14__hip_bfloat16hLi128ELi128ELi256ELi13EEvPT0_PKfS4_PKT_PKiS9_iS4_
__PRETTY_FUNCTION__._Z35paged_attention_ll4mi_reduce_kernelI14__hip_bfloat16hLi128ELi128ELi256ELi13EEvPT0_PKfS4_PKT_PKiS9_iS4_:
	.asciz	"void paged_attention_ll4mi_reduce_kernel(OUTT *__restrict, const float *__restrict, const float *__restrict, const scalar_t *__restrict, const int *__restrict, const int *__restrict, const int, const float *__restrict) [scalar_t = __hip_bfloat16, OUTT = unsigned char, HEAD_SIZE = 128, NUM_THREADS = 128, PARTITION_SIZE = 256, NPAR_LOOPS = 13]"
	.size	__PRETTY_FUNCTION__._Z35paged_attention_ll4mi_reduce_kernelI14__hip_bfloat16hLi128ELi128ELi256ELi13EEvPT0_PKfS4_PKT_PKiS9_iS4_, 344

	.type	__PRETTY_FUNCTION__._Z35paged_attention_ll4mi_reduce_kernelI14__hip_bfloat16hLi128ELi128ELi256ELi14EEvPT0_PKfS4_PKT_PKiS9_iS4_,@object ; @__PRETTY_FUNCTION__._Z35paged_attention_ll4mi_reduce_kernelI14__hip_bfloat16hLi128ELi128ELi256ELi14EEvPT0_PKfS4_PKT_PKiS9_iS4_
__PRETTY_FUNCTION__._Z35paged_attention_ll4mi_reduce_kernelI14__hip_bfloat16hLi128ELi128ELi256ELi14EEvPT0_PKfS4_PKT_PKiS9_iS4_:
	.asciz	"void paged_attention_ll4mi_reduce_kernel(OUTT *__restrict, const float *__restrict, const float *__restrict, const scalar_t *__restrict, const int *__restrict, const int *__restrict, const int, const float *__restrict) [scalar_t = __hip_bfloat16, OUTT = unsigned char, HEAD_SIZE = 128, NUM_THREADS = 128, PARTITION_SIZE = 256, NPAR_LOOPS = 14]"
	.size	__PRETTY_FUNCTION__._Z35paged_attention_ll4mi_reduce_kernelI14__hip_bfloat16hLi128ELi128ELi256ELi14EEvPT0_PKfS4_PKT_PKiS9_iS4_, 344

	.type	__PRETTY_FUNCTION__._Z35paged_attention_ll4mi_reduce_kernelI14__hip_bfloat16hLi128ELi128ELi256ELi15EEvPT0_PKfS4_PKT_PKiS9_iS4_,@object ; @__PRETTY_FUNCTION__._Z35paged_attention_ll4mi_reduce_kernelI14__hip_bfloat16hLi128ELi128ELi256ELi15EEvPT0_PKfS4_PKT_PKiS9_iS4_
__PRETTY_FUNCTION__._Z35paged_attention_ll4mi_reduce_kernelI14__hip_bfloat16hLi128ELi128ELi256ELi15EEvPT0_PKfS4_PKT_PKiS9_iS4_:
	.asciz	"void paged_attention_ll4mi_reduce_kernel(OUTT *__restrict, const float *__restrict, const float *__restrict, const scalar_t *__restrict, const int *__restrict, const int *__restrict, const int, const float *__restrict) [scalar_t = __hip_bfloat16, OUTT = unsigned char, HEAD_SIZE = 128, NUM_THREADS = 128, PARTITION_SIZE = 256, NPAR_LOOPS = 15]"
	.size	__PRETTY_FUNCTION__._Z35paged_attention_ll4mi_reduce_kernelI14__hip_bfloat16hLi128ELi128ELi256ELi15EEvPT0_PKfS4_PKT_PKiS9_iS4_, 344

	.type	__PRETTY_FUNCTION__._Z35paged_attention_ll4mi_reduce_kernelI14__hip_bfloat16hLi128ELi128ELi256ELi16EEvPT0_PKfS4_PKT_PKiS9_iS4_,@object ; @__PRETTY_FUNCTION__._Z35paged_attention_ll4mi_reduce_kernelI14__hip_bfloat16hLi128ELi128ELi256ELi16EEvPT0_PKfS4_PKT_PKiS9_iS4_
__PRETTY_FUNCTION__._Z35paged_attention_ll4mi_reduce_kernelI14__hip_bfloat16hLi128ELi128ELi256ELi16EEvPT0_PKfS4_PKT_PKiS9_iS4_:
	.asciz	"void paged_attention_ll4mi_reduce_kernel(OUTT *__restrict, const float *__restrict, const float *__restrict, const scalar_t *__restrict, const int *__restrict, const int *__restrict, const int, const float *__restrict) [scalar_t = __hip_bfloat16, OUTT = unsigned char, HEAD_SIZE = 128, NUM_THREADS = 128, PARTITION_SIZE = 256, NPAR_LOOPS = 16]"
	.size	__PRETTY_FUNCTION__._Z35paged_attention_ll4mi_reduce_kernelI14__hip_bfloat16hLi128ELi128ELi256ELi16EEvPT0_PKfS4_PKT_PKiS9_iS4_, 344

	.type	__PRETTY_FUNCTION__._Z38paged_attention_ll4mi_QKV_mfma4_kernelI14__hip_bfloat16S0_LN4vllm18Fp8KVCacheDataTypeE0EhLi16ELi128ELi256ELb0ELi1EEvPKT_PKT0_S8_ifPKiSA_SA_iPKfiiiPfSD_PS3_PT2_iSC_SC_,@object ; @__PRETTY_FUNCTION__._Z38paged_attention_ll4mi_QKV_mfma4_kernelI14__hip_bfloat16S0_LN4vllm18Fp8KVCacheDataTypeE0EhLi16ELi128ELi256ELb0ELi1EEvPKT_PKT0_S8_ifPKiSA_SA_iPKfiiiPfSD_PS3_PT2_iSC_SC_
__PRETTY_FUNCTION__._Z38paged_attention_ll4mi_QKV_mfma4_kernelI14__hip_bfloat16S0_LN4vllm18Fp8KVCacheDataTypeE0EhLi16ELi128ELi256ELb0ELi1EEvPKT_PKT0_S8_ifPKiSA_SA_iPKfiiiPfSD_PS3_PT2_iSC_SC_:
	.asciz	"void paged_attention_ll4mi_QKV_mfma4_kernel(const scalar_t *__restrict, const cache_t *__restrict, const cache_t *__restrict, const int, const float, const int *__restrict, const int *__restrict, const int *__restrict, const int, const float *__restrict, const int, const int, const int, float *__restrict, float *__restrict, scalar_t *__restrict, OUTT *__restrict, int, const float *, const float *) [scalar_t = __hip_bfloat16, cache_t = __hip_bfloat16, KV_DTYPE = vllm::Fp8KVCacheDataType::kAuto, OUTT = unsigned char, BLOCK_SIZE = 16, HEAD_SIZE = 128, NUM_THREADS = 256, ALIBI_ENABLED = false, GQA_RATIO = 1]"
	.size	__PRETTY_FUNCTION__._Z38paged_attention_ll4mi_QKV_mfma4_kernelI14__hip_bfloat16S0_LN4vllm18Fp8KVCacheDataTypeE0EhLi16ELi128ELi256ELb0ELi1EEvPKT_PKT0_S8_ifPKiSA_SA_iPKfiiiPfSD_PS3_PT2_iSC_SC_, 612

	.type	__PRETTY_FUNCTION__._Z38paged_attention_ll4mi_QKV_mfma4_kernelI14__hip_bfloat16S0_LN4vllm18Fp8KVCacheDataTypeE0EhLi16ELi128ELi256ELb0ELi2EEvPKT_PKT0_S8_ifPKiSA_SA_iPKfiiiPfSD_PS3_PT2_iSC_SC_,@object ; @__PRETTY_FUNCTION__._Z38paged_attention_ll4mi_QKV_mfma4_kernelI14__hip_bfloat16S0_LN4vllm18Fp8KVCacheDataTypeE0EhLi16ELi128ELi256ELb0ELi2EEvPKT_PKT0_S8_ifPKiSA_SA_iPKfiiiPfSD_PS3_PT2_iSC_SC_
__PRETTY_FUNCTION__._Z38paged_attention_ll4mi_QKV_mfma4_kernelI14__hip_bfloat16S0_LN4vllm18Fp8KVCacheDataTypeE0EhLi16ELi128ELi256ELb0ELi2EEvPKT_PKT0_S8_ifPKiSA_SA_iPKfiiiPfSD_PS3_PT2_iSC_SC_:
	.asciz	"void paged_attention_ll4mi_QKV_mfma4_kernel(const scalar_t *__restrict, const cache_t *__restrict, const cache_t *__restrict, const int, const float, const int *__restrict, const int *__restrict, const int *__restrict, const int, const float *__restrict, const int, const int, const int, float *__restrict, float *__restrict, scalar_t *__restrict, OUTT *__restrict, int, const float *, const float *) [scalar_t = __hip_bfloat16, cache_t = __hip_bfloat16, KV_DTYPE = vllm::Fp8KVCacheDataType::kAuto, OUTT = unsigned char, BLOCK_SIZE = 16, HEAD_SIZE = 128, NUM_THREADS = 256, ALIBI_ENABLED = false, GQA_RATIO = 2]"
	.size	__PRETTY_FUNCTION__._Z38paged_attention_ll4mi_QKV_mfma4_kernelI14__hip_bfloat16S0_LN4vllm18Fp8KVCacheDataTypeE0EhLi16ELi128ELi256ELb0ELi2EEvPKT_PKT0_S8_ifPKiSA_SA_iPKfiiiPfSD_PS3_PT2_iSC_SC_, 612

	.type	__PRETTY_FUNCTION__._Z38paged_attention_ll4mi_QKV_mfma4_kernelI14__hip_bfloat16S0_LN4vllm18Fp8KVCacheDataTypeE0EhLi16ELi128ELi256ELb0ELi3EEvPKT_PKT0_S8_ifPKiSA_SA_iPKfiiiPfSD_PS3_PT2_iSC_SC_,@object ; @__PRETTY_FUNCTION__._Z38paged_attention_ll4mi_QKV_mfma4_kernelI14__hip_bfloat16S0_LN4vllm18Fp8KVCacheDataTypeE0EhLi16ELi128ELi256ELb0ELi3EEvPKT_PKT0_S8_ifPKiSA_SA_iPKfiiiPfSD_PS3_PT2_iSC_SC_
__PRETTY_FUNCTION__._Z38paged_attention_ll4mi_QKV_mfma4_kernelI14__hip_bfloat16S0_LN4vllm18Fp8KVCacheDataTypeE0EhLi16ELi128ELi256ELb0ELi3EEvPKT_PKT0_S8_ifPKiSA_SA_iPKfiiiPfSD_PS3_PT2_iSC_SC_:
	.asciz	"void paged_attention_ll4mi_QKV_mfma4_kernel(const scalar_t *__restrict, const cache_t *__restrict, const cache_t *__restrict, const int, const float, const int *__restrict, const int *__restrict, const int *__restrict, const int, const float *__restrict, const int, const int, const int, float *__restrict, float *__restrict, scalar_t *__restrict, OUTT *__restrict, int, const float *, const float *) [scalar_t = __hip_bfloat16, cache_t = __hip_bfloat16, KV_DTYPE = vllm::Fp8KVCacheDataType::kAuto, OUTT = unsigned char, BLOCK_SIZE = 16, HEAD_SIZE = 128, NUM_THREADS = 256, ALIBI_ENABLED = false, GQA_RATIO = 3]"
	.size	__PRETTY_FUNCTION__._Z38paged_attention_ll4mi_QKV_mfma4_kernelI14__hip_bfloat16S0_LN4vllm18Fp8KVCacheDataTypeE0EhLi16ELi128ELi256ELb0ELi3EEvPKT_PKT0_S8_ifPKiSA_SA_iPKfiiiPfSD_PS3_PT2_iSC_SC_, 612

	.type	__PRETTY_FUNCTION__._Z38paged_attention_ll4mi_QKV_mfma4_kernelI14__hip_bfloat16S0_LN4vllm18Fp8KVCacheDataTypeE0EhLi16ELi128ELi256ELb0ELi4EEvPKT_PKT0_S8_ifPKiSA_SA_iPKfiiiPfSD_PS3_PT2_iSC_SC_,@object ; @__PRETTY_FUNCTION__._Z38paged_attention_ll4mi_QKV_mfma4_kernelI14__hip_bfloat16S0_LN4vllm18Fp8KVCacheDataTypeE0EhLi16ELi128ELi256ELb0ELi4EEvPKT_PKT0_S8_ifPKiSA_SA_iPKfiiiPfSD_PS3_PT2_iSC_SC_
__PRETTY_FUNCTION__._Z38paged_attention_ll4mi_QKV_mfma4_kernelI14__hip_bfloat16S0_LN4vllm18Fp8KVCacheDataTypeE0EhLi16ELi128ELi256ELb0ELi4EEvPKT_PKT0_S8_ifPKiSA_SA_iPKfiiiPfSD_PS3_PT2_iSC_SC_:
	.asciz	"void paged_attention_ll4mi_QKV_mfma4_kernel(const scalar_t *__restrict, const cache_t *__restrict, const cache_t *__restrict, const int, const float, const int *__restrict, const int *__restrict, const int *__restrict, const int, const float *__restrict, const int, const int, const int, float *__restrict, float *__restrict, scalar_t *__restrict, OUTT *__restrict, int, const float *, const float *) [scalar_t = __hip_bfloat16, cache_t = __hip_bfloat16, KV_DTYPE = vllm::Fp8KVCacheDataType::kAuto, OUTT = unsigned char, BLOCK_SIZE = 16, HEAD_SIZE = 128, NUM_THREADS = 256, ALIBI_ENABLED = false, GQA_RATIO = 4]"
	.size	__PRETTY_FUNCTION__._Z38paged_attention_ll4mi_QKV_mfma4_kernelI14__hip_bfloat16S0_LN4vllm18Fp8KVCacheDataTypeE0EhLi16ELi128ELi256ELb0ELi4EEvPKT_PKT0_S8_ifPKiSA_SA_iPKfiiiPfSD_PS3_PT2_iSC_SC_, 612

	.type	__PRETTY_FUNCTION__._Z39paged_attention_ll4mi_QKV_mfma16_kernelI14__hip_bfloat16S0_LN4vllm18Fp8KVCacheDataTypeE0EhLi16ELi128ELi256ELb0ELi5EEvPKT_PKT0_S8_ifPKiSA_SA_iPKfiiiPfSD_PS3_PT2_iSC_SC_,@object ; @__PRETTY_FUNCTION__._Z39paged_attention_ll4mi_QKV_mfma16_kernelI14__hip_bfloat16S0_LN4vllm18Fp8KVCacheDataTypeE0EhLi16ELi128ELi256ELb0ELi5EEvPKT_PKT0_S8_ifPKiSA_SA_iPKfiiiPfSD_PS3_PT2_iSC_SC_
__PRETTY_FUNCTION__._Z39paged_attention_ll4mi_QKV_mfma16_kernelI14__hip_bfloat16S0_LN4vllm18Fp8KVCacheDataTypeE0EhLi16ELi128ELi256ELb0ELi5EEvPKT_PKT0_S8_ifPKiSA_SA_iPKfiiiPfSD_PS3_PT2_iSC_SC_:
	.asciz	"void paged_attention_ll4mi_QKV_mfma16_kernel(const scalar_t *__restrict, const cache_t *__restrict, const cache_t *__restrict, const int, const float, const int *__restrict, const int *__restrict, const int *__restrict, const int, const float *__restrict, const int, const int, const int, float *__restrict, float *__restrict, scalar_t *__restrict, OUTT *__restrict, int, const float *, const float *) [scalar_t = __hip_bfloat16, cache_t = __hip_bfloat16, KV_DTYPE = vllm::Fp8KVCacheDataType::kAuto, OUTT = unsigned char, BLOCK_SIZE = 16, HEAD_SIZE = 128, NUM_THREADS = 256, ALIBI_ENABLED = false, GQA_RATIO = 5]"
	.size	__PRETTY_FUNCTION__._Z39paged_attention_ll4mi_QKV_mfma16_kernelI14__hip_bfloat16S0_LN4vllm18Fp8KVCacheDataTypeE0EhLi16ELi128ELi256ELb0ELi5EEvPKT_PKT0_S8_ifPKiSA_SA_iPKfiiiPfSD_PS3_PT2_iSC_SC_, 613

	.type	__PRETTY_FUNCTION__._Z39paged_attention_ll4mi_QKV_mfma16_kernelI14__hip_bfloat16S0_LN4vllm18Fp8KVCacheDataTypeE0EhLi16ELi128ELi256ELb0ELi6EEvPKT_PKT0_S8_ifPKiSA_SA_iPKfiiiPfSD_PS3_PT2_iSC_SC_,@object ; @__PRETTY_FUNCTION__._Z39paged_attention_ll4mi_QKV_mfma16_kernelI14__hip_bfloat16S0_LN4vllm18Fp8KVCacheDataTypeE0EhLi16ELi128ELi256ELb0ELi6EEvPKT_PKT0_S8_ifPKiSA_SA_iPKfiiiPfSD_PS3_PT2_iSC_SC_
__PRETTY_FUNCTION__._Z39paged_attention_ll4mi_QKV_mfma16_kernelI14__hip_bfloat16S0_LN4vllm18Fp8KVCacheDataTypeE0EhLi16ELi128ELi256ELb0ELi6EEvPKT_PKT0_S8_ifPKiSA_SA_iPKfiiiPfSD_PS3_PT2_iSC_SC_:
	.asciz	"void paged_attention_ll4mi_QKV_mfma16_kernel(const scalar_t *__restrict, const cache_t *__restrict, const cache_t *__restrict, const int, const float, const int *__restrict, const int *__restrict, const int *__restrict, const int, const float *__restrict, const int, const int, const int, float *__restrict, float *__restrict, scalar_t *__restrict, OUTT *__restrict, int, const float *, const float *) [scalar_t = __hip_bfloat16, cache_t = __hip_bfloat16, KV_DTYPE = vllm::Fp8KVCacheDataType::kAuto, OUTT = unsigned char, BLOCK_SIZE = 16, HEAD_SIZE = 128, NUM_THREADS = 256, ALIBI_ENABLED = false, GQA_RATIO = 6]"
	.size	__PRETTY_FUNCTION__._Z39paged_attention_ll4mi_QKV_mfma16_kernelI14__hip_bfloat16S0_LN4vllm18Fp8KVCacheDataTypeE0EhLi16ELi128ELi256ELb0ELi6EEvPKT_PKT0_S8_ifPKiSA_SA_iPKfiiiPfSD_PS3_PT2_iSC_SC_, 613

	.type	__PRETTY_FUNCTION__._Z39paged_attention_ll4mi_QKV_mfma16_kernelI14__hip_bfloat16S0_LN4vllm18Fp8KVCacheDataTypeE0EhLi16ELi128ELi256ELb0ELi7EEvPKT_PKT0_S8_ifPKiSA_SA_iPKfiiiPfSD_PS3_PT2_iSC_SC_,@object ; @__PRETTY_FUNCTION__._Z39paged_attention_ll4mi_QKV_mfma16_kernelI14__hip_bfloat16S0_LN4vllm18Fp8KVCacheDataTypeE0EhLi16ELi128ELi256ELb0ELi7EEvPKT_PKT0_S8_ifPKiSA_SA_iPKfiiiPfSD_PS3_PT2_iSC_SC_
__PRETTY_FUNCTION__._Z39paged_attention_ll4mi_QKV_mfma16_kernelI14__hip_bfloat16S0_LN4vllm18Fp8KVCacheDataTypeE0EhLi16ELi128ELi256ELb0ELi7EEvPKT_PKT0_S8_ifPKiSA_SA_iPKfiiiPfSD_PS3_PT2_iSC_SC_:
	.asciz	"void paged_attention_ll4mi_QKV_mfma16_kernel(const scalar_t *__restrict, const cache_t *__restrict, const cache_t *__restrict, const int, const float, const int *__restrict, const int *__restrict, const int *__restrict, const int, const float *__restrict, const int, const int, const int, float *__restrict, float *__restrict, scalar_t *__restrict, OUTT *__restrict, int, const float *, const float *) [scalar_t = __hip_bfloat16, cache_t = __hip_bfloat16, KV_DTYPE = vllm::Fp8KVCacheDataType::kAuto, OUTT = unsigned char, BLOCK_SIZE = 16, HEAD_SIZE = 128, NUM_THREADS = 256, ALIBI_ENABLED = false, GQA_RATIO = 7]"
	.size	__PRETTY_FUNCTION__._Z39paged_attention_ll4mi_QKV_mfma16_kernelI14__hip_bfloat16S0_LN4vllm18Fp8KVCacheDataTypeE0EhLi16ELi128ELi256ELb0ELi7EEvPKT_PKT0_S8_ifPKiSA_SA_iPKfiiiPfSD_PS3_PT2_iSC_SC_, 613

	.type	__PRETTY_FUNCTION__._Z39paged_attention_ll4mi_QKV_mfma16_kernelI14__hip_bfloat16S0_LN4vllm18Fp8KVCacheDataTypeE0EhLi16ELi128ELi256ELb0ELi8EEvPKT_PKT0_S8_ifPKiSA_SA_iPKfiiiPfSD_PS3_PT2_iSC_SC_,@object ; @__PRETTY_FUNCTION__._Z39paged_attention_ll4mi_QKV_mfma16_kernelI14__hip_bfloat16S0_LN4vllm18Fp8KVCacheDataTypeE0EhLi16ELi128ELi256ELb0ELi8EEvPKT_PKT0_S8_ifPKiSA_SA_iPKfiiiPfSD_PS3_PT2_iSC_SC_
__PRETTY_FUNCTION__._Z39paged_attention_ll4mi_QKV_mfma16_kernelI14__hip_bfloat16S0_LN4vllm18Fp8KVCacheDataTypeE0EhLi16ELi128ELi256ELb0ELi8EEvPKT_PKT0_S8_ifPKiSA_SA_iPKfiiiPfSD_PS3_PT2_iSC_SC_:
	.asciz	"void paged_attention_ll4mi_QKV_mfma16_kernel(const scalar_t *__restrict, const cache_t *__restrict, const cache_t *__restrict, const int, const float, const int *__restrict, const int *__restrict, const int *__restrict, const int, const float *__restrict, const int, const int, const int, float *__restrict, float *__restrict, scalar_t *__restrict, OUTT *__restrict, int, const float *, const float *) [scalar_t = __hip_bfloat16, cache_t = __hip_bfloat16, KV_DTYPE = vllm::Fp8KVCacheDataType::kAuto, OUTT = unsigned char, BLOCK_SIZE = 16, HEAD_SIZE = 128, NUM_THREADS = 256, ALIBI_ENABLED = false, GQA_RATIO = 8]"
	.size	__PRETTY_FUNCTION__._Z39paged_attention_ll4mi_QKV_mfma16_kernelI14__hip_bfloat16S0_LN4vllm18Fp8KVCacheDataTypeE0EhLi16ELi128ELi256ELb0ELi8EEvPKT_PKT0_S8_ifPKiSA_SA_iPKfiiiPfSD_PS3_PT2_iSC_SC_, 613

	.type	__PRETTY_FUNCTION__._Z39paged_attention_ll4mi_QKV_mfma16_kernelI14__hip_bfloat16S0_LN4vllm18Fp8KVCacheDataTypeE0EhLi16ELi128ELi256ELb0ELi9EEvPKT_PKT0_S8_ifPKiSA_SA_iPKfiiiPfSD_PS3_PT2_iSC_SC_,@object ; @__PRETTY_FUNCTION__._Z39paged_attention_ll4mi_QKV_mfma16_kernelI14__hip_bfloat16S0_LN4vllm18Fp8KVCacheDataTypeE0EhLi16ELi128ELi256ELb0ELi9EEvPKT_PKT0_S8_ifPKiSA_SA_iPKfiiiPfSD_PS3_PT2_iSC_SC_
__PRETTY_FUNCTION__._Z39paged_attention_ll4mi_QKV_mfma16_kernelI14__hip_bfloat16S0_LN4vllm18Fp8KVCacheDataTypeE0EhLi16ELi128ELi256ELb0ELi9EEvPKT_PKT0_S8_ifPKiSA_SA_iPKfiiiPfSD_PS3_PT2_iSC_SC_:
	.asciz	"void paged_attention_ll4mi_QKV_mfma16_kernel(const scalar_t *__restrict, const cache_t *__restrict, const cache_t *__restrict, const int, const float, const int *__restrict, const int *__restrict, const int *__restrict, const int, const float *__restrict, const int, const int, const int, float *__restrict, float *__restrict, scalar_t *__restrict, OUTT *__restrict, int, const float *, const float *) [scalar_t = __hip_bfloat16, cache_t = __hip_bfloat16, KV_DTYPE = vllm::Fp8KVCacheDataType::kAuto, OUTT = unsigned char, BLOCK_SIZE = 16, HEAD_SIZE = 128, NUM_THREADS = 256, ALIBI_ENABLED = false, GQA_RATIO = 9]"
	.size	__PRETTY_FUNCTION__._Z39paged_attention_ll4mi_QKV_mfma16_kernelI14__hip_bfloat16S0_LN4vllm18Fp8KVCacheDataTypeE0EhLi16ELi128ELi256ELb0ELi9EEvPKT_PKT0_S8_ifPKiSA_SA_iPKfiiiPfSD_PS3_PT2_iSC_SC_, 613

	.type	__PRETTY_FUNCTION__._Z39paged_attention_ll4mi_QKV_mfma16_kernelI14__hip_bfloat16S0_LN4vllm18Fp8KVCacheDataTypeE0EhLi16ELi128ELi256ELb0ELi10EEvPKT_PKT0_S8_ifPKiSA_SA_iPKfiiiPfSD_PS3_PT2_iSC_SC_,@object ; @__PRETTY_FUNCTION__._Z39paged_attention_ll4mi_QKV_mfma16_kernelI14__hip_bfloat16S0_LN4vllm18Fp8KVCacheDataTypeE0EhLi16ELi128ELi256ELb0ELi10EEvPKT_PKT0_S8_ifPKiSA_SA_iPKfiiiPfSD_PS3_PT2_iSC_SC_
__PRETTY_FUNCTION__._Z39paged_attention_ll4mi_QKV_mfma16_kernelI14__hip_bfloat16S0_LN4vllm18Fp8KVCacheDataTypeE0EhLi16ELi128ELi256ELb0ELi10EEvPKT_PKT0_S8_ifPKiSA_SA_iPKfiiiPfSD_PS3_PT2_iSC_SC_:
	.asciz	"void paged_attention_ll4mi_QKV_mfma16_kernel(const scalar_t *__restrict, const cache_t *__restrict, const cache_t *__restrict, const int, const float, const int *__restrict, const int *__restrict, const int *__restrict, const int, const float *__restrict, const int, const int, const int, float *__restrict, float *__restrict, scalar_t *__restrict, OUTT *__restrict, int, const float *, const float *) [scalar_t = __hip_bfloat16, cache_t = __hip_bfloat16, KV_DTYPE = vllm::Fp8KVCacheDataType::kAuto, OUTT = unsigned char, BLOCK_SIZE = 16, HEAD_SIZE = 128, NUM_THREADS = 256, ALIBI_ENABLED = false, GQA_RATIO = 10]"
	.size	__PRETTY_FUNCTION__._Z39paged_attention_ll4mi_QKV_mfma16_kernelI14__hip_bfloat16S0_LN4vllm18Fp8KVCacheDataTypeE0EhLi16ELi128ELi256ELb0ELi10EEvPKT_PKT0_S8_ifPKiSA_SA_iPKfiiiPfSD_PS3_PT2_iSC_SC_, 614

	.type	__PRETTY_FUNCTION__._Z39paged_attention_ll4mi_QKV_mfma16_kernelI14__hip_bfloat16S0_LN4vllm18Fp8KVCacheDataTypeE0EhLi16ELi128ELi256ELb0ELi11EEvPKT_PKT0_S8_ifPKiSA_SA_iPKfiiiPfSD_PS3_PT2_iSC_SC_,@object ; @__PRETTY_FUNCTION__._Z39paged_attention_ll4mi_QKV_mfma16_kernelI14__hip_bfloat16S0_LN4vllm18Fp8KVCacheDataTypeE0EhLi16ELi128ELi256ELb0ELi11EEvPKT_PKT0_S8_ifPKiSA_SA_iPKfiiiPfSD_PS3_PT2_iSC_SC_
__PRETTY_FUNCTION__._Z39paged_attention_ll4mi_QKV_mfma16_kernelI14__hip_bfloat16S0_LN4vllm18Fp8KVCacheDataTypeE0EhLi16ELi128ELi256ELb0ELi11EEvPKT_PKT0_S8_ifPKiSA_SA_iPKfiiiPfSD_PS3_PT2_iSC_SC_:
	.asciz	"void paged_attention_ll4mi_QKV_mfma16_kernel(const scalar_t *__restrict, const cache_t *__restrict, const cache_t *__restrict, const int, const float, const int *__restrict, const int *__restrict, const int *__restrict, const int, const float *__restrict, const int, const int, const int, float *__restrict, float *__restrict, scalar_t *__restrict, OUTT *__restrict, int, const float *, const float *) [scalar_t = __hip_bfloat16, cache_t = __hip_bfloat16, KV_DTYPE = vllm::Fp8KVCacheDataType::kAuto, OUTT = unsigned char, BLOCK_SIZE = 16, HEAD_SIZE = 128, NUM_THREADS = 256, ALIBI_ENABLED = false, GQA_RATIO = 11]"
	.size	__PRETTY_FUNCTION__._Z39paged_attention_ll4mi_QKV_mfma16_kernelI14__hip_bfloat16S0_LN4vllm18Fp8KVCacheDataTypeE0EhLi16ELi128ELi256ELb0ELi11EEvPKT_PKT0_S8_ifPKiSA_SA_iPKfiiiPfSD_PS3_PT2_iSC_SC_, 614

	.type	__PRETTY_FUNCTION__._Z39paged_attention_ll4mi_QKV_mfma16_kernelI14__hip_bfloat16S0_LN4vllm18Fp8KVCacheDataTypeE0EhLi16ELi128ELi256ELb0ELi12EEvPKT_PKT0_S8_ifPKiSA_SA_iPKfiiiPfSD_PS3_PT2_iSC_SC_,@object ; @__PRETTY_FUNCTION__._Z39paged_attention_ll4mi_QKV_mfma16_kernelI14__hip_bfloat16S0_LN4vllm18Fp8KVCacheDataTypeE0EhLi16ELi128ELi256ELb0ELi12EEvPKT_PKT0_S8_ifPKiSA_SA_iPKfiiiPfSD_PS3_PT2_iSC_SC_
__PRETTY_FUNCTION__._Z39paged_attention_ll4mi_QKV_mfma16_kernelI14__hip_bfloat16S0_LN4vllm18Fp8KVCacheDataTypeE0EhLi16ELi128ELi256ELb0ELi12EEvPKT_PKT0_S8_ifPKiSA_SA_iPKfiiiPfSD_PS3_PT2_iSC_SC_:
	.asciz	"void paged_attention_ll4mi_QKV_mfma16_kernel(const scalar_t *__restrict, const cache_t *__restrict, const cache_t *__restrict, const int, const float, const int *__restrict, const int *__restrict, const int *__restrict, const int, const float *__restrict, const int, const int, const int, float *__restrict, float *__restrict, scalar_t *__restrict, OUTT *__restrict, int, const float *, const float *) [scalar_t = __hip_bfloat16, cache_t = __hip_bfloat16, KV_DTYPE = vllm::Fp8KVCacheDataType::kAuto, OUTT = unsigned char, BLOCK_SIZE = 16, HEAD_SIZE = 128, NUM_THREADS = 256, ALIBI_ENABLED = false, GQA_RATIO = 12]"
	.size	__PRETTY_FUNCTION__._Z39paged_attention_ll4mi_QKV_mfma16_kernelI14__hip_bfloat16S0_LN4vllm18Fp8KVCacheDataTypeE0EhLi16ELi128ELi256ELb0ELi12EEvPKT_PKT0_S8_ifPKiSA_SA_iPKfiiiPfSD_PS3_PT2_iSC_SC_, 614

	.type	__PRETTY_FUNCTION__._Z39paged_attention_ll4mi_QKV_mfma16_kernelI14__hip_bfloat16S0_LN4vllm18Fp8KVCacheDataTypeE0EhLi16ELi128ELi256ELb0ELi13EEvPKT_PKT0_S8_ifPKiSA_SA_iPKfiiiPfSD_PS3_PT2_iSC_SC_,@object ; @__PRETTY_FUNCTION__._Z39paged_attention_ll4mi_QKV_mfma16_kernelI14__hip_bfloat16S0_LN4vllm18Fp8KVCacheDataTypeE0EhLi16ELi128ELi256ELb0ELi13EEvPKT_PKT0_S8_ifPKiSA_SA_iPKfiiiPfSD_PS3_PT2_iSC_SC_
__PRETTY_FUNCTION__._Z39paged_attention_ll4mi_QKV_mfma16_kernelI14__hip_bfloat16S0_LN4vllm18Fp8KVCacheDataTypeE0EhLi16ELi128ELi256ELb0ELi13EEvPKT_PKT0_S8_ifPKiSA_SA_iPKfiiiPfSD_PS3_PT2_iSC_SC_:
	.asciz	"void paged_attention_ll4mi_QKV_mfma16_kernel(const scalar_t *__restrict, const cache_t *__restrict, const cache_t *__restrict, const int, const float, const int *__restrict, const int *__restrict, const int *__restrict, const int, const float *__restrict, const int, const int, const int, float *__restrict, float *__restrict, scalar_t *__restrict, OUTT *__restrict, int, const float *, const float *) [scalar_t = __hip_bfloat16, cache_t = __hip_bfloat16, KV_DTYPE = vllm::Fp8KVCacheDataType::kAuto, OUTT = unsigned char, BLOCK_SIZE = 16, HEAD_SIZE = 128, NUM_THREADS = 256, ALIBI_ENABLED = false, GQA_RATIO = 13]"
	.size	__PRETTY_FUNCTION__._Z39paged_attention_ll4mi_QKV_mfma16_kernelI14__hip_bfloat16S0_LN4vllm18Fp8KVCacheDataTypeE0EhLi16ELi128ELi256ELb0ELi13EEvPKT_PKT0_S8_ifPKiSA_SA_iPKfiiiPfSD_PS3_PT2_iSC_SC_, 614

	.type	__PRETTY_FUNCTION__._Z39paged_attention_ll4mi_QKV_mfma16_kernelI14__hip_bfloat16S0_LN4vllm18Fp8KVCacheDataTypeE0EhLi16ELi128ELi256ELb0ELi14EEvPKT_PKT0_S8_ifPKiSA_SA_iPKfiiiPfSD_PS3_PT2_iSC_SC_,@object ; @__PRETTY_FUNCTION__._Z39paged_attention_ll4mi_QKV_mfma16_kernelI14__hip_bfloat16S0_LN4vllm18Fp8KVCacheDataTypeE0EhLi16ELi128ELi256ELb0ELi14EEvPKT_PKT0_S8_ifPKiSA_SA_iPKfiiiPfSD_PS3_PT2_iSC_SC_
__PRETTY_FUNCTION__._Z39paged_attention_ll4mi_QKV_mfma16_kernelI14__hip_bfloat16S0_LN4vllm18Fp8KVCacheDataTypeE0EhLi16ELi128ELi256ELb0ELi14EEvPKT_PKT0_S8_ifPKiSA_SA_iPKfiiiPfSD_PS3_PT2_iSC_SC_:
	.asciz	"void paged_attention_ll4mi_QKV_mfma16_kernel(const scalar_t *__restrict, const cache_t *__restrict, const cache_t *__restrict, const int, const float, const int *__restrict, const int *__restrict, const int *__restrict, const int, const float *__restrict, const int, const int, const int, float *__restrict, float *__restrict, scalar_t *__restrict, OUTT *__restrict, int, const float *, const float *) [scalar_t = __hip_bfloat16, cache_t = __hip_bfloat16, KV_DTYPE = vllm::Fp8KVCacheDataType::kAuto, OUTT = unsigned char, BLOCK_SIZE = 16, HEAD_SIZE = 128, NUM_THREADS = 256, ALIBI_ENABLED = false, GQA_RATIO = 14]"
	.size	__PRETTY_FUNCTION__._Z39paged_attention_ll4mi_QKV_mfma16_kernelI14__hip_bfloat16S0_LN4vllm18Fp8KVCacheDataTypeE0EhLi16ELi128ELi256ELb0ELi14EEvPKT_PKT0_S8_ifPKiSA_SA_iPKfiiiPfSD_PS3_PT2_iSC_SC_, 614

	.type	__PRETTY_FUNCTION__._Z39paged_attention_ll4mi_QKV_mfma16_kernelI14__hip_bfloat16S0_LN4vllm18Fp8KVCacheDataTypeE0EhLi16ELi128ELi256ELb0ELi15EEvPKT_PKT0_S8_ifPKiSA_SA_iPKfiiiPfSD_PS3_PT2_iSC_SC_,@object ; @__PRETTY_FUNCTION__._Z39paged_attention_ll4mi_QKV_mfma16_kernelI14__hip_bfloat16S0_LN4vllm18Fp8KVCacheDataTypeE0EhLi16ELi128ELi256ELb0ELi15EEvPKT_PKT0_S8_ifPKiSA_SA_iPKfiiiPfSD_PS3_PT2_iSC_SC_
__PRETTY_FUNCTION__._Z39paged_attention_ll4mi_QKV_mfma16_kernelI14__hip_bfloat16S0_LN4vllm18Fp8KVCacheDataTypeE0EhLi16ELi128ELi256ELb0ELi15EEvPKT_PKT0_S8_ifPKiSA_SA_iPKfiiiPfSD_PS3_PT2_iSC_SC_:
	.asciz	"void paged_attention_ll4mi_QKV_mfma16_kernel(const scalar_t *__restrict, const cache_t *__restrict, const cache_t *__restrict, const int, const float, const int *__restrict, const int *__restrict, const int *__restrict, const int, const float *__restrict, const int, const int, const int, float *__restrict, float *__restrict, scalar_t *__restrict, OUTT *__restrict, int, const float *, const float *) [scalar_t = __hip_bfloat16, cache_t = __hip_bfloat16, KV_DTYPE = vllm::Fp8KVCacheDataType::kAuto, OUTT = unsigned char, BLOCK_SIZE = 16, HEAD_SIZE = 128, NUM_THREADS = 256, ALIBI_ENABLED = false, GQA_RATIO = 15]"
	.size	__PRETTY_FUNCTION__._Z39paged_attention_ll4mi_QKV_mfma16_kernelI14__hip_bfloat16S0_LN4vllm18Fp8KVCacheDataTypeE0EhLi16ELi128ELi256ELb0ELi15EEvPKT_PKT0_S8_ifPKiSA_SA_iPKfiiiPfSD_PS3_PT2_iSC_SC_, 614

	.type	__PRETTY_FUNCTION__._Z39paged_attention_ll4mi_QKV_mfma16_kernelI14__hip_bfloat16S0_LN4vllm18Fp8KVCacheDataTypeE0EhLi16ELi128ELi256ELb0ELi16EEvPKT_PKT0_S8_ifPKiSA_SA_iPKfiiiPfSD_PS3_PT2_iSC_SC_,@object ; @__PRETTY_FUNCTION__._Z39paged_attention_ll4mi_QKV_mfma16_kernelI14__hip_bfloat16S0_LN4vllm18Fp8KVCacheDataTypeE0EhLi16ELi128ELi256ELb0ELi16EEvPKT_PKT0_S8_ifPKiSA_SA_iPKfiiiPfSD_PS3_PT2_iSC_SC_
__PRETTY_FUNCTION__._Z39paged_attention_ll4mi_QKV_mfma16_kernelI14__hip_bfloat16S0_LN4vllm18Fp8KVCacheDataTypeE0EhLi16ELi128ELi256ELb0ELi16EEvPKT_PKT0_S8_ifPKiSA_SA_iPKfiiiPfSD_PS3_PT2_iSC_SC_:
	.asciz	"void paged_attention_ll4mi_QKV_mfma16_kernel(const scalar_t *__restrict, const cache_t *__restrict, const cache_t *__restrict, const int, const float, const int *__restrict, const int *__restrict, const int *__restrict, const int, const float *__restrict, const int, const int, const int, float *__restrict, float *__restrict, scalar_t *__restrict, OUTT *__restrict, int, const float *, const float *) [scalar_t = __hip_bfloat16, cache_t = __hip_bfloat16, KV_DTYPE = vllm::Fp8KVCacheDataType::kAuto, OUTT = unsigned char, BLOCK_SIZE = 16, HEAD_SIZE = 128, NUM_THREADS = 256, ALIBI_ENABLED = false, GQA_RATIO = 16]"
	.size	__PRETTY_FUNCTION__._Z39paged_attention_ll4mi_QKV_mfma16_kernelI14__hip_bfloat16S0_LN4vllm18Fp8KVCacheDataTypeE0EhLi16ELi128ELi256ELb0ELi16EEvPKT_PKT0_S8_ifPKiSA_SA_iPKfiiiPfSD_PS3_PT2_iSC_SC_, 614

	.type	__PRETTY_FUNCTION__._Z39paged_attention_ll4mi_QKV_mfma16_kernelI14__hip_bfloat16S0_LN4vllm18Fp8KVCacheDataTypeE0EhLi16ELi128ELi256ELb0ELi1EEvPKT_PKT0_S8_ifPKiSA_SA_iPKfiiiPfSD_PS3_PT2_iSC_SC_,@object ; @__PRETTY_FUNCTION__._Z39paged_attention_ll4mi_QKV_mfma16_kernelI14__hip_bfloat16S0_LN4vllm18Fp8KVCacheDataTypeE0EhLi16ELi128ELi256ELb0ELi1EEvPKT_PKT0_S8_ifPKiSA_SA_iPKfiiiPfSD_PS3_PT2_iSC_SC_
__PRETTY_FUNCTION__._Z39paged_attention_ll4mi_QKV_mfma16_kernelI14__hip_bfloat16S0_LN4vllm18Fp8KVCacheDataTypeE0EhLi16ELi128ELi256ELb0ELi1EEvPKT_PKT0_S8_ifPKiSA_SA_iPKfiiiPfSD_PS3_PT2_iSC_SC_:
	.asciz	"void paged_attention_ll4mi_QKV_mfma16_kernel(const scalar_t *__restrict, const cache_t *__restrict, const cache_t *__restrict, const int, const float, const int *__restrict, const int *__restrict, const int *__restrict, const int, const float *__restrict, const int, const int, const int, float *__restrict, float *__restrict, scalar_t *__restrict, OUTT *__restrict, int, const float *, const float *) [scalar_t = __hip_bfloat16, cache_t = __hip_bfloat16, KV_DTYPE = vllm::Fp8KVCacheDataType::kAuto, OUTT = unsigned char, BLOCK_SIZE = 16, HEAD_SIZE = 128, NUM_THREADS = 256, ALIBI_ENABLED = false, GQA_RATIO = 1]"
	.size	__PRETTY_FUNCTION__._Z39paged_attention_ll4mi_QKV_mfma16_kernelI14__hip_bfloat16S0_LN4vllm18Fp8KVCacheDataTypeE0EhLi16ELi128ELi256ELb0ELi1EEvPKT_PKT0_S8_ifPKiSA_SA_iPKfiiiPfSD_PS3_PT2_iSC_SC_, 613

	.type	__PRETTY_FUNCTION__._Z39paged_attention_ll4mi_QKV_mfma16_kernelI14__hip_bfloat16S0_LN4vllm18Fp8KVCacheDataTypeE0EhLi16ELi128ELi256ELb0ELi2EEvPKT_PKT0_S8_ifPKiSA_SA_iPKfiiiPfSD_PS3_PT2_iSC_SC_,@object ; @__PRETTY_FUNCTION__._Z39paged_attention_ll4mi_QKV_mfma16_kernelI14__hip_bfloat16S0_LN4vllm18Fp8KVCacheDataTypeE0EhLi16ELi128ELi256ELb0ELi2EEvPKT_PKT0_S8_ifPKiSA_SA_iPKfiiiPfSD_PS3_PT2_iSC_SC_
__PRETTY_FUNCTION__._Z39paged_attention_ll4mi_QKV_mfma16_kernelI14__hip_bfloat16S0_LN4vllm18Fp8KVCacheDataTypeE0EhLi16ELi128ELi256ELb0ELi2EEvPKT_PKT0_S8_ifPKiSA_SA_iPKfiiiPfSD_PS3_PT2_iSC_SC_:
	.asciz	"void paged_attention_ll4mi_QKV_mfma16_kernel(const scalar_t *__restrict, const cache_t *__restrict, const cache_t *__restrict, const int, const float, const int *__restrict, const int *__restrict, const int *__restrict, const int, const float *__restrict, const int, const int, const int, float *__restrict, float *__restrict, scalar_t *__restrict, OUTT *__restrict, int, const float *, const float *) [scalar_t = __hip_bfloat16, cache_t = __hip_bfloat16, KV_DTYPE = vllm::Fp8KVCacheDataType::kAuto, OUTT = unsigned char, BLOCK_SIZE = 16, HEAD_SIZE = 128, NUM_THREADS = 256, ALIBI_ENABLED = false, GQA_RATIO = 2]"
	.size	__PRETTY_FUNCTION__._Z39paged_attention_ll4mi_QKV_mfma16_kernelI14__hip_bfloat16S0_LN4vllm18Fp8KVCacheDataTypeE0EhLi16ELi128ELi256ELb0ELi2EEvPKT_PKT0_S8_ifPKiSA_SA_iPKfiiiPfSD_PS3_PT2_iSC_SC_, 613

	.type	__PRETTY_FUNCTION__._Z39paged_attention_ll4mi_QKV_mfma16_kernelI14__hip_bfloat16S0_LN4vllm18Fp8KVCacheDataTypeE0EhLi16ELi128ELi256ELb0ELi3EEvPKT_PKT0_S8_ifPKiSA_SA_iPKfiiiPfSD_PS3_PT2_iSC_SC_,@object ; @__PRETTY_FUNCTION__._Z39paged_attention_ll4mi_QKV_mfma16_kernelI14__hip_bfloat16S0_LN4vllm18Fp8KVCacheDataTypeE0EhLi16ELi128ELi256ELb0ELi3EEvPKT_PKT0_S8_ifPKiSA_SA_iPKfiiiPfSD_PS3_PT2_iSC_SC_
__PRETTY_FUNCTION__._Z39paged_attention_ll4mi_QKV_mfma16_kernelI14__hip_bfloat16S0_LN4vllm18Fp8KVCacheDataTypeE0EhLi16ELi128ELi256ELb0ELi3EEvPKT_PKT0_S8_ifPKiSA_SA_iPKfiiiPfSD_PS3_PT2_iSC_SC_:
	.asciz	"void paged_attention_ll4mi_QKV_mfma16_kernel(const scalar_t *__restrict, const cache_t *__restrict, const cache_t *__restrict, const int, const float, const int *__restrict, const int *__restrict, const int *__restrict, const int, const float *__restrict, const int, const int, const int, float *__restrict, float *__restrict, scalar_t *__restrict, OUTT *__restrict, int, const float *, const float *) [scalar_t = __hip_bfloat16, cache_t = __hip_bfloat16, KV_DTYPE = vllm::Fp8KVCacheDataType::kAuto, OUTT = unsigned char, BLOCK_SIZE = 16, HEAD_SIZE = 128, NUM_THREADS = 256, ALIBI_ENABLED = false, GQA_RATIO = 3]"
	.size	__PRETTY_FUNCTION__._Z39paged_attention_ll4mi_QKV_mfma16_kernelI14__hip_bfloat16S0_LN4vllm18Fp8KVCacheDataTypeE0EhLi16ELi128ELi256ELb0ELi3EEvPKT_PKT0_S8_ifPKiSA_SA_iPKfiiiPfSD_PS3_PT2_iSC_SC_, 613

	.type	__PRETTY_FUNCTION__._Z39paged_attention_ll4mi_QKV_mfma16_kernelI14__hip_bfloat16S0_LN4vllm18Fp8KVCacheDataTypeE0EhLi16ELi128ELi256ELb0ELi4EEvPKT_PKT0_S8_ifPKiSA_SA_iPKfiiiPfSD_PS3_PT2_iSC_SC_,@object ; @__PRETTY_FUNCTION__._Z39paged_attention_ll4mi_QKV_mfma16_kernelI14__hip_bfloat16S0_LN4vllm18Fp8KVCacheDataTypeE0EhLi16ELi128ELi256ELb0ELi4EEvPKT_PKT0_S8_ifPKiSA_SA_iPKfiiiPfSD_PS3_PT2_iSC_SC_
__PRETTY_FUNCTION__._Z39paged_attention_ll4mi_QKV_mfma16_kernelI14__hip_bfloat16S0_LN4vllm18Fp8KVCacheDataTypeE0EhLi16ELi128ELi256ELb0ELi4EEvPKT_PKT0_S8_ifPKiSA_SA_iPKfiiiPfSD_PS3_PT2_iSC_SC_:
	.asciz	"void paged_attention_ll4mi_QKV_mfma16_kernel(const scalar_t *__restrict, const cache_t *__restrict, const cache_t *__restrict, const int, const float, const int *__restrict, const int *__restrict, const int *__restrict, const int, const float *__restrict, const int, const int, const int, float *__restrict, float *__restrict, scalar_t *__restrict, OUTT *__restrict, int, const float *, const float *) [scalar_t = __hip_bfloat16, cache_t = __hip_bfloat16, KV_DTYPE = vllm::Fp8KVCacheDataType::kAuto, OUTT = unsigned char, BLOCK_SIZE = 16, HEAD_SIZE = 128, NUM_THREADS = 256, ALIBI_ENABLED = false, GQA_RATIO = 4]"
	.size	__PRETTY_FUNCTION__._Z39paged_attention_ll4mi_QKV_mfma16_kernelI14__hip_bfloat16S0_LN4vllm18Fp8KVCacheDataTypeE0EhLi16ELi128ELi256ELb0ELi4EEvPKT_PKT0_S8_ifPKiSA_SA_iPKfiiiPfSD_PS3_PT2_iSC_SC_, 613

	.type	__PRETTY_FUNCTION__._Z38paged_attention_ll4mi_QKV_mfma4_kernelI14__hip_bfloat16S0_LN4vllm18Fp8KVCacheDataTypeE0ES0_Li16ELi128ELi256ELb1ELi1EEvPKT_PKT0_S8_ifPKiSA_SA_iPKfiiiPfSD_PS3_PT2_iSC_SC_,@object ; @__PRETTY_FUNCTION__._Z38paged_attention_ll4mi_QKV_mfma4_kernelI14__hip_bfloat16S0_LN4vllm18Fp8KVCacheDataTypeE0ES0_Li16ELi128ELi256ELb1ELi1EEvPKT_PKT0_S8_ifPKiSA_SA_iPKfiiiPfSD_PS3_PT2_iSC_SC_
__PRETTY_FUNCTION__._Z38paged_attention_ll4mi_QKV_mfma4_kernelI14__hip_bfloat16S0_LN4vllm18Fp8KVCacheDataTypeE0ES0_Li16ELi128ELi256ELb1ELi1EEvPKT_PKT0_S8_ifPKiSA_SA_iPKfiiiPfSD_PS3_PT2_iSC_SC_:
	.asciz	"void paged_attention_ll4mi_QKV_mfma4_kernel(const scalar_t *__restrict, const cache_t *__restrict, const cache_t *__restrict, const int, const float, const int *__restrict, const int *__restrict, const int *__restrict, const int, const float *__restrict, const int, const int, const int, float *__restrict, float *__restrict, scalar_t *__restrict, OUTT *__restrict, int, const float *, const float *) [scalar_t = __hip_bfloat16, cache_t = __hip_bfloat16, KV_DTYPE = vllm::Fp8KVCacheDataType::kAuto, OUTT = __hip_bfloat16, BLOCK_SIZE = 16, HEAD_SIZE = 128, NUM_THREADS = 256, ALIBI_ENABLED = true, GQA_RATIO = 1]"
	.size	__PRETTY_FUNCTION__._Z38paged_attention_ll4mi_QKV_mfma4_kernelI14__hip_bfloat16S0_LN4vllm18Fp8KVCacheDataTypeE0ES0_Li16ELi128ELi256ELb1ELi1EEvPKT_PKT0_S8_ifPKiSA_SA_iPKfiiiPfSD_PS3_PT2_iSC_SC_, 612

	.type	__PRETTY_FUNCTION__._Z38paged_attention_ll4mi_QKV_mfma4_kernelI14__hip_bfloat16S0_LN4vllm18Fp8KVCacheDataTypeE0ES0_Li16ELi128ELi256ELb1ELi2EEvPKT_PKT0_S8_ifPKiSA_SA_iPKfiiiPfSD_PS3_PT2_iSC_SC_,@object ; @__PRETTY_FUNCTION__._Z38paged_attention_ll4mi_QKV_mfma4_kernelI14__hip_bfloat16S0_LN4vllm18Fp8KVCacheDataTypeE0ES0_Li16ELi128ELi256ELb1ELi2EEvPKT_PKT0_S8_ifPKiSA_SA_iPKfiiiPfSD_PS3_PT2_iSC_SC_
__PRETTY_FUNCTION__._Z38paged_attention_ll4mi_QKV_mfma4_kernelI14__hip_bfloat16S0_LN4vllm18Fp8KVCacheDataTypeE0ES0_Li16ELi128ELi256ELb1ELi2EEvPKT_PKT0_S8_ifPKiSA_SA_iPKfiiiPfSD_PS3_PT2_iSC_SC_:
	.asciz	"void paged_attention_ll4mi_QKV_mfma4_kernel(const scalar_t *__restrict, const cache_t *__restrict, const cache_t *__restrict, const int, const float, const int *__restrict, const int *__restrict, const int *__restrict, const int, const float *__restrict, const int, const int, const int, float *__restrict, float *__restrict, scalar_t *__restrict, OUTT *__restrict, int, const float *, const float *) [scalar_t = __hip_bfloat16, cache_t = __hip_bfloat16, KV_DTYPE = vllm::Fp8KVCacheDataType::kAuto, OUTT = __hip_bfloat16, BLOCK_SIZE = 16, HEAD_SIZE = 128, NUM_THREADS = 256, ALIBI_ENABLED = true, GQA_RATIO = 2]"
	.size	__PRETTY_FUNCTION__._Z38paged_attention_ll4mi_QKV_mfma4_kernelI14__hip_bfloat16S0_LN4vllm18Fp8KVCacheDataTypeE0ES0_Li16ELi128ELi256ELb1ELi2EEvPKT_PKT0_S8_ifPKiSA_SA_iPKfiiiPfSD_PS3_PT2_iSC_SC_, 612

	.type	__PRETTY_FUNCTION__._Z38paged_attention_ll4mi_QKV_mfma4_kernelI14__hip_bfloat16S0_LN4vllm18Fp8KVCacheDataTypeE0ES0_Li16ELi128ELi256ELb1ELi3EEvPKT_PKT0_S8_ifPKiSA_SA_iPKfiiiPfSD_PS3_PT2_iSC_SC_,@object ; @__PRETTY_FUNCTION__._Z38paged_attention_ll4mi_QKV_mfma4_kernelI14__hip_bfloat16S0_LN4vllm18Fp8KVCacheDataTypeE0ES0_Li16ELi128ELi256ELb1ELi3EEvPKT_PKT0_S8_ifPKiSA_SA_iPKfiiiPfSD_PS3_PT2_iSC_SC_
__PRETTY_FUNCTION__._Z38paged_attention_ll4mi_QKV_mfma4_kernelI14__hip_bfloat16S0_LN4vllm18Fp8KVCacheDataTypeE0ES0_Li16ELi128ELi256ELb1ELi3EEvPKT_PKT0_S8_ifPKiSA_SA_iPKfiiiPfSD_PS3_PT2_iSC_SC_:
	.asciz	"void paged_attention_ll4mi_QKV_mfma4_kernel(const scalar_t *__restrict, const cache_t *__restrict, const cache_t *__restrict, const int, const float, const int *__restrict, const int *__restrict, const int *__restrict, const int, const float *__restrict, const int, const int, const int, float *__restrict, float *__restrict, scalar_t *__restrict, OUTT *__restrict, int, const float *, const float *) [scalar_t = __hip_bfloat16, cache_t = __hip_bfloat16, KV_DTYPE = vllm::Fp8KVCacheDataType::kAuto, OUTT = __hip_bfloat16, BLOCK_SIZE = 16, HEAD_SIZE = 128, NUM_THREADS = 256, ALIBI_ENABLED = true, GQA_RATIO = 3]"
	.size	__PRETTY_FUNCTION__._Z38paged_attention_ll4mi_QKV_mfma4_kernelI14__hip_bfloat16S0_LN4vllm18Fp8KVCacheDataTypeE0ES0_Li16ELi128ELi256ELb1ELi3EEvPKT_PKT0_S8_ifPKiSA_SA_iPKfiiiPfSD_PS3_PT2_iSC_SC_, 612

	.type	__PRETTY_FUNCTION__._Z38paged_attention_ll4mi_QKV_mfma4_kernelI14__hip_bfloat16S0_LN4vllm18Fp8KVCacheDataTypeE0ES0_Li16ELi128ELi256ELb1ELi4EEvPKT_PKT0_S8_ifPKiSA_SA_iPKfiiiPfSD_PS3_PT2_iSC_SC_,@object ; @__PRETTY_FUNCTION__._Z38paged_attention_ll4mi_QKV_mfma4_kernelI14__hip_bfloat16S0_LN4vllm18Fp8KVCacheDataTypeE0ES0_Li16ELi128ELi256ELb1ELi4EEvPKT_PKT0_S8_ifPKiSA_SA_iPKfiiiPfSD_PS3_PT2_iSC_SC_
__PRETTY_FUNCTION__._Z38paged_attention_ll4mi_QKV_mfma4_kernelI14__hip_bfloat16S0_LN4vllm18Fp8KVCacheDataTypeE0ES0_Li16ELi128ELi256ELb1ELi4EEvPKT_PKT0_S8_ifPKiSA_SA_iPKfiiiPfSD_PS3_PT2_iSC_SC_:
	.asciz	"void paged_attention_ll4mi_QKV_mfma4_kernel(const scalar_t *__restrict, const cache_t *__restrict, const cache_t *__restrict, const int, const float, const int *__restrict, const int *__restrict, const int *__restrict, const int, const float *__restrict, const int, const int, const int, float *__restrict, float *__restrict, scalar_t *__restrict, OUTT *__restrict, int, const float *, const float *) [scalar_t = __hip_bfloat16, cache_t = __hip_bfloat16, KV_DTYPE = vllm::Fp8KVCacheDataType::kAuto, OUTT = __hip_bfloat16, BLOCK_SIZE = 16, HEAD_SIZE = 128, NUM_THREADS = 256, ALIBI_ENABLED = true, GQA_RATIO = 4]"
	.size	__PRETTY_FUNCTION__._Z38paged_attention_ll4mi_QKV_mfma4_kernelI14__hip_bfloat16S0_LN4vllm18Fp8KVCacheDataTypeE0ES0_Li16ELi128ELi256ELb1ELi4EEvPKT_PKT0_S8_ifPKiSA_SA_iPKfiiiPfSD_PS3_PT2_iSC_SC_, 612

	.type	__PRETTY_FUNCTION__._Z39paged_attention_ll4mi_QKV_mfma16_kernelI14__hip_bfloat16S0_LN4vllm18Fp8KVCacheDataTypeE0ES0_Li16ELi128ELi256ELb1ELi5EEvPKT_PKT0_S8_ifPKiSA_SA_iPKfiiiPfSD_PS3_PT2_iSC_SC_,@object ; @__PRETTY_FUNCTION__._Z39paged_attention_ll4mi_QKV_mfma16_kernelI14__hip_bfloat16S0_LN4vllm18Fp8KVCacheDataTypeE0ES0_Li16ELi128ELi256ELb1ELi5EEvPKT_PKT0_S8_ifPKiSA_SA_iPKfiiiPfSD_PS3_PT2_iSC_SC_
__PRETTY_FUNCTION__._Z39paged_attention_ll4mi_QKV_mfma16_kernelI14__hip_bfloat16S0_LN4vllm18Fp8KVCacheDataTypeE0ES0_Li16ELi128ELi256ELb1ELi5EEvPKT_PKT0_S8_ifPKiSA_SA_iPKfiiiPfSD_PS3_PT2_iSC_SC_:
	.asciz	"void paged_attention_ll4mi_QKV_mfma16_kernel(const scalar_t *__restrict, const cache_t *__restrict, const cache_t *__restrict, const int, const float, const int *__restrict, const int *__restrict, const int *__restrict, const int, const float *__restrict, const int, const int, const int, float *__restrict, float *__restrict, scalar_t *__restrict, OUTT *__restrict, int, const float *, const float *) [scalar_t = __hip_bfloat16, cache_t = __hip_bfloat16, KV_DTYPE = vllm::Fp8KVCacheDataType::kAuto, OUTT = __hip_bfloat16, BLOCK_SIZE = 16, HEAD_SIZE = 128, NUM_THREADS = 256, ALIBI_ENABLED = true, GQA_RATIO = 5]"
	.size	__PRETTY_FUNCTION__._Z39paged_attention_ll4mi_QKV_mfma16_kernelI14__hip_bfloat16S0_LN4vllm18Fp8KVCacheDataTypeE0ES0_Li16ELi128ELi256ELb1ELi5EEvPKT_PKT0_S8_ifPKiSA_SA_iPKfiiiPfSD_PS3_PT2_iSC_SC_, 613

	.type	__PRETTY_FUNCTION__._Z39paged_attention_ll4mi_QKV_mfma16_kernelI14__hip_bfloat16S0_LN4vllm18Fp8KVCacheDataTypeE0ES0_Li16ELi128ELi256ELb1ELi6EEvPKT_PKT0_S8_ifPKiSA_SA_iPKfiiiPfSD_PS3_PT2_iSC_SC_,@object ; @__PRETTY_FUNCTION__._Z39paged_attention_ll4mi_QKV_mfma16_kernelI14__hip_bfloat16S0_LN4vllm18Fp8KVCacheDataTypeE0ES0_Li16ELi128ELi256ELb1ELi6EEvPKT_PKT0_S8_ifPKiSA_SA_iPKfiiiPfSD_PS3_PT2_iSC_SC_
__PRETTY_FUNCTION__._Z39paged_attention_ll4mi_QKV_mfma16_kernelI14__hip_bfloat16S0_LN4vllm18Fp8KVCacheDataTypeE0ES0_Li16ELi128ELi256ELb1ELi6EEvPKT_PKT0_S8_ifPKiSA_SA_iPKfiiiPfSD_PS3_PT2_iSC_SC_:
	.asciz	"void paged_attention_ll4mi_QKV_mfma16_kernel(const scalar_t *__restrict, const cache_t *__restrict, const cache_t *__restrict, const int, const float, const int *__restrict, const int *__restrict, const int *__restrict, const int, const float *__restrict, const int, const int, const int, float *__restrict, float *__restrict, scalar_t *__restrict, OUTT *__restrict, int, const float *, const float *) [scalar_t = __hip_bfloat16, cache_t = __hip_bfloat16, KV_DTYPE = vllm::Fp8KVCacheDataType::kAuto, OUTT = __hip_bfloat16, BLOCK_SIZE = 16, HEAD_SIZE = 128, NUM_THREADS = 256, ALIBI_ENABLED = true, GQA_RATIO = 6]"
	.size	__PRETTY_FUNCTION__._Z39paged_attention_ll4mi_QKV_mfma16_kernelI14__hip_bfloat16S0_LN4vllm18Fp8KVCacheDataTypeE0ES0_Li16ELi128ELi256ELb1ELi6EEvPKT_PKT0_S8_ifPKiSA_SA_iPKfiiiPfSD_PS3_PT2_iSC_SC_, 613

	.type	__PRETTY_FUNCTION__._Z39paged_attention_ll4mi_QKV_mfma16_kernelI14__hip_bfloat16S0_LN4vllm18Fp8KVCacheDataTypeE0ES0_Li16ELi128ELi256ELb1ELi7EEvPKT_PKT0_S8_ifPKiSA_SA_iPKfiiiPfSD_PS3_PT2_iSC_SC_,@object ; @__PRETTY_FUNCTION__._Z39paged_attention_ll4mi_QKV_mfma16_kernelI14__hip_bfloat16S0_LN4vllm18Fp8KVCacheDataTypeE0ES0_Li16ELi128ELi256ELb1ELi7EEvPKT_PKT0_S8_ifPKiSA_SA_iPKfiiiPfSD_PS3_PT2_iSC_SC_
__PRETTY_FUNCTION__._Z39paged_attention_ll4mi_QKV_mfma16_kernelI14__hip_bfloat16S0_LN4vllm18Fp8KVCacheDataTypeE0ES0_Li16ELi128ELi256ELb1ELi7EEvPKT_PKT0_S8_ifPKiSA_SA_iPKfiiiPfSD_PS3_PT2_iSC_SC_:
	.asciz	"void paged_attention_ll4mi_QKV_mfma16_kernel(const scalar_t *__restrict, const cache_t *__restrict, const cache_t *__restrict, const int, const float, const int *__restrict, const int *__restrict, const int *__restrict, const int, const float *__restrict, const int, const int, const int, float *__restrict, float *__restrict, scalar_t *__restrict, OUTT *__restrict, int, const float *, const float *) [scalar_t = __hip_bfloat16, cache_t = __hip_bfloat16, KV_DTYPE = vllm::Fp8KVCacheDataType::kAuto, OUTT = __hip_bfloat16, BLOCK_SIZE = 16, HEAD_SIZE = 128, NUM_THREADS = 256, ALIBI_ENABLED = true, GQA_RATIO = 7]"
	.size	__PRETTY_FUNCTION__._Z39paged_attention_ll4mi_QKV_mfma16_kernelI14__hip_bfloat16S0_LN4vllm18Fp8KVCacheDataTypeE0ES0_Li16ELi128ELi256ELb1ELi7EEvPKT_PKT0_S8_ifPKiSA_SA_iPKfiiiPfSD_PS3_PT2_iSC_SC_, 613

	.type	__PRETTY_FUNCTION__._Z39paged_attention_ll4mi_QKV_mfma16_kernelI14__hip_bfloat16S0_LN4vllm18Fp8KVCacheDataTypeE0ES0_Li16ELi128ELi256ELb1ELi8EEvPKT_PKT0_S8_ifPKiSA_SA_iPKfiiiPfSD_PS3_PT2_iSC_SC_,@object ; @__PRETTY_FUNCTION__._Z39paged_attention_ll4mi_QKV_mfma16_kernelI14__hip_bfloat16S0_LN4vllm18Fp8KVCacheDataTypeE0ES0_Li16ELi128ELi256ELb1ELi8EEvPKT_PKT0_S8_ifPKiSA_SA_iPKfiiiPfSD_PS3_PT2_iSC_SC_
__PRETTY_FUNCTION__._Z39paged_attention_ll4mi_QKV_mfma16_kernelI14__hip_bfloat16S0_LN4vllm18Fp8KVCacheDataTypeE0ES0_Li16ELi128ELi256ELb1ELi8EEvPKT_PKT0_S8_ifPKiSA_SA_iPKfiiiPfSD_PS3_PT2_iSC_SC_:
	.asciz	"void paged_attention_ll4mi_QKV_mfma16_kernel(const scalar_t *__restrict, const cache_t *__restrict, const cache_t *__restrict, const int, const float, const int *__restrict, const int *__restrict, const int *__restrict, const int, const float *__restrict, const int, const int, const int, float *__restrict, float *__restrict, scalar_t *__restrict, OUTT *__restrict, int, const float *, const float *) [scalar_t = __hip_bfloat16, cache_t = __hip_bfloat16, KV_DTYPE = vllm::Fp8KVCacheDataType::kAuto, OUTT = __hip_bfloat16, BLOCK_SIZE = 16, HEAD_SIZE = 128, NUM_THREADS = 256, ALIBI_ENABLED = true, GQA_RATIO = 8]"
	.size	__PRETTY_FUNCTION__._Z39paged_attention_ll4mi_QKV_mfma16_kernelI14__hip_bfloat16S0_LN4vllm18Fp8KVCacheDataTypeE0ES0_Li16ELi128ELi256ELb1ELi8EEvPKT_PKT0_S8_ifPKiSA_SA_iPKfiiiPfSD_PS3_PT2_iSC_SC_, 613

	.type	__PRETTY_FUNCTION__._Z39paged_attention_ll4mi_QKV_mfma16_kernelI14__hip_bfloat16S0_LN4vllm18Fp8KVCacheDataTypeE0ES0_Li16ELi128ELi256ELb1ELi9EEvPKT_PKT0_S8_ifPKiSA_SA_iPKfiiiPfSD_PS3_PT2_iSC_SC_,@object ; @__PRETTY_FUNCTION__._Z39paged_attention_ll4mi_QKV_mfma16_kernelI14__hip_bfloat16S0_LN4vllm18Fp8KVCacheDataTypeE0ES0_Li16ELi128ELi256ELb1ELi9EEvPKT_PKT0_S8_ifPKiSA_SA_iPKfiiiPfSD_PS3_PT2_iSC_SC_
__PRETTY_FUNCTION__._Z39paged_attention_ll4mi_QKV_mfma16_kernelI14__hip_bfloat16S0_LN4vllm18Fp8KVCacheDataTypeE0ES0_Li16ELi128ELi256ELb1ELi9EEvPKT_PKT0_S8_ifPKiSA_SA_iPKfiiiPfSD_PS3_PT2_iSC_SC_:
	.asciz	"void paged_attention_ll4mi_QKV_mfma16_kernel(const scalar_t *__restrict, const cache_t *__restrict, const cache_t *__restrict, const int, const float, const int *__restrict, const int *__restrict, const int *__restrict, const int, const float *__restrict, const int, const int, const int, float *__restrict, float *__restrict, scalar_t *__restrict, OUTT *__restrict, int, const float *, const float *) [scalar_t = __hip_bfloat16, cache_t = __hip_bfloat16, KV_DTYPE = vllm::Fp8KVCacheDataType::kAuto, OUTT = __hip_bfloat16, BLOCK_SIZE = 16, HEAD_SIZE = 128, NUM_THREADS = 256, ALIBI_ENABLED = true, GQA_RATIO = 9]"
	.size	__PRETTY_FUNCTION__._Z39paged_attention_ll4mi_QKV_mfma16_kernelI14__hip_bfloat16S0_LN4vllm18Fp8KVCacheDataTypeE0ES0_Li16ELi128ELi256ELb1ELi9EEvPKT_PKT0_S8_ifPKiSA_SA_iPKfiiiPfSD_PS3_PT2_iSC_SC_, 613

	.type	__PRETTY_FUNCTION__._Z39paged_attention_ll4mi_QKV_mfma16_kernelI14__hip_bfloat16S0_LN4vllm18Fp8KVCacheDataTypeE0ES0_Li16ELi128ELi256ELb1ELi10EEvPKT_PKT0_S8_ifPKiSA_SA_iPKfiiiPfSD_PS3_PT2_iSC_SC_,@object ; @__PRETTY_FUNCTION__._Z39paged_attention_ll4mi_QKV_mfma16_kernelI14__hip_bfloat16S0_LN4vllm18Fp8KVCacheDataTypeE0ES0_Li16ELi128ELi256ELb1ELi10EEvPKT_PKT0_S8_ifPKiSA_SA_iPKfiiiPfSD_PS3_PT2_iSC_SC_
__PRETTY_FUNCTION__._Z39paged_attention_ll4mi_QKV_mfma16_kernelI14__hip_bfloat16S0_LN4vllm18Fp8KVCacheDataTypeE0ES0_Li16ELi128ELi256ELb1ELi10EEvPKT_PKT0_S8_ifPKiSA_SA_iPKfiiiPfSD_PS3_PT2_iSC_SC_:
	.asciz	"void paged_attention_ll4mi_QKV_mfma16_kernel(const scalar_t *__restrict, const cache_t *__restrict, const cache_t *__restrict, const int, const float, const int *__restrict, const int *__restrict, const int *__restrict, const int, const float *__restrict, const int, const int, const int, float *__restrict, float *__restrict, scalar_t *__restrict, OUTT *__restrict, int, const float *, const float *) [scalar_t = __hip_bfloat16, cache_t = __hip_bfloat16, KV_DTYPE = vllm::Fp8KVCacheDataType::kAuto, OUTT = __hip_bfloat16, BLOCK_SIZE = 16, HEAD_SIZE = 128, NUM_THREADS = 256, ALIBI_ENABLED = true, GQA_RATIO = 10]"
	.size	__PRETTY_FUNCTION__._Z39paged_attention_ll4mi_QKV_mfma16_kernelI14__hip_bfloat16S0_LN4vllm18Fp8KVCacheDataTypeE0ES0_Li16ELi128ELi256ELb1ELi10EEvPKT_PKT0_S8_ifPKiSA_SA_iPKfiiiPfSD_PS3_PT2_iSC_SC_, 614

	.type	__PRETTY_FUNCTION__._Z39paged_attention_ll4mi_QKV_mfma16_kernelI14__hip_bfloat16S0_LN4vllm18Fp8KVCacheDataTypeE0ES0_Li16ELi128ELi256ELb1ELi11EEvPKT_PKT0_S8_ifPKiSA_SA_iPKfiiiPfSD_PS3_PT2_iSC_SC_,@object ; @__PRETTY_FUNCTION__._Z39paged_attention_ll4mi_QKV_mfma16_kernelI14__hip_bfloat16S0_LN4vllm18Fp8KVCacheDataTypeE0ES0_Li16ELi128ELi256ELb1ELi11EEvPKT_PKT0_S8_ifPKiSA_SA_iPKfiiiPfSD_PS3_PT2_iSC_SC_
__PRETTY_FUNCTION__._Z39paged_attention_ll4mi_QKV_mfma16_kernelI14__hip_bfloat16S0_LN4vllm18Fp8KVCacheDataTypeE0ES0_Li16ELi128ELi256ELb1ELi11EEvPKT_PKT0_S8_ifPKiSA_SA_iPKfiiiPfSD_PS3_PT2_iSC_SC_:
	.asciz	"void paged_attention_ll4mi_QKV_mfma16_kernel(const scalar_t *__restrict, const cache_t *__restrict, const cache_t *__restrict, const int, const float, const int *__restrict, const int *__restrict, const int *__restrict, const int, const float *__restrict, const int, const int, const int, float *__restrict, float *__restrict, scalar_t *__restrict, OUTT *__restrict, int, const float *, const float *) [scalar_t = __hip_bfloat16, cache_t = __hip_bfloat16, KV_DTYPE = vllm::Fp8KVCacheDataType::kAuto, OUTT = __hip_bfloat16, BLOCK_SIZE = 16, HEAD_SIZE = 128, NUM_THREADS = 256, ALIBI_ENABLED = true, GQA_RATIO = 11]"
	.size	__PRETTY_FUNCTION__._Z39paged_attention_ll4mi_QKV_mfma16_kernelI14__hip_bfloat16S0_LN4vllm18Fp8KVCacheDataTypeE0ES0_Li16ELi128ELi256ELb1ELi11EEvPKT_PKT0_S8_ifPKiSA_SA_iPKfiiiPfSD_PS3_PT2_iSC_SC_, 614

	.type	__PRETTY_FUNCTION__._Z39paged_attention_ll4mi_QKV_mfma16_kernelI14__hip_bfloat16S0_LN4vllm18Fp8KVCacheDataTypeE0ES0_Li16ELi128ELi256ELb1ELi12EEvPKT_PKT0_S8_ifPKiSA_SA_iPKfiiiPfSD_PS3_PT2_iSC_SC_,@object ; @__PRETTY_FUNCTION__._Z39paged_attention_ll4mi_QKV_mfma16_kernelI14__hip_bfloat16S0_LN4vllm18Fp8KVCacheDataTypeE0ES0_Li16ELi128ELi256ELb1ELi12EEvPKT_PKT0_S8_ifPKiSA_SA_iPKfiiiPfSD_PS3_PT2_iSC_SC_
__PRETTY_FUNCTION__._Z39paged_attention_ll4mi_QKV_mfma16_kernelI14__hip_bfloat16S0_LN4vllm18Fp8KVCacheDataTypeE0ES0_Li16ELi128ELi256ELb1ELi12EEvPKT_PKT0_S8_ifPKiSA_SA_iPKfiiiPfSD_PS3_PT2_iSC_SC_:
	.asciz	"void paged_attention_ll4mi_QKV_mfma16_kernel(const scalar_t *__restrict, const cache_t *__restrict, const cache_t *__restrict, const int, const float, const int *__restrict, const int *__restrict, const int *__restrict, const int, const float *__restrict, const int, const int, const int, float *__restrict, float *__restrict, scalar_t *__restrict, OUTT *__restrict, int, const float *, const float *) [scalar_t = __hip_bfloat16, cache_t = __hip_bfloat16, KV_DTYPE = vllm::Fp8KVCacheDataType::kAuto, OUTT = __hip_bfloat16, BLOCK_SIZE = 16, HEAD_SIZE = 128, NUM_THREADS = 256, ALIBI_ENABLED = true, GQA_RATIO = 12]"
	.size	__PRETTY_FUNCTION__._Z39paged_attention_ll4mi_QKV_mfma16_kernelI14__hip_bfloat16S0_LN4vllm18Fp8KVCacheDataTypeE0ES0_Li16ELi128ELi256ELb1ELi12EEvPKT_PKT0_S8_ifPKiSA_SA_iPKfiiiPfSD_PS3_PT2_iSC_SC_, 614

	.type	__PRETTY_FUNCTION__._Z39paged_attention_ll4mi_QKV_mfma16_kernelI14__hip_bfloat16S0_LN4vllm18Fp8KVCacheDataTypeE0ES0_Li16ELi128ELi256ELb1ELi13EEvPKT_PKT0_S8_ifPKiSA_SA_iPKfiiiPfSD_PS3_PT2_iSC_SC_,@object ; @__PRETTY_FUNCTION__._Z39paged_attention_ll4mi_QKV_mfma16_kernelI14__hip_bfloat16S0_LN4vllm18Fp8KVCacheDataTypeE0ES0_Li16ELi128ELi256ELb1ELi13EEvPKT_PKT0_S8_ifPKiSA_SA_iPKfiiiPfSD_PS3_PT2_iSC_SC_
__PRETTY_FUNCTION__._Z39paged_attention_ll4mi_QKV_mfma16_kernelI14__hip_bfloat16S0_LN4vllm18Fp8KVCacheDataTypeE0ES0_Li16ELi128ELi256ELb1ELi13EEvPKT_PKT0_S8_ifPKiSA_SA_iPKfiiiPfSD_PS3_PT2_iSC_SC_:
	.asciz	"void paged_attention_ll4mi_QKV_mfma16_kernel(const scalar_t *__restrict, const cache_t *__restrict, const cache_t *__restrict, const int, const float, const int *__restrict, const int *__restrict, const int *__restrict, const int, const float *__restrict, const int, const int, const int, float *__restrict, float *__restrict, scalar_t *__restrict, OUTT *__restrict, int, const float *, const float *) [scalar_t = __hip_bfloat16, cache_t = __hip_bfloat16, KV_DTYPE = vllm::Fp8KVCacheDataType::kAuto, OUTT = __hip_bfloat16, BLOCK_SIZE = 16, HEAD_SIZE = 128, NUM_THREADS = 256, ALIBI_ENABLED = true, GQA_RATIO = 13]"
	.size	__PRETTY_FUNCTION__._Z39paged_attention_ll4mi_QKV_mfma16_kernelI14__hip_bfloat16S0_LN4vllm18Fp8KVCacheDataTypeE0ES0_Li16ELi128ELi256ELb1ELi13EEvPKT_PKT0_S8_ifPKiSA_SA_iPKfiiiPfSD_PS3_PT2_iSC_SC_, 614

	.type	__PRETTY_FUNCTION__._Z39paged_attention_ll4mi_QKV_mfma16_kernelI14__hip_bfloat16S0_LN4vllm18Fp8KVCacheDataTypeE0ES0_Li16ELi128ELi256ELb1ELi14EEvPKT_PKT0_S8_ifPKiSA_SA_iPKfiiiPfSD_PS3_PT2_iSC_SC_,@object ; @__PRETTY_FUNCTION__._Z39paged_attention_ll4mi_QKV_mfma16_kernelI14__hip_bfloat16S0_LN4vllm18Fp8KVCacheDataTypeE0ES0_Li16ELi128ELi256ELb1ELi14EEvPKT_PKT0_S8_ifPKiSA_SA_iPKfiiiPfSD_PS3_PT2_iSC_SC_
__PRETTY_FUNCTION__._Z39paged_attention_ll4mi_QKV_mfma16_kernelI14__hip_bfloat16S0_LN4vllm18Fp8KVCacheDataTypeE0ES0_Li16ELi128ELi256ELb1ELi14EEvPKT_PKT0_S8_ifPKiSA_SA_iPKfiiiPfSD_PS3_PT2_iSC_SC_:
	.asciz	"void paged_attention_ll4mi_QKV_mfma16_kernel(const scalar_t *__restrict, const cache_t *__restrict, const cache_t *__restrict, const int, const float, const int *__restrict, const int *__restrict, const int *__restrict, const int, const float *__restrict, const int, const int, const int, float *__restrict, float *__restrict, scalar_t *__restrict, OUTT *__restrict, int, const float *, const float *) [scalar_t = __hip_bfloat16, cache_t = __hip_bfloat16, KV_DTYPE = vllm::Fp8KVCacheDataType::kAuto, OUTT = __hip_bfloat16, BLOCK_SIZE = 16, HEAD_SIZE = 128, NUM_THREADS = 256, ALIBI_ENABLED = true, GQA_RATIO = 14]"
	.size	__PRETTY_FUNCTION__._Z39paged_attention_ll4mi_QKV_mfma16_kernelI14__hip_bfloat16S0_LN4vllm18Fp8KVCacheDataTypeE0ES0_Li16ELi128ELi256ELb1ELi14EEvPKT_PKT0_S8_ifPKiSA_SA_iPKfiiiPfSD_PS3_PT2_iSC_SC_, 614

	.type	__PRETTY_FUNCTION__._Z39paged_attention_ll4mi_QKV_mfma16_kernelI14__hip_bfloat16S0_LN4vllm18Fp8KVCacheDataTypeE0ES0_Li16ELi128ELi256ELb1ELi15EEvPKT_PKT0_S8_ifPKiSA_SA_iPKfiiiPfSD_PS3_PT2_iSC_SC_,@object ; @__PRETTY_FUNCTION__._Z39paged_attention_ll4mi_QKV_mfma16_kernelI14__hip_bfloat16S0_LN4vllm18Fp8KVCacheDataTypeE0ES0_Li16ELi128ELi256ELb1ELi15EEvPKT_PKT0_S8_ifPKiSA_SA_iPKfiiiPfSD_PS3_PT2_iSC_SC_
__PRETTY_FUNCTION__._Z39paged_attention_ll4mi_QKV_mfma16_kernelI14__hip_bfloat16S0_LN4vllm18Fp8KVCacheDataTypeE0ES0_Li16ELi128ELi256ELb1ELi15EEvPKT_PKT0_S8_ifPKiSA_SA_iPKfiiiPfSD_PS3_PT2_iSC_SC_:
	.asciz	"void paged_attention_ll4mi_QKV_mfma16_kernel(const scalar_t *__restrict, const cache_t *__restrict, const cache_t *__restrict, const int, const float, const int *__restrict, const int *__restrict, const int *__restrict, const int, const float *__restrict, const int, const int, const int, float *__restrict, float *__restrict, scalar_t *__restrict, OUTT *__restrict, int, const float *, const float *) [scalar_t = __hip_bfloat16, cache_t = __hip_bfloat16, KV_DTYPE = vllm::Fp8KVCacheDataType::kAuto, OUTT = __hip_bfloat16, BLOCK_SIZE = 16, HEAD_SIZE = 128, NUM_THREADS = 256, ALIBI_ENABLED = true, GQA_RATIO = 15]"
	.size	__PRETTY_FUNCTION__._Z39paged_attention_ll4mi_QKV_mfma16_kernelI14__hip_bfloat16S0_LN4vllm18Fp8KVCacheDataTypeE0ES0_Li16ELi128ELi256ELb1ELi15EEvPKT_PKT0_S8_ifPKiSA_SA_iPKfiiiPfSD_PS3_PT2_iSC_SC_, 614

	.type	__PRETTY_FUNCTION__._Z39paged_attention_ll4mi_QKV_mfma16_kernelI14__hip_bfloat16S0_LN4vllm18Fp8KVCacheDataTypeE0ES0_Li16ELi128ELi256ELb1ELi16EEvPKT_PKT0_S8_ifPKiSA_SA_iPKfiiiPfSD_PS3_PT2_iSC_SC_,@object ; @__PRETTY_FUNCTION__._Z39paged_attention_ll4mi_QKV_mfma16_kernelI14__hip_bfloat16S0_LN4vllm18Fp8KVCacheDataTypeE0ES0_Li16ELi128ELi256ELb1ELi16EEvPKT_PKT0_S8_ifPKiSA_SA_iPKfiiiPfSD_PS3_PT2_iSC_SC_
__PRETTY_FUNCTION__._Z39paged_attention_ll4mi_QKV_mfma16_kernelI14__hip_bfloat16S0_LN4vllm18Fp8KVCacheDataTypeE0ES0_Li16ELi128ELi256ELb1ELi16EEvPKT_PKT0_S8_ifPKiSA_SA_iPKfiiiPfSD_PS3_PT2_iSC_SC_:
	.asciz	"void paged_attention_ll4mi_QKV_mfma16_kernel(const scalar_t *__restrict, const cache_t *__restrict, const cache_t *__restrict, const int, const float, const int *__restrict, const int *__restrict, const int *__restrict, const int, const float *__restrict, const int, const int, const int, float *__restrict, float *__restrict, scalar_t *__restrict, OUTT *__restrict, int, const float *, const float *) [scalar_t = __hip_bfloat16, cache_t = __hip_bfloat16, KV_DTYPE = vllm::Fp8KVCacheDataType::kAuto, OUTT = __hip_bfloat16, BLOCK_SIZE = 16, HEAD_SIZE = 128, NUM_THREADS = 256, ALIBI_ENABLED = true, GQA_RATIO = 16]"
	.size	__PRETTY_FUNCTION__._Z39paged_attention_ll4mi_QKV_mfma16_kernelI14__hip_bfloat16S0_LN4vllm18Fp8KVCacheDataTypeE0ES0_Li16ELi128ELi256ELb1ELi16EEvPKT_PKT0_S8_ifPKiSA_SA_iPKfiiiPfSD_PS3_PT2_iSC_SC_, 614

	.type	__PRETTY_FUNCTION__._Z35paged_attention_ll4mi_reduce_kernelI14__hip_bfloat16S0_Li128ELi128ELi256ELi1EEvPT0_PKfS4_PKT_PKiS9_iS4_,@object ; @__PRETTY_FUNCTION__._Z35paged_attention_ll4mi_reduce_kernelI14__hip_bfloat16S0_Li128ELi128ELi256ELi1EEvPT0_PKfS4_PKT_PKiS9_iS4_
__PRETTY_FUNCTION__._Z35paged_attention_ll4mi_reduce_kernelI14__hip_bfloat16S0_Li128ELi128ELi256ELi1EEvPT0_PKfS4_PKT_PKiS9_iS4_:
	.asciz	"void paged_attention_ll4mi_reduce_kernel(OUTT *__restrict, const float *__restrict, const float *__restrict, const scalar_t *__restrict, const int *__restrict, const int *__restrict, const int, const float *__restrict) [scalar_t = __hip_bfloat16, OUTT = __hip_bfloat16, HEAD_SIZE = 128, NUM_THREADS = 128, PARTITION_SIZE = 256, NPAR_LOOPS = 1]"
	.size	__PRETTY_FUNCTION__._Z35paged_attention_ll4mi_reduce_kernelI14__hip_bfloat16S0_Li128ELi128ELi256ELi1EEvPT0_PKfS4_PKT_PKiS9_iS4_, 344

	.type	__PRETTY_FUNCTION__._Z35paged_attention_ll4mi_reduce_kernelI14__hip_bfloat16S0_Li128ELi128ELi256ELi2EEvPT0_PKfS4_PKT_PKiS9_iS4_,@object ; @__PRETTY_FUNCTION__._Z35paged_attention_ll4mi_reduce_kernelI14__hip_bfloat16S0_Li128ELi128ELi256ELi2EEvPT0_PKfS4_PKT_PKiS9_iS4_
__PRETTY_FUNCTION__._Z35paged_attention_ll4mi_reduce_kernelI14__hip_bfloat16S0_Li128ELi128ELi256ELi2EEvPT0_PKfS4_PKT_PKiS9_iS4_:
	.asciz	"void paged_attention_ll4mi_reduce_kernel(OUTT *__restrict, const float *__restrict, const float *__restrict, const scalar_t *__restrict, const int *__restrict, const int *__restrict, const int, const float *__restrict) [scalar_t = __hip_bfloat16, OUTT = __hip_bfloat16, HEAD_SIZE = 128, NUM_THREADS = 128, PARTITION_SIZE = 256, NPAR_LOOPS = 2]"
	.size	__PRETTY_FUNCTION__._Z35paged_attention_ll4mi_reduce_kernelI14__hip_bfloat16S0_Li128ELi128ELi256ELi2EEvPT0_PKfS4_PKT_PKiS9_iS4_, 344

	.type	__PRETTY_FUNCTION__._Z35paged_attention_ll4mi_reduce_kernelI14__hip_bfloat16S0_Li128ELi128ELi256ELi3EEvPT0_PKfS4_PKT_PKiS9_iS4_,@object ; @__PRETTY_FUNCTION__._Z35paged_attention_ll4mi_reduce_kernelI14__hip_bfloat16S0_Li128ELi128ELi256ELi3EEvPT0_PKfS4_PKT_PKiS9_iS4_
__PRETTY_FUNCTION__._Z35paged_attention_ll4mi_reduce_kernelI14__hip_bfloat16S0_Li128ELi128ELi256ELi3EEvPT0_PKfS4_PKT_PKiS9_iS4_:
	.asciz	"void paged_attention_ll4mi_reduce_kernel(OUTT *__restrict, const float *__restrict, const float *__restrict, const scalar_t *__restrict, const int *__restrict, const int *__restrict, const int, const float *__restrict) [scalar_t = __hip_bfloat16, OUTT = __hip_bfloat16, HEAD_SIZE = 128, NUM_THREADS = 128, PARTITION_SIZE = 256, NPAR_LOOPS = 3]"
	.size	__PRETTY_FUNCTION__._Z35paged_attention_ll4mi_reduce_kernelI14__hip_bfloat16S0_Li128ELi128ELi256ELi3EEvPT0_PKfS4_PKT_PKiS9_iS4_, 344

	.type	__PRETTY_FUNCTION__._Z35paged_attention_ll4mi_reduce_kernelI14__hip_bfloat16S0_Li128ELi128ELi256ELi4EEvPT0_PKfS4_PKT_PKiS9_iS4_,@object ; @__PRETTY_FUNCTION__._Z35paged_attention_ll4mi_reduce_kernelI14__hip_bfloat16S0_Li128ELi128ELi256ELi4EEvPT0_PKfS4_PKT_PKiS9_iS4_
__PRETTY_FUNCTION__._Z35paged_attention_ll4mi_reduce_kernelI14__hip_bfloat16S0_Li128ELi128ELi256ELi4EEvPT0_PKfS4_PKT_PKiS9_iS4_:
	.asciz	"void paged_attention_ll4mi_reduce_kernel(OUTT *__restrict, const float *__restrict, const float *__restrict, const scalar_t *__restrict, const int *__restrict, const int *__restrict, const int, const float *__restrict) [scalar_t = __hip_bfloat16, OUTT = __hip_bfloat16, HEAD_SIZE = 128, NUM_THREADS = 128, PARTITION_SIZE = 256, NPAR_LOOPS = 4]"
	.size	__PRETTY_FUNCTION__._Z35paged_attention_ll4mi_reduce_kernelI14__hip_bfloat16S0_Li128ELi128ELi256ELi4EEvPT0_PKfS4_PKT_PKiS9_iS4_, 344

	.type	__PRETTY_FUNCTION__._Z35paged_attention_ll4mi_reduce_kernelI14__hip_bfloat16S0_Li128ELi128ELi256ELi5EEvPT0_PKfS4_PKT_PKiS9_iS4_,@object ; @__PRETTY_FUNCTION__._Z35paged_attention_ll4mi_reduce_kernelI14__hip_bfloat16S0_Li128ELi128ELi256ELi5EEvPT0_PKfS4_PKT_PKiS9_iS4_
__PRETTY_FUNCTION__._Z35paged_attention_ll4mi_reduce_kernelI14__hip_bfloat16S0_Li128ELi128ELi256ELi5EEvPT0_PKfS4_PKT_PKiS9_iS4_:
	.asciz	"void paged_attention_ll4mi_reduce_kernel(OUTT *__restrict, const float *__restrict, const float *__restrict, const scalar_t *__restrict, const int *__restrict, const int *__restrict, const int, const float *__restrict) [scalar_t = __hip_bfloat16, OUTT = __hip_bfloat16, HEAD_SIZE = 128, NUM_THREADS = 128, PARTITION_SIZE = 256, NPAR_LOOPS = 5]"
	.size	__PRETTY_FUNCTION__._Z35paged_attention_ll4mi_reduce_kernelI14__hip_bfloat16S0_Li128ELi128ELi256ELi5EEvPT0_PKfS4_PKT_PKiS9_iS4_, 344

	.type	__PRETTY_FUNCTION__._Z35paged_attention_ll4mi_reduce_kernelI14__hip_bfloat16S0_Li128ELi128ELi256ELi6EEvPT0_PKfS4_PKT_PKiS9_iS4_,@object ; @__PRETTY_FUNCTION__._Z35paged_attention_ll4mi_reduce_kernelI14__hip_bfloat16S0_Li128ELi128ELi256ELi6EEvPT0_PKfS4_PKT_PKiS9_iS4_
__PRETTY_FUNCTION__._Z35paged_attention_ll4mi_reduce_kernelI14__hip_bfloat16S0_Li128ELi128ELi256ELi6EEvPT0_PKfS4_PKT_PKiS9_iS4_:
	.asciz	"void paged_attention_ll4mi_reduce_kernel(OUTT *__restrict, const float *__restrict, const float *__restrict, const scalar_t *__restrict, const int *__restrict, const int *__restrict, const int, const float *__restrict) [scalar_t = __hip_bfloat16, OUTT = __hip_bfloat16, HEAD_SIZE = 128, NUM_THREADS = 128, PARTITION_SIZE = 256, NPAR_LOOPS = 6]"
	.size	__PRETTY_FUNCTION__._Z35paged_attention_ll4mi_reduce_kernelI14__hip_bfloat16S0_Li128ELi128ELi256ELi6EEvPT0_PKfS4_PKT_PKiS9_iS4_, 344

	.type	__PRETTY_FUNCTION__._Z35paged_attention_ll4mi_reduce_kernelI14__hip_bfloat16S0_Li128ELi128ELi256ELi7EEvPT0_PKfS4_PKT_PKiS9_iS4_,@object ; @__PRETTY_FUNCTION__._Z35paged_attention_ll4mi_reduce_kernelI14__hip_bfloat16S0_Li128ELi128ELi256ELi7EEvPT0_PKfS4_PKT_PKiS9_iS4_
__PRETTY_FUNCTION__._Z35paged_attention_ll4mi_reduce_kernelI14__hip_bfloat16S0_Li128ELi128ELi256ELi7EEvPT0_PKfS4_PKT_PKiS9_iS4_:
	.asciz	"void paged_attention_ll4mi_reduce_kernel(OUTT *__restrict, const float *__restrict, const float *__restrict, const scalar_t *__restrict, const int *__restrict, const int *__restrict, const int, const float *__restrict) [scalar_t = __hip_bfloat16, OUTT = __hip_bfloat16, HEAD_SIZE = 128, NUM_THREADS = 128, PARTITION_SIZE = 256, NPAR_LOOPS = 7]"
	.size	__PRETTY_FUNCTION__._Z35paged_attention_ll4mi_reduce_kernelI14__hip_bfloat16S0_Li128ELi128ELi256ELi7EEvPT0_PKfS4_PKT_PKiS9_iS4_, 344

	.type	__PRETTY_FUNCTION__._Z35paged_attention_ll4mi_reduce_kernelI14__hip_bfloat16S0_Li128ELi128ELi256ELi8EEvPT0_PKfS4_PKT_PKiS9_iS4_,@object ; @__PRETTY_FUNCTION__._Z35paged_attention_ll4mi_reduce_kernelI14__hip_bfloat16S0_Li128ELi128ELi256ELi8EEvPT0_PKfS4_PKT_PKiS9_iS4_
__PRETTY_FUNCTION__._Z35paged_attention_ll4mi_reduce_kernelI14__hip_bfloat16S0_Li128ELi128ELi256ELi8EEvPT0_PKfS4_PKT_PKiS9_iS4_:
	.asciz	"void paged_attention_ll4mi_reduce_kernel(OUTT *__restrict, const float *__restrict, const float *__restrict, const scalar_t *__restrict, const int *__restrict, const int *__restrict, const int, const float *__restrict) [scalar_t = __hip_bfloat16, OUTT = __hip_bfloat16, HEAD_SIZE = 128, NUM_THREADS = 128, PARTITION_SIZE = 256, NPAR_LOOPS = 8]"
	.size	__PRETTY_FUNCTION__._Z35paged_attention_ll4mi_reduce_kernelI14__hip_bfloat16S0_Li128ELi128ELi256ELi8EEvPT0_PKfS4_PKT_PKiS9_iS4_, 344

	.type	__PRETTY_FUNCTION__._Z39paged_attention_ll4mi_QKV_mfma16_kernelI14__hip_bfloat16S0_LN4vllm18Fp8KVCacheDataTypeE0ES0_Li16ELi128ELi256ELb1ELi1EEvPKT_PKT0_S8_ifPKiSA_SA_iPKfiiiPfSD_PS3_PT2_iSC_SC_,@object ; @__PRETTY_FUNCTION__._Z39paged_attention_ll4mi_QKV_mfma16_kernelI14__hip_bfloat16S0_LN4vllm18Fp8KVCacheDataTypeE0ES0_Li16ELi128ELi256ELb1ELi1EEvPKT_PKT0_S8_ifPKiSA_SA_iPKfiiiPfSD_PS3_PT2_iSC_SC_
__PRETTY_FUNCTION__._Z39paged_attention_ll4mi_QKV_mfma16_kernelI14__hip_bfloat16S0_LN4vllm18Fp8KVCacheDataTypeE0ES0_Li16ELi128ELi256ELb1ELi1EEvPKT_PKT0_S8_ifPKiSA_SA_iPKfiiiPfSD_PS3_PT2_iSC_SC_:
	.asciz	"void paged_attention_ll4mi_QKV_mfma16_kernel(const scalar_t *__restrict, const cache_t *__restrict, const cache_t *__restrict, const int, const float, const int *__restrict, const int *__restrict, const int *__restrict, const int, const float *__restrict, const int, const int, const int, float *__restrict, float *__restrict, scalar_t *__restrict, OUTT *__restrict, int, const float *, const float *) [scalar_t = __hip_bfloat16, cache_t = __hip_bfloat16, KV_DTYPE = vllm::Fp8KVCacheDataType::kAuto, OUTT = __hip_bfloat16, BLOCK_SIZE = 16, HEAD_SIZE = 128, NUM_THREADS = 256, ALIBI_ENABLED = true, GQA_RATIO = 1]"
	.size	__PRETTY_FUNCTION__._Z39paged_attention_ll4mi_QKV_mfma16_kernelI14__hip_bfloat16S0_LN4vllm18Fp8KVCacheDataTypeE0ES0_Li16ELi128ELi256ELb1ELi1EEvPKT_PKT0_S8_ifPKiSA_SA_iPKfiiiPfSD_PS3_PT2_iSC_SC_, 613

	.type	__PRETTY_FUNCTION__._Z39paged_attention_ll4mi_QKV_mfma16_kernelI14__hip_bfloat16S0_LN4vllm18Fp8KVCacheDataTypeE0ES0_Li16ELi128ELi256ELb1ELi2EEvPKT_PKT0_S8_ifPKiSA_SA_iPKfiiiPfSD_PS3_PT2_iSC_SC_,@object ; @__PRETTY_FUNCTION__._Z39paged_attention_ll4mi_QKV_mfma16_kernelI14__hip_bfloat16S0_LN4vllm18Fp8KVCacheDataTypeE0ES0_Li16ELi128ELi256ELb1ELi2EEvPKT_PKT0_S8_ifPKiSA_SA_iPKfiiiPfSD_PS3_PT2_iSC_SC_
__PRETTY_FUNCTION__._Z39paged_attention_ll4mi_QKV_mfma16_kernelI14__hip_bfloat16S0_LN4vllm18Fp8KVCacheDataTypeE0ES0_Li16ELi128ELi256ELb1ELi2EEvPKT_PKT0_S8_ifPKiSA_SA_iPKfiiiPfSD_PS3_PT2_iSC_SC_:
	.asciz	"void paged_attention_ll4mi_QKV_mfma16_kernel(const scalar_t *__restrict, const cache_t *__restrict, const cache_t *__restrict, const int, const float, const int *__restrict, const int *__restrict, const int *__restrict, const int, const float *__restrict, const int, const int, const int, float *__restrict, float *__restrict, scalar_t *__restrict, OUTT *__restrict, int, const float *, const float *) [scalar_t = __hip_bfloat16, cache_t = __hip_bfloat16, KV_DTYPE = vllm::Fp8KVCacheDataType::kAuto, OUTT = __hip_bfloat16, BLOCK_SIZE = 16, HEAD_SIZE = 128, NUM_THREADS = 256, ALIBI_ENABLED = true, GQA_RATIO = 2]"
	.size	__PRETTY_FUNCTION__._Z39paged_attention_ll4mi_QKV_mfma16_kernelI14__hip_bfloat16S0_LN4vllm18Fp8KVCacheDataTypeE0ES0_Li16ELi128ELi256ELb1ELi2EEvPKT_PKT0_S8_ifPKiSA_SA_iPKfiiiPfSD_PS3_PT2_iSC_SC_, 613

	.type	__PRETTY_FUNCTION__._Z39paged_attention_ll4mi_QKV_mfma16_kernelI14__hip_bfloat16S0_LN4vllm18Fp8KVCacheDataTypeE0ES0_Li16ELi128ELi256ELb1ELi3EEvPKT_PKT0_S8_ifPKiSA_SA_iPKfiiiPfSD_PS3_PT2_iSC_SC_,@object ; @__PRETTY_FUNCTION__._Z39paged_attention_ll4mi_QKV_mfma16_kernelI14__hip_bfloat16S0_LN4vllm18Fp8KVCacheDataTypeE0ES0_Li16ELi128ELi256ELb1ELi3EEvPKT_PKT0_S8_ifPKiSA_SA_iPKfiiiPfSD_PS3_PT2_iSC_SC_
__PRETTY_FUNCTION__._Z39paged_attention_ll4mi_QKV_mfma16_kernelI14__hip_bfloat16S0_LN4vllm18Fp8KVCacheDataTypeE0ES0_Li16ELi128ELi256ELb1ELi3EEvPKT_PKT0_S8_ifPKiSA_SA_iPKfiiiPfSD_PS3_PT2_iSC_SC_:
	.asciz	"void paged_attention_ll4mi_QKV_mfma16_kernel(const scalar_t *__restrict, const cache_t *__restrict, const cache_t *__restrict, const int, const float, const int *__restrict, const int *__restrict, const int *__restrict, const int, const float *__restrict, const int, const int, const int, float *__restrict, float *__restrict, scalar_t *__restrict, OUTT *__restrict, int, const float *, const float *) [scalar_t = __hip_bfloat16, cache_t = __hip_bfloat16, KV_DTYPE = vllm::Fp8KVCacheDataType::kAuto, OUTT = __hip_bfloat16, BLOCK_SIZE = 16, HEAD_SIZE = 128, NUM_THREADS = 256, ALIBI_ENABLED = true, GQA_RATIO = 3]"
	.size	__PRETTY_FUNCTION__._Z39paged_attention_ll4mi_QKV_mfma16_kernelI14__hip_bfloat16S0_LN4vllm18Fp8KVCacheDataTypeE0ES0_Li16ELi128ELi256ELb1ELi3EEvPKT_PKT0_S8_ifPKiSA_SA_iPKfiiiPfSD_PS3_PT2_iSC_SC_, 613

	.type	__PRETTY_FUNCTION__._Z39paged_attention_ll4mi_QKV_mfma16_kernelI14__hip_bfloat16S0_LN4vllm18Fp8KVCacheDataTypeE0ES0_Li16ELi128ELi256ELb1ELi4EEvPKT_PKT0_S8_ifPKiSA_SA_iPKfiiiPfSD_PS3_PT2_iSC_SC_,@object ; @__PRETTY_FUNCTION__._Z39paged_attention_ll4mi_QKV_mfma16_kernelI14__hip_bfloat16S0_LN4vllm18Fp8KVCacheDataTypeE0ES0_Li16ELi128ELi256ELb1ELi4EEvPKT_PKT0_S8_ifPKiSA_SA_iPKfiiiPfSD_PS3_PT2_iSC_SC_
__PRETTY_FUNCTION__._Z39paged_attention_ll4mi_QKV_mfma16_kernelI14__hip_bfloat16S0_LN4vllm18Fp8KVCacheDataTypeE0ES0_Li16ELi128ELi256ELb1ELi4EEvPKT_PKT0_S8_ifPKiSA_SA_iPKfiiiPfSD_PS3_PT2_iSC_SC_:
	.asciz	"void paged_attention_ll4mi_QKV_mfma16_kernel(const scalar_t *__restrict, const cache_t *__restrict, const cache_t *__restrict, const int, const float, const int *__restrict, const int *__restrict, const int *__restrict, const int, const float *__restrict, const int, const int, const int, float *__restrict, float *__restrict, scalar_t *__restrict, OUTT *__restrict, int, const float *, const float *) [scalar_t = __hip_bfloat16, cache_t = __hip_bfloat16, KV_DTYPE = vllm::Fp8KVCacheDataType::kAuto, OUTT = __hip_bfloat16, BLOCK_SIZE = 16, HEAD_SIZE = 128, NUM_THREADS = 256, ALIBI_ENABLED = true, GQA_RATIO = 4]"
	.size	__PRETTY_FUNCTION__._Z39paged_attention_ll4mi_QKV_mfma16_kernelI14__hip_bfloat16S0_LN4vllm18Fp8KVCacheDataTypeE0ES0_Li16ELi128ELi256ELb1ELi4EEvPKT_PKT0_S8_ifPKiSA_SA_iPKfiiiPfSD_PS3_PT2_iSC_SC_, 613

	.type	__PRETTY_FUNCTION__._Z35paged_attention_ll4mi_reduce_kernelI14__hip_bfloat16S0_Li128ELi128ELi256ELi9EEvPT0_PKfS4_PKT_PKiS9_iS4_,@object ; @__PRETTY_FUNCTION__._Z35paged_attention_ll4mi_reduce_kernelI14__hip_bfloat16S0_Li128ELi128ELi256ELi9EEvPT0_PKfS4_PKT_PKiS9_iS4_
__PRETTY_FUNCTION__._Z35paged_attention_ll4mi_reduce_kernelI14__hip_bfloat16S0_Li128ELi128ELi256ELi9EEvPT0_PKfS4_PKT_PKiS9_iS4_:
	.asciz	"void paged_attention_ll4mi_reduce_kernel(OUTT *__restrict, const float *__restrict, const float *__restrict, const scalar_t *__restrict, const int *__restrict, const int *__restrict, const int, const float *__restrict) [scalar_t = __hip_bfloat16, OUTT = __hip_bfloat16, HEAD_SIZE = 128, NUM_THREADS = 128, PARTITION_SIZE = 256, NPAR_LOOPS = 9]"
	.size	__PRETTY_FUNCTION__._Z35paged_attention_ll4mi_reduce_kernelI14__hip_bfloat16S0_Li128ELi128ELi256ELi9EEvPT0_PKfS4_PKT_PKiS9_iS4_, 344

	.type	__PRETTY_FUNCTION__._Z35paged_attention_ll4mi_reduce_kernelI14__hip_bfloat16S0_Li128ELi128ELi256ELi10EEvPT0_PKfS4_PKT_PKiS9_iS4_,@object ; @__PRETTY_FUNCTION__._Z35paged_attention_ll4mi_reduce_kernelI14__hip_bfloat16S0_Li128ELi128ELi256ELi10EEvPT0_PKfS4_PKT_PKiS9_iS4_
__PRETTY_FUNCTION__._Z35paged_attention_ll4mi_reduce_kernelI14__hip_bfloat16S0_Li128ELi128ELi256ELi10EEvPT0_PKfS4_PKT_PKiS9_iS4_:
	.asciz	"void paged_attention_ll4mi_reduce_kernel(OUTT *__restrict, const float *__restrict, const float *__restrict, const scalar_t *__restrict, const int *__restrict, const int *__restrict, const int, const float *__restrict) [scalar_t = __hip_bfloat16, OUTT = __hip_bfloat16, HEAD_SIZE = 128, NUM_THREADS = 128, PARTITION_SIZE = 256, NPAR_LOOPS = 10]"
	.size	__PRETTY_FUNCTION__._Z35paged_attention_ll4mi_reduce_kernelI14__hip_bfloat16S0_Li128ELi128ELi256ELi10EEvPT0_PKfS4_PKT_PKiS9_iS4_, 345

	.type	__PRETTY_FUNCTION__._Z35paged_attention_ll4mi_reduce_kernelI14__hip_bfloat16S0_Li128ELi128ELi256ELi11EEvPT0_PKfS4_PKT_PKiS9_iS4_,@object ; @__PRETTY_FUNCTION__._Z35paged_attention_ll4mi_reduce_kernelI14__hip_bfloat16S0_Li128ELi128ELi256ELi11EEvPT0_PKfS4_PKT_PKiS9_iS4_
__PRETTY_FUNCTION__._Z35paged_attention_ll4mi_reduce_kernelI14__hip_bfloat16S0_Li128ELi128ELi256ELi11EEvPT0_PKfS4_PKT_PKiS9_iS4_:
	.asciz	"void paged_attention_ll4mi_reduce_kernel(OUTT *__restrict, const float *__restrict, const float *__restrict, const scalar_t *__restrict, const int *__restrict, const int *__restrict, const int, const float *__restrict) [scalar_t = __hip_bfloat16, OUTT = __hip_bfloat16, HEAD_SIZE = 128, NUM_THREADS = 128, PARTITION_SIZE = 256, NPAR_LOOPS = 11]"
	.size	__PRETTY_FUNCTION__._Z35paged_attention_ll4mi_reduce_kernelI14__hip_bfloat16S0_Li128ELi128ELi256ELi11EEvPT0_PKfS4_PKT_PKiS9_iS4_, 345

	.type	__PRETTY_FUNCTION__._Z35paged_attention_ll4mi_reduce_kernelI14__hip_bfloat16S0_Li128ELi128ELi256ELi12EEvPT0_PKfS4_PKT_PKiS9_iS4_,@object ; @__PRETTY_FUNCTION__._Z35paged_attention_ll4mi_reduce_kernelI14__hip_bfloat16S0_Li128ELi128ELi256ELi12EEvPT0_PKfS4_PKT_PKiS9_iS4_
__PRETTY_FUNCTION__._Z35paged_attention_ll4mi_reduce_kernelI14__hip_bfloat16S0_Li128ELi128ELi256ELi12EEvPT0_PKfS4_PKT_PKiS9_iS4_:
	.asciz	"void paged_attention_ll4mi_reduce_kernel(OUTT *__restrict, const float *__restrict, const float *__restrict, const scalar_t *__restrict, const int *__restrict, const int *__restrict, const int, const float *__restrict) [scalar_t = __hip_bfloat16, OUTT = __hip_bfloat16, HEAD_SIZE = 128, NUM_THREADS = 128, PARTITION_SIZE = 256, NPAR_LOOPS = 12]"
	.size	__PRETTY_FUNCTION__._Z35paged_attention_ll4mi_reduce_kernelI14__hip_bfloat16S0_Li128ELi128ELi256ELi12EEvPT0_PKfS4_PKT_PKiS9_iS4_, 345

	.type	__PRETTY_FUNCTION__._Z35paged_attention_ll4mi_reduce_kernelI14__hip_bfloat16S0_Li128ELi128ELi256ELi13EEvPT0_PKfS4_PKT_PKiS9_iS4_,@object ; @__PRETTY_FUNCTION__._Z35paged_attention_ll4mi_reduce_kernelI14__hip_bfloat16S0_Li128ELi128ELi256ELi13EEvPT0_PKfS4_PKT_PKiS9_iS4_
__PRETTY_FUNCTION__._Z35paged_attention_ll4mi_reduce_kernelI14__hip_bfloat16S0_Li128ELi128ELi256ELi13EEvPT0_PKfS4_PKT_PKiS9_iS4_:
	.asciz	"void paged_attention_ll4mi_reduce_kernel(OUTT *__restrict, const float *__restrict, const float *__restrict, const scalar_t *__restrict, const int *__restrict, const int *__restrict, const int, const float *__restrict) [scalar_t = __hip_bfloat16, OUTT = __hip_bfloat16, HEAD_SIZE = 128, NUM_THREADS = 128, PARTITION_SIZE = 256, NPAR_LOOPS = 13]"
	.size	__PRETTY_FUNCTION__._Z35paged_attention_ll4mi_reduce_kernelI14__hip_bfloat16S0_Li128ELi128ELi256ELi13EEvPT0_PKfS4_PKT_PKiS9_iS4_, 345

	.type	__PRETTY_FUNCTION__._Z35paged_attention_ll4mi_reduce_kernelI14__hip_bfloat16S0_Li128ELi128ELi256ELi14EEvPT0_PKfS4_PKT_PKiS9_iS4_,@object ; @__PRETTY_FUNCTION__._Z35paged_attention_ll4mi_reduce_kernelI14__hip_bfloat16S0_Li128ELi128ELi256ELi14EEvPT0_PKfS4_PKT_PKiS9_iS4_
__PRETTY_FUNCTION__._Z35paged_attention_ll4mi_reduce_kernelI14__hip_bfloat16S0_Li128ELi128ELi256ELi14EEvPT0_PKfS4_PKT_PKiS9_iS4_:
	.asciz	"void paged_attention_ll4mi_reduce_kernel(OUTT *__restrict, const float *__restrict, const float *__restrict, const scalar_t *__restrict, const int *__restrict, const int *__restrict, const int, const float *__restrict) [scalar_t = __hip_bfloat16, OUTT = __hip_bfloat16, HEAD_SIZE = 128, NUM_THREADS = 128, PARTITION_SIZE = 256, NPAR_LOOPS = 14]"
	.size	__PRETTY_FUNCTION__._Z35paged_attention_ll4mi_reduce_kernelI14__hip_bfloat16S0_Li128ELi128ELi256ELi14EEvPT0_PKfS4_PKT_PKiS9_iS4_, 345

	.type	__PRETTY_FUNCTION__._Z35paged_attention_ll4mi_reduce_kernelI14__hip_bfloat16S0_Li128ELi128ELi256ELi15EEvPT0_PKfS4_PKT_PKiS9_iS4_,@object ; @__PRETTY_FUNCTION__._Z35paged_attention_ll4mi_reduce_kernelI14__hip_bfloat16S0_Li128ELi128ELi256ELi15EEvPT0_PKfS4_PKT_PKiS9_iS4_
__PRETTY_FUNCTION__._Z35paged_attention_ll4mi_reduce_kernelI14__hip_bfloat16S0_Li128ELi128ELi256ELi15EEvPT0_PKfS4_PKT_PKiS9_iS4_:
	.asciz	"void paged_attention_ll4mi_reduce_kernel(OUTT *__restrict, const float *__restrict, const float *__restrict, const scalar_t *__restrict, const int *__restrict, const int *__restrict, const int, const float *__restrict) [scalar_t = __hip_bfloat16, OUTT = __hip_bfloat16, HEAD_SIZE = 128, NUM_THREADS = 128, PARTITION_SIZE = 256, NPAR_LOOPS = 15]"
	.size	__PRETTY_FUNCTION__._Z35paged_attention_ll4mi_reduce_kernelI14__hip_bfloat16S0_Li128ELi128ELi256ELi15EEvPT0_PKfS4_PKT_PKiS9_iS4_, 345

	.type	__PRETTY_FUNCTION__._Z35paged_attention_ll4mi_reduce_kernelI14__hip_bfloat16S0_Li128ELi128ELi256ELi16EEvPT0_PKfS4_PKT_PKiS9_iS4_,@object ; @__PRETTY_FUNCTION__._Z35paged_attention_ll4mi_reduce_kernelI14__hip_bfloat16S0_Li128ELi128ELi256ELi16EEvPT0_PKfS4_PKT_PKiS9_iS4_
__PRETTY_FUNCTION__._Z35paged_attention_ll4mi_reduce_kernelI14__hip_bfloat16S0_Li128ELi128ELi256ELi16EEvPT0_PKfS4_PKT_PKiS9_iS4_:
	.asciz	"void paged_attention_ll4mi_reduce_kernel(OUTT *__restrict, const float *__restrict, const float *__restrict, const scalar_t *__restrict, const int *__restrict, const int *__restrict, const int, const float *__restrict) [scalar_t = __hip_bfloat16, OUTT = __hip_bfloat16, HEAD_SIZE = 128, NUM_THREADS = 128, PARTITION_SIZE = 256, NPAR_LOOPS = 16]"
	.size	__PRETTY_FUNCTION__._Z35paged_attention_ll4mi_reduce_kernelI14__hip_bfloat16S0_Li128ELi128ELi256ELi16EEvPT0_PKfS4_PKT_PKiS9_iS4_, 345

	.type	__PRETTY_FUNCTION__._Z38paged_attention_ll4mi_QKV_mfma4_kernelI14__hip_bfloat16S0_LN4vllm18Fp8KVCacheDataTypeE0ES0_Li16ELi128ELi256ELb0ELi1EEvPKT_PKT0_S8_ifPKiSA_SA_iPKfiiiPfSD_PS3_PT2_iSC_SC_,@object ; @__PRETTY_FUNCTION__._Z38paged_attention_ll4mi_QKV_mfma4_kernelI14__hip_bfloat16S0_LN4vllm18Fp8KVCacheDataTypeE0ES0_Li16ELi128ELi256ELb0ELi1EEvPKT_PKT0_S8_ifPKiSA_SA_iPKfiiiPfSD_PS3_PT2_iSC_SC_
__PRETTY_FUNCTION__._Z38paged_attention_ll4mi_QKV_mfma4_kernelI14__hip_bfloat16S0_LN4vllm18Fp8KVCacheDataTypeE0ES0_Li16ELi128ELi256ELb0ELi1EEvPKT_PKT0_S8_ifPKiSA_SA_iPKfiiiPfSD_PS3_PT2_iSC_SC_:
	.asciz	"void paged_attention_ll4mi_QKV_mfma4_kernel(const scalar_t *__restrict, const cache_t *__restrict, const cache_t *__restrict, const int, const float, const int *__restrict, const int *__restrict, const int *__restrict, const int, const float *__restrict, const int, const int, const int, float *__restrict, float *__restrict, scalar_t *__restrict, OUTT *__restrict, int, const float *, const float *) [scalar_t = __hip_bfloat16, cache_t = __hip_bfloat16, KV_DTYPE = vllm::Fp8KVCacheDataType::kAuto, OUTT = __hip_bfloat16, BLOCK_SIZE = 16, HEAD_SIZE = 128, NUM_THREADS = 256, ALIBI_ENABLED = false, GQA_RATIO = 1]"
	.size	__PRETTY_FUNCTION__._Z38paged_attention_ll4mi_QKV_mfma4_kernelI14__hip_bfloat16S0_LN4vllm18Fp8KVCacheDataTypeE0ES0_Li16ELi128ELi256ELb0ELi1EEvPKT_PKT0_S8_ifPKiSA_SA_iPKfiiiPfSD_PS3_PT2_iSC_SC_, 613

	.type	__PRETTY_FUNCTION__._Z38paged_attention_ll4mi_QKV_mfma4_kernelI14__hip_bfloat16S0_LN4vllm18Fp8KVCacheDataTypeE0ES0_Li16ELi128ELi256ELb0ELi2EEvPKT_PKT0_S8_ifPKiSA_SA_iPKfiiiPfSD_PS3_PT2_iSC_SC_,@object ; @__PRETTY_FUNCTION__._Z38paged_attention_ll4mi_QKV_mfma4_kernelI14__hip_bfloat16S0_LN4vllm18Fp8KVCacheDataTypeE0ES0_Li16ELi128ELi256ELb0ELi2EEvPKT_PKT0_S8_ifPKiSA_SA_iPKfiiiPfSD_PS3_PT2_iSC_SC_
__PRETTY_FUNCTION__._Z38paged_attention_ll4mi_QKV_mfma4_kernelI14__hip_bfloat16S0_LN4vllm18Fp8KVCacheDataTypeE0ES0_Li16ELi128ELi256ELb0ELi2EEvPKT_PKT0_S8_ifPKiSA_SA_iPKfiiiPfSD_PS3_PT2_iSC_SC_:
	.asciz	"void paged_attention_ll4mi_QKV_mfma4_kernel(const scalar_t *__restrict, const cache_t *__restrict, const cache_t *__restrict, const int, const float, const int *__restrict, const int *__restrict, const int *__restrict, const int, const float *__restrict, const int, const int, const int, float *__restrict, float *__restrict, scalar_t *__restrict, OUTT *__restrict, int, const float *, const float *) [scalar_t = __hip_bfloat16, cache_t = __hip_bfloat16, KV_DTYPE = vllm::Fp8KVCacheDataType::kAuto, OUTT = __hip_bfloat16, BLOCK_SIZE = 16, HEAD_SIZE = 128, NUM_THREADS = 256, ALIBI_ENABLED = false, GQA_RATIO = 2]"
	.size	__PRETTY_FUNCTION__._Z38paged_attention_ll4mi_QKV_mfma4_kernelI14__hip_bfloat16S0_LN4vllm18Fp8KVCacheDataTypeE0ES0_Li16ELi128ELi256ELb0ELi2EEvPKT_PKT0_S8_ifPKiSA_SA_iPKfiiiPfSD_PS3_PT2_iSC_SC_, 613

	.type	__PRETTY_FUNCTION__._Z38paged_attention_ll4mi_QKV_mfma4_kernelI14__hip_bfloat16S0_LN4vllm18Fp8KVCacheDataTypeE0ES0_Li16ELi128ELi256ELb0ELi3EEvPKT_PKT0_S8_ifPKiSA_SA_iPKfiiiPfSD_PS3_PT2_iSC_SC_,@object ; @__PRETTY_FUNCTION__._Z38paged_attention_ll4mi_QKV_mfma4_kernelI14__hip_bfloat16S0_LN4vllm18Fp8KVCacheDataTypeE0ES0_Li16ELi128ELi256ELb0ELi3EEvPKT_PKT0_S8_ifPKiSA_SA_iPKfiiiPfSD_PS3_PT2_iSC_SC_
__PRETTY_FUNCTION__._Z38paged_attention_ll4mi_QKV_mfma4_kernelI14__hip_bfloat16S0_LN4vllm18Fp8KVCacheDataTypeE0ES0_Li16ELi128ELi256ELb0ELi3EEvPKT_PKT0_S8_ifPKiSA_SA_iPKfiiiPfSD_PS3_PT2_iSC_SC_:
	.asciz	"void paged_attention_ll4mi_QKV_mfma4_kernel(const scalar_t *__restrict, const cache_t *__restrict, const cache_t *__restrict, const int, const float, const int *__restrict, const int *__restrict, const int *__restrict, const int, const float *__restrict, const int, const int, const int, float *__restrict, float *__restrict, scalar_t *__restrict, OUTT *__restrict, int, const float *, const float *) [scalar_t = __hip_bfloat16, cache_t = __hip_bfloat16, KV_DTYPE = vllm::Fp8KVCacheDataType::kAuto, OUTT = __hip_bfloat16, BLOCK_SIZE = 16, HEAD_SIZE = 128, NUM_THREADS = 256, ALIBI_ENABLED = false, GQA_RATIO = 3]"
	.size	__PRETTY_FUNCTION__._Z38paged_attention_ll4mi_QKV_mfma4_kernelI14__hip_bfloat16S0_LN4vllm18Fp8KVCacheDataTypeE0ES0_Li16ELi128ELi256ELb0ELi3EEvPKT_PKT0_S8_ifPKiSA_SA_iPKfiiiPfSD_PS3_PT2_iSC_SC_, 613

	.type	__PRETTY_FUNCTION__._Z38paged_attention_ll4mi_QKV_mfma4_kernelI14__hip_bfloat16S0_LN4vllm18Fp8KVCacheDataTypeE0ES0_Li16ELi128ELi256ELb0ELi4EEvPKT_PKT0_S8_ifPKiSA_SA_iPKfiiiPfSD_PS3_PT2_iSC_SC_,@object ; @__PRETTY_FUNCTION__._Z38paged_attention_ll4mi_QKV_mfma4_kernelI14__hip_bfloat16S0_LN4vllm18Fp8KVCacheDataTypeE0ES0_Li16ELi128ELi256ELb0ELi4EEvPKT_PKT0_S8_ifPKiSA_SA_iPKfiiiPfSD_PS3_PT2_iSC_SC_
__PRETTY_FUNCTION__._Z38paged_attention_ll4mi_QKV_mfma4_kernelI14__hip_bfloat16S0_LN4vllm18Fp8KVCacheDataTypeE0ES0_Li16ELi128ELi256ELb0ELi4EEvPKT_PKT0_S8_ifPKiSA_SA_iPKfiiiPfSD_PS3_PT2_iSC_SC_:
	.asciz	"void paged_attention_ll4mi_QKV_mfma4_kernel(const scalar_t *__restrict, const cache_t *__restrict, const cache_t *__restrict, const int, const float, const int *__restrict, const int *__restrict, const int *__restrict, const int, const float *__restrict, const int, const int, const int, float *__restrict, float *__restrict, scalar_t *__restrict, OUTT *__restrict, int, const float *, const float *) [scalar_t = __hip_bfloat16, cache_t = __hip_bfloat16, KV_DTYPE = vllm::Fp8KVCacheDataType::kAuto, OUTT = __hip_bfloat16, BLOCK_SIZE = 16, HEAD_SIZE = 128, NUM_THREADS = 256, ALIBI_ENABLED = false, GQA_RATIO = 4]"
	.size	__PRETTY_FUNCTION__._Z38paged_attention_ll4mi_QKV_mfma4_kernelI14__hip_bfloat16S0_LN4vllm18Fp8KVCacheDataTypeE0ES0_Li16ELi128ELi256ELb0ELi4EEvPKT_PKT0_S8_ifPKiSA_SA_iPKfiiiPfSD_PS3_PT2_iSC_SC_, 613

	.type	__PRETTY_FUNCTION__._Z39paged_attention_ll4mi_QKV_mfma16_kernelI14__hip_bfloat16S0_LN4vllm18Fp8KVCacheDataTypeE0ES0_Li16ELi128ELi256ELb0ELi5EEvPKT_PKT0_S8_ifPKiSA_SA_iPKfiiiPfSD_PS3_PT2_iSC_SC_,@object ; @__PRETTY_FUNCTION__._Z39paged_attention_ll4mi_QKV_mfma16_kernelI14__hip_bfloat16S0_LN4vllm18Fp8KVCacheDataTypeE0ES0_Li16ELi128ELi256ELb0ELi5EEvPKT_PKT0_S8_ifPKiSA_SA_iPKfiiiPfSD_PS3_PT2_iSC_SC_
__PRETTY_FUNCTION__._Z39paged_attention_ll4mi_QKV_mfma16_kernelI14__hip_bfloat16S0_LN4vllm18Fp8KVCacheDataTypeE0ES0_Li16ELi128ELi256ELb0ELi5EEvPKT_PKT0_S8_ifPKiSA_SA_iPKfiiiPfSD_PS3_PT2_iSC_SC_:
	.asciz	"void paged_attention_ll4mi_QKV_mfma16_kernel(const scalar_t *__restrict, const cache_t *__restrict, const cache_t *__restrict, const int, const float, const int *__restrict, const int *__restrict, const int *__restrict, const int, const float *__restrict, const int, const int, const int, float *__restrict, float *__restrict, scalar_t *__restrict, OUTT *__restrict, int, const float *, const float *) [scalar_t = __hip_bfloat16, cache_t = __hip_bfloat16, KV_DTYPE = vllm::Fp8KVCacheDataType::kAuto, OUTT = __hip_bfloat16, BLOCK_SIZE = 16, HEAD_SIZE = 128, NUM_THREADS = 256, ALIBI_ENABLED = false, GQA_RATIO = 5]"
	.size	__PRETTY_FUNCTION__._Z39paged_attention_ll4mi_QKV_mfma16_kernelI14__hip_bfloat16S0_LN4vllm18Fp8KVCacheDataTypeE0ES0_Li16ELi128ELi256ELb0ELi5EEvPKT_PKT0_S8_ifPKiSA_SA_iPKfiiiPfSD_PS3_PT2_iSC_SC_, 614

	.type	__PRETTY_FUNCTION__._Z39paged_attention_ll4mi_QKV_mfma16_kernelI14__hip_bfloat16S0_LN4vllm18Fp8KVCacheDataTypeE0ES0_Li16ELi128ELi256ELb0ELi6EEvPKT_PKT0_S8_ifPKiSA_SA_iPKfiiiPfSD_PS3_PT2_iSC_SC_,@object ; @__PRETTY_FUNCTION__._Z39paged_attention_ll4mi_QKV_mfma16_kernelI14__hip_bfloat16S0_LN4vllm18Fp8KVCacheDataTypeE0ES0_Li16ELi128ELi256ELb0ELi6EEvPKT_PKT0_S8_ifPKiSA_SA_iPKfiiiPfSD_PS3_PT2_iSC_SC_
__PRETTY_FUNCTION__._Z39paged_attention_ll4mi_QKV_mfma16_kernelI14__hip_bfloat16S0_LN4vllm18Fp8KVCacheDataTypeE0ES0_Li16ELi128ELi256ELb0ELi6EEvPKT_PKT0_S8_ifPKiSA_SA_iPKfiiiPfSD_PS3_PT2_iSC_SC_:
	.asciz	"void paged_attention_ll4mi_QKV_mfma16_kernel(const scalar_t *__restrict, const cache_t *__restrict, const cache_t *__restrict, const int, const float, const int *__restrict, const int *__restrict, const int *__restrict, const int, const float *__restrict, const int, const int, const int, float *__restrict, float *__restrict, scalar_t *__restrict, OUTT *__restrict, int, const float *, const float *) [scalar_t = __hip_bfloat16, cache_t = __hip_bfloat16, KV_DTYPE = vllm::Fp8KVCacheDataType::kAuto, OUTT = __hip_bfloat16, BLOCK_SIZE = 16, HEAD_SIZE = 128, NUM_THREADS = 256, ALIBI_ENABLED = false, GQA_RATIO = 6]"
	.size	__PRETTY_FUNCTION__._Z39paged_attention_ll4mi_QKV_mfma16_kernelI14__hip_bfloat16S0_LN4vllm18Fp8KVCacheDataTypeE0ES0_Li16ELi128ELi256ELb0ELi6EEvPKT_PKT0_S8_ifPKiSA_SA_iPKfiiiPfSD_PS3_PT2_iSC_SC_, 614

	.type	__PRETTY_FUNCTION__._Z39paged_attention_ll4mi_QKV_mfma16_kernelI14__hip_bfloat16S0_LN4vllm18Fp8KVCacheDataTypeE0ES0_Li16ELi128ELi256ELb0ELi7EEvPKT_PKT0_S8_ifPKiSA_SA_iPKfiiiPfSD_PS3_PT2_iSC_SC_,@object ; @__PRETTY_FUNCTION__._Z39paged_attention_ll4mi_QKV_mfma16_kernelI14__hip_bfloat16S0_LN4vllm18Fp8KVCacheDataTypeE0ES0_Li16ELi128ELi256ELb0ELi7EEvPKT_PKT0_S8_ifPKiSA_SA_iPKfiiiPfSD_PS3_PT2_iSC_SC_
__PRETTY_FUNCTION__._Z39paged_attention_ll4mi_QKV_mfma16_kernelI14__hip_bfloat16S0_LN4vllm18Fp8KVCacheDataTypeE0ES0_Li16ELi128ELi256ELb0ELi7EEvPKT_PKT0_S8_ifPKiSA_SA_iPKfiiiPfSD_PS3_PT2_iSC_SC_:
	.asciz	"void paged_attention_ll4mi_QKV_mfma16_kernel(const scalar_t *__restrict, const cache_t *__restrict, const cache_t *__restrict, const int, const float, const int *__restrict, const int *__restrict, const int *__restrict, const int, const float *__restrict, const int, const int, const int, float *__restrict, float *__restrict, scalar_t *__restrict, OUTT *__restrict, int, const float *, const float *) [scalar_t = __hip_bfloat16, cache_t = __hip_bfloat16, KV_DTYPE = vllm::Fp8KVCacheDataType::kAuto, OUTT = __hip_bfloat16, BLOCK_SIZE = 16, HEAD_SIZE = 128, NUM_THREADS = 256, ALIBI_ENABLED = false, GQA_RATIO = 7]"
	.size	__PRETTY_FUNCTION__._Z39paged_attention_ll4mi_QKV_mfma16_kernelI14__hip_bfloat16S0_LN4vllm18Fp8KVCacheDataTypeE0ES0_Li16ELi128ELi256ELb0ELi7EEvPKT_PKT0_S8_ifPKiSA_SA_iPKfiiiPfSD_PS3_PT2_iSC_SC_, 614

	.type	__PRETTY_FUNCTION__._Z39paged_attention_ll4mi_QKV_mfma16_kernelI14__hip_bfloat16S0_LN4vllm18Fp8KVCacheDataTypeE0ES0_Li16ELi128ELi256ELb0ELi8EEvPKT_PKT0_S8_ifPKiSA_SA_iPKfiiiPfSD_PS3_PT2_iSC_SC_,@object ; @__PRETTY_FUNCTION__._Z39paged_attention_ll4mi_QKV_mfma16_kernelI14__hip_bfloat16S0_LN4vllm18Fp8KVCacheDataTypeE0ES0_Li16ELi128ELi256ELb0ELi8EEvPKT_PKT0_S8_ifPKiSA_SA_iPKfiiiPfSD_PS3_PT2_iSC_SC_
__PRETTY_FUNCTION__._Z39paged_attention_ll4mi_QKV_mfma16_kernelI14__hip_bfloat16S0_LN4vllm18Fp8KVCacheDataTypeE0ES0_Li16ELi128ELi256ELb0ELi8EEvPKT_PKT0_S8_ifPKiSA_SA_iPKfiiiPfSD_PS3_PT2_iSC_SC_:
	.asciz	"void paged_attention_ll4mi_QKV_mfma16_kernel(const scalar_t *__restrict, const cache_t *__restrict, const cache_t *__restrict, const int, const float, const int *__restrict, const int *__restrict, const int *__restrict, const int, const float *__restrict, const int, const int, const int, float *__restrict, float *__restrict, scalar_t *__restrict, OUTT *__restrict, int, const float *, const float *) [scalar_t = __hip_bfloat16, cache_t = __hip_bfloat16, KV_DTYPE = vllm::Fp8KVCacheDataType::kAuto, OUTT = __hip_bfloat16, BLOCK_SIZE = 16, HEAD_SIZE = 128, NUM_THREADS = 256, ALIBI_ENABLED = false, GQA_RATIO = 8]"
	.size	__PRETTY_FUNCTION__._Z39paged_attention_ll4mi_QKV_mfma16_kernelI14__hip_bfloat16S0_LN4vllm18Fp8KVCacheDataTypeE0ES0_Li16ELi128ELi256ELb0ELi8EEvPKT_PKT0_S8_ifPKiSA_SA_iPKfiiiPfSD_PS3_PT2_iSC_SC_, 614

	.type	__PRETTY_FUNCTION__._Z39paged_attention_ll4mi_QKV_mfma16_kernelI14__hip_bfloat16S0_LN4vllm18Fp8KVCacheDataTypeE0ES0_Li16ELi128ELi256ELb0ELi9EEvPKT_PKT0_S8_ifPKiSA_SA_iPKfiiiPfSD_PS3_PT2_iSC_SC_,@object ; @__PRETTY_FUNCTION__._Z39paged_attention_ll4mi_QKV_mfma16_kernelI14__hip_bfloat16S0_LN4vllm18Fp8KVCacheDataTypeE0ES0_Li16ELi128ELi256ELb0ELi9EEvPKT_PKT0_S8_ifPKiSA_SA_iPKfiiiPfSD_PS3_PT2_iSC_SC_
__PRETTY_FUNCTION__._Z39paged_attention_ll4mi_QKV_mfma16_kernelI14__hip_bfloat16S0_LN4vllm18Fp8KVCacheDataTypeE0ES0_Li16ELi128ELi256ELb0ELi9EEvPKT_PKT0_S8_ifPKiSA_SA_iPKfiiiPfSD_PS3_PT2_iSC_SC_:
	.asciz	"void paged_attention_ll4mi_QKV_mfma16_kernel(const scalar_t *__restrict, const cache_t *__restrict, const cache_t *__restrict, const int, const float, const int *__restrict, const int *__restrict, const int *__restrict, const int, const float *__restrict, const int, const int, const int, float *__restrict, float *__restrict, scalar_t *__restrict, OUTT *__restrict, int, const float *, const float *) [scalar_t = __hip_bfloat16, cache_t = __hip_bfloat16, KV_DTYPE = vllm::Fp8KVCacheDataType::kAuto, OUTT = __hip_bfloat16, BLOCK_SIZE = 16, HEAD_SIZE = 128, NUM_THREADS = 256, ALIBI_ENABLED = false, GQA_RATIO = 9]"
	.size	__PRETTY_FUNCTION__._Z39paged_attention_ll4mi_QKV_mfma16_kernelI14__hip_bfloat16S0_LN4vllm18Fp8KVCacheDataTypeE0ES0_Li16ELi128ELi256ELb0ELi9EEvPKT_PKT0_S8_ifPKiSA_SA_iPKfiiiPfSD_PS3_PT2_iSC_SC_, 614

	.type	__PRETTY_FUNCTION__._Z39paged_attention_ll4mi_QKV_mfma16_kernelI14__hip_bfloat16S0_LN4vllm18Fp8KVCacheDataTypeE0ES0_Li16ELi128ELi256ELb0ELi10EEvPKT_PKT0_S8_ifPKiSA_SA_iPKfiiiPfSD_PS3_PT2_iSC_SC_,@object ; @__PRETTY_FUNCTION__._Z39paged_attention_ll4mi_QKV_mfma16_kernelI14__hip_bfloat16S0_LN4vllm18Fp8KVCacheDataTypeE0ES0_Li16ELi128ELi256ELb0ELi10EEvPKT_PKT0_S8_ifPKiSA_SA_iPKfiiiPfSD_PS3_PT2_iSC_SC_
__PRETTY_FUNCTION__._Z39paged_attention_ll4mi_QKV_mfma16_kernelI14__hip_bfloat16S0_LN4vllm18Fp8KVCacheDataTypeE0ES0_Li16ELi128ELi256ELb0ELi10EEvPKT_PKT0_S8_ifPKiSA_SA_iPKfiiiPfSD_PS3_PT2_iSC_SC_:
	.asciz	"void paged_attention_ll4mi_QKV_mfma16_kernel(const scalar_t *__restrict, const cache_t *__restrict, const cache_t *__restrict, const int, const float, const int *__restrict, const int *__restrict, const int *__restrict, const int, const float *__restrict, const int, const int, const int, float *__restrict, float *__restrict, scalar_t *__restrict, OUTT *__restrict, int, const float *, const float *) [scalar_t = __hip_bfloat16, cache_t = __hip_bfloat16, KV_DTYPE = vllm::Fp8KVCacheDataType::kAuto, OUTT = __hip_bfloat16, BLOCK_SIZE = 16, HEAD_SIZE = 128, NUM_THREADS = 256, ALIBI_ENABLED = false, GQA_RATIO = 10]"
	.size	__PRETTY_FUNCTION__._Z39paged_attention_ll4mi_QKV_mfma16_kernelI14__hip_bfloat16S0_LN4vllm18Fp8KVCacheDataTypeE0ES0_Li16ELi128ELi256ELb0ELi10EEvPKT_PKT0_S8_ifPKiSA_SA_iPKfiiiPfSD_PS3_PT2_iSC_SC_, 615

	.type	__PRETTY_FUNCTION__._Z39paged_attention_ll4mi_QKV_mfma16_kernelI14__hip_bfloat16S0_LN4vllm18Fp8KVCacheDataTypeE0ES0_Li16ELi128ELi256ELb0ELi11EEvPKT_PKT0_S8_ifPKiSA_SA_iPKfiiiPfSD_PS3_PT2_iSC_SC_,@object ; @__PRETTY_FUNCTION__._Z39paged_attention_ll4mi_QKV_mfma16_kernelI14__hip_bfloat16S0_LN4vllm18Fp8KVCacheDataTypeE0ES0_Li16ELi128ELi256ELb0ELi11EEvPKT_PKT0_S8_ifPKiSA_SA_iPKfiiiPfSD_PS3_PT2_iSC_SC_
__PRETTY_FUNCTION__._Z39paged_attention_ll4mi_QKV_mfma16_kernelI14__hip_bfloat16S0_LN4vllm18Fp8KVCacheDataTypeE0ES0_Li16ELi128ELi256ELb0ELi11EEvPKT_PKT0_S8_ifPKiSA_SA_iPKfiiiPfSD_PS3_PT2_iSC_SC_:
	.asciz	"void paged_attention_ll4mi_QKV_mfma16_kernel(const scalar_t *__restrict, const cache_t *__restrict, const cache_t *__restrict, const int, const float, const int *__restrict, const int *__restrict, const int *__restrict, const int, const float *__restrict, const int, const int, const int, float *__restrict, float *__restrict, scalar_t *__restrict, OUTT *__restrict, int, const float *, const float *) [scalar_t = __hip_bfloat16, cache_t = __hip_bfloat16, KV_DTYPE = vllm::Fp8KVCacheDataType::kAuto, OUTT = __hip_bfloat16, BLOCK_SIZE = 16, HEAD_SIZE = 128, NUM_THREADS = 256, ALIBI_ENABLED = false, GQA_RATIO = 11]"
	.size	__PRETTY_FUNCTION__._Z39paged_attention_ll4mi_QKV_mfma16_kernelI14__hip_bfloat16S0_LN4vllm18Fp8KVCacheDataTypeE0ES0_Li16ELi128ELi256ELb0ELi11EEvPKT_PKT0_S8_ifPKiSA_SA_iPKfiiiPfSD_PS3_PT2_iSC_SC_, 615

	.type	__PRETTY_FUNCTION__._Z39paged_attention_ll4mi_QKV_mfma16_kernelI14__hip_bfloat16S0_LN4vllm18Fp8KVCacheDataTypeE0ES0_Li16ELi128ELi256ELb0ELi12EEvPKT_PKT0_S8_ifPKiSA_SA_iPKfiiiPfSD_PS3_PT2_iSC_SC_,@object ; @__PRETTY_FUNCTION__._Z39paged_attention_ll4mi_QKV_mfma16_kernelI14__hip_bfloat16S0_LN4vllm18Fp8KVCacheDataTypeE0ES0_Li16ELi128ELi256ELb0ELi12EEvPKT_PKT0_S8_ifPKiSA_SA_iPKfiiiPfSD_PS3_PT2_iSC_SC_
__PRETTY_FUNCTION__._Z39paged_attention_ll4mi_QKV_mfma16_kernelI14__hip_bfloat16S0_LN4vllm18Fp8KVCacheDataTypeE0ES0_Li16ELi128ELi256ELb0ELi12EEvPKT_PKT0_S8_ifPKiSA_SA_iPKfiiiPfSD_PS3_PT2_iSC_SC_:
	.asciz	"void paged_attention_ll4mi_QKV_mfma16_kernel(const scalar_t *__restrict, const cache_t *__restrict, const cache_t *__restrict, const int, const float, const int *__restrict, const int *__restrict, const int *__restrict, const int, const float *__restrict, const int, const int, const int, float *__restrict, float *__restrict, scalar_t *__restrict, OUTT *__restrict, int, const float *, const float *) [scalar_t = __hip_bfloat16, cache_t = __hip_bfloat16, KV_DTYPE = vllm::Fp8KVCacheDataType::kAuto, OUTT = __hip_bfloat16, BLOCK_SIZE = 16, HEAD_SIZE = 128, NUM_THREADS = 256, ALIBI_ENABLED = false, GQA_RATIO = 12]"
	.size	__PRETTY_FUNCTION__._Z39paged_attention_ll4mi_QKV_mfma16_kernelI14__hip_bfloat16S0_LN4vllm18Fp8KVCacheDataTypeE0ES0_Li16ELi128ELi256ELb0ELi12EEvPKT_PKT0_S8_ifPKiSA_SA_iPKfiiiPfSD_PS3_PT2_iSC_SC_, 615

	.type	__PRETTY_FUNCTION__._Z39paged_attention_ll4mi_QKV_mfma16_kernelI14__hip_bfloat16S0_LN4vllm18Fp8KVCacheDataTypeE0ES0_Li16ELi128ELi256ELb0ELi13EEvPKT_PKT0_S8_ifPKiSA_SA_iPKfiiiPfSD_PS3_PT2_iSC_SC_,@object ; @__PRETTY_FUNCTION__._Z39paged_attention_ll4mi_QKV_mfma16_kernelI14__hip_bfloat16S0_LN4vllm18Fp8KVCacheDataTypeE0ES0_Li16ELi128ELi256ELb0ELi13EEvPKT_PKT0_S8_ifPKiSA_SA_iPKfiiiPfSD_PS3_PT2_iSC_SC_
__PRETTY_FUNCTION__._Z39paged_attention_ll4mi_QKV_mfma16_kernelI14__hip_bfloat16S0_LN4vllm18Fp8KVCacheDataTypeE0ES0_Li16ELi128ELi256ELb0ELi13EEvPKT_PKT0_S8_ifPKiSA_SA_iPKfiiiPfSD_PS3_PT2_iSC_SC_:
	.asciz	"void paged_attention_ll4mi_QKV_mfma16_kernel(const scalar_t *__restrict, const cache_t *__restrict, const cache_t *__restrict, const int, const float, const int *__restrict, const int *__restrict, const int *__restrict, const int, const float *__restrict, const int, const int, const int, float *__restrict, float *__restrict, scalar_t *__restrict, OUTT *__restrict, int, const float *, const float *) [scalar_t = __hip_bfloat16, cache_t = __hip_bfloat16, KV_DTYPE = vllm::Fp8KVCacheDataType::kAuto, OUTT = __hip_bfloat16, BLOCK_SIZE = 16, HEAD_SIZE = 128, NUM_THREADS = 256, ALIBI_ENABLED = false, GQA_RATIO = 13]"
	.size	__PRETTY_FUNCTION__._Z39paged_attention_ll4mi_QKV_mfma16_kernelI14__hip_bfloat16S0_LN4vllm18Fp8KVCacheDataTypeE0ES0_Li16ELi128ELi256ELb0ELi13EEvPKT_PKT0_S8_ifPKiSA_SA_iPKfiiiPfSD_PS3_PT2_iSC_SC_, 615

	.type	__PRETTY_FUNCTION__._Z39paged_attention_ll4mi_QKV_mfma16_kernelI14__hip_bfloat16S0_LN4vllm18Fp8KVCacheDataTypeE0ES0_Li16ELi128ELi256ELb0ELi14EEvPKT_PKT0_S8_ifPKiSA_SA_iPKfiiiPfSD_PS3_PT2_iSC_SC_,@object ; @__PRETTY_FUNCTION__._Z39paged_attention_ll4mi_QKV_mfma16_kernelI14__hip_bfloat16S0_LN4vllm18Fp8KVCacheDataTypeE0ES0_Li16ELi128ELi256ELb0ELi14EEvPKT_PKT0_S8_ifPKiSA_SA_iPKfiiiPfSD_PS3_PT2_iSC_SC_
__PRETTY_FUNCTION__._Z39paged_attention_ll4mi_QKV_mfma16_kernelI14__hip_bfloat16S0_LN4vllm18Fp8KVCacheDataTypeE0ES0_Li16ELi128ELi256ELb0ELi14EEvPKT_PKT0_S8_ifPKiSA_SA_iPKfiiiPfSD_PS3_PT2_iSC_SC_:
	.asciz	"void paged_attention_ll4mi_QKV_mfma16_kernel(const scalar_t *__restrict, const cache_t *__restrict, const cache_t *__restrict, const int, const float, const int *__restrict, const int *__restrict, const int *__restrict, const int, const float *__restrict, const int, const int, const int, float *__restrict, float *__restrict, scalar_t *__restrict, OUTT *__restrict, int, const float *, const float *) [scalar_t = __hip_bfloat16, cache_t = __hip_bfloat16, KV_DTYPE = vllm::Fp8KVCacheDataType::kAuto, OUTT = __hip_bfloat16, BLOCK_SIZE = 16, HEAD_SIZE = 128, NUM_THREADS = 256, ALIBI_ENABLED = false, GQA_RATIO = 14]"
	.size	__PRETTY_FUNCTION__._Z39paged_attention_ll4mi_QKV_mfma16_kernelI14__hip_bfloat16S0_LN4vllm18Fp8KVCacheDataTypeE0ES0_Li16ELi128ELi256ELb0ELi14EEvPKT_PKT0_S8_ifPKiSA_SA_iPKfiiiPfSD_PS3_PT2_iSC_SC_, 615

	.type	__PRETTY_FUNCTION__._Z39paged_attention_ll4mi_QKV_mfma16_kernelI14__hip_bfloat16S0_LN4vllm18Fp8KVCacheDataTypeE0ES0_Li16ELi128ELi256ELb0ELi15EEvPKT_PKT0_S8_ifPKiSA_SA_iPKfiiiPfSD_PS3_PT2_iSC_SC_,@object ; @__PRETTY_FUNCTION__._Z39paged_attention_ll4mi_QKV_mfma16_kernelI14__hip_bfloat16S0_LN4vllm18Fp8KVCacheDataTypeE0ES0_Li16ELi128ELi256ELb0ELi15EEvPKT_PKT0_S8_ifPKiSA_SA_iPKfiiiPfSD_PS3_PT2_iSC_SC_
__PRETTY_FUNCTION__._Z39paged_attention_ll4mi_QKV_mfma16_kernelI14__hip_bfloat16S0_LN4vllm18Fp8KVCacheDataTypeE0ES0_Li16ELi128ELi256ELb0ELi15EEvPKT_PKT0_S8_ifPKiSA_SA_iPKfiiiPfSD_PS3_PT2_iSC_SC_:
	.asciz	"void paged_attention_ll4mi_QKV_mfma16_kernel(const scalar_t *__restrict, const cache_t *__restrict, const cache_t *__restrict, const int, const float, const int *__restrict, const int *__restrict, const int *__restrict, const int, const float *__restrict, const int, const int, const int, float *__restrict, float *__restrict, scalar_t *__restrict, OUTT *__restrict, int, const float *, const float *) [scalar_t = __hip_bfloat16, cache_t = __hip_bfloat16, KV_DTYPE = vllm::Fp8KVCacheDataType::kAuto, OUTT = __hip_bfloat16, BLOCK_SIZE = 16, HEAD_SIZE = 128, NUM_THREADS = 256, ALIBI_ENABLED = false, GQA_RATIO = 15]"
	.size	__PRETTY_FUNCTION__._Z39paged_attention_ll4mi_QKV_mfma16_kernelI14__hip_bfloat16S0_LN4vllm18Fp8KVCacheDataTypeE0ES0_Li16ELi128ELi256ELb0ELi15EEvPKT_PKT0_S8_ifPKiSA_SA_iPKfiiiPfSD_PS3_PT2_iSC_SC_, 615

	.type	__PRETTY_FUNCTION__._Z39paged_attention_ll4mi_QKV_mfma16_kernelI14__hip_bfloat16S0_LN4vllm18Fp8KVCacheDataTypeE0ES0_Li16ELi128ELi256ELb0ELi16EEvPKT_PKT0_S8_ifPKiSA_SA_iPKfiiiPfSD_PS3_PT2_iSC_SC_,@object ; @__PRETTY_FUNCTION__._Z39paged_attention_ll4mi_QKV_mfma16_kernelI14__hip_bfloat16S0_LN4vllm18Fp8KVCacheDataTypeE0ES0_Li16ELi128ELi256ELb0ELi16EEvPKT_PKT0_S8_ifPKiSA_SA_iPKfiiiPfSD_PS3_PT2_iSC_SC_
__PRETTY_FUNCTION__._Z39paged_attention_ll4mi_QKV_mfma16_kernelI14__hip_bfloat16S0_LN4vllm18Fp8KVCacheDataTypeE0ES0_Li16ELi128ELi256ELb0ELi16EEvPKT_PKT0_S8_ifPKiSA_SA_iPKfiiiPfSD_PS3_PT2_iSC_SC_:
	.asciz	"void paged_attention_ll4mi_QKV_mfma16_kernel(const scalar_t *__restrict, const cache_t *__restrict, const cache_t *__restrict, const int, const float, const int *__restrict, const int *__restrict, const int *__restrict, const int, const float *__restrict, const int, const int, const int, float *__restrict, float *__restrict, scalar_t *__restrict, OUTT *__restrict, int, const float *, const float *) [scalar_t = __hip_bfloat16, cache_t = __hip_bfloat16, KV_DTYPE = vllm::Fp8KVCacheDataType::kAuto, OUTT = __hip_bfloat16, BLOCK_SIZE = 16, HEAD_SIZE = 128, NUM_THREADS = 256, ALIBI_ENABLED = false, GQA_RATIO = 16]"
	.size	__PRETTY_FUNCTION__._Z39paged_attention_ll4mi_QKV_mfma16_kernelI14__hip_bfloat16S0_LN4vllm18Fp8KVCacheDataTypeE0ES0_Li16ELi128ELi256ELb0ELi16EEvPKT_PKT0_S8_ifPKiSA_SA_iPKfiiiPfSD_PS3_PT2_iSC_SC_, 615

	.type	__PRETTY_FUNCTION__._Z39paged_attention_ll4mi_QKV_mfma16_kernelI14__hip_bfloat16S0_LN4vllm18Fp8KVCacheDataTypeE0ES0_Li16ELi128ELi256ELb0ELi1EEvPKT_PKT0_S8_ifPKiSA_SA_iPKfiiiPfSD_PS3_PT2_iSC_SC_,@object ; @__PRETTY_FUNCTION__._Z39paged_attention_ll4mi_QKV_mfma16_kernelI14__hip_bfloat16S0_LN4vllm18Fp8KVCacheDataTypeE0ES0_Li16ELi128ELi256ELb0ELi1EEvPKT_PKT0_S8_ifPKiSA_SA_iPKfiiiPfSD_PS3_PT2_iSC_SC_
__PRETTY_FUNCTION__._Z39paged_attention_ll4mi_QKV_mfma16_kernelI14__hip_bfloat16S0_LN4vllm18Fp8KVCacheDataTypeE0ES0_Li16ELi128ELi256ELb0ELi1EEvPKT_PKT0_S8_ifPKiSA_SA_iPKfiiiPfSD_PS3_PT2_iSC_SC_:
	.asciz	"void paged_attention_ll4mi_QKV_mfma16_kernel(const scalar_t *__restrict, const cache_t *__restrict, const cache_t *__restrict, const int, const float, const int *__restrict, const int *__restrict, const int *__restrict, const int, const float *__restrict, const int, const int, const int, float *__restrict, float *__restrict, scalar_t *__restrict, OUTT *__restrict, int, const float *, const float *) [scalar_t = __hip_bfloat16, cache_t = __hip_bfloat16, KV_DTYPE = vllm::Fp8KVCacheDataType::kAuto, OUTT = __hip_bfloat16, BLOCK_SIZE = 16, HEAD_SIZE = 128, NUM_THREADS = 256, ALIBI_ENABLED = false, GQA_RATIO = 1]"
	.size	__PRETTY_FUNCTION__._Z39paged_attention_ll4mi_QKV_mfma16_kernelI14__hip_bfloat16S0_LN4vllm18Fp8KVCacheDataTypeE0ES0_Li16ELi128ELi256ELb0ELi1EEvPKT_PKT0_S8_ifPKiSA_SA_iPKfiiiPfSD_PS3_PT2_iSC_SC_, 614

	.type	__PRETTY_FUNCTION__._Z39paged_attention_ll4mi_QKV_mfma16_kernelI14__hip_bfloat16S0_LN4vllm18Fp8KVCacheDataTypeE0ES0_Li16ELi128ELi256ELb0ELi2EEvPKT_PKT0_S8_ifPKiSA_SA_iPKfiiiPfSD_PS3_PT2_iSC_SC_,@object ; @__PRETTY_FUNCTION__._Z39paged_attention_ll4mi_QKV_mfma16_kernelI14__hip_bfloat16S0_LN4vllm18Fp8KVCacheDataTypeE0ES0_Li16ELi128ELi256ELb0ELi2EEvPKT_PKT0_S8_ifPKiSA_SA_iPKfiiiPfSD_PS3_PT2_iSC_SC_
__PRETTY_FUNCTION__._Z39paged_attention_ll4mi_QKV_mfma16_kernelI14__hip_bfloat16S0_LN4vllm18Fp8KVCacheDataTypeE0ES0_Li16ELi128ELi256ELb0ELi2EEvPKT_PKT0_S8_ifPKiSA_SA_iPKfiiiPfSD_PS3_PT2_iSC_SC_:
	.asciz	"void paged_attention_ll4mi_QKV_mfma16_kernel(const scalar_t *__restrict, const cache_t *__restrict, const cache_t *__restrict, const int, const float, const int *__restrict, const int *__restrict, const int *__restrict, const int, const float *__restrict, const int, const int, const int, float *__restrict, float *__restrict, scalar_t *__restrict, OUTT *__restrict, int, const float *, const float *) [scalar_t = __hip_bfloat16, cache_t = __hip_bfloat16, KV_DTYPE = vllm::Fp8KVCacheDataType::kAuto, OUTT = __hip_bfloat16, BLOCK_SIZE = 16, HEAD_SIZE = 128, NUM_THREADS = 256, ALIBI_ENABLED = false, GQA_RATIO = 2]"
	.size	__PRETTY_FUNCTION__._Z39paged_attention_ll4mi_QKV_mfma16_kernelI14__hip_bfloat16S0_LN4vllm18Fp8KVCacheDataTypeE0ES0_Li16ELi128ELi256ELb0ELi2EEvPKT_PKT0_S8_ifPKiSA_SA_iPKfiiiPfSD_PS3_PT2_iSC_SC_, 614

	.type	__PRETTY_FUNCTION__._Z39paged_attention_ll4mi_QKV_mfma16_kernelI14__hip_bfloat16S0_LN4vllm18Fp8KVCacheDataTypeE0ES0_Li16ELi128ELi256ELb0ELi3EEvPKT_PKT0_S8_ifPKiSA_SA_iPKfiiiPfSD_PS3_PT2_iSC_SC_,@object ; @__PRETTY_FUNCTION__._Z39paged_attention_ll4mi_QKV_mfma16_kernelI14__hip_bfloat16S0_LN4vllm18Fp8KVCacheDataTypeE0ES0_Li16ELi128ELi256ELb0ELi3EEvPKT_PKT0_S8_ifPKiSA_SA_iPKfiiiPfSD_PS3_PT2_iSC_SC_
__PRETTY_FUNCTION__._Z39paged_attention_ll4mi_QKV_mfma16_kernelI14__hip_bfloat16S0_LN4vllm18Fp8KVCacheDataTypeE0ES0_Li16ELi128ELi256ELb0ELi3EEvPKT_PKT0_S8_ifPKiSA_SA_iPKfiiiPfSD_PS3_PT2_iSC_SC_:
	.asciz	"void paged_attention_ll4mi_QKV_mfma16_kernel(const scalar_t *__restrict, const cache_t *__restrict, const cache_t *__restrict, const int, const float, const int *__restrict, const int *__restrict, const int *__restrict, const int, const float *__restrict, const int, const int, const int, float *__restrict, float *__restrict, scalar_t *__restrict, OUTT *__restrict, int, const float *, const float *) [scalar_t = __hip_bfloat16, cache_t = __hip_bfloat16, KV_DTYPE = vllm::Fp8KVCacheDataType::kAuto, OUTT = __hip_bfloat16, BLOCK_SIZE = 16, HEAD_SIZE = 128, NUM_THREADS = 256, ALIBI_ENABLED = false, GQA_RATIO = 3]"
	.size	__PRETTY_FUNCTION__._Z39paged_attention_ll4mi_QKV_mfma16_kernelI14__hip_bfloat16S0_LN4vllm18Fp8KVCacheDataTypeE0ES0_Li16ELi128ELi256ELb0ELi3EEvPKT_PKT0_S8_ifPKiSA_SA_iPKfiiiPfSD_PS3_PT2_iSC_SC_, 614

	.type	__PRETTY_FUNCTION__._Z39paged_attention_ll4mi_QKV_mfma16_kernelI14__hip_bfloat16S0_LN4vllm18Fp8KVCacheDataTypeE0ES0_Li16ELi128ELi256ELb0ELi4EEvPKT_PKT0_S8_ifPKiSA_SA_iPKfiiiPfSD_PS3_PT2_iSC_SC_,@object ; @__PRETTY_FUNCTION__._Z39paged_attention_ll4mi_QKV_mfma16_kernelI14__hip_bfloat16S0_LN4vllm18Fp8KVCacheDataTypeE0ES0_Li16ELi128ELi256ELb0ELi4EEvPKT_PKT0_S8_ifPKiSA_SA_iPKfiiiPfSD_PS3_PT2_iSC_SC_
__PRETTY_FUNCTION__._Z39paged_attention_ll4mi_QKV_mfma16_kernelI14__hip_bfloat16S0_LN4vllm18Fp8KVCacheDataTypeE0ES0_Li16ELi128ELi256ELb0ELi4EEvPKT_PKT0_S8_ifPKiSA_SA_iPKfiiiPfSD_PS3_PT2_iSC_SC_:
	.asciz	"void paged_attention_ll4mi_QKV_mfma16_kernel(const scalar_t *__restrict, const cache_t *__restrict, const cache_t *__restrict, const int, const float, const int *__restrict, const int *__restrict, const int *__restrict, const int, const float *__restrict, const int, const int, const int, float *__restrict, float *__restrict, scalar_t *__restrict, OUTT *__restrict, int, const float *, const float *) [scalar_t = __hip_bfloat16, cache_t = __hip_bfloat16, KV_DTYPE = vllm::Fp8KVCacheDataType::kAuto, OUTT = __hip_bfloat16, BLOCK_SIZE = 16, HEAD_SIZE = 128, NUM_THREADS = 256, ALIBI_ENABLED = false, GQA_RATIO = 4]"
	.size	__PRETTY_FUNCTION__._Z39paged_attention_ll4mi_QKV_mfma16_kernelI14__hip_bfloat16S0_LN4vllm18Fp8KVCacheDataTypeE0ES0_Li16ELi128ELi256ELb0ELi4EEvPKT_PKT0_S8_ifPKiSA_SA_iPKfiiiPfSD_PS3_PT2_iSC_SC_, 614

	.type	__PRETTY_FUNCTION__._Z38paged_attention_ll4mi_QKV_mfma4_kernelI14__hip_bfloat16S0_LN4vllm18Fp8KVCacheDataTypeE0EhLi32ELi128ELi256ELb1ELi1EEvPKT_PKT0_S8_ifPKiSA_SA_iPKfiiiPfSD_PS3_PT2_iSC_SC_,@object ; @__PRETTY_FUNCTION__._Z38paged_attention_ll4mi_QKV_mfma4_kernelI14__hip_bfloat16S0_LN4vllm18Fp8KVCacheDataTypeE0EhLi32ELi128ELi256ELb1ELi1EEvPKT_PKT0_S8_ifPKiSA_SA_iPKfiiiPfSD_PS3_PT2_iSC_SC_
__PRETTY_FUNCTION__._Z38paged_attention_ll4mi_QKV_mfma4_kernelI14__hip_bfloat16S0_LN4vllm18Fp8KVCacheDataTypeE0EhLi32ELi128ELi256ELb1ELi1EEvPKT_PKT0_S8_ifPKiSA_SA_iPKfiiiPfSD_PS3_PT2_iSC_SC_:
	.asciz	"void paged_attention_ll4mi_QKV_mfma4_kernel(const scalar_t *__restrict, const cache_t *__restrict, const cache_t *__restrict, const int, const float, const int *__restrict, const int *__restrict, const int *__restrict, const int, const float *__restrict, const int, const int, const int, float *__restrict, float *__restrict, scalar_t *__restrict, OUTT *__restrict, int, const float *, const float *) [scalar_t = __hip_bfloat16, cache_t = __hip_bfloat16, KV_DTYPE = vllm::Fp8KVCacheDataType::kAuto, OUTT = unsigned char, BLOCK_SIZE = 32, HEAD_SIZE = 128, NUM_THREADS = 256, ALIBI_ENABLED = true, GQA_RATIO = 1]"
	.size	__PRETTY_FUNCTION__._Z38paged_attention_ll4mi_QKV_mfma4_kernelI14__hip_bfloat16S0_LN4vllm18Fp8KVCacheDataTypeE0EhLi32ELi128ELi256ELb1ELi1EEvPKT_PKT0_S8_ifPKiSA_SA_iPKfiiiPfSD_PS3_PT2_iSC_SC_, 611

	.type	__PRETTY_FUNCTION__._Z38paged_attention_ll4mi_QKV_mfma4_kernelI14__hip_bfloat16S0_LN4vllm18Fp8KVCacheDataTypeE0EhLi32ELi128ELi256ELb1ELi2EEvPKT_PKT0_S8_ifPKiSA_SA_iPKfiiiPfSD_PS3_PT2_iSC_SC_,@object ; @__PRETTY_FUNCTION__._Z38paged_attention_ll4mi_QKV_mfma4_kernelI14__hip_bfloat16S0_LN4vllm18Fp8KVCacheDataTypeE0EhLi32ELi128ELi256ELb1ELi2EEvPKT_PKT0_S8_ifPKiSA_SA_iPKfiiiPfSD_PS3_PT2_iSC_SC_
__PRETTY_FUNCTION__._Z38paged_attention_ll4mi_QKV_mfma4_kernelI14__hip_bfloat16S0_LN4vllm18Fp8KVCacheDataTypeE0EhLi32ELi128ELi256ELb1ELi2EEvPKT_PKT0_S8_ifPKiSA_SA_iPKfiiiPfSD_PS3_PT2_iSC_SC_:
	.asciz	"void paged_attention_ll4mi_QKV_mfma4_kernel(const scalar_t *__restrict, const cache_t *__restrict, const cache_t *__restrict, const int, const float, const int *__restrict, const int *__restrict, const int *__restrict, const int, const float *__restrict, const int, const int, const int, float *__restrict, float *__restrict, scalar_t *__restrict, OUTT *__restrict, int, const float *, const float *) [scalar_t = __hip_bfloat16, cache_t = __hip_bfloat16, KV_DTYPE = vllm::Fp8KVCacheDataType::kAuto, OUTT = unsigned char, BLOCK_SIZE = 32, HEAD_SIZE = 128, NUM_THREADS = 256, ALIBI_ENABLED = true, GQA_RATIO = 2]"
	.size	__PRETTY_FUNCTION__._Z38paged_attention_ll4mi_QKV_mfma4_kernelI14__hip_bfloat16S0_LN4vllm18Fp8KVCacheDataTypeE0EhLi32ELi128ELi256ELb1ELi2EEvPKT_PKT0_S8_ifPKiSA_SA_iPKfiiiPfSD_PS3_PT2_iSC_SC_, 611

	.type	__PRETTY_FUNCTION__._Z38paged_attention_ll4mi_QKV_mfma4_kernelI14__hip_bfloat16S0_LN4vllm18Fp8KVCacheDataTypeE0EhLi32ELi128ELi256ELb1ELi3EEvPKT_PKT0_S8_ifPKiSA_SA_iPKfiiiPfSD_PS3_PT2_iSC_SC_,@object ; @__PRETTY_FUNCTION__._Z38paged_attention_ll4mi_QKV_mfma4_kernelI14__hip_bfloat16S0_LN4vllm18Fp8KVCacheDataTypeE0EhLi32ELi128ELi256ELb1ELi3EEvPKT_PKT0_S8_ifPKiSA_SA_iPKfiiiPfSD_PS3_PT2_iSC_SC_
__PRETTY_FUNCTION__._Z38paged_attention_ll4mi_QKV_mfma4_kernelI14__hip_bfloat16S0_LN4vllm18Fp8KVCacheDataTypeE0EhLi32ELi128ELi256ELb1ELi3EEvPKT_PKT0_S8_ifPKiSA_SA_iPKfiiiPfSD_PS3_PT2_iSC_SC_:
	.asciz	"void paged_attention_ll4mi_QKV_mfma4_kernel(const scalar_t *__restrict, const cache_t *__restrict, const cache_t *__restrict, const int, const float, const int *__restrict, const int *__restrict, const int *__restrict, const int, const float *__restrict, const int, const int, const int, float *__restrict, float *__restrict, scalar_t *__restrict, OUTT *__restrict, int, const float *, const float *) [scalar_t = __hip_bfloat16, cache_t = __hip_bfloat16, KV_DTYPE = vllm::Fp8KVCacheDataType::kAuto, OUTT = unsigned char, BLOCK_SIZE = 32, HEAD_SIZE = 128, NUM_THREADS = 256, ALIBI_ENABLED = true, GQA_RATIO = 3]"
	.size	__PRETTY_FUNCTION__._Z38paged_attention_ll4mi_QKV_mfma4_kernelI14__hip_bfloat16S0_LN4vllm18Fp8KVCacheDataTypeE0EhLi32ELi128ELi256ELb1ELi3EEvPKT_PKT0_S8_ifPKiSA_SA_iPKfiiiPfSD_PS3_PT2_iSC_SC_, 611

	.type	__PRETTY_FUNCTION__._Z38paged_attention_ll4mi_QKV_mfma4_kernelI14__hip_bfloat16S0_LN4vllm18Fp8KVCacheDataTypeE0EhLi32ELi128ELi256ELb1ELi4EEvPKT_PKT0_S8_ifPKiSA_SA_iPKfiiiPfSD_PS3_PT2_iSC_SC_,@object ; @__PRETTY_FUNCTION__._Z38paged_attention_ll4mi_QKV_mfma4_kernelI14__hip_bfloat16S0_LN4vllm18Fp8KVCacheDataTypeE0EhLi32ELi128ELi256ELb1ELi4EEvPKT_PKT0_S8_ifPKiSA_SA_iPKfiiiPfSD_PS3_PT2_iSC_SC_
__PRETTY_FUNCTION__._Z38paged_attention_ll4mi_QKV_mfma4_kernelI14__hip_bfloat16S0_LN4vllm18Fp8KVCacheDataTypeE0EhLi32ELi128ELi256ELb1ELi4EEvPKT_PKT0_S8_ifPKiSA_SA_iPKfiiiPfSD_PS3_PT2_iSC_SC_:
	.asciz	"void paged_attention_ll4mi_QKV_mfma4_kernel(const scalar_t *__restrict, const cache_t *__restrict, const cache_t *__restrict, const int, const float, const int *__restrict, const int *__restrict, const int *__restrict, const int, const float *__restrict, const int, const int, const int, float *__restrict, float *__restrict, scalar_t *__restrict, OUTT *__restrict, int, const float *, const float *) [scalar_t = __hip_bfloat16, cache_t = __hip_bfloat16, KV_DTYPE = vllm::Fp8KVCacheDataType::kAuto, OUTT = unsigned char, BLOCK_SIZE = 32, HEAD_SIZE = 128, NUM_THREADS = 256, ALIBI_ENABLED = true, GQA_RATIO = 4]"
	.size	__PRETTY_FUNCTION__._Z38paged_attention_ll4mi_QKV_mfma4_kernelI14__hip_bfloat16S0_LN4vllm18Fp8KVCacheDataTypeE0EhLi32ELi128ELi256ELb1ELi4EEvPKT_PKT0_S8_ifPKiSA_SA_iPKfiiiPfSD_PS3_PT2_iSC_SC_, 611

	.type	__PRETTY_FUNCTION__._Z39paged_attention_ll4mi_QKV_mfma16_kernelI14__hip_bfloat16S0_LN4vllm18Fp8KVCacheDataTypeE0EhLi32ELi128ELi256ELb1ELi5EEvPKT_PKT0_S8_ifPKiSA_SA_iPKfiiiPfSD_PS3_PT2_iSC_SC_,@object ; @__PRETTY_FUNCTION__._Z39paged_attention_ll4mi_QKV_mfma16_kernelI14__hip_bfloat16S0_LN4vllm18Fp8KVCacheDataTypeE0EhLi32ELi128ELi256ELb1ELi5EEvPKT_PKT0_S8_ifPKiSA_SA_iPKfiiiPfSD_PS3_PT2_iSC_SC_
__PRETTY_FUNCTION__._Z39paged_attention_ll4mi_QKV_mfma16_kernelI14__hip_bfloat16S0_LN4vllm18Fp8KVCacheDataTypeE0EhLi32ELi128ELi256ELb1ELi5EEvPKT_PKT0_S8_ifPKiSA_SA_iPKfiiiPfSD_PS3_PT2_iSC_SC_:
	.asciz	"void paged_attention_ll4mi_QKV_mfma16_kernel(const scalar_t *__restrict, const cache_t *__restrict, const cache_t *__restrict, const int, const float, const int *__restrict, const int *__restrict, const int *__restrict, const int, const float *__restrict, const int, const int, const int, float *__restrict, float *__restrict, scalar_t *__restrict, OUTT *__restrict, int, const float *, const float *) [scalar_t = __hip_bfloat16, cache_t = __hip_bfloat16, KV_DTYPE = vllm::Fp8KVCacheDataType::kAuto, OUTT = unsigned char, BLOCK_SIZE = 32, HEAD_SIZE = 128, NUM_THREADS = 256, ALIBI_ENABLED = true, GQA_RATIO = 5]"
	.size	__PRETTY_FUNCTION__._Z39paged_attention_ll4mi_QKV_mfma16_kernelI14__hip_bfloat16S0_LN4vllm18Fp8KVCacheDataTypeE0EhLi32ELi128ELi256ELb1ELi5EEvPKT_PKT0_S8_ifPKiSA_SA_iPKfiiiPfSD_PS3_PT2_iSC_SC_, 612

	.type	__PRETTY_FUNCTION__._Z39paged_attention_ll4mi_QKV_mfma16_kernelI14__hip_bfloat16S0_LN4vllm18Fp8KVCacheDataTypeE0EhLi32ELi128ELi256ELb1ELi6EEvPKT_PKT0_S8_ifPKiSA_SA_iPKfiiiPfSD_PS3_PT2_iSC_SC_,@object ; @__PRETTY_FUNCTION__._Z39paged_attention_ll4mi_QKV_mfma16_kernelI14__hip_bfloat16S0_LN4vllm18Fp8KVCacheDataTypeE0EhLi32ELi128ELi256ELb1ELi6EEvPKT_PKT0_S8_ifPKiSA_SA_iPKfiiiPfSD_PS3_PT2_iSC_SC_
__PRETTY_FUNCTION__._Z39paged_attention_ll4mi_QKV_mfma16_kernelI14__hip_bfloat16S0_LN4vllm18Fp8KVCacheDataTypeE0EhLi32ELi128ELi256ELb1ELi6EEvPKT_PKT0_S8_ifPKiSA_SA_iPKfiiiPfSD_PS3_PT2_iSC_SC_:
	.asciz	"void paged_attention_ll4mi_QKV_mfma16_kernel(const scalar_t *__restrict, const cache_t *__restrict, const cache_t *__restrict, const int, const float, const int *__restrict, const int *__restrict, const int *__restrict, const int, const float *__restrict, const int, const int, const int, float *__restrict, float *__restrict, scalar_t *__restrict, OUTT *__restrict, int, const float *, const float *) [scalar_t = __hip_bfloat16, cache_t = __hip_bfloat16, KV_DTYPE = vllm::Fp8KVCacheDataType::kAuto, OUTT = unsigned char, BLOCK_SIZE = 32, HEAD_SIZE = 128, NUM_THREADS = 256, ALIBI_ENABLED = true, GQA_RATIO = 6]"
	.size	__PRETTY_FUNCTION__._Z39paged_attention_ll4mi_QKV_mfma16_kernelI14__hip_bfloat16S0_LN4vllm18Fp8KVCacheDataTypeE0EhLi32ELi128ELi256ELb1ELi6EEvPKT_PKT0_S8_ifPKiSA_SA_iPKfiiiPfSD_PS3_PT2_iSC_SC_, 612

	.type	__PRETTY_FUNCTION__._Z39paged_attention_ll4mi_QKV_mfma16_kernelI14__hip_bfloat16S0_LN4vllm18Fp8KVCacheDataTypeE0EhLi32ELi128ELi256ELb1ELi7EEvPKT_PKT0_S8_ifPKiSA_SA_iPKfiiiPfSD_PS3_PT2_iSC_SC_,@object ; @__PRETTY_FUNCTION__._Z39paged_attention_ll4mi_QKV_mfma16_kernelI14__hip_bfloat16S0_LN4vllm18Fp8KVCacheDataTypeE0EhLi32ELi128ELi256ELb1ELi7EEvPKT_PKT0_S8_ifPKiSA_SA_iPKfiiiPfSD_PS3_PT2_iSC_SC_
__PRETTY_FUNCTION__._Z39paged_attention_ll4mi_QKV_mfma16_kernelI14__hip_bfloat16S0_LN4vllm18Fp8KVCacheDataTypeE0EhLi32ELi128ELi256ELb1ELi7EEvPKT_PKT0_S8_ifPKiSA_SA_iPKfiiiPfSD_PS3_PT2_iSC_SC_:
	.asciz	"void paged_attention_ll4mi_QKV_mfma16_kernel(const scalar_t *__restrict, const cache_t *__restrict, const cache_t *__restrict, const int, const float, const int *__restrict, const int *__restrict, const int *__restrict, const int, const float *__restrict, const int, const int, const int, float *__restrict, float *__restrict, scalar_t *__restrict, OUTT *__restrict, int, const float *, const float *) [scalar_t = __hip_bfloat16, cache_t = __hip_bfloat16, KV_DTYPE = vllm::Fp8KVCacheDataType::kAuto, OUTT = unsigned char, BLOCK_SIZE = 32, HEAD_SIZE = 128, NUM_THREADS = 256, ALIBI_ENABLED = true, GQA_RATIO = 7]"
	.size	__PRETTY_FUNCTION__._Z39paged_attention_ll4mi_QKV_mfma16_kernelI14__hip_bfloat16S0_LN4vllm18Fp8KVCacheDataTypeE0EhLi32ELi128ELi256ELb1ELi7EEvPKT_PKT0_S8_ifPKiSA_SA_iPKfiiiPfSD_PS3_PT2_iSC_SC_, 612

	.type	__PRETTY_FUNCTION__._Z39paged_attention_ll4mi_QKV_mfma16_kernelI14__hip_bfloat16S0_LN4vllm18Fp8KVCacheDataTypeE0EhLi32ELi128ELi256ELb1ELi8EEvPKT_PKT0_S8_ifPKiSA_SA_iPKfiiiPfSD_PS3_PT2_iSC_SC_,@object ; @__PRETTY_FUNCTION__._Z39paged_attention_ll4mi_QKV_mfma16_kernelI14__hip_bfloat16S0_LN4vllm18Fp8KVCacheDataTypeE0EhLi32ELi128ELi256ELb1ELi8EEvPKT_PKT0_S8_ifPKiSA_SA_iPKfiiiPfSD_PS3_PT2_iSC_SC_
__PRETTY_FUNCTION__._Z39paged_attention_ll4mi_QKV_mfma16_kernelI14__hip_bfloat16S0_LN4vllm18Fp8KVCacheDataTypeE0EhLi32ELi128ELi256ELb1ELi8EEvPKT_PKT0_S8_ifPKiSA_SA_iPKfiiiPfSD_PS3_PT2_iSC_SC_:
	.asciz	"void paged_attention_ll4mi_QKV_mfma16_kernel(const scalar_t *__restrict, const cache_t *__restrict, const cache_t *__restrict, const int, const float, const int *__restrict, const int *__restrict, const int *__restrict, const int, const float *__restrict, const int, const int, const int, float *__restrict, float *__restrict, scalar_t *__restrict, OUTT *__restrict, int, const float *, const float *) [scalar_t = __hip_bfloat16, cache_t = __hip_bfloat16, KV_DTYPE = vllm::Fp8KVCacheDataType::kAuto, OUTT = unsigned char, BLOCK_SIZE = 32, HEAD_SIZE = 128, NUM_THREADS = 256, ALIBI_ENABLED = true, GQA_RATIO = 8]"
	.size	__PRETTY_FUNCTION__._Z39paged_attention_ll4mi_QKV_mfma16_kernelI14__hip_bfloat16S0_LN4vllm18Fp8KVCacheDataTypeE0EhLi32ELi128ELi256ELb1ELi8EEvPKT_PKT0_S8_ifPKiSA_SA_iPKfiiiPfSD_PS3_PT2_iSC_SC_, 612

	.type	__PRETTY_FUNCTION__._Z39paged_attention_ll4mi_QKV_mfma16_kernelI14__hip_bfloat16S0_LN4vllm18Fp8KVCacheDataTypeE0EhLi32ELi128ELi256ELb1ELi9EEvPKT_PKT0_S8_ifPKiSA_SA_iPKfiiiPfSD_PS3_PT2_iSC_SC_,@object ; @__PRETTY_FUNCTION__._Z39paged_attention_ll4mi_QKV_mfma16_kernelI14__hip_bfloat16S0_LN4vllm18Fp8KVCacheDataTypeE0EhLi32ELi128ELi256ELb1ELi9EEvPKT_PKT0_S8_ifPKiSA_SA_iPKfiiiPfSD_PS3_PT2_iSC_SC_
__PRETTY_FUNCTION__._Z39paged_attention_ll4mi_QKV_mfma16_kernelI14__hip_bfloat16S0_LN4vllm18Fp8KVCacheDataTypeE0EhLi32ELi128ELi256ELb1ELi9EEvPKT_PKT0_S8_ifPKiSA_SA_iPKfiiiPfSD_PS3_PT2_iSC_SC_:
	.asciz	"void paged_attention_ll4mi_QKV_mfma16_kernel(const scalar_t *__restrict, const cache_t *__restrict, const cache_t *__restrict, const int, const float, const int *__restrict, const int *__restrict, const int *__restrict, const int, const float *__restrict, const int, const int, const int, float *__restrict, float *__restrict, scalar_t *__restrict, OUTT *__restrict, int, const float *, const float *) [scalar_t = __hip_bfloat16, cache_t = __hip_bfloat16, KV_DTYPE = vllm::Fp8KVCacheDataType::kAuto, OUTT = unsigned char, BLOCK_SIZE = 32, HEAD_SIZE = 128, NUM_THREADS = 256, ALIBI_ENABLED = true, GQA_RATIO = 9]"
	.size	__PRETTY_FUNCTION__._Z39paged_attention_ll4mi_QKV_mfma16_kernelI14__hip_bfloat16S0_LN4vllm18Fp8KVCacheDataTypeE0EhLi32ELi128ELi256ELb1ELi9EEvPKT_PKT0_S8_ifPKiSA_SA_iPKfiiiPfSD_PS3_PT2_iSC_SC_, 612

	.type	__PRETTY_FUNCTION__._Z39paged_attention_ll4mi_QKV_mfma16_kernelI14__hip_bfloat16S0_LN4vllm18Fp8KVCacheDataTypeE0EhLi32ELi128ELi256ELb1ELi10EEvPKT_PKT0_S8_ifPKiSA_SA_iPKfiiiPfSD_PS3_PT2_iSC_SC_,@object ; @__PRETTY_FUNCTION__._Z39paged_attention_ll4mi_QKV_mfma16_kernelI14__hip_bfloat16S0_LN4vllm18Fp8KVCacheDataTypeE0EhLi32ELi128ELi256ELb1ELi10EEvPKT_PKT0_S8_ifPKiSA_SA_iPKfiiiPfSD_PS3_PT2_iSC_SC_
__PRETTY_FUNCTION__._Z39paged_attention_ll4mi_QKV_mfma16_kernelI14__hip_bfloat16S0_LN4vllm18Fp8KVCacheDataTypeE0EhLi32ELi128ELi256ELb1ELi10EEvPKT_PKT0_S8_ifPKiSA_SA_iPKfiiiPfSD_PS3_PT2_iSC_SC_:
	.asciz	"void paged_attention_ll4mi_QKV_mfma16_kernel(const scalar_t *__restrict, const cache_t *__restrict, const cache_t *__restrict, const int, const float, const int *__restrict, const int *__restrict, const int *__restrict, const int, const float *__restrict, const int, const int, const int, float *__restrict, float *__restrict, scalar_t *__restrict, OUTT *__restrict, int, const float *, const float *) [scalar_t = __hip_bfloat16, cache_t = __hip_bfloat16, KV_DTYPE = vllm::Fp8KVCacheDataType::kAuto, OUTT = unsigned char, BLOCK_SIZE = 32, HEAD_SIZE = 128, NUM_THREADS = 256, ALIBI_ENABLED = true, GQA_RATIO = 10]"
	.size	__PRETTY_FUNCTION__._Z39paged_attention_ll4mi_QKV_mfma16_kernelI14__hip_bfloat16S0_LN4vllm18Fp8KVCacheDataTypeE0EhLi32ELi128ELi256ELb1ELi10EEvPKT_PKT0_S8_ifPKiSA_SA_iPKfiiiPfSD_PS3_PT2_iSC_SC_, 613

	.type	__PRETTY_FUNCTION__._Z39paged_attention_ll4mi_QKV_mfma16_kernelI14__hip_bfloat16S0_LN4vllm18Fp8KVCacheDataTypeE0EhLi32ELi128ELi256ELb1ELi11EEvPKT_PKT0_S8_ifPKiSA_SA_iPKfiiiPfSD_PS3_PT2_iSC_SC_,@object ; @__PRETTY_FUNCTION__._Z39paged_attention_ll4mi_QKV_mfma16_kernelI14__hip_bfloat16S0_LN4vllm18Fp8KVCacheDataTypeE0EhLi32ELi128ELi256ELb1ELi11EEvPKT_PKT0_S8_ifPKiSA_SA_iPKfiiiPfSD_PS3_PT2_iSC_SC_
__PRETTY_FUNCTION__._Z39paged_attention_ll4mi_QKV_mfma16_kernelI14__hip_bfloat16S0_LN4vllm18Fp8KVCacheDataTypeE0EhLi32ELi128ELi256ELb1ELi11EEvPKT_PKT0_S8_ifPKiSA_SA_iPKfiiiPfSD_PS3_PT2_iSC_SC_:
	.asciz	"void paged_attention_ll4mi_QKV_mfma16_kernel(const scalar_t *__restrict, const cache_t *__restrict, const cache_t *__restrict, const int, const float, const int *__restrict, const int *__restrict, const int *__restrict, const int, const float *__restrict, const int, const int, const int, float *__restrict, float *__restrict, scalar_t *__restrict, OUTT *__restrict, int, const float *, const float *) [scalar_t = __hip_bfloat16, cache_t = __hip_bfloat16, KV_DTYPE = vllm::Fp8KVCacheDataType::kAuto, OUTT = unsigned char, BLOCK_SIZE = 32, HEAD_SIZE = 128, NUM_THREADS = 256, ALIBI_ENABLED = true, GQA_RATIO = 11]"
	.size	__PRETTY_FUNCTION__._Z39paged_attention_ll4mi_QKV_mfma16_kernelI14__hip_bfloat16S0_LN4vllm18Fp8KVCacheDataTypeE0EhLi32ELi128ELi256ELb1ELi11EEvPKT_PKT0_S8_ifPKiSA_SA_iPKfiiiPfSD_PS3_PT2_iSC_SC_, 613

	.type	__PRETTY_FUNCTION__._Z39paged_attention_ll4mi_QKV_mfma16_kernelI14__hip_bfloat16S0_LN4vllm18Fp8KVCacheDataTypeE0EhLi32ELi128ELi256ELb1ELi12EEvPKT_PKT0_S8_ifPKiSA_SA_iPKfiiiPfSD_PS3_PT2_iSC_SC_,@object ; @__PRETTY_FUNCTION__._Z39paged_attention_ll4mi_QKV_mfma16_kernelI14__hip_bfloat16S0_LN4vllm18Fp8KVCacheDataTypeE0EhLi32ELi128ELi256ELb1ELi12EEvPKT_PKT0_S8_ifPKiSA_SA_iPKfiiiPfSD_PS3_PT2_iSC_SC_
__PRETTY_FUNCTION__._Z39paged_attention_ll4mi_QKV_mfma16_kernelI14__hip_bfloat16S0_LN4vllm18Fp8KVCacheDataTypeE0EhLi32ELi128ELi256ELb1ELi12EEvPKT_PKT0_S8_ifPKiSA_SA_iPKfiiiPfSD_PS3_PT2_iSC_SC_:
	.asciz	"void paged_attention_ll4mi_QKV_mfma16_kernel(const scalar_t *__restrict, const cache_t *__restrict, const cache_t *__restrict, const int, const float, const int *__restrict, const int *__restrict, const int *__restrict, const int, const float *__restrict, const int, const int, const int, float *__restrict, float *__restrict, scalar_t *__restrict, OUTT *__restrict, int, const float *, const float *) [scalar_t = __hip_bfloat16, cache_t = __hip_bfloat16, KV_DTYPE = vllm::Fp8KVCacheDataType::kAuto, OUTT = unsigned char, BLOCK_SIZE = 32, HEAD_SIZE = 128, NUM_THREADS = 256, ALIBI_ENABLED = true, GQA_RATIO = 12]"
	.size	__PRETTY_FUNCTION__._Z39paged_attention_ll4mi_QKV_mfma16_kernelI14__hip_bfloat16S0_LN4vllm18Fp8KVCacheDataTypeE0EhLi32ELi128ELi256ELb1ELi12EEvPKT_PKT0_S8_ifPKiSA_SA_iPKfiiiPfSD_PS3_PT2_iSC_SC_, 613

	.type	__PRETTY_FUNCTION__._Z39paged_attention_ll4mi_QKV_mfma16_kernelI14__hip_bfloat16S0_LN4vllm18Fp8KVCacheDataTypeE0EhLi32ELi128ELi256ELb1ELi13EEvPKT_PKT0_S8_ifPKiSA_SA_iPKfiiiPfSD_PS3_PT2_iSC_SC_,@object ; @__PRETTY_FUNCTION__._Z39paged_attention_ll4mi_QKV_mfma16_kernelI14__hip_bfloat16S0_LN4vllm18Fp8KVCacheDataTypeE0EhLi32ELi128ELi256ELb1ELi13EEvPKT_PKT0_S8_ifPKiSA_SA_iPKfiiiPfSD_PS3_PT2_iSC_SC_
__PRETTY_FUNCTION__._Z39paged_attention_ll4mi_QKV_mfma16_kernelI14__hip_bfloat16S0_LN4vllm18Fp8KVCacheDataTypeE0EhLi32ELi128ELi256ELb1ELi13EEvPKT_PKT0_S8_ifPKiSA_SA_iPKfiiiPfSD_PS3_PT2_iSC_SC_:
	.asciz	"void paged_attention_ll4mi_QKV_mfma16_kernel(const scalar_t *__restrict, const cache_t *__restrict, const cache_t *__restrict, const int, const float, const int *__restrict, const int *__restrict, const int *__restrict, const int, const float *__restrict, const int, const int, const int, float *__restrict, float *__restrict, scalar_t *__restrict, OUTT *__restrict, int, const float *, const float *) [scalar_t = __hip_bfloat16, cache_t = __hip_bfloat16, KV_DTYPE = vllm::Fp8KVCacheDataType::kAuto, OUTT = unsigned char, BLOCK_SIZE = 32, HEAD_SIZE = 128, NUM_THREADS = 256, ALIBI_ENABLED = true, GQA_RATIO = 13]"
	.size	__PRETTY_FUNCTION__._Z39paged_attention_ll4mi_QKV_mfma16_kernelI14__hip_bfloat16S0_LN4vllm18Fp8KVCacheDataTypeE0EhLi32ELi128ELi256ELb1ELi13EEvPKT_PKT0_S8_ifPKiSA_SA_iPKfiiiPfSD_PS3_PT2_iSC_SC_, 613

	.type	__PRETTY_FUNCTION__._Z39paged_attention_ll4mi_QKV_mfma16_kernelI14__hip_bfloat16S0_LN4vllm18Fp8KVCacheDataTypeE0EhLi32ELi128ELi256ELb1ELi14EEvPKT_PKT0_S8_ifPKiSA_SA_iPKfiiiPfSD_PS3_PT2_iSC_SC_,@object ; @__PRETTY_FUNCTION__._Z39paged_attention_ll4mi_QKV_mfma16_kernelI14__hip_bfloat16S0_LN4vllm18Fp8KVCacheDataTypeE0EhLi32ELi128ELi256ELb1ELi14EEvPKT_PKT0_S8_ifPKiSA_SA_iPKfiiiPfSD_PS3_PT2_iSC_SC_
__PRETTY_FUNCTION__._Z39paged_attention_ll4mi_QKV_mfma16_kernelI14__hip_bfloat16S0_LN4vllm18Fp8KVCacheDataTypeE0EhLi32ELi128ELi256ELb1ELi14EEvPKT_PKT0_S8_ifPKiSA_SA_iPKfiiiPfSD_PS3_PT2_iSC_SC_:
	.asciz	"void paged_attention_ll4mi_QKV_mfma16_kernel(const scalar_t *__restrict, const cache_t *__restrict, const cache_t *__restrict, const int, const float, const int *__restrict, const int *__restrict, const int *__restrict, const int, const float *__restrict, const int, const int, const int, float *__restrict, float *__restrict, scalar_t *__restrict, OUTT *__restrict, int, const float *, const float *) [scalar_t = __hip_bfloat16, cache_t = __hip_bfloat16, KV_DTYPE = vllm::Fp8KVCacheDataType::kAuto, OUTT = unsigned char, BLOCK_SIZE = 32, HEAD_SIZE = 128, NUM_THREADS = 256, ALIBI_ENABLED = true, GQA_RATIO = 14]"
	.size	__PRETTY_FUNCTION__._Z39paged_attention_ll4mi_QKV_mfma16_kernelI14__hip_bfloat16S0_LN4vllm18Fp8KVCacheDataTypeE0EhLi32ELi128ELi256ELb1ELi14EEvPKT_PKT0_S8_ifPKiSA_SA_iPKfiiiPfSD_PS3_PT2_iSC_SC_, 613

	.type	__PRETTY_FUNCTION__._Z39paged_attention_ll4mi_QKV_mfma16_kernelI14__hip_bfloat16S0_LN4vllm18Fp8KVCacheDataTypeE0EhLi32ELi128ELi256ELb1ELi15EEvPKT_PKT0_S8_ifPKiSA_SA_iPKfiiiPfSD_PS3_PT2_iSC_SC_,@object ; @__PRETTY_FUNCTION__._Z39paged_attention_ll4mi_QKV_mfma16_kernelI14__hip_bfloat16S0_LN4vllm18Fp8KVCacheDataTypeE0EhLi32ELi128ELi256ELb1ELi15EEvPKT_PKT0_S8_ifPKiSA_SA_iPKfiiiPfSD_PS3_PT2_iSC_SC_
__PRETTY_FUNCTION__._Z39paged_attention_ll4mi_QKV_mfma16_kernelI14__hip_bfloat16S0_LN4vllm18Fp8KVCacheDataTypeE0EhLi32ELi128ELi256ELb1ELi15EEvPKT_PKT0_S8_ifPKiSA_SA_iPKfiiiPfSD_PS3_PT2_iSC_SC_:
	.asciz	"void paged_attention_ll4mi_QKV_mfma16_kernel(const scalar_t *__restrict, const cache_t *__restrict, const cache_t *__restrict, const int, const float, const int *__restrict, const int *__restrict, const int *__restrict, const int, const float *__restrict, const int, const int, const int, float *__restrict, float *__restrict, scalar_t *__restrict, OUTT *__restrict, int, const float *, const float *) [scalar_t = __hip_bfloat16, cache_t = __hip_bfloat16, KV_DTYPE = vllm::Fp8KVCacheDataType::kAuto, OUTT = unsigned char, BLOCK_SIZE = 32, HEAD_SIZE = 128, NUM_THREADS = 256, ALIBI_ENABLED = true, GQA_RATIO = 15]"
	.size	__PRETTY_FUNCTION__._Z39paged_attention_ll4mi_QKV_mfma16_kernelI14__hip_bfloat16S0_LN4vllm18Fp8KVCacheDataTypeE0EhLi32ELi128ELi256ELb1ELi15EEvPKT_PKT0_S8_ifPKiSA_SA_iPKfiiiPfSD_PS3_PT2_iSC_SC_, 613

	.type	__PRETTY_FUNCTION__._Z39paged_attention_ll4mi_QKV_mfma16_kernelI14__hip_bfloat16S0_LN4vllm18Fp8KVCacheDataTypeE0EhLi32ELi128ELi256ELb1ELi16EEvPKT_PKT0_S8_ifPKiSA_SA_iPKfiiiPfSD_PS3_PT2_iSC_SC_,@object ; @__PRETTY_FUNCTION__._Z39paged_attention_ll4mi_QKV_mfma16_kernelI14__hip_bfloat16S0_LN4vllm18Fp8KVCacheDataTypeE0EhLi32ELi128ELi256ELb1ELi16EEvPKT_PKT0_S8_ifPKiSA_SA_iPKfiiiPfSD_PS3_PT2_iSC_SC_
__PRETTY_FUNCTION__._Z39paged_attention_ll4mi_QKV_mfma16_kernelI14__hip_bfloat16S0_LN4vllm18Fp8KVCacheDataTypeE0EhLi32ELi128ELi256ELb1ELi16EEvPKT_PKT0_S8_ifPKiSA_SA_iPKfiiiPfSD_PS3_PT2_iSC_SC_:
	.asciz	"void paged_attention_ll4mi_QKV_mfma16_kernel(const scalar_t *__restrict, const cache_t *__restrict, const cache_t *__restrict, const int, const float, const int *__restrict, const int *__restrict, const int *__restrict, const int, const float *__restrict, const int, const int, const int, float *__restrict, float *__restrict, scalar_t *__restrict, OUTT *__restrict, int, const float *, const float *) [scalar_t = __hip_bfloat16, cache_t = __hip_bfloat16, KV_DTYPE = vllm::Fp8KVCacheDataType::kAuto, OUTT = unsigned char, BLOCK_SIZE = 32, HEAD_SIZE = 128, NUM_THREADS = 256, ALIBI_ENABLED = true, GQA_RATIO = 16]"
	.size	__PRETTY_FUNCTION__._Z39paged_attention_ll4mi_QKV_mfma16_kernelI14__hip_bfloat16S0_LN4vllm18Fp8KVCacheDataTypeE0EhLi32ELi128ELi256ELb1ELi16EEvPKT_PKT0_S8_ifPKiSA_SA_iPKfiiiPfSD_PS3_PT2_iSC_SC_, 613

	.type	__PRETTY_FUNCTION__._Z39paged_attention_ll4mi_QKV_mfma16_kernelI14__hip_bfloat16S0_LN4vllm18Fp8KVCacheDataTypeE0EhLi32ELi128ELi256ELb1ELi1EEvPKT_PKT0_S8_ifPKiSA_SA_iPKfiiiPfSD_PS3_PT2_iSC_SC_,@object ; @__PRETTY_FUNCTION__._Z39paged_attention_ll4mi_QKV_mfma16_kernelI14__hip_bfloat16S0_LN4vllm18Fp8KVCacheDataTypeE0EhLi32ELi128ELi256ELb1ELi1EEvPKT_PKT0_S8_ifPKiSA_SA_iPKfiiiPfSD_PS3_PT2_iSC_SC_
__PRETTY_FUNCTION__._Z39paged_attention_ll4mi_QKV_mfma16_kernelI14__hip_bfloat16S0_LN4vllm18Fp8KVCacheDataTypeE0EhLi32ELi128ELi256ELb1ELi1EEvPKT_PKT0_S8_ifPKiSA_SA_iPKfiiiPfSD_PS3_PT2_iSC_SC_:
	.asciz	"void paged_attention_ll4mi_QKV_mfma16_kernel(const scalar_t *__restrict, const cache_t *__restrict, const cache_t *__restrict, const int, const float, const int *__restrict, const int *__restrict, const int *__restrict, const int, const float *__restrict, const int, const int, const int, float *__restrict, float *__restrict, scalar_t *__restrict, OUTT *__restrict, int, const float *, const float *) [scalar_t = __hip_bfloat16, cache_t = __hip_bfloat16, KV_DTYPE = vllm::Fp8KVCacheDataType::kAuto, OUTT = unsigned char, BLOCK_SIZE = 32, HEAD_SIZE = 128, NUM_THREADS = 256, ALIBI_ENABLED = true, GQA_RATIO = 1]"
	.size	__PRETTY_FUNCTION__._Z39paged_attention_ll4mi_QKV_mfma16_kernelI14__hip_bfloat16S0_LN4vllm18Fp8KVCacheDataTypeE0EhLi32ELi128ELi256ELb1ELi1EEvPKT_PKT0_S8_ifPKiSA_SA_iPKfiiiPfSD_PS3_PT2_iSC_SC_, 612

	.type	__PRETTY_FUNCTION__._Z39paged_attention_ll4mi_QKV_mfma16_kernelI14__hip_bfloat16S0_LN4vllm18Fp8KVCacheDataTypeE0EhLi32ELi128ELi256ELb1ELi2EEvPKT_PKT0_S8_ifPKiSA_SA_iPKfiiiPfSD_PS3_PT2_iSC_SC_,@object ; @__PRETTY_FUNCTION__._Z39paged_attention_ll4mi_QKV_mfma16_kernelI14__hip_bfloat16S0_LN4vllm18Fp8KVCacheDataTypeE0EhLi32ELi128ELi256ELb1ELi2EEvPKT_PKT0_S8_ifPKiSA_SA_iPKfiiiPfSD_PS3_PT2_iSC_SC_
__PRETTY_FUNCTION__._Z39paged_attention_ll4mi_QKV_mfma16_kernelI14__hip_bfloat16S0_LN4vllm18Fp8KVCacheDataTypeE0EhLi32ELi128ELi256ELb1ELi2EEvPKT_PKT0_S8_ifPKiSA_SA_iPKfiiiPfSD_PS3_PT2_iSC_SC_:
	.asciz	"void paged_attention_ll4mi_QKV_mfma16_kernel(const scalar_t *__restrict, const cache_t *__restrict, const cache_t *__restrict, const int, const float, const int *__restrict, const int *__restrict, const int *__restrict, const int, const float *__restrict, const int, const int, const int, float *__restrict, float *__restrict, scalar_t *__restrict, OUTT *__restrict, int, const float *, const float *) [scalar_t = __hip_bfloat16, cache_t = __hip_bfloat16, KV_DTYPE = vllm::Fp8KVCacheDataType::kAuto, OUTT = unsigned char, BLOCK_SIZE = 32, HEAD_SIZE = 128, NUM_THREADS = 256, ALIBI_ENABLED = true, GQA_RATIO = 2]"
	.size	__PRETTY_FUNCTION__._Z39paged_attention_ll4mi_QKV_mfma16_kernelI14__hip_bfloat16S0_LN4vllm18Fp8KVCacheDataTypeE0EhLi32ELi128ELi256ELb1ELi2EEvPKT_PKT0_S8_ifPKiSA_SA_iPKfiiiPfSD_PS3_PT2_iSC_SC_, 612

	.type	__PRETTY_FUNCTION__._Z39paged_attention_ll4mi_QKV_mfma16_kernelI14__hip_bfloat16S0_LN4vllm18Fp8KVCacheDataTypeE0EhLi32ELi128ELi256ELb1ELi3EEvPKT_PKT0_S8_ifPKiSA_SA_iPKfiiiPfSD_PS3_PT2_iSC_SC_,@object ; @__PRETTY_FUNCTION__._Z39paged_attention_ll4mi_QKV_mfma16_kernelI14__hip_bfloat16S0_LN4vllm18Fp8KVCacheDataTypeE0EhLi32ELi128ELi256ELb1ELi3EEvPKT_PKT0_S8_ifPKiSA_SA_iPKfiiiPfSD_PS3_PT2_iSC_SC_
__PRETTY_FUNCTION__._Z39paged_attention_ll4mi_QKV_mfma16_kernelI14__hip_bfloat16S0_LN4vllm18Fp8KVCacheDataTypeE0EhLi32ELi128ELi256ELb1ELi3EEvPKT_PKT0_S8_ifPKiSA_SA_iPKfiiiPfSD_PS3_PT2_iSC_SC_:
	.asciz	"void paged_attention_ll4mi_QKV_mfma16_kernel(const scalar_t *__restrict, const cache_t *__restrict, const cache_t *__restrict, const int, const float, const int *__restrict, const int *__restrict, const int *__restrict, const int, const float *__restrict, const int, const int, const int, float *__restrict, float *__restrict, scalar_t *__restrict, OUTT *__restrict, int, const float *, const float *) [scalar_t = __hip_bfloat16, cache_t = __hip_bfloat16, KV_DTYPE = vllm::Fp8KVCacheDataType::kAuto, OUTT = unsigned char, BLOCK_SIZE = 32, HEAD_SIZE = 128, NUM_THREADS = 256, ALIBI_ENABLED = true, GQA_RATIO = 3]"
	.size	__PRETTY_FUNCTION__._Z39paged_attention_ll4mi_QKV_mfma16_kernelI14__hip_bfloat16S0_LN4vllm18Fp8KVCacheDataTypeE0EhLi32ELi128ELi256ELb1ELi3EEvPKT_PKT0_S8_ifPKiSA_SA_iPKfiiiPfSD_PS3_PT2_iSC_SC_, 612

	.type	__PRETTY_FUNCTION__._Z39paged_attention_ll4mi_QKV_mfma16_kernelI14__hip_bfloat16S0_LN4vllm18Fp8KVCacheDataTypeE0EhLi32ELi128ELi256ELb1ELi4EEvPKT_PKT0_S8_ifPKiSA_SA_iPKfiiiPfSD_PS3_PT2_iSC_SC_,@object ; @__PRETTY_FUNCTION__._Z39paged_attention_ll4mi_QKV_mfma16_kernelI14__hip_bfloat16S0_LN4vllm18Fp8KVCacheDataTypeE0EhLi32ELi128ELi256ELb1ELi4EEvPKT_PKT0_S8_ifPKiSA_SA_iPKfiiiPfSD_PS3_PT2_iSC_SC_
__PRETTY_FUNCTION__._Z39paged_attention_ll4mi_QKV_mfma16_kernelI14__hip_bfloat16S0_LN4vllm18Fp8KVCacheDataTypeE0EhLi32ELi128ELi256ELb1ELi4EEvPKT_PKT0_S8_ifPKiSA_SA_iPKfiiiPfSD_PS3_PT2_iSC_SC_:
	.asciz	"void paged_attention_ll4mi_QKV_mfma16_kernel(const scalar_t *__restrict, const cache_t *__restrict, const cache_t *__restrict, const int, const float, const int *__restrict, const int *__restrict, const int *__restrict, const int, const float *__restrict, const int, const int, const int, float *__restrict, float *__restrict, scalar_t *__restrict, OUTT *__restrict, int, const float *, const float *) [scalar_t = __hip_bfloat16, cache_t = __hip_bfloat16, KV_DTYPE = vllm::Fp8KVCacheDataType::kAuto, OUTT = unsigned char, BLOCK_SIZE = 32, HEAD_SIZE = 128, NUM_THREADS = 256, ALIBI_ENABLED = true, GQA_RATIO = 4]"
	.size	__PRETTY_FUNCTION__._Z39paged_attention_ll4mi_QKV_mfma16_kernelI14__hip_bfloat16S0_LN4vllm18Fp8KVCacheDataTypeE0EhLi32ELi128ELi256ELb1ELi4EEvPKT_PKT0_S8_ifPKiSA_SA_iPKfiiiPfSD_PS3_PT2_iSC_SC_, 612

	.type	__PRETTY_FUNCTION__._Z38paged_attention_ll4mi_QKV_mfma4_kernelI14__hip_bfloat16S0_LN4vllm18Fp8KVCacheDataTypeE0EhLi32ELi128ELi256ELb0ELi1EEvPKT_PKT0_S8_ifPKiSA_SA_iPKfiiiPfSD_PS3_PT2_iSC_SC_,@object ; @__PRETTY_FUNCTION__._Z38paged_attention_ll4mi_QKV_mfma4_kernelI14__hip_bfloat16S0_LN4vllm18Fp8KVCacheDataTypeE0EhLi32ELi128ELi256ELb0ELi1EEvPKT_PKT0_S8_ifPKiSA_SA_iPKfiiiPfSD_PS3_PT2_iSC_SC_
__PRETTY_FUNCTION__._Z38paged_attention_ll4mi_QKV_mfma4_kernelI14__hip_bfloat16S0_LN4vllm18Fp8KVCacheDataTypeE0EhLi32ELi128ELi256ELb0ELi1EEvPKT_PKT0_S8_ifPKiSA_SA_iPKfiiiPfSD_PS3_PT2_iSC_SC_:
	.asciz	"void paged_attention_ll4mi_QKV_mfma4_kernel(const scalar_t *__restrict, const cache_t *__restrict, const cache_t *__restrict, const int, const float, const int *__restrict, const int *__restrict, const int *__restrict, const int, const float *__restrict, const int, const int, const int, float *__restrict, float *__restrict, scalar_t *__restrict, OUTT *__restrict, int, const float *, const float *) [scalar_t = __hip_bfloat16, cache_t = __hip_bfloat16, KV_DTYPE = vllm::Fp8KVCacheDataType::kAuto, OUTT = unsigned char, BLOCK_SIZE = 32, HEAD_SIZE = 128, NUM_THREADS = 256, ALIBI_ENABLED = false, GQA_RATIO = 1]"
	.size	__PRETTY_FUNCTION__._Z38paged_attention_ll4mi_QKV_mfma4_kernelI14__hip_bfloat16S0_LN4vllm18Fp8KVCacheDataTypeE0EhLi32ELi128ELi256ELb0ELi1EEvPKT_PKT0_S8_ifPKiSA_SA_iPKfiiiPfSD_PS3_PT2_iSC_SC_, 612

	.type	__PRETTY_FUNCTION__._Z38paged_attention_ll4mi_QKV_mfma4_kernelI14__hip_bfloat16S0_LN4vllm18Fp8KVCacheDataTypeE0EhLi32ELi128ELi256ELb0ELi2EEvPKT_PKT0_S8_ifPKiSA_SA_iPKfiiiPfSD_PS3_PT2_iSC_SC_,@object ; @__PRETTY_FUNCTION__._Z38paged_attention_ll4mi_QKV_mfma4_kernelI14__hip_bfloat16S0_LN4vllm18Fp8KVCacheDataTypeE0EhLi32ELi128ELi256ELb0ELi2EEvPKT_PKT0_S8_ifPKiSA_SA_iPKfiiiPfSD_PS3_PT2_iSC_SC_
__PRETTY_FUNCTION__._Z38paged_attention_ll4mi_QKV_mfma4_kernelI14__hip_bfloat16S0_LN4vllm18Fp8KVCacheDataTypeE0EhLi32ELi128ELi256ELb0ELi2EEvPKT_PKT0_S8_ifPKiSA_SA_iPKfiiiPfSD_PS3_PT2_iSC_SC_:
	.asciz	"void paged_attention_ll4mi_QKV_mfma4_kernel(const scalar_t *__restrict, const cache_t *__restrict, const cache_t *__restrict, const int, const float, const int *__restrict, const int *__restrict, const int *__restrict, const int, const float *__restrict, const int, const int, const int, float *__restrict, float *__restrict, scalar_t *__restrict, OUTT *__restrict, int, const float *, const float *) [scalar_t = __hip_bfloat16, cache_t = __hip_bfloat16, KV_DTYPE = vllm::Fp8KVCacheDataType::kAuto, OUTT = unsigned char, BLOCK_SIZE = 32, HEAD_SIZE = 128, NUM_THREADS = 256, ALIBI_ENABLED = false, GQA_RATIO = 2]"
	.size	__PRETTY_FUNCTION__._Z38paged_attention_ll4mi_QKV_mfma4_kernelI14__hip_bfloat16S0_LN4vllm18Fp8KVCacheDataTypeE0EhLi32ELi128ELi256ELb0ELi2EEvPKT_PKT0_S8_ifPKiSA_SA_iPKfiiiPfSD_PS3_PT2_iSC_SC_, 612

	.type	__PRETTY_FUNCTION__._Z38paged_attention_ll4mi_QKV_mfma4_kernelI14__hip_bfloat16S0_LN4vllm18Fp8KVCacheDataTypeE0EhLi32ELi128ELi256ELb0ELi3EEvPKT_PKT0_S8_ifPKiSA_SA_iPKfiiiPfSD_PS3_PT2_iSC_SC_,@object ; @__PRETTY_FUNCTION__._Z38paged_attention_ll4mi_QKV_mfma4_kernelI14__hip_bfloat16S0_LN4vllm18Fp8KVCacheDataTypeE0EhLi32ELi128ELi256ELb0ELi3EEvPKT_PKT0_S8_ifPKiSA_SA_iPKfiiiPfSD_PS3_PT2_iSC_SC_
__PRETTY_FUNCTION__._Z38paged_attention_ll4mi_QKV_mfma4_kernelI14__hip_bfloat16S0_LN4vllm18Fp8KVCacheDataTypeE0EhLi32ELi128ELi256ELb0ELi3EEvPKT_PKT0_S8_ifPKiSA_SA_iPKfiiiPfSD_PS3_PT2_iSC_SC_:
	.asciz	"void paged_attention_ll4mi_QKV_mfma4_kernel(const scalar_t *__restrict, const cache_t *__restrict, const cache_t *__restrict, const int, const float, const int *__restrict, const int *__restrict, const int *__restrict, const int, const float *__restrict, const int, const int, const int, float *__restrict, float *__restrict, scalar_t *__restrict, OUTT *__restrict, int, const float *, const float *) [scalar_t = __hip_bfloat16, cache_t = __hip_bfloat16, KV_DTYPE = vllm::Fp8KVCacheDataType::kAuto, OUTT = unsigned char, BLOCK_SIZE = 32, HEAD_SIZE = 128, NUM_THREADS = 256, ALIBI_ENABLED = false, GQA_RATIO = 3]"
	.size	__PRETTY_FUNCTION__._Z38paged_attention_ll4mi_QKV_mfma4_kernelI14__hip_bfloat16S0_LN4vllm18Fp8KVCacheDataTypeE0EhLi32ELi128ELi256ELb0ELi3EEvPKT_PKT0_S8_ifPKiSA_SA_iPKfiiiPfSD_PS3_PT2_iSC_SC_, 612

	.type	__PRETTY_FUNCTION__._Z38paged_attention_ll4mi_QKV_mfma4_kernelI14__hip_bfloat16S0_LN4vllm18Fp8KVCacheDataTypeE0EhLi32ELi128ELi256ELb0ELi4EEvPKT_PKT0_S8_ifPKiSA_SA_iPKfiiiPfSD_PS3_PT2_iSC_SC_,@object ; @__PRETTY_FUNCTION__._Z38paged_attention_ll4mi_QKV_mfma4_kernelI14__hip_bfloat16S0_LN4vllm18Fp8KVCacheDataTypeE0EhLi32ELi128ELi256ELb0ELi4EEvPKT_PKT0_S8_ifPKiSA_SA_iPKfiiiPfSD_PS3_PT2_iSC_SC_
__PRETTY_FUNCTION__._Z38paged_attention_ll4mi_QKV_mfma4_kernelI14__hip_bfloat16S0_LN4vllm18Fp8KVCacheDataTypeE0EhLi32ELi128ELi256ELb0ELi4EEvPKT_PKT0_S8_ifPKiSA_SA_iPKfiiiPfSD_PS3_PT2_iSC_SC_:
	.asciz	"void paged_attention_ll4mi_QKV_mfma4_kernel(const scalar_t *__restrict, const cache_t *__restrict, const cache_t *__restrict, const int, const float, const int *__restrict, const int *__restrict, const int *__restrict, const int, const float *__restrict, const int, const int, const int, float *__restrict, float *__restrict, scalar_t *__restrict, OUTT *__restrict, int, const float *, const float *) [scalar_t = __hip_bfloat16, cache_t = __hip_bfloat16, KV_DTYPE = vllm::Fp8KVCacheDataType::kAuto, OUTT = unsigned char, BLOCK_SIZE = 32, HEAD_SIZE = 128, NUM_THREADS = 256, ALIBI_ENABLED = false, GQA_RATIO = 4]"
	.size	__PRETTY_FUNCTION__._Z38paged_attention_ll4mi_QKV_mfma4_kernelI14__hip_bfloat16S0_LN4vllm18Fp8KVCacheDataTypeE0EhLi32ELi128ELi256ELb0ELi4EEvPKT_PKT0_S8_ifPKiSA_SA_iPKfiiiPfSD_PS3_PT2_iSC_SC_, 612

	.type	__PRETTY_FUNCTION__._Z39paged_attention_ll4mi_QKV_mfma16_kernelI14__hip_bfloat16S0_LN4vllm18Fp8KVCacheDataTypeE0EhLi32ELi128ELi256ELb0ELi5EEvPKT_PKT0_S8_ifPKiSA_SA_iPKfiiiPfSD_PS3_PT2_iSC_SC_,@object ; @__PRETTY_FUNCTION__._Z39paged_attention_ll4mi_QKV_mfma16_kernelI14__hip_bfloat16S0_LN4vllm18Fp8KVCacheDataTypeE0EhLi32ELi128ELi256ELb0ELi5EEvPKT_PKT0_S8_ifPKiSA_SA_iPKfiiiPfSD_PS3_PT2_iSC_SC_
__PRETTY_FUNCTION__._Z39paged_attention_ll4mi_QKV_mfma16_kernelI14__hip_bfloat16S0_LN4vllm18Fp8KVCacheDataTypeE0EhLi32ELi128ELi256ELb0ELi5EEvPKT_PKT0_S8_ifPKiSA_SA_iPKfiiiPfSD_PS3_PT2_iSC_SC_:
	.asciz	"void paged_attention_ll4mi_QKV_mfma16_kernel(const scalar_t *__restrict, const cache_t *__restrict, const cache_t *__restrict, const int, const float, const int *__restrict, const int *__restrict, const int *__restrict, const int, const float *__restrict, const int, const int, const int, float *__restrict, float *__restrict, scalar_t *__restrict, OUTT *__restrict, int, const float *, const float *) [scalar_t = __hip_bfloat16, cache_t = __hip_bfloat16, KV_DTYPE = vllm::Fp8KVCacheDataType::kAuto, OUTT = unsigned char, BLOCK_SIZE = 32, HEAD_SIZE = 128, NUM_THREADS = 256, ALIBI_ENABLED = false, GQA_RATIO = 5]"
	.size	__PRETTY_FUNCTION__._Z39paged_attention_ll4mi_QKV_mfma16_kernelI14__hip_bfloat16S0_LN4vllm18Fp8KVCacheDataTypeE0EhLi32ELi128ELi256ELb0ELi5EEvPKT_PKT0_S8_ifPKiSA_SA_iPKfiiiPfSD_PS3_PT2_iSC_SC_, 613

	.type	__PRETTY_FUNCTION__._Z39paged_attention_ll4mi_QKV_mfma16_kernelI14__hip_bfloat16S0_LN4vllm18Fp8KVCacheDataTypeE0EhLi32ELi128ELi256ELb0ELi6EEvPKT_PKT0_S8_ifPKiSA_SA_iPKfiiiPfSD_PS3_PT2_iSC_SC_,@object ; @__PRETTY_FUNCTION__._Z39paged_attention_ll4mi_QKV_mfma16_kernelI14__hip_bfloat16S0_LN4vllm18Fp8KVCacheDataTypeE0EhLi32ELi128ELi256ELb0ELi6EEvPKT_PKT0_S8_ifPKiSA_SA_iPKfiiiPfSD_PS3_PT2_iSC_SC_
__PRETTY_FUNCTION__._Z39paged_attention_ll4mi_QKV_mfma16_kernelI14__hip_bfloat16S0_LN4vllm18Fp8KVCacheDataTypeE0EhLi32ELi128ELi256ELb0ELi6EEvPKT_PKT0_S8_ifPKiSA_SA_iPKfiiiPfSD_PS3_PT2_iSC_SC_:
	.asciz	"void paged_attention_ll4mi_QKV_mfma16_kernel(const scalar_t *__restrict, const cache_t *__restrict, const cache_t *__restrict, const int, const float, const int *__restrict, const int *__restrict, const int *__restrict, const int, const float *__restrict, const int, const int, const int, float *__restrict, float *__restrict, scalar_t *__restrict, OUTT *__restrict, int, const float *, const float *) [scalar_t = __hip_bfloat16, cache_t = __hip_bfloat16, KV_DTYPE = vllm::Fp8KVCacheDataType::kAuto, OUTT = unsigned char, BLOCK_SIZE = 32, HEAD_SIZE = 128, NUM_THREADS = 256, ALIBI_ENABLED = false, GQA_RATIO = 6]"
	.size	__PRETTY_FUNCTION__._Z39paged_attention_ll4mi_QKV_mfma16_kernelI14__hip_bfloat16S0_LN4vllm18Fp8KVCacheDataTypeE0EhLi32ELi128ELi256ELb0ELi6EEvPKT_PKT0_S8_ifPKiSA_SA_iPKfiiiPfSD_PS3_PT2_iSC_SC_, 613

	.type	__PRETTY_FUNCTION__._Z39paged_attention_ll4mi_QKV_mfma16_kernelI14__hip_bfloat16S0_LN4vllm18Fp8KVCacheDataTypeE0EhLi32ELi128ELi256ELb0ELi7EEvPKT_PKT0_S8_ifPKiSA_SA_iPKfiiiPfSD_PS3_PT2_iSC_SC_,@object ; @__PRETTY_FUNCTION__._Z39paged_attention_ll4mi_QKV_mfma16_kernelI14__hip_bfloat16S0_LN4vllm18Fp8KVCacheDataTypeE0EhLi32ELi128ELi256ELb0ELi7EEvPKT_PKT0_S8_ifPKiSA_SA_iPKfiiiPfSD_PS3_PT2_iSC_SC_
__PRETTY_FUNCTION__._Z39paged_attention_ll4mi_QKV_mfma16_kernelI14__hip_bfloat16S0_LN4vllm18Fp8KVCacheDataTypeE0EhLi32ELi128ELi256ELb0ELi7EEvPKT_PKT0_S8_ifPKiSA_SA_iPKfiiiPfSD_PS3_PT2_iSC_SC_:
	.asciz	"void paged_attention_ll4mi_QKV_mfma16_kernel(const scalar_t *__restrict, const cache_t *__restrict, const cache_t *__restrict, const int, const float, const int *__restrict, const int *__restrict, const int *__restrict, const int, const float *__restrict, const int, const int, const int, float *__restrict, float *__restrict, scalar_t *__restrict, OUTT *__restrict, int, const float *, const float *) [scalar_t = __hip_bfloat16, cache_t = __hip_bfloat16, KV_DTYPE = vllm::Fp8KVCacheDataType::kAuto, OUTT = unsigned char, BLOCK_SIZE = 32, HEAD_SIZE = 128, NUM_THREADS = 256, ALIBI_ENABLED = false, GQA_RATIO = 7]"
	.size	__PRETTY_FUNCTION__._Z39paged_attention_ll4mi_QKV_mfma16_kernelI14__hip_bfloat16S0_LN4vllm18Fp8KVCacheDataTypeE0EhLi32ELi128ELi256ELb0ELi7EEvPKT_PKT0_S8_ifPKiSA_SA_iPKfiiiPfSD_PS3_PT2_iSC_SC_, 613

	.type	__PRETTY_FUNCTION__._Z39paged_attention_ll4mi_QKV_mfma16_kernelI14__hip_bfloat16S0_LN4vllm18Fp8KVCacheDataTypeE0EhLi32ELi128ELi256ELb0ELi8EEvPKT_PKT0_S8_ifPKiSA_SA_iPKfiiiPfSD_PS3_PT2_iSC_SC_,@object ; @__PRETTY_FUNCTION__._Z39paged_attention_ll4mi_QKV_mfma16_kernelI14__hip_bfloat16S0_LN4vllm18Fp8KVCacheDataTypeE0EhLi32ELi128ELi256ELb0ELi8EEvPKT_PKT0_S8_ifPKiSA_SA_iPKfiiiPfSD_PS3_PT2_iSC_SC_
__PRETTY_FUNCTION__._Z39paged_attention_ll4mi_QKV_mfma16_kernelI14__hip_bfloat16S0_LN4vllm18Fp8KVCacheDataTypeE0EhLi32ELi128ELi256ELb0ELi8EEvPKT_PKT0_S8_ifPKiSA_SA_iPKfiiiPfSD_PS3_PT2_iSC_SC_:
	.asciz	"void paged_attention_ll4mi_QKV_mfma16_kernel(const scalar_t *__restrict, const cache_t *__restrict, const cache_t *__restrict, const int, const float, const int *__restrict, const int *__restrict, const int *__restrict, const int, const float *__restrict, const int, const int, const int, float *__restrict, float *__restrict, scalar_t *__restrict, OUTT *__restrict, int, const float *, const float *) [scalar_t = __hip_bfloat16, cache_t = __hip_bfloat16, KV_DTYPE = vllm::Fp8KVCacheDataType::kAuto, OUTT = unsigned char, BLOCK_SIZE = 32, HEAD_SIZE = 128, NUM_THREADS = 256, ALIBI_ENABLED = false, GQA_RATIO = 8]"
	.size	__PRETTY_FUNCTION__._Z39paged_attention_ll4mi_QKV_mfma16_kernelI14__hip_bfloat16S0_LN4vllm18Fp8KVCacheDataTypeE0EhLi32ELi128ELi256ELb0ELi8EEvPKT_PKT0_S8_ifPKiSA_SA_iPKfiiiPfSD_PS3_PT2_iSC_SC_, 613

	.type	__PRETTY_FUNCTION__._Z39paged_attention_ll4mi_QKV_mfma16_kernelI14__hip_bfloat16S0_LN4vllm18Fp8KVCacheDataTypeE0EhLi32ELi128ELi256ELb0ELi9EEvPKT_PKT0_S8_ifPKiSA_SA_iPKfiiiPfSD_PS3_PT2_iSC_SC_,@object ; @__PRETTY_FUNCTION__._Z39paged_attention_ll4mi_QKV_mfma16_kernelI14__hip_bfloat16S0_LN4vllm18Fp8KVCacheDataTypeE0EhLi32ELi128ELi256ELb0ELi9EEvPKT_PKT0_S8_ifPKiSA_SA_iPKfiiiPfSD_PS3_PT2_iSC_SC_
__PRETTY_FUNCTION__._Z39paged_attention_ll4mi_QKV_mfma16_kernelI14__hip_bfloat16S0_LN4vllm18Fp8KVCacheDataTypeE0EhLi32ELi128ELi256ELb0ELi9EEvPKT_PKT0_S8_ifPKiSA_SA_iPKfiiiPfSD_PS3_PT2_iSC_SC_:
	.asciz	"void paged_attention_ll4mi_QKV_mfma16_kernel(const scalar_t *__restrict, const cache_t *__restrict, const cache_t *__restrict, const int, const float, const int *__restrict, const int *__restrict, const int *__restrict, const int, const float *__restrict, const int, const int, const int, float *__restrict, float *__restrict, scalar_t *__restrict, OUTT *__restrict, int, const float *, const float *) [scalar_t = __hip_bfloat16, cache_t = __hip_bfloat16, KV_DTYPE = vllm::Fp8KVCacheDataType::kAuto, OUTT = unsigned char, BLOCK_SIZE = 32, HEAD_SIZE = 128, NUM_THREADS = 256, ALIBI_ENABLED = false, GQA_RATIO = 9]"
	.size	__PRETTY_FUNCTION__._Z39paged_attention_ll4mi_QKV_mfma16_kernelI14__hip_bfloat16S0_LN4vllm18Fp8KVCacheDataTypeE0EhLi32ELi128ELi256ELb0ELi9EEvPKT_PKT0_S8_ifPKiSA_SA_iPKfiiiPfSD_PS3_PT2_iSC_SC_, 613

	.type	__PRETTY_FUNCTION__._Z39paged_attention_ll4mi_QKV_mfma16_kernelI14__hip_bfloat16S0_LN4vllm18Fp8KVCacheDataTypeE0EhLi32ELi128ELi256ELb0ELi10EEvPKT_PKT0_S8_ifPKiSA_SA_iPKfiiiPfSD_PS3_PT2_iSC_SC_,@object ; @__PRETTY_FUNCTION__._Z39paged_attention_ll4mi_QKV_mfma16_kernelI14__hip_bfloat16S0_LN4vllm18Fp8KVCacheDataTypeE0EhLi32ELi128ELi256ELb0ELi10EEvPKT_PKT0_S8_ifPKiSA_SA_iPKfiiiPfSD_PS3_PT2_iSC_SC_
__PRETTY_FUNCTION__._Z39paged_attention_ll4mi_QKV_mfma16_kernelI14__hip_bfloat16S0_LN4vllm18Fp8KVCacheDataTypeE0EhLi32ELi128ELi256ELb0ELi10EEvPKT_PKT0_S8_ifPKiSA_SA_iPKfiiiPfSD_PS3_PT2_iSC_SC_:
	.asciz	"void paged_attention_ll4mi_QKV_mfma16_kernel(const scalar_t *__restrict, const cache_t *__restrict, const cache_t *__restrict, const int, const float, const int *__restrict, const int *__restrict, const int *__restrict, const int, const float *__restrict, const int, const int, const int, float *__restrict, float *__restrict, scalar_t *__restrict, OUTT *__restrict, int, const float *, const float *) [scalar_t = __hip_bfloat16, cache_t = __hip_bfloat16, KV_DTYPE = vllm::Fp8KVCacheDataType::kAuto, OUTT = unsigned char, BLOCK_SIZE = 32, HEAD_SIZE = 128, NUM_THREADS = 256, ALIBI_ENABLED = false, GQA_RATIO = 10]"
	.size	__PRETTY_FUNCTION__._Z39paged_attention_ll4mi_QKV_mfma16_kernelI14__hip_bfloat16S0_LN4vllm18Fp8KVCacheDataTypeE0EhLi32ELi128ELi256ELb0ELi10EEvPKT_PKT0_S8_ifPKiSA_SA_iPKfiiiPfSD_PS3_PT2_iSC_SC_, 614

	.type	__PRETTY_FUNCTION__._Z39paged_attention_ll4mi_QKV_mfma16_kernelI14__hip_bfloat16S0_LN4vllm18Fp8KVCacheDataTypeE0EhLi32ELi128ELi256ELb0ELi11EEvPKT_PKT0_S8_ifPKiSA_SA_iPKfiiiPfSD_PS3_PT2_iSC_SC_,@object ; @__PRETTY_FUNCTION__._Z39paged_attention_ll4mi_QKV_mfma16_kernelI14__hip_bfloat16S0_LN4vllm18Fp8KVCacheDataTypeE0EhLi32ELi128ELi256ELb0ELi11EEvPKT_PKT0_S8_ifPKiSA_SA_iPKfiiiPfSD_PS3_PT2_iSC_SC_
__PRETTY_FUNCTION__._Z39paged_attention_ll4mi_QKV_mfma16_kernelI14__hip_bfloat16S0_LN4vllm18Fp8KVCacheDataTypeE0EhLi32ELi128ELi256ELb0ELi11EEvPKT_PKT0_S8_ifPKiSA_SA_iPKfiiiPfSD_PS3_PT2_iSC_SC_:
	.asciz	"void paged_attention_ll4mi_QKV_mfma16_kernel(const scalar_t *__restrict, const cache_t *__restrict, const cache_t *__restrict, const int, const float, const int *__restrict, const int *__restrict, const int *__restrict, const int, const float *__restrict, const int, const int, const int, float *__restrict, float *__restrict, scalar_t *__restrict, OUTT *__restrict, int, const float *, const float *) [scalar_t = __hip_bfloat16, cache_t = __hip_bfloat16, KV_DTYPE = vllm::Fp8KVCacheDataType::kAuto, OUTT = unsigned char, BLOCK_SIZE = 32, HEAD_SIZE = 128, NUM_THREADS = 256, ALIBI_ENABLED = false, GQA_RATIO = 11]"
	.size	__PRETTY_FUNCTION__._Z39paged_attention_ll4mi_QKV_mfma16_kernelI14__hip_bfloat16S0_LN4vllm18Fp8KVCacheDataTypeE0EhLi32ELi128ELi256ELb0ELi11EEvPKT_PKT0_S8_ifPKiSA_SA_iPKfiiiPfSD_PS3_PT2_iSC_SC_, 614

	.type	__PRETTY_FUNCTION__._Z39paged_attention_ll4mi_QKV_mfma16_kernelI14__hip_bfloat16S0_LN4vllm18Fp8KVCacheDataTypeE0EhLi32ELi128ELi256ELb0ELi12EEvPKT_PKT0_S8_ifPKiSA_SA_iPKfiiiPfSD_PS3_PT2_iSC_SC_,@object ; @__PRETTY_FUNCTION__._Z39paged_attention_ll4mi_QKV_mfma16_kernelI14__hip_bfloat16S0_LN4vllm18Fp8KVCacheDataTypeE0EhLi32ELi128ELi256ELb0ELi12EEvPKT_PKT0_S8_ifPKiSA_SA_iPKfiiiPfSD_PS3_PT2_iSC_SC_
__PRETTY_FUNCTION__._Z39paged_attention_ll4mi_QKV_mfma16_kernelI14__hip_bfloat16S0_LN4vllm18Fp8KVCacheDataTypeE0EhLi32ELi128ELi256ELb0ELi12EEvPKT_PKT0_S8_ifPKiSA_SA_iPKfiiiPfSD_PS3_PT2_iSC_SC_:
	.asciz	"void paged_attention_ll4mi_QKV_mfma16_kernel(const scalar_t *__restrict, const cache_t *__restrict, const cache_t *__restrict, const int, const float, const int *__restrict, const int *__restrict, const int *__restrict, const int, const float *__restrict, const int, const int, const int, float *__restrict, float *__restrict, scalar_t *__restrict, OUTT *__restrict, int, const float *, const float *) [scalar_t = __hip_bfloat16, cache_t = __hip_bfloat16, KV_DTYPE = vllm::Fp8KVCacheDataType::kAuto, OUTT = unsigned char, BLOCK_SIZE = 32, HEAD_SIZE = 128, NUM_THREADS = 256, ALIBI_ENABLED = false, GQA_RATIO = 12]"
	.size	__PRETTY_FUNCTION__._Z39paged_attention_ll4mi_QKV_mfma16_kernelI14__hip_bfloat16S0_LN4vllm18Fp8KVCacheDataTypeE0EhLi32ELi128ELi256ELb0ELi12EEvPKT_PKT0_S8_ifPKiSA_SA_iPKfiiiPfSD_PS3_PT2_iSC_SC_, 614

	.type	__PRETTY_FUNCTION__._Z39paged_attention_ll4mi_QKV_mfma16_kernelI14__hip_bfloat16S0_LN4vllm18Fp8KVCacheDataTypeE0EhLi32ELi128ELi256ELb0ELi13EEvPKT_PKT0_S8_ifPKiSA_SA_iPKfiiiPfSD_PS3_PT2_iSC_SC_,@object ; @__PRETTY_FUNCTION__._Z39paged_attention_ll4mi_QKV_mfma16_kernelI14__hip_bfloat16S0_LN4vllm18Fp8KVCacheDataTypeE0EhLi32ELi128ELi256ELb0ELi13EEvPKT_PKT0_S8_ifPKiSA_SA_iPKfiiiPfSD_PS3_PT2_iSC_SC_
__PRETTY_FUNCTION__._Z39paged_attention_ll4mi_QKV_mfma16_kernelI14__hip_bfloat16S0_LN4vllm18Fp8KVCacheDataTypeE0EhLi32ELi128ELi256ELb0ELi13EEvPKT_PKT0_S8_ifPKiSA_SA_iPKfiiiPfSD_PS3_PT2_iSC_SC_:
	.asciz	"void paged_attention_ll4mi_QKV_mfma16_kernel(const scalar_t *__restrict, const cache_t *__restrict, const cache_t *__restrict, const int, const float, const int *__restrict, const int *__restrict, const int *__restrict, const int, const float *__restrict, const int, const int, const int, float *__restrict, float *__restrict, scalar_t *__restrict, OUTT *__restrict, int, const float *, const float *) [scalar_t = __hip_bfloat16, cache_t = __hip_bfloat16, KV_DTYPE = vllm::Fp8KVCacheDataType::kAuto, OUTT = unsigned char, BLOCK_SIZE = 32, HEAD_SIZE = 128, NUM_THREADS = 256, ALIBI_ENABLED = false, GQA_RATIO = 13]"
	.size	__PRETTY_FUNCTION__._Z39paged_attention_ll4mi_QKV_mfma16_kernelI14__hip_bfloat16S0_LN4vllm18Fp8KVCacheDataTypeE0EhLi32ELi128ELi256ELb0ELi13EEvPKT_PKT0_S8_ifPKiSA_SA_iPKfiiiPfSD_PS3_PT2_iSC_SC_, 614

	.type	__PRETTY_FUNCTION__._Z39paged_attention_ll4mi_QKV_mfma16_kernelI14__hip_bfloat16S0_LN4vllm18Fp8KVCacheDataTypeE0EhLi32ELi128ELi256ELb0ELi14EEvPKT_PKT0_S8_ifPKiSA_SA_iPKfiiiPfSD_PS3_PT2_iSC_SC_,@object ; @__PRETTY_FUNCTION__._Z39paged_attention_ll4mi_QKV_mfma16_kernelI14__hip_bfloat16S0_LN4vllm18Fp8KVCacheDataTypeE0EhLi32ELi128ELi256ELb0ELi14EEvPKT_PKT0_S8_ifPKiSA_SA_iPKfiiiPfSD_PS3_PT2_iSC_SC_
__PRETTY_FUNCTION__._Z39paged_attention_ll4mi_QKV_mfma16_kernelI14__hip_bfloat16S0_LN4vllm18Fp8KVCacheDataTypeE0EhLi32ELi128ELi256ELb0ELi14EEvPKT_PKT0_S8_ifPKiSA_SA_iPKfiiiPfSD_PS3_PT2_iSC_SC_:
	.asciz	"void paged_attention_ll4mi_QKV_mfma16_kernel(const scalar_t *__restrict, const cache_t *__restrict, const cache_t *__restrict, const int, const float, const int *__restrict, const int *__restrict, const int *__restrict, const int, const float *__restrict, const int, const int, const int, float *__restrict, float *__restrict, scalar_t *__restrict, OUTT *__restrict, int, const float *, const float *) [scalar_t = __hip_bfloat16, cache_t = __hip_bfloat16, KV_DTYPE = vllm::Fp8KVCacheDataType::kAuto, OUTT = unsigned char, BLOCK_SIZE = 32, HEAD_SIZE = 128, NUM_THREADS = 256, ALIBI_ENABLED = false, GQA_RATIO = 14]"
	.size	__PRETTY_FUNCTION__._Z39paged_attention_ll4mi_QKV_mfma16_kernelI14__hip_bfloat16S0_LN4vllm18Fp8KVCacheDataTypeE0EhLi32ELi128ELi256ELb0ELi14EEvPKT_PKT0_S8_ifPKiSA_SA_iPKfiiiPfSD_PS3_PT2_iSC_SC_, 614

	.type	__PRETTY_FUNCTION__._Z39paged_attention_ll4mi_QKV_mfma16_kernelI14__hip_bfloat16S0_LN4vllm18Fp8KVCacheDataTypeE0EhLi32ELi128ELi256ELb0ELi15EEvPKT_PKT0_S8_ifPKiSA_SA_iPKfiiiPfSD_PS3_PT2_iSC_SC_,@object ; @__PRETTY_FUNCTION__._Z39paged_attention_ll4mi_QKV_mfma16_kernelI14__hip_bfloat16S0_LN4vllm18Fp8KVCacheDataTypeE0EhLi32ELi128ELi256ELb0ELi15EEvPKT_PKT0_S8_ifPKiSA_SA_iPKfiiiPfSD_PS3_PT2_iSC_SC_
__PRETTY_FUNCTION__._Z39paged_attention_ll4mi_QKV_mfma16_kernelI14__hip_bfloat16S0_LN4vllm18Fp8KVCacheDataTypeE0EhLi32ELi128ELi256ELb0ELi15EEvPKT_PKT0_S8_ifPKiSA_SA_iPKfiiiPfSD_PS3_PT2_iSC_SC_:
	.asciz	"void paged_attention_ll4mi_QKV_mfma16_kernel(const scalar_t *__restrict, const cache_t *__restrict, const cache_t *__restrict, const int, const float, const int *__restrict, const int *__restrict, const int *__restrict, const int, const float *__restrict, const int, const int, const int, float *__restrict, float *__restrict, scalar_t *__restrict, OUTT *__restrict, int, const float *, const float *) [scalar_t = __hip_bfloat16, cache_t = __hip_bfloat16, KV_DTYPE = vllm::Fp8KVCacheDataType::kAuto, OUTT = unsigned char, BLOCK_SIZE = 32, HEAD_SIZE = 128, NUM_THREADS = 256, ALIBI_ENABLED = false, GQA_RATIO = 15]"
	.size	__PRETTY_FUNCTION__._Z39paged_attention_ll4mi_QKV_mfma16_kernelI14__hip_bfloat16S0_LN4vllm18Fp8KVCacheDataTypeE0EhLi32ELi128ELi256ELb0ELi15EEvPKT_PKT0_S8_ifPKiSA_SA_iPKfiiiPfSD_PS3_PT2_iSC_SC_, 614

	.type	__PRETTY_FUNCTION__._Z39paged_attention_ll4mi_QKV_mfma16_kernelI14__hip_bfloat16S0_LN4vllm18Fp8KVCacheDataTypeE0EhLi32ELi128ELi256ELb0ELi16EEvPKT_PKT0_S8_ifPKiSA_SA_iPKfiiiPfSD_PS3_PT2_iSC_SC_,@object ; @__PRETTY_FUNCTION__._Z39paged_attention_ll4mi_QKV_mfma16_kernelI14__hip_bfloat16S0_LN4vllm18Fp8KVCacheDataTypeE0EhLi32ELi128ELi256ELb0ELi16EEvPKT_PKT0_S8_ifPKiSA_SA_iPKfiiiPfSD_PS3_PT2_iSC_SC_
__PRETTY_FUNCTION__._Z39paged_attention_ll4mi_QKV_mfma16_kernelI14__hip_bfloat16S0_LN4vllm18Fp8KVCacheDataTypeE0EhLi32ELi128ELi256ELb0ELi16EEvPKT_PKT0_S8_ifPKiSA_SA_iPKfiiiPfSD_PS3_PT2_iSC_SC_:
	.asciz	"void paged_attention_ll4mi_QKV_mfma16_kernel(const scalar_t *__restrict, const cache_t *__restrict, const cache_t *__restrict, const int, const float, const int *__restrict, const int *__restrict, const int *__restrict, const int, const float *__restrict, const int, const int, const int, float *__restrict, float *__restrict, scalar_t *__restrict, OUTT *__restrict, int, const float *, const float *) [scalar_t = __hip_bfloat16, cache_t = __hip_bfloat16, KV_DTYPE = vllm::Fp8KVCacheDataType::kAuto, OUTT = unsigned char, BLOCK_SIZE = 32, HEAD_SIZE = 128, NUM_THREADS = 256, ALIBI_ENABLED = false, GQA_RATIO = 16]"
	.size	__PRETTY_FUNCTION__._Z39paged_attention_ll4mi_QKV_mfma16_kernelI14__hip_bfloat16S0_LN4vllm18Fp8KVCacheDataTypeE0EhLi32ELi128ELi256ELb0ELi16EEvPKT_PKT0_S8_ifPKiSA_SA_iPKfiiiPfSD_PS3_PT2_iSC_SC_, 614

	.type	__PRETTY_FUNCTION__._Z39paged_attention_ll4mi_QKV_mfma16_kernelI14__hip_bfloat16S0_LN4vllm18Fp8KVCacheDataTypeE0EhLi32ELi128ELi256ELb0ELi1EEvPKT_PKT0_S8_ifPKiSA_SA_iPKfiiiPfSD_PS3_PT2_iSC_SC_,@object ; @__PRETTY_FUNCTION__._Z39paged_attention_ll4mi_QKV_mfma16_kernelI14__hip_bfloat16S0_LN4vllm18Fp8KVCacheDataTypeE0EhLi32ELi128ELi256ELb0ELi1EEvPKT_PKT0_S8_ifPKiSA_SA_iPKfiiiPfSD_PS3_PT2_iSC_SC_
__PRETTY_FUNCTION__._Z39paged_attention_ll4mi_QKV_mfma16_kernelI14__hip_bfloat16S0_LN4vllm18Fp8KVCacheDataTypeE0EhLi32ELi128ELi256ELb0ELi1EEvPKT_PKT0_S8_ifPKiSA_SA_iPKfiiiPfSD_PS3_PT2_iSC_SC_:
	.asciz	"void paged_attention_ll4mi_QKV_mfma16_kernel(const scalar_t *__restrict, const cache_t *__restrict, const cache_t *__restrict, const int, const float, const int *__restrict, const int *__restrict, const int *__restrict, const int, const float *__restrict, const int, const int, const int, float *__restrict, float *__restrict, scalar_t *__restrict, OUTT *__restrict, int, const float *, const float *) [scalar_t = __hip_bfloat16, cache_t = __hip_bfloat16, KV_DTYPE = vllm::Fp8KVCacheDataType::kAuto, OUTT = unsigned char, BLOCK_SIZE = 32, HEAD_SIZE = 128, NUM_THREADS = 256, ALIBI_ENABLED = false, GQA_RATIO = 1]"
	.size	__PRETTY_FUNCTION__._Z39paged_attention_ll4mi_QKV_mfma16_kernelI14__hip_bfloat16S0_LN4vllm18Fp8KVCacheDataTypeE0EhLi32ELi128ELi256ELb0ELi1EEvPKT_PKT0_S8_ifPKiSA_SA_iPKfiiiPfSD_PS3_PT2_iSC_SC_, 613

	.type	__PRETTY_FUNCTION__._Z39paged_attention_ll4mi_QKV_mfma16_kernelI14__hip_bfloat16S0_LN4vllm18Fp8KVCacheDataTypeE0EhLi32ELi128ELi256ELb0ELi2EEvPKT_PKT0_S8_ifPKiSA_SA_iPKfiiiPfSD_PS3_PT2_iSC_SC_,@object ; @__PRETTY_FUNCTION__._Z39paged_attention_ll4mi_QKV_mfma16_kernelI14__hip_bfloat16S0_LN4vllm18Fp8KVCacheDataTypeE0EhLi32ELi128ELi256ELb0ELi2EEvPKT_PKT0_S8_ifPKiSA_SA_iPKfiiiPfSD_PS3_PT2_iSC_SC_
__PRETTY_FUNCTION__._Z39paged_attention_ll4mi_QKV_mfma16_kernelI14__hip_bfloat16S0_LN4vllm18Fp8KVCacheDataTypeE0EhLi32ELi128ELi256ELb0ELi2EEvPKT_PKT0_S8_ifPKiSA_SA_iPKfiiiPfSD_PS3_PT2_iSC_SC_:
	.asciz	"void paged_attention_ll4mi_QKV_mfma16_kernel(const scalar_t *__restrict, const cache_t *__restrict, const cache_t *__restrict, const int, const float, const int *__restrict, const int *__restrict, const int *__restrict, const int, const float *__restrict, const int, const int, const int, float *__restrict, float *__restrict, scalar_t *__restrict, OUTT *__restrict, int, const float *, const float *) [scalar_t = __hip_bfloat16, cache_t = __hip_bfloat16, KV_DTYPE = vllm::Fp8KVCacheDataType::kAuto, OUTT = unsigned char, BLOCK_SIZE = 32, HEAD_SIZE = 128, NUM_THREADS = 256, ALIBI_ENABLED = false, GQA_RATIO = 2]"
	.size	__PRETTY_FUNCTION__._Z39paged_attention_ll4mi_QKV_mfma16_kernelI14__hip_bfloat16S0_LN4vllm18Fp8KVCacheDataTypeE0EhLi32ELi128ELi256ELb0ELi2EEvPKT_PKT0_S8_ifPKiSA_SA_iPKfiiiPfSD_PS3_PT2_iSC_SC_, 613

	.type	__PRETTY_FUNCTION__._Z39paged_attention_ll4mi_QKV_mfma16_kernelI14__hip_bfloat16S0_LN4vllm18Fp8KVCacheDataTypeE0EhLi32ELi128ELi256ELb0ELi3EEvPKT_PKT0_S8_ifPKiSA_SA_iPKfiiiPfSD_PS3_PT2_iSC_SC_,@object ; @__PRETTY_FUNCTION__._Z39paged_attention_ll4mi_QKV_mfma16_kernelI14__hip_bfloat16S0_LN4vllm18Fp8KVCacheDataTypeE0EhLi32ELi128ELi256ELb0ELi3EEvPKT_PKT0_S8_ifPKiSA_SA_iPKfiiiPfSD_PS3_PT2_iSC_SC_
__PRETTY_FUNCTION__._Z39paged_attention_ll4mi_QKV_mfma16_kernelI14__hip_bfloat16S0_LN4vllm18Fp8KVCacheDataTypeE0EhLi32ELi128ELi256ELb0ELi3EEvPKT_PKT0_S8_ifPKiSA_SA_iPKfiiiPfSD_PS3_PT2_iSC_SC_:
	.asciz	"void paged_attention_ll4mi_QKV_mfma16_kernel(const scalar_t *__restrict, const cache_t *__restrict, const cache_t *__restrict, const int, const float, const int *__restrict, const int *__restrict, const int *__restrict, const int, const float *__restrict, const int, const int, const int, float *__restrict, float *__restrict, scalar_t *__restrict, OUTT *__restrict, int, const float *, const float *) [scalar_t = __hip_bfloat16, cache_t = __hip_bfloat16, KV_DTYPE = vllm::Fp8KVCacheDataType::kAuto, OUTT = unsigned char, BLOCK_SIZE = 32, HEAD_SIZE = 128, NUM_THREADS = 256, ALIBI_ENABLED = false, GQA_RATIO = 3]"
	.size	__PRETTY_FUNCTION__._Z39paged_attention_ll4mi_QKV_mfma16_kernelI14__hip_bfloat16S0_LN4vllm18Fp8KVCacheDataTypeE0EhLi32ELi128ELi256ELb0ELi3EEvPKT_PKT0_S8_ifPKiSA_SA_iPKfiiiPfSD_PS3_PT2_iSC_SC_, 613

	.type	__PRETTY_FUNCTION__._Z39paged_attention_ll4mi_QKV_mfma16_kernelI14__hip_bfloat16S0_LN4vllm18Fp8KVCacheDataTypeE0EhLi32ELi128ELi256ELb0ELi4EEvPKT_PKT0_S8_ifPKiSA_SA_iPKfiiiPfSD_PS3_PT2_iSC_SC_,@object ; @__PRETTY_FUNCTION__._Z39paged_attention_ll4mi_QKV_mfma16_kernelI14__hip_bfloat16S0_LN4vllm18Fp8KVCacheDataTypeE0EhLi32ELi128ELi256ELb0ELi4EEvPKT_PKT0_S8_ifPKiSA_SA_iPKfiiiPfSD_PS3_PT2_iSC_SC_
__PRETTY_FUNCTION__._Z39paged_attention_ll4mi_QKV_mfma16_kernelI14__hip_bfloat16S0_LN4vllm18Fp8KVCacheDataTypeE0EhLi32ELi128ELi256ELb0ELi4EEvPKT_PKT0_S8_ifPKiSA_SA_iPKfiiiPfSD_PS3_PT2_iSC_SC_:
	.asciz	"void paged_attention_ll4mi_QKV_mfma16_kernel(const scalar_t *__restrict, const cache_t *__restrict, const cache_t *__restrict, const int, const float, const int *__restrict, const int *__restrict, const int *__restrict, const int, const float *__restrict, const int, const int, const int, float *__restrict, float *__restrict, scalar_t *__restrict, OUTT *__restrict, int, const float *, const float *) [scalar_t = __hip_bfloat16, cache_t = __hip_bfloat16, KV_DTYPE = vllm::Fp8KVCacheDataType::kAuto, OUTT = unsigned char, BLOCK_SIZE = 32, HEAD_SIZE = 128, NUM_THREADS = 256, ALIBI_ENABLED = false, GQA_RATIO = 4]"
	.size	__PRETTY_FUNCTION__._Z39paged_attention_ll4mi_QKV_mfma16_kernelI14__hip_bfloat16S0_LN4vllm18Fp8KVCacheDataTypeE0EhLi32ELi128ELi256ELb0ELi4EEvPKT_PKT0_S8_ifPKiSA_SA_iPKfiiiPfSD_PS3_PT2_iSC_SC_, 613

	.type	__PRETTY_FUNCTION__._Z38paged_attention_ll4mi_QKV_mfma4_kernelI14__hip_bfloat16S0_LN4vllm18Fp8KVCacheDataTypeE0ES0_Li32ELi128ELi256ELb1ELi1EEvPKT_PKT0_S8_ifPKiSA_SA_iPKfiiiPfSD_PS3_PT2_iSC_SC_,@object ; @__PRETTY_FUNCTION__._Z38paged_attention_ll4mi_QKV_mfma4_kernelI14__hip_bfloat16S0_LN4vllm18Fp8KVCacheDataTypeE0ES0_Li32ELi128ELi256ELb1ELi1EEvPKT_PKT0_S8_ifPKiSA_SA_iPKfiiiPfSD_PS3_PT2_iSC_SC_
__PRETTY_FUNCTION__._Z38paged_attention_ll4mi_QKV_mfma4_kernelI14__hip_bfloat16S0_LN4vllm18Fp8KVCacheDataTypeE0ES0_Li32ELi128ELi256ELb1ELi1EEvPKT_PKT0_S8_ifPKiSA_SA_iPKfiiiPfSD_PS3_PT2_iSC_SC_:
	.asciz	"void paged_attention_ll4mi_QKV_mfma4_kernel(const scalar_t *__restrict, const cache_t *__restrict, const cache_t *__restrict, const int, const float, const int *__restrict, const int *__restrict, const int *__restrict, const int, const float *__restrict, const int, const int, const int, float *__restrict, float *__restrict, scalar_t *__restrict, OUTT *__restrict, int, const float *, const float *) [scalar_t = __hip_bfloat16, cache_t = __hip_bfloat16, KV_DTYPE = vllm::Fp8KVCacheDataType::kAuto, OUTT = __hip_bfloat16, BLOCK_SIZE = 32, HEAD_SIZE = 128, NUM_THREADS = 256, ALIBI_ENABLED = true, GQA_RATIO = 1]"
	.size	__PRETTY_FUNCTION__._Z38paged_attention_ll4mi_QKV_mfma4_kernelI14__hip_bfloat16S0_LN4vllm18Fp8KVCacheDataTypeE0ES0_Li32ELi128ELi256ELb1ELi1EEvPKT_PKT0_S8_ifPKiSA_SA_iPKfiiiPfSD_PS3_PT2_iSC_SC_, 612

	.type	__PRETTY_FUNCTION__._Z38paged_attention_ll4mi_QKV_mfma4_kernelI14__hip_bfloat16S0_LN4vllm18Fp8KVCacheDataTypeE0ES0_Li32ELi128ELi256ELb1ELi2EEvPKT_PKT0_S8_ifPKiSA_SA_iPKfiiiPfSD_PS3_PT2_iSC_SC_,@object ; @__PRETTY_FUNCTION__._Z38paged_attention_ll4mi_QKV_mfma4_kernelI14__hip_bfloat16S0_LN4vllm18Fp8KVCacheDataTypeE0ES0_Li32ELi128ELi256ELb1ELi2EEvPKT_PKT0_S8_ifPKiSA_SA_iPKfiiiPfSD_PS3_PT2_iSC_SC_
__PRETTY_FUNCTION__._Z38paged_attention_ll4mi_QKV_mfma4_kernelI14__hip_bfloat16S0_LN4vllm18Fp8KVCacheDataTypeE0ES0_Li32ELi128ELi256ELb1ELi2EEvPKT_PKT0_S8_ifPKiSA_SA_iPKfiiiPfSD_PS3_PT2_iSC_SC_:
	.asciz	"void paged_attention_ll4mi_QKV_mfma4_kernel(const scalar_t *__restrict, const cache_t *__restrict, const cache_t *__restrict, const int, const float, const int *__restrict, const int *__restrict, const int *__restrict, const int, const float *__restrict, const int, const int, const int, float *__restrict, float *__restrict, scalar_t *__restrict, OUTT *__restrict, int, const float *, const float *) [scalar_t = __hip_bfloat16, cache_t = __hip_bfloat16, KV_DTYPE = vllm::Fp8KVCacheDataType::kAuto, OUTT = __hip_bfloat16, BLOCK_SIZE = 32, HEAD_SIZE = 128, NUM_THREADS = 256, ALIBI_ENABLED = true, GQA_RATIO = 2]"
	.size	__PRETTY_FUNCTION__._Z38paged_attention_ll4mi_QKV_mfma4_kernelI14__hip_bfloat16S0_LN4vllm18Fp8KVCacheDataTypeE0ES0_Li32ELi128ELi256ELb1ELi2EEvPKT_PKT0_S8_ifPKiSA_SA_iPKfiiiPfSD_PS3_PT2_iSC_SC_, 612

	.type	__PRETTY_FUNCTION__._Z38paged_attention_ll4mi_QKV_mfma4_kernelI14__hip_bfloat16S0_LN4vllm18Fp8KVCacheDataTypeE0ES0_Li32ELi128ELi256ELb1ELi3EEvPKT_PKT0_S8_ifPKiSA_SA_iPKfiiiPfSD_PS3_PT2_iSC_SC_,@object ; @__PRETTY_FUNCTION__._Z38paged_attention_ll4mi_QKV_mfma4_kernelI14__hip_bfloat16S0_LN4vllm18Fp8KVCacheDataTypeE0ES0_Li32ELi128ELi256ELb1ELi3EEvPKT_PKT0_S8_ifPKiSA_SA_iPKfiiiPfSD_PS3_PT2_iSC_SC_
__PRETTY_FUNCTION__._Z38paged_attention_ll4mi_QKV_mfma4_kernelI14__hip_bfloat16S0_LN4vllm18Fp8KVCacheDataTypeE0ES0_Li32ELi128ELi256ELb1ELi3EEvPKT_PKT0_S8_ifPKiSA_SA_iPKfiiiPfSD_PS3_PT2_iSC_SC_:
	.asciz	"void paged_attention_ll4mi_QKV_mfma4_kernel(const scalar_t *__restrict, const cache_t *__restrict, const cache_t *__restrict, const int, const float, const int *__restrict, const int *__restrict, const int *__restrict, const int, const float *__restrict, const int, const int, const int, float *__restrict, float *__restrict, scalar_t *__restrict, OUTT *__restrict, int, const float *, const float *) [scalar_t = __hip_bfloat16, cache_t = __hip_bfloat16, KV_DTYPE = vllm::Fp8KVCacheDataType::kAuto, OUTT = __hip_bfloat16, BLOCK_SIZE = 32, HEAD_SIZE = 128, NUM_THREADS = 256, ALIBI_ENABLED = true, GQA_RATIO = 3]"
	.size	__PRETTY_FUNCTION__._Z38paged_attention_ll4mi_QKV_mfma4_kernelI14__hip_bfloat16S0_LN4vllm18Fp8KVCacheDataTypeE0ES0_Li32ELi128ELi256ELb1ELi3EEvPKT_PKT0_S8_ifPKiSA_SA_iPKfiiiPfSD_PS3_PT2_iSC_SC_, 612

	.type	__PRETTY_FUNCTION__._Z38paged_attention_ll4mi_QKV_mfma4_kernelI14__hip_bfloat16S0_LN4vllm18Fp8KVCacheDataTypeE0ES0_Li32ELi128ELi256ELb1ELi4EEvPKT_PKT0_S8_ifPKiSA_SA_iPKfiiiPfSD_PS3_PT2_iSC_SC_,@object ; @__PRETTY_FUNCTION__._Z38paged_attention_ll4mi_QKV_mfma4_kernelI14__hip_bfloat16S0_LN4vllm18Fp8KVCacheDataTypeE0ES0_Li32ELi128ELi256ELb1ELi4EEvPKT_PKT0_S8_ifPKiSA_SA_iPKfiiiPfSD_PS3_PT2_iSC_SC_
__PRETTY_FUNCTION__._Z38paged_attention_ll4mi_QKV_mfma4_kernelI14__hip_bfloat16S0_LN4vllm18Fp8KVCacheDataTypeE0ES0_Li32ELi128ELi256ELb1ELi4EEvPKT_PKT0_S8_ifPKiSA_SA_iPKfiiiPfSD_PS3_PT2_iSC_SC_:
	.asciz	"void paged_attention_ll4mi_QKV_mfma4_kernel(const scalar_t *__restrict, const cache_t *__restrict, const cache_t *__restrict, const int, const float, const int *__restrict, const int *__restrict, const int *__restrict, const int, const float *__restrict, const int, const int, const int, float *__restrict, float *__restrict, scalar_t *__restrict, OUTT *__restrict, int, const float *, const float *) [scalar_t = __hip_bfloat16, cache_t = __hip_bfloat16, KV_DTYPE = vllm::Fp8KVCacheDataType::kAuto, OUTT = __hip_bfloat16, BLOCK_SIZE = 32, HEAD_SIZE = 128, NUM_THREADS = 256, ALIBI_ENABLED = true, GQA_RATIO = 4]"
	.size	__PRETTY_FUNCTION__._Z38paged_attention_ll4mi_QKV_mfma4_kernelI14__hip_bfloat16S0_LN4vllm18Fp8KVCacheDataTypeE0ES0_Li32ELi128ELi256ELb1ELi4EEvPKT_PKT0_S8_ifPKiSA_SA_iPKfiiiPfSD_PS3_PT2_iSC_SC_, 612

	.type	__PRETTY_FUNCTION__._Z39paged_attention_ll4mi_QKV_mfma16_kernelI14__hip_bfloat16S0_LN4vllm18Fp8KVCacheDataTypeE0ES0_Li32ELi128ELi256ELb1ELi5EEvPKT_PKT0_S8_ifPKiSA_SA_iPKfiiiPfSD_PS3_PT2_iSC_SC_,@object ; @__PRETTY_FUNCTION__._Z39paged_attention_ll4mi_QKV_mfma16_kernelI14__hip_bfloat16S0_LN4vllm18Fp8KVCacheDataTypeE0ES0_Li32ELi128ELi256ELb1ELi5EEvPKT_PKT0_S8_ifPKiSA_SA_iPKfiiiPfSD_PS3_PT2_iSC_SC_
__PRETTY_FUNCTION__._Z39paged_attention_ll4mi_QKV_mfma16_kernelI14__hip_bfloat16S0_LN4vllm18Fp8KVCacheDataTypeE0ES0_Li32ELi128ELi256ELb1ELi5EEvPKT_PKT0_S8_ifPKiSA_SA_iPKfiiiPfSD_PS3_PT2_iSC_SC_:
	.asciz	"void paged_attention_ll4mi_QKV_mfma16_kernel(const scalar_t *__restrict, const cache_t *__restrict, const cache_t *__restrict, const int, const float, const int *__restrict, const int *__restrict, const int *__restrict, const int, const float *__restrict, const int, const int, const int, float *__restrict, float *__restrict, scalar_t *__restrict, OUTT *__restrict, int, const float *, const float *) [scalar_t = __hip_bfloat16, cache_t = __hip_bfloat16, KV_DTYPE = vllm::Fp8KVCacheDataType::kAuto, OUTT = __hip_bfloat16, BLOCK_SIZE = 32, HEAD_SIZE = 128, NUM_THREADS = 256, ALIBI_ENABLED = true, GQA_RATIO = 5]"
	.size	__PRETTY_FUNCTION__._Z39paged_attention_ll4mi_QKV_mfma16_kernelI14__hip_bfloat16S0_LN4vllm18Fp8KVCacheDataTypeE0ES0_Li32ELi128ELi256ELb1ELi5EEvPKT_PKT0_S8_ifPKiSA_SA_iPKfiiiPfSD_PS3_PT2_iSC_SC_, 613

	.type	__PRETTY_FUNCTION__._Z39paged_attention_ll4mi_QKV_mfma16_kernelI14__hip_bfloat16S0_LN4vllm18Fp8KVCacheDataTypeE0ES0_Li32ELi128ELi256ELb1ELi6EEvPKT_PKT0_S8_ifPKiSA_SA_iPKfiiiPfSD_PS3_PT2_iSC_SC_,@object ; @__PRETTY_FUNCTION__._Z39paged_attention_ll4mi_QKV_mfma16_kernelI14__hip_bfloat16S0_LN4vllm18Fp8KVCacheDataTypeE0ES0_Li32ELi128ELi256ELb1ELi6EEvPKT_PKT0_S8_ifPKiSA_SA_iPKfiiiPfSD_PS3_PT2_iSC_SC_
__PRETTY_FUNCTION__._Z39paged_attention_ll4mi_QKV_mfma16_kernelI14__hip_bfloat16S0_LN4vllm18Fp8KVCacheDataTypeE0ES0_Li32ELi128ELi256ELb1ELi6EEvPKT_PKT0_S8_ifPKiSA_SA_iPKfiiiPfSD_PS3_PT2_iSC_SC_:
	.asciz	"void paged_attention_ll4mi_QKV_mfma16_kernel(const scalar_t *__restrict, const cache_t *__restrict, const cache_t *__restrict, const int, const float, const int *__restrict, const int *__restrict, const int *__restrict, const int, const float *__restrict, const int, const int, const int, float *__restrict, float *__restrict, scalar_t *__restrict, OUTT *__restrict, int, const float *, const float *) [scalar_t = __hip_bfloat16, cache_t = __hip_bfloat16, KV_DTYPE = vllm::Fp8KVCacheDataType::kAuto, OUTT = __hip_bfloat16, BLOCK_SIZE = 32, HEAD_SIZE = 128, NUM_THREADS = 256, ALIBI_ENABLED = true, GQA_RATIO = 6]"
	.size	__PRETTY_FUNCTION__._Z39paged_attention_ll4mi_QKV_mfma16_kernelI14__hip_bfloat16S0_LN4vllm18Fp8KVCacheDataTypeE0ES0_Li32ELi128ELi256ELb1ELi6EEvPKT_PKT0_S8_ifPKiSA_SA_iPKfiiiPfSD_PS3_PT2_iSC_SC_, 613

	.type	__PRETTY_FUNCTION__._Z39paged_attention_ll4mi_QKV_mfma16_kernelI14__hip_bfloat16S0_LN4vllm18Fp8KVCacheDataTypeE0ES0_Li32ELi128ELi256ELb1ELi7EEvPKT_PKT0_S8_ifPKiSA_SA_iPKfiiiPfSD_PS3_PT2_iSC_SC_,@object ; @__PRETTY_FUNCTION__._Z39paged_attention_ll4mi_QKV_mfma16_kernelI14__hip_bfloat16S0_LN4vllm18Fp8KVCacheDataTypeE0ES0_Li32ELi128ELi256ELb1ELi7EEvPKT_PKT0_S8_ifPKiSA_SA_iPKfiiiPfSD_PS3_PT2_iSC_SC_
__PRETTY_FUNCTION__._Z39paged_attention_ll4mi_QKV_mfma16_kernelI14__hip_bfloat16S0_LN4vllm18Fp8KVCacheDataTypeE0ES0_Li32ELi128ELi256ELb1ELi7EEvPKT_PKT0_S8_ifPKiSA_SA_iPKfiiiPfSD_PS3_PT2_iSC_SC_:
	.asciz	"void paged_attention_ll4mi_QKV_mfma16_kernel(const scalar_t *__restrict, const cache_t *__restrict, const cache_t *__restrict, const int, const float, const int *__restrict, const int *__restrict, const int *__restrict, const int, const float *__restrict, const int, const int, const int, float *__restrict, float *__restrict, scalar_t *__restrict, OUTT *__restrict, int, const float *, const float *) [scalar_t = __hip_bfloat16, cache_t = __hip_bfloat16, KV_DTYPE = vllm::Fp8KVCacheDataType::kAuto, OUTT = __hip_bfloat16, BLOCK_SIZE = 32, HEAD_SIZE = 128, NUM_THREADS = 256, ALIBI_ENABLED = true, GQA_RATIO = 7]"
	.size	__PRETTY_FUNCTION__._Z39paged_attention_ll4mi_QKV_mfma16_kernelI14__hip_bfloat16S0_LN4vllm18Fp8KVCacheDataTypeE0ES0_Li32ELi128ELi256ELb1ELi7EEvPKT_PKT0_S8_ifPKiSA_SA_iPKfiiiPfSD_PS3_PT2_iSC_SC_, 613

	.type	__PRETTY_FUNCTION__._Z39paged_attention_ll4mi_QKV_mfma16_kernelI14__hip_bfloat16S0_LN4vllm18Fp8KVCacheDataTypeE0ES0_Li32ELi128ELi256ELb1ELi8EEvPKT_PKT0_S8_ifPKiSA_SA_iPKfiiiPfSD_PS3_PT2_iSC_SC_,@object ; @__PRETTY_FUNCTION__._Z39paged_attention_ll4mi_QKV_mfma16_kernelI14__hip_bfloat16S0_LN4vllm18Fp8KVCacheDataTypeE0ES0_Li32ELi128ELi256ELb1ELi8EEvPKT_PKT0_S8_ifPKiSA_SA_iPKfiiiPfSD_PS3_PT2_iSC_SC_
__PRETTY_FUNCTION__._Z39paged_attention_ll4mi_QKV_mfma16_kernelI14__hip_bfloat16S0_LN4vllm18Fp8KVCacheDataTypeE0ES0_Li32ELi128ELi256ELb1ELi8EEvPKT_PKT0_S8_ifPKiSA_SA_iPKfiiiPfSD_PS3_PT2_iSC_SC_:
	.asciz	"void paged_attention_ll4mi_QKV_mfma16_kernel(const scalar_t *__restrict, const cache_t *__restrict, const cache_t *__restrict, const int, const float, const int *__restrict, const int *__restrict, const int *__restrict, const int, const float *__restrict, const int, const int, const int, float *__restrict, float *__restrict, scalar_t *__restrict, OUTT *__restrict, int, const float *, const float *) [scalar_t = __hip_bfloat16, cache_t = __hip_bfloat16, KV_DTYPE = vllm::Fp8KVCacheDataType::kAuto, OUTT = __hip_bfloat16, BLOCK_SIZE = 32, HEAD_SIZE = 128, NUM_THREADS = 256, ALIBI_ENABLED = true, GQA_RATIO = 8]"
	.size	__PRETTY_FUNCTION__._Z39paged_attention_ll4mi_QKV_mfma16_kernelI14__hip_bfloat16S0_LN4vllm18Fp8KVCacheDataTypeE0ES0_Li32ELi128ELi256ELb1ELi8EEvPKT_PKT0_S8_ifPKiSA_SA_iPKfiiiPfSD_PS3_PT2_iSC_SC_, 613

	.type	__PRETTY_FUNCTION__._Z39paged_attention_ll4mi_QKV_mfma16_kernelI14__hip_bfloat16S0_LN4vllm18Fp8KVCacheDataTypeE0ES0_Li32ELi128ELi256ELb1ELi9EEvPKT_PKT0_S8_ifPKiSA_SA_iPKfiiiPfSD_PS3_PT2_iSC_SC_,@object ; @__PRETTY_FUNCTION__._Z39paged_attention_ll4mi_QKV_mfma16_kernelI14__hip_bfloat16S0_LN4vllm18Fp8KVCacheDataTypeE0ES0_Li32ELi128ELi256ELb1ELi9EEvPKT_PKT0_S8_ifPKiSA_SA_iPKfiiiPfSD_PS3_PT2_iSC_SC_
__PRETTY_FUNCTION__._Z39paged_attention_ll4mi_QKV_mfma16_kernelI14__hip_bfloat16S0_LN4vllm18Fp8KVCacheDataTypeE0ES0_Li32ELi128ELi256ELb1ELi9EEvPKT_PKT0_S8_ifPKiSA_SA_iPKfiiiPfSD_PS3_PT2_iSC_SC_:
	.asciz	"void paged_attention_ll4mi_QKV_mfma16_kernel(const scalar_t *__restrict, const cache_t *__restrict, const cache_t *__restrict, const int, const float, const int *__restrict, const int *__restrict, const int *__restrict, const int, const float *__restrict, const int, const int, const int, float *__restrict, float *__restrict, scalar_t *__restrict, OUTT *__restrict, int, const float *, const float *) [scalar_t = __hip_bfloat16, cache_t = __hip_bfloat16, KV_DTYPE = vllm::Fp8KVCacheDataType::kAuto, OUTT = __hip_bfloat16, BLOCK_SIZE = 32, HEAD_SIZE = 128, NUM_THREADS = 256, ALIBI_ENABLED = true, GQA_RATIO = 9]"
	.size	__PRETTY_FUNCTION__._Z39paged_attention_ll4mi_QKV_mfma16_kernelI14__hip_bfloat16S0_LN4vllm18Fp8KVCacheDataTypeE0ES0_Li32ELi128ELi256ELb1ELi9EEvPKT_PKT0_S8_ifPKiSA_SA_iPKfiiiPfSD_PS3_PT2_iSC_SC_, 613

	.type	__PRETTY_FUNCTION__._Z39paged_attention_ll4mi_QKV_mfma16_kernelI14__hip_bfloat16S0_LN4vllm18Fp8KVCacheDataTypeE0ES0_Li32ELi128ELi256ELb1ELi10EEvPKT_PKT0_S8_ifPKiSA_SA_iPKfiiiPfSD_PS3_PT2_iSC_SC_,@object ; @__PRETTY_FUNCTION__._Z39paged_attention_ll4mi_QKV_mfma16_kernelI14__hip_bfloat16S0_LN4vllm18Fp8KVCacheDataTypeE0ES0_Li32ELi128ELi256ELb1ELi10EEvPKT_PKT0_S8_ifPKiSA_SA_iPKfiiiPfSD_PS3_PT2_iSC_SC_
__PRETTY_FUNCTION__._Z39paged_attention_ll4mi_QKV_mfma16_kernelI14__hip_bfloat16S0_LN4vllm18Fp8KVCacheDataTypeE0ES0_Li32ELi128ELi256ELb1ELi10EEvPKT_PKT0_S8_ifPKiSA_SA_iPKfiiiPfSD_PS3_PT2_iSC_SC_:
	.asciz	"void paged_attention_ll4mi_QKV_mfma16_kernel(const scalar_t *__restrict, const cache_t *__restrict, const cache_t *__restrict, const int, const float, const int *__restrict, const int *__restrict, const int *__restrict, const int, const float *__restrict, const int, const int, const int, float *__restrict, float *__restrict, scalar_t *__restrict, OUTT *__restrict, int, const float *, const float *) [scalar_t = __hip_bfloat16, cache_t = __hip_bfloat16, KV_DTYPE = vllm::Fp8KVCacheDataType::kAuto, OUTT = __hip_bfloat16, BLOCK_SIZE = 32, HEAD_SIZE = 128, NUM_THREADS = 256, ALIBI_ENABLED = true, GQA_RATIO = 10]"
	.size	__PRETTY_FUNCTION__._Z39paged_attention_ll4mi_QKV_mfma16_kernelI14__hip_bfloat16S0_LN4vllm18Fp8KVCacheDataTypeE0ES0_Li32ELi128ELi256ELb1ELi10EEvPKT_PKT0_S8_ifPKiSA_SA_iPKfiiiPfSD_PS3_PT2_iSC_SC_, 614

	.type	__PRETTY_FUNCTION__._Z39paged_attention_ll4mi_QKV_mfma16_kernelI14__hip_bfloat16S0_LN4vllm18Fp8KVCacheDataTypeE0ES0_Li32ELi128ELi256ELb1ELi11EEvPKT_PKT0_S8_ifPKiSA_SA_iPKfiiiPfSD_PS3_PT2_iSC_SC_,@object ; @__PRETTY_FUNCTION__._Z39paged_attention_ll4mi_QKV_mfma16_kernelI14__hip_bfloat16S0_LN4vllm18Fp8KVCacheDataTypeE0ES0_Li32ELi128ELi256ELb1ELi11EEvPKT_PKT0_S8_ifPKiSA_SA_iPKfiiiPfSD_PS3_PT2_iSC_SC_
__PRETTY_FUNCTION__._Z39paged_attention_ll4mi_QKV_mfma16_kernelI14__hip_bfloat16S0_LN4vllm18Fp8KVCacheDataTypeE0ES0_Li32ELi128ELi256ELb1ELi11EEvPKT_PKT0_S8_ifPKiSA_SA_iPKfiiiPfSD_PS3_PT2_iSC_SC_:
	.asciz	"void paged_attention_ll4mi_QKV_mfma16_kernel(const scalar_t *__restrict, const cache_t *__restrict, const cache_t *__restrict, const int, const float, const int *__restrict, const int *__restrict, const int *__restrict, const int, const float *__restrict, const int, const int, const int, float *__restrict, float *__restrict, scalar_t *__restrict, OUTT *__restrict, int, const float *, const float *) [scalar_t = __hip_bfloat16, cache_t = __hip_bfloat16, KV_DTYPE = vllm::Fp8KVCacheDataType::kAuto, OUTT = __hip_bfloat16, BLOCK_SIZE = 32, HEAD_SIZE = 128, NUM_THREADS = 256, ALIBI_ENABLED = true, GQA_RATIO = 11]"
	.size	__PRETTY_FUNCTION__._Z39paged_attention_ll4mi_QKV_mfma16_kernelI14__hip_bfloat16S0_LN4vllm18Fp8KVCacheDataTypeE0ES0_Li32ELi128ELi256ELb1ELi11EEvPKT_PKT0_S8_ifPKiSA_SA_iPKfiiiPfSD_PS3_PT2_iSC_SC_, 614

	.type	__PRETTY_FUNCTION__._Z39paged_attention_ll4mi_QKV_mfma16_kernelI14__hip_bfloat16S0_LN4vllm18Fp8KVCacheDataTypeE0ES0_Li32ELi128ELi256ELb1ELi12EEvPKT_PKT0_S8_ifPKiSA_SA_iPKfiiiPfSD_PS3_PT2_iSC_SC_,@object ; @__PRETTY_FUNCTION__._Z39paged_attention_ll4mi_QKV_mfma16_kernelI14__hip_bfloat16S0_LN4vllm18Fp8KVCacheDataTypeE0ES0_Li32ELi128ELi256ELb1ELi12EEvPKT_PKT0_S8_ifPKiSA_SA_iPKfiiiPfSD_PS3_PT2_iSC_SC_
__PRETTY_FUNCTION__._Z39paged_attention_ll4mi_QKV_mfma16_kernelI14__hip_bfloat16S0_LN4vllm18Fp8KVCacheDataTypeE0ES0_Li32ELi128ELi256ELb1ELi12EEvPKT_PKT0_S8_ifPKiSA_SA_iPKfiiiPfSD_PS3_PT2_iSC_SC_:
	.asciz	"void paged_attention_ll4mi_QKV_mfma16_kernel(const scalar_t *__restrict, const cache_t *__restrict, const cache_t *__restrict, const int, const float, const int *__restrict, const int *__restrict, const int *__restrict, const int, const float *__restrict, const int, const int, const int, float *__restrict, float *__restrict, scalar_t *__restrict, OUTT *__restrict, int, const float *, const float *) [scalar_t = __hip_bfloat16, cache_t = __hip_bfloat16, KV_DTYPE = vllm::Fp8KVCacheDataType::kAuto, OUTT = __hip_bfloat16, BLOCK_SIZE = 32, HEAD_SIZE = 128, NUM_THREADS = 256, ALIBI_ENABLED = true, GQA_RATIO = 12]"
	.size	__PRETTY_FUNCTION__._Z39paged_attention_ll4mi_QKV_mfma16_kernelI14__hip_bfloat16S0_LN4vllm18Fp8KVCacheDataTypeE0ES0_Li32ELi128ELi256ELb1ELi12EEvPKT_PKT0_S8_ifPKiSA_SA_iPKfiiiPfSD_PS3_PT2_iSC_SC_, 614

	.type	__PRETTY_FUNCTION__._Z39paged_attention_ll4mi_QKV_mfma16_kernelI14__hip_bfloat16S0_LN4vllm18Fp8KVCacheDataTypeE0ES0_Li32ELi128ELi256ELb1ELi13EEvPKT_PKT0_S8_ifPKiSA_SA_iPKfiiiPfSD_PS3_PT2_iSC_SC_,@object ; @__PRETTY_FUNCTION__._Z39paged_attention_ll4mi_QKV_mfma16_kernelI14__hip_bfloat16S0_LN4vllm18Fp8KVCacheDataTypeE0ES0_Li32ELi128ELi256ELb1ELi13EEvPKT_PKT0_S8_ifPKiSA_SA_iPKfiiiPfSD_PS3_PT2_iSC_SC_
__PRETTY_FUNCTION__._Z39paged_attention_ll4mi_QKV_mfma16_kernelI14__hip_bfloat16S0_LN4vllm18Fp8KVCacheDataTypeE0ES0_Li32ELi128ELi256ELb1ELi13EEvPKT_PKT0_S8_ifPKiSA_SA_iPKfiiiPfSD_PS3_PT2_iSC_SC_:
	.asciz	"void paged_attention_ll4mi_QKV_mfma16_kernel(const scalar_t *__restrict, const cache_t *__restrict, const cache_t *__restrict, const int, const float, const int *__restrict, const int *__restrict, const int *__restrict, const int, const float *__restrict, const int, const int, const int, float *__restrict, float *__restrict, scalar_t *__restrict, OUTT *__restrict, int, const float *, const float *) [scalar_t = __hip_bfloat16, cache_t = __hip_bfloat16, KV_DTYPE = vllm::Fp8KVCacheDataType::kAuto, OUTT = __hip_bfloat16, BLOCK_SIZE = 32, HEAD_SIZE = 128, NUM_THREADS = 256, ALIBI_ENABLED = true, GQA_RATIO = 13]"
	.size	__PRETTY_FUNCTION__._Z39paged_attention_ll4mi_QKV_mfma16_kernelI14__hip_bfloat16S0_LN4vllm18Fp8KVCacheDataTypeE0ES0_Li32ELi128ELi256ELb1ELi13EEvPKT_PKT0_S8_ifPKiSA_SA_iPKfiiiPfSD_PS3_PT2_iSC_SC_, 614

	.type	__PRETTY_FUNCTION__._Z39paged_attention_ll4mi_QKV_mfma16_kernelI14__hip_bfloat16S0_LN4vllm18Fp8KVCacheDataTypeE0ES0_Li32ELi128ELi256ELb1ELi14EEvPKT_PKT0_S8_ifPKiSA_SA_iPKfiiiPfSD_PS3_PT2_iSC_SC_,@object ; @__PRETTY_FUNCTION__._Z39paged_attention_ll4mi_QKV_mfma16_kernelI14__hip_bfloat16S0_LN4vllm18Fp8KVCacheDataTypeE0ES0_Li32ELi128ELi256ELb1ELi14EEvPKT_PKT0_S8_ifPKiSA_SA_iPKfiiiPfSD_PS3_PT2_iSC_SC_
__PRETTY_FUNCTION__._Z39paged_attention_ll4mi_QKV_mfma16_kernelI14__hip_bfloat16S0_LN4vllm18Fp8KVCacheDataTypeE0ES0_Li32ELi128ELi256ELb1ELi14EEvPKT_PKT0_S8_ifPKiSA_SA_iPKfiiiPfSD_PS3_PT2_iSC_SC_:
	.asciz	"void paged_attention_ll4mi_QKV_mfma16_kernel(const scalar_t *__restrict, const cache_t *__restrict, const cache_t *__restrict, const int, const float, const int *__restrict, const int *__restrict, const int *__restrict, const int, const float *__restrict, const int, const int, const int, float *__restrict, float *__restrict, scalar_t *__restrict, OUTT *__restrict, int, const float *, const float *) [scalar_t = __hip_bfloat16, cache_t = __hip_bfloat16, KV_DTYPE = vllm::Fp8KVCacheDataType::kAuto, OUTT = __hip_bfloat16, BLOCK_SIZE = 32, HEAD_SIZE = 128, NUM_THREADS = 256, ALIBI_ENABLED = true, GQA_RATIO = 14]"
	.size	__PRETTY_FUNCTION__._Z39paged_attention_ll4mi_QKV_mfma16_kernelI14__hip_bfloat16S0_LN4vllm18Fp8KVCacheDataTypeE0ES0_Li32ELi128ELi256ELb1ELi14EEvPKT_PKT0_S8_ifPKiSA_SA_iPKfiiiPfSD_PS3_PT2_iSC_SC_, 614

	.type	__PRETTY_FUNCTION__._Z39paged_attention_ll4mi_QKV_mfma16_kernelI14__hip_bfloat16S0_LN4vllm18Fp8KVCacheDataTypeE0ES0_Li32ELi128ELi256ELb1ELi15EEvPKT_PKT0_S8_ifPKiSA_SA_iPKfiiiPfSD_PS3_PT2_iSC_SC_,@object ; @__PRETTY_FUNCTION__._Z39paged_attention_ll4mi_QKV_mfma16_kernelI14__hip_bfloat16S0_LN4vllm18Fp8KVCacheDataTypeE0ES0_Li32ELi128ELi256ELb1ELi15EEvPKT_PKT0_S8_ifPKiSA_SA_iPKfiiiPfSD_PS3_PT2_iSC_SC_
__PRETTY_FUNCTION__._Z39paged_attention_ll4mi_QKV_mfma16_kernelI14__hip_bfloat16S0_LN4vllm18Fp8KVCacheDataTypeE0ES0_Li32ELi128ELi256ELb1ELi15EEvPKT_PKT0_S8_ifPKiSA_SA_iPKfiiiPfSD_PS3_PT2_iSC_SC_:
	.asciz	"void paged_attention_ll4mi_QKV_mfma16_kernel(const scalar_t *__restrict, const cache_t *__restrict, const cache_t *__restrict, const int, const float, const int *__restrict, const int *__restrict, const int *__restrict, const int, const float *__restrict, const int, const int, const int, float *__restrict, float *__restrict, scalar_t *__restrict, OUTT *__restrict, int, const float *, const float *) [scalar_t = __hip_bfloat16, cache_t = __hip_bfloat16, KV_DTYPE = vllm::Fp8KVCacheDataType::kAuto, OUTT = __hip_bfloat16, BLOCK_SIZE = 32, HEAD_SIZE = 128, NUM_THREADS = 256, ALIBI_ENABLED = true, GQA_RATIO = 15]"
	.size	__PRETTY_FUNCTION__._Z39paged_attention_ll4mi_QKV_mfma16_kernelI14__hip_bfloat16S0_LN4vllm18Fp8KVCacheDataTypeE0ES0_Li32ELi128ELi256ELb1ELi15EEvPKT_PKT0_S8_ifPKiSA_SA_iPKfiiiPfSD_PS3_PT2_iSC_SC_, 614

	.type	__PRETTY_FUNCTION__._Z39paged_attention_ll4mi_QKV_mfma16_kernelI14__hip_bfloat16S0_LN4vllm18Fp8KVCacheDataTypeE0ES0_Li32ELi128ELi256ELb1ELi16EEvPKT_PKT0_S8_ifPKiSA_SA_iPKfiiiPfSD_PS3_PT2_iSC_SC_,@object ; @__PRETTY_FUNCTION__._Z39paged_attention_ll4mi_QKV_mfma16_kernelI14__hip_bfloat16S0_LN4vllm18Fp8KVCacheDataTypeE0ES0_Li32ELi128ELi256ELb1ELi16EEvPKT_PKT0_S8_ifPKiSA_SA_iPKfiiiPfSD_PS3_PT2_iSC_SC_
__PRETTY_FUNCTION__._Z39paged_attention_ll4mi_QKV_mfma16_kernelI14__hip_bfloat16S0_LN4vllm18Fp8KVCacheDataTypeE0ES0_Li32ELi128ELi256ELb1ELi16EEvPKT_PKT0_S8_ifPKiSA_SA_iPKfiiiPfSD_PS3_PT2_iSC_SC_:
	.asciz	"void paged_attention_ll4mi_QKV_mfma16_kernel(const scalar_t *__restrict, const cache_t *__restrict, const cache_t *__restrict, const int, const float, const int *__restrict, const int *__restrict, const int *__restrict, const int, const float *__restrict, const int, const int, const int, float *__restrict, float *__restrict, scalar_t *__restrict, OUTT *__restrict, int, const float *, const float *) [scalar_t = __hip_bfloat16, cache_t = __hip_bfloat16, KV_DTYPE = vllm::Fp8KVCacheDataType::kAuto, OUTT = __hip_bfloat16, BLOCK_SIZE = 32, HEAD_SIZE = 128, NUM_THREADS = 256, ALIBI_ENABLED = true, GQA_RATIO = 16]"
	.size	__PRETTY_FUNCTION__._Z39paged_attention_ll4mi_QKV_mfma16_kernelI14__hip_bfloat16S0_LN4vllm18Fp8KVCacheDataTypeE0ES0_Li32ELi128ELi256ELb1ELi16EEvPKT_PKT0_S8_ifPKiSA_SA_iPKfiiiPfSD_PS3_PT2_iSC_SC_, 614

	.type	__PRETTY_FUNCTION__._Z39paged_attention_ll4mi_QKV_mfma16_kernelI14__hip_bfloat16S0_LN4vllm18Fp8KVCacheDataTypeE0ES0_Li32ELi128ELi256ELb1ELi1EEvPKT_PKT0_S8_ifPKiSA_SA_iPKfiiiPfSD_PS3_PT2_iSC_SC_,@object ; @__PRETTY_FUNCTION__._Z39paged_attention_ll4mi_QKV_mfma16_kernelI14__hip_bfloat16S0_LN4vllm18Fp8KVCacheDataTypeE0ES0_Li32ELi128ELi256ELb1ELi1EEvPKT_PKT0_S8_ifPKiSA_SA_iPKfiiiPfSD_PS3_PT2_iSC_SC_
__PRETTY_FUNCTION__._Z39paged_attention_ll4mi_QKV_mfma16_kernelI14__hip_bfloat16S0_LN4vllm18Fp8KVCacheDataTypeE0ES0_Li32ELi128ELi256ELb1ELi1EEvPKT_PKT0_S8_ifPKiSA_SA_iPKfiiiPfSD_PS3_PT2_iSC_SC_:
	.asciz	"void paged_attention_ll4mi_QKV_mfma16_kernel(const scalar_t *__restrict, const cache_t *__restrict, const cache_t *__restrict, const int, const float, const int *__restrict, const int *__restrict, const int *__restrict, const int, const float *__restrict, const int, const int, const int, float *__restrict, float *__restrict, scalar_t *__restrict, OUTT *__restrict, int, const float *, const float *) [scalar_t = __hip_bfloat16, cache_t = __hip_bfloat16, KV_DTYPE = vllm::Fp8KVCacheDataType::kAuto, OUTT = __hip_bfloat16, BLOCK_SIZE = 32, HEAD_SIZE = 128, NUM_THREADS = 256, ALIBI_ENABLED = true, GQA_RATIO = 1]"
	.size	__PRETTY_FUNCTION__._Z39paged_attention_ll4mi_QKV_mfma16_kernelI14__hip_bfloat16S0_LN4vllm18Fp8KVCacheDataTypeE0ES0_Li32ELi128ELi256ELb1ELi1EEvPKT_PKT0_S8_ifPKiSA_SA_iPKfiiiPfSD_PS3_PT2_iSC_SC_, 613

	.type	__PRETTY_FUNCTION__._Z39paged_attention_ll4mi_QKV_mfma16_kernelI14__hip_bfloat16S0_LN4vllm18Fp8KVCacheDataTypeE0ES0_Li32ELi128ELi256ELb1ELi2EEvPKT_PKT0_S8_ifPKiSA_SA_iPKfiiiPfSD_PS3_PT2_iSC_SC_,@object ; @__PRETTY_FUNCTION__._Z39paged_attention_ll4mi_QKV_mfma16_kernelI14__hip_bfloat16S0_LN4vllm18Fp8KVCacheDataTypeE0ES0_Li32ELi128ELi256ELb1ELi2EEvPKT_PKT0_S8_ifPKiSA_SA_iPKfiiiPfSD_PS3_PT2_iSC_SC_
__PRETTY_FUNCTION__._Z39paged_attention_ll4mi_QKV_mfma16_kernelI14__hip_bfloat16S0_LN4vllm18Fp8KVCacheDataTypeE0ES0_Li32ELi128ELi256ELb1ELi2EEvPKT_PKT0_S8_ifPKiSA_SA_iPKfiiiPfSD_PS3_PT2_iSC_SC_:
	.asciz	"void paged_attention_ll4mi_QKV_mfma16_kernel(const scalar_t *__restrict, const cache_t *__restrict, const cache_t *__restrict, const int, const float, const int *__restrict, const int *__restrict, const int *__restrict, const int, const float *__restrict, const int, const int, const int, float *__restrict, float *__restrict, scalar_t *__restrict, OUTT *__restrict, int, const float *, const float *) [scalar_t = __hip_bfloat16, cache_t = __hip_bfloat16, KV_DTYPE = vllm::Fp8KVCacheDataType::kAuto, OUTT = __hip_bfloat16, BLOCK_SIZE = 32, HEAD_SIZE = 128, NUM_THREADS = 256, ALIBI_ENABLED = true, GQA_RATIO = 2]"
	.size	__PRETTY_FUNCTION__._Z39paged_attention_ll4mi_QKV_mfma16_kernelI14__hip_bfloat16S0_LN4vllm18Fp8KVCacheDataTypeE0ES0_Li32ELi128ELi256ELb1ELi2EEvPKT_PKT0_S8_ifPKiSA_SA_iPKfiiiPfSD_PS3_PT2_iSC_SC_, 613

	.type	__PRETTY_FUNCTION__._Z39paged_attention_ll4mi_QKV_mfma16_kernelI14__hip_bfloat16S0_LN4vllm18Fp8KVCacheDataTypeE0ES0_Li32ELi128ELi256ELb1ELi3EEvPKT_PKT0_S8_ifPKiSA_SA_iPKfiiiPfSD_PS3_PT2_iSC_SC_,@object ; @__PRETTY_FUNCTION__._Z39paged_attention_ll4mi_QKV_mfma16_kernelI14__hip_bfloat16S0_LN4vllm18Fp8KVCacheDataTypeE0ES0_Li32ELi128ELi256ELb1ELi3EEvPKT_PKT0_S8_ifPKiSA_SA_iPKfiiiPfSD_PS3_PT2_iSC_SC_
__PRETTY_FUNCTION__._Z39paged_attention_ll4mi_QKV_mfma16_kernelI14__hip_bfloat16S0_LN4vllm18Fp8KVCacheDataTypeE0ES0_Li32ELi128ELi256ELb1ELi3EEvPKT_PKT0_S8_ifPKiSA_SA_iPKfiiiPfSD_PS3_PT2_iSC_SC_:
	.asciz	"void paged_attention_ll4mi_QKV_mfma16_kernel(const scalar_t *__restrict, const cache_t *__restrict, const cache_t *__restrict, const int, const float, const int *__restrict, const int *__restrict, const int *__restrict, const int, const float *__restrict, const int, const int, const int, float *__restrict, float *__restrict, scalar_t *__restrict, OUTT *__restrict, int, const float *, const float *) [scalar_t = __hip_bfloat16, cache_t = __hip_bfloat16, KV_DTYPE = vllm::Fp8KVCacheDataType::kAuto, OUTT = __hip_bfloat16, BLOCK_SIZE = 32, HEAD_SIZE = 128, NUM_THREADS = 256, ALIBI_ENABLED = true, GQA_RATIO = 3]"
	.size	__PRETTY_FUNCTION__._Z39paged_attention_ll4mi_QKV_mfma16_kernelI14__hip_bfloat16S0_LN4vllm18Fp8KVCacheDataTypeE0ES0_Li32ELi128ELi256ELb1ELi3EEvPKT_PKT0_S8_ifPKiSA_SA_iPKfiiiPfSD_PS3_PT2_iSC_SC_, 613

	.type	__PRETTY_FUNCTION__._Z39paged_attention_ll4mi_QKV_mfma16_kernelI14__hip_bfloat16S0_LN4vllm18Fp8KVCacheDataTypeE0ES0_Li32ELi128ELi256ELb1ELi4EEvPKT_PKT0_S8_ifPKiSA_SA_iPKfiiiPfSD_PS3_PT2_iSC_SC_,@object ; @__PRETTY_FUNCTION__._Z39paged_attention_ll4mi_QKV_mfma16_kernelI14__hip_bfloat16S0_LN4vllm18Fp8KVCacheDataTypeE0ES0_Li32ELi128ELi256ELb1ELi4EEvPKT_PKT0_S8_ifPKiSA_SA_iPKfiiiPfSD_PS3_PT2_iSC_SC_
__PRETTY_FUNCTION__._Z39paged_attention_ll4mi_QKV_mfma16_kernelI14__hip_bfloat16S0_LN4vllm18Fp8KVCacheDataTypeE0ES0_Li32ELi128ELi256ELb1ELi4EEvPKT_PKT0_S8_ifPKiSA_SA_iPKfiiiPfSD_PS3_PT2_iSC_SC_:
	.asciz	"void paged_attention_ll4mi_QKV_mfma16_kernel(const scalar_t *__restrict, const cache_t *__restrict, const cache_t *__restrict, const int, const float, const int *__restrict, const int *__restrict, const int *__restrict, const int, const float *__restrict, const int, const int, const int, float *__restrict, float *__restrict, scalar_t *__restrict, OUTT *__restrict, int, const float *, const float *) [scalar_t = __hip_bfloat16, cache_t = __hip_bfloat16, KV_DTYPE = vllm::Fp8KVCacheDataType::kAuto, OUTT = __hip_bfloat16, BLOCK_SIZE = 32, HEAD_SIZE = 128, NUM_THREADS = 256, ALIBI_ENABLED = true, GQA_RATIO = 4]"
	.size	__PRETTY_FUNCTION__._Z39paged_attention_ll4mi_QKV_mfma16_kernelI14__hip_bfloat16S0_LN4vllm18Fp8KVCacheDataTypeE0ES0_Li32ELi128ELi256ELb1ELi4EEvPKT_PKT0_S8_ifPKiSA_SA_iPKfiiiPfSD_PS3_PT2_iSC_SC_, 613

	.type	__PRETTY_FUNCTION__._Z38paged_attention_ll4mi_QKV_mfma4_kernelI14__hip_bfloat16S0_LN4vllm18Fp8KVCacheDataTypeE0ES0_Li32ELi128ELi256ELb0ELi1EEvPKT_PKT0_S8_ifPKiSA_SA_iPKfiiiPfSD_PS3_PT2_iSC_SC_,@object ; @__PRETTY_FUNCTION__._Z38paged_attention_ll4mi_QKV_mfma4_kernelI14__hip_bfloat16S0_LN4vllm18Fp8KVCacheDataTypeE0ES0_Li32ELi128ELi256ELb0ELi1EEvPKT_PKT0_S8_ifPKiSA_SA_iPKfiiiPfSD_PS3_PT2_iSC_SC_
__PRETTY_FUNCTION__._Z38paged_attention_ll4mi_QKV_mfma4_kernelI14__hip_bfloat16S0_LN4vllm18Fp8KVCacheDataTypeE0ES0_Li32ELi128ELi256ELb0ELi1EEvPKT_PKT0_S8_ifPKiSA_SA_iPKfiiiPfSD_PS3_PT2_iSC_SC_:
	.asciz	"void paged_attention_ll4mi_QKV_mfma4_kernel(const scalar_t *__restrict, const cache_t *__restrict, const cache_t *__restrict, const int, const float, const int *__restrict, const int *__restrict, const int *__restrict, const int, const float *__restrict, const int, const int, const int, float *__restrict, float *__restrict, scalar_t *__restrict, OUTT *__restrict, int, const float *, const float *) [scalar_t = __hip_bfloat16, cache_t = __hip_bfloat16, KV_DTYPE = vllm::Fp8KVCacheDataType::kAuto, OUTT = __hip_bfloat16, BLOCK_SIZE = 32, HEAD_SIZE = 128, NUM_THREADS = 256, ALIBI_ENABLED = false, GQA_RATIO = 1]"
	.size	__PRETTY_FUNCTION__._Z38paged_attention_ll4mi_QKV_mfma4_kernelI14__hip_bfloat16S0_LN4vllm18Fp8KVCacheDataTypeE0ES0_Li32ELi128ELi256ELb0ELi1EEvPKT_PKT0_S8_ifPKiSA_SA_iPKfiiiPfSD_PS3_PT2_iSC_SC_, 613

	.type	__PRETTY_FUNCTION__._Z38paged_attention_ll4mi_QKV_mfma4_kernelI14__hip_bfloat16S0_LN4vllm18Fp8KVCacheDataTypeE0ES0_Li32ELi128ELi256ELb0ELi2EEvPKT_PKT0_S8_ifPKiSA_SA_iPKfiiiPfSD_PS3_PT2_iSC_SC_,@object ; @__PRETTY_FUNCTION__._Z38paged_attention_ll4mi_QKV_mfma4_kernelI14__hip_bfloat16S0_LN4vllm18Fp8KVCacheDataTypeE0ES0_Li32ELi128ELi256ELb0ELi2EEvPKT_PKT0_S8_ifPKiSA_SA_iPKfiiiPfSD_PS3_PT2_iSC_SC_
__PRETTY_FUNCTION__._Z38paged_attention_ll4mi_QKV_mfma4_kernelI14__hip_bfloat16S0_LN4vllm18Fp8KVCacheDataTypeE0ES0_Li32ELi128ELi256ELb0ELi2EEvPKT_PKT0_S8_ifPKiSA_SA_iPKfiiiPfSD_PS3_PT2_iSC_SC_:
	.asciz	"void paged_attention_ll4mi_QKV_mfma4_kernel(const scalar_t *__restrict, const cache_t *__restrict, const cache_t *__restrict, const int, const float, const int *__restrict, const int *__restrict, const int *__restrict, const int, const float *__restrict, const int, const int, const int, float *__restrict, float *__restrict, scalar_t *__restrict, OUTT *__restrict, int, const float *, const float *) [scalar_t = __hip_bfloat16, cache_t = __hip_bfloat16, KV_DTYPE = vllm::Fp8KVCacheDataType::kAuto, OUTT = __hip_bfloat16, BLOCK_SIZE = 32, HEAD_SIZE = 128, NUM_THREADS = 256, ALIBI_ENABLED = false, GQA_RATIO = 2]"
	.size	__PRETTY_FUNCTION__._Z38paged_attention_ll4mi_QKV_mfma4_kernelI14__hip_bfloat16S0_LN4vllm18Fp8KVCacheDataTypeE0ES0_Li32ELi128ELi256ELb0ELi2EEvPKT_PKT0_S8_ifPKiSA_SA_iPKfiiiPfSD_PS3_PT2_iSC_SC_, 613

	.type	__PRETTY_FUNCTION__._Z38paged_attention_ll4mi_QKV_mfma4_kernelI14__hip_bfloat16S0_LN4vllm18Fp8KVCacheDataTypeE0ES0_Li32ELi128ELi256ELb0ELi3EEvPKT_PKT0_S8_ifPKiSA_SA_iPKfiiiPfSD_PS3_PT2_iSC_SC_,@object ; @__PRETTY_FUNCTION__._Z38paged_attention_ll4mi_QKV_mfma4_kernelI14__hip_bfloat16S0_LN4vllm18Fp8KVCacheDataTypeE0ES0_Li32ELi128ELi256ELb0ELi3EEvPKT_PKT0_S8_ifPKiSA_SA_iPKfiiiPfSD_PS3_PT2_iSC_SC_
__PRETTY_FUNCTION__._Z38paged_attention_ll4mi_QKV_mfma4_kernelI14__hip_bfloat16S0_LN4vllm18Fp8KVCacheDataTypeE0ES0_Li32ELi128ELi256ELb0ELi3EEvPKT_PKT0_S8_ifPKiSA_SA_iPKfiiiPfSD_PS3_PT2_iSC_SC_:
	.asciz	"void paged_attention_ll4mi_QKV_mfma4_kernel(const scalar_t *__restrict, const cache_t *__restrict, const cache_t *__restrict, const int, const float, const int *__restrict, const int *__restrict, const int *__restrict, const int, const float *__restrict, const int, const int, const int, float *__restrict, float *__restrict, scalar_t *__restrict, OUTT *__restrict, int, const float *, const float *) [scalar_t = __hip_bfloat16, cache_t = __hip_bfloat16, KV_DTYPE = vllm::Fp8KVCacheDataType::kAuto, OUTT = __hip_bfloat16, BLOCK_SIZE = 32, HEAD_SIZE = 128, NUM_THREADS = 256, ALIBI_ENABLED = false, GQA_RATIO = 3]"
	.size	__PRETTY_FUNCTION__._Z38paged_attention_ll4mi_QKV_mfma4_kernelI14__hip_bfloat16S0_LN4vllm18Fp8KVCacheDataTypeE0ES0_Li32ELi128ELi256ELb0ELi3EEvPKT_PKT0_S8_ifPKiSA_SA_iPKfiiiPfSD_PS3_PT2_iSC_SC_, 613

	.type	__PRETTY_FUNCTION__._Z38paged_attention_ll4mi_QKV_mfma4_kernelI14__hip_bfloat16S0_LN4vllm18Fp8KVCacheDataTypeE0ES0_Li32ELi128ELi256ELb0ELi4EEvPKT_PKT0_S8_ifPKiSA_SA_iPKfiiiPfSD_PS3_PT2_iSC_SC_,@object ; @__PRETTY_FUNCTION__._Z38paged_attention_ll4mi_QKV_mfma4_kernelI14__hip_bfloat16S0_LN4vllm18Fp8KVCacheDataTypeE0ES0_Li32ELi128ELi256ELb0ELi4EEvPKT_PKT0_S8_ifPKiSA_SA_iPKfiiiPfSD_PS3_PT2_iSC_SC_
__PRETTY_FUNCTION__._Z38paged_attention_ll4mi_QKV_mfma4_kernelI14__hip_bfloat16S0_LN4vllm18Fp8KVCacheDataTypeE0ES0_Li32ELi128ELi256ELb0ELi4EEvPKT_PKT0_S8_ifPKiSA_SA_iPKfiiiPfSD_PS3_PT2_iSC_SC_:
	.asciz	"void paged_attention_ll4mi_QKV_mfma4_kernel(const scalar_t *__restrict, const cache_t *__restrict, const cache_t *__restrict, const int, const float, const int *__restrict, const int *__restrict, const int *__restrict, const int, const float *__restrict, const int, const int, const int, float *__restrict, float *__restrict, scalar_t *__restrict, OUTT *__restrict, int, const float *, const float *) [scalar_t = __hip_bfloat16, cache_t = __hip_bfloat16, KV_DTYPE = vllm::Fp8KVCacheDataType::kAuto, OUTT = __hip_bfloat16, BLOCK_SIZE = 32, HEAD_SIZE = 128, NUM_THREADS = 256, ALIBI_ENABLED = false, GQA_RATIO = 4]"
	.size	__PRETTY_FUNCTION__._Z38paged_attention_ll4mi_QKV_mfma4_kernelI14__hip_bfloat16S0_LN4vllm18Fp8KVCacheDataTypeE0ES0_Li32ELi128ELi256ELb0ELi4EEvPKT_PKT0_S8_ifPKiSA_SA_iPKfiiiPfSD_PS3_PT2_iSC_SC_, 613

	.type	__PRETTY_FUNCTION__._Z39paged_attention_ll4mi_QKV_mfma16_kernelI14__hip_bfloat16S0_LN4vllm18Fp8KVCacheDataTypeE0ES0_Li32ELi128ELi256ELb0ELi5EEvPKT_PKT0_S8_ifPKiSA_SA_iPKfiiiPfSD_PS3_PT2_iSC_SC_,@object ; @__PRETTY_FUNCTION__._Z39paged_attention_ll4mi_QKV_mfma16_kernelI14__hip_bfloat16S0_LN4vllm18Fp8KVCacheDataTypeE0ES0_Li32ELi128ELi256ELb0ELi5EEvPKT_PKT0_S8_ifPKiSA_SA_iPKfiiiPfSD_PS3_PT2_iSC_SC_
__PRETTY_FUNCTION__._Z39paged_attention_ll4mi_QKV_mfma16_kernelI14__hip_bfloat16S0_LN4vllm18Fp8KVCacheDataTypeE0ES0_Li32ELi128ELi256ELb0ELi5EEvPKT_PKT0_S8_ifPKiSA_SA_iPKfiiiPfSD_PS3_PT2_iSC_SC_:
	.asciz	"void paged_attention_ll4mi_QKV_mfma16_kernel(const scalar_t *__restrict, const cache_t *__restrict, const cache_t *__restrict, const int, const float, const int *__restrict, const int *__restrict, const int *__restrict, const int, const float *__restrict, const int, const int, const int, float *__restrict, float *__restrict, scalar_t *__restrict, OUTT *__restrict, int, const float *, const float *) [scalar_t = __hip_bfloat16, cache_t = __hip_bfloat16, KV_DTYPE = vllm::Fp8KVCacheDataType::kAuto, OUTT = __hip_bfloat16, BLOCK_SIZE = 32, HEAD_SIZE = 128, NUM_THREADS = 256, ALIBI_ENABLED = false, GQA_RATIO = 5]"
	.size	__PRETTY_FUNCTION__._Z39paged_attention_ll4mi_QKV_mfma16_kernelI14__hip_bfloat16S0_LN4vllm18Fp8KVCacheDataTypeE0ES0_Li32ELi128ELi256ELb0ELi5EEvPKT_PKT0_S8_ifPKiSA_SA_iPKfiiiPfSD_PS3_PT2_iSC_SC_, 614

	.type	__PRETTY_FUNCTION__._Z39paged_attention_ll4mi_QKV_mfma16_kernelI14__hip_bfloat16S0_LN4vllm18Fp8KVCacheDataTypeE0ES0_Li32ELi128ELi256ELb0ELi6EEvPKT_PKT0_S8_ifPKiSA_SA_iPKfiiiPfSD_PS3_PT2_iSC_SC_,@object ; @__PRETTY_FUNCTION__._Z39paged_attention_ll4mi_QKV_mfma16_kernelI14__hip_bfloat16S0_LN4vllm18Fp8KVCacheDataTypeE0ES0_Li32ELi128ELi256ELb0ELi6EEvPKT_PKT0_S8_ifPKiSA_SA_iPKfiiiPfSD_PS3_PT2_iSC_SC_
__PRETTY_FUNCTION__._Z39paged_attention_ll4mi_QKV_mfma16_kernelI14__hip_bfloat16S0_LN4vllm18Fp8KVCacheDataTypeE0ES0_Li32ELi128ELi256ELb0ELi6EEvPKT_PKT0_S8_ifPKiSA_SA_iPKfiiiPfSD_PS3_PT2_iSC_SC_:
	.asciz	"void paged_attention_ll4mi_QKV_mfma16_kernel(const scalar_t *__restrict, const cache_t *__restrict, const cache_t *__restrict, const int, const float, const int *__restrict, const int *__restrict, const int *__restrict, const int, const float *__restrict, const int, const int, const int, float *__restrict, float *__restrict, scalar_t *__restrict, OUTT *__restrict, int, const float *, const float *) [scalar_t = __hip_bfloat16, cache_t = __hip_bfloat16, KV_DTYPE = vllm::Fp8KVCacheDataType::kAuto, OUTT = __hip_bfloat16, BLOCK_SIZE = 32, HEAD_SIZE = 128, NUM_THREADS = 256, ALIBI_ENABLED = false, GQA_RATIO = 6]"
	.size	__PRETTY_FUNCTION__._Z39paged_attention_ll4mi_QKV_mfma16_kernelI14__hip_bfloat16S0_LN4vllm18Fp8KVCacheDataTypeE0ES0_Li32ELi128ELi256ELb0ELi6EEvPKT_PKT0_S8_ifPKiSA_SA_iPKfiiiPfSD_PS3_PT2_iSC_SC_, 614

	.type	__PRETTY_FUNCTION__._Z39paged_attention_ll4mi_QKV_mfma16_kernelI14__hip_bfloat16S0_LN4vllm18Fp8KVCacheDataTypeE0ES0_Li32ELi128ELi256ELb0ELi7EEvPKT_PKT0_S8_ifPKiSA_SA_iPKfiiiPfSD_PS3_PT2_iSC_SC_,@object ; @__PRETTY_FUNCTION__._Z39paged_attention_ll4mi_QKV_mfma16_kernelI14__hip_bfloat16S0_LN4vllm18Fp8KVCacheDataTypeE0ES0_Li32ELi128ELi256ELb0ELi7EEvPKT_PKT0_S8_ifPKiSA_SA_iPKfiiiPfSD_PS3_PT2_iSC_SC_
__PRETTY_FUNCTION__._Z39paged_attention_ll4mi_QKV_mfma16_kernelI14__hip_bfloat16S0_LN4vllm18Fp8KVCacheDataTypeE0ES0_Li32ELi128ELi256ELb0ELi7EEvPKT_PKT0_S8_ifPKiSA_SA_iPKfiiiPfSD_PS3_PT2_iSC_SC_:
	.asciz	"void paged_attention_ll4mi_QKV_mfma16_kernel(const scalar_t *__restrict, const cache_t *__restrict, const cache_t *__restrict, const int, const float, const int *__restrict, const int *__restrict, const int *__restrict, const int, const float *__restrict, const int, const int, const int, float *__restrict, float *__restrict, scalar_t *__restrict, OUTT *__restrict, int, const float *, const float *) [scalar_t = __hip_bfloat16, cache_t = __hip_bfloat16, KV_DTYPE = vllm::Fp8KVCacheDataType::kAuto, OUTT = __hip_bfloat16, BLOCK_SIZE = 32, HEAD_SIZE = 128, NUM_THREADS = 256, ALIBI_ENABLED = false, GQA_RATIO = 7]"
	.size	__PRETTY_FUNCTION__._Z39paged_attention_ll4mi_QKV_mfma16_kernelI14__hip_bfloat16S0_LN4vllm18Fp8KVCacheDataTypeE0ES0_Li32ELi128ELi256ELb0ELi7EEvPKT_PKT0_S8_ifPKiSA_SA_iPKfiiiPfSD_PS3_PT2_iSC_SC_, 614

	.type	__PRETTY_FUNCTION__._Z39paged_attention_ll4mi_QKV_mfma16_kernelI14__hip_bfloat16S0_LN4vllm18Fp8KVCacheDataTypeE0ES0_Li32ELi128ELi256ELb0ELi8EEvPKT_PKT0_S8_ifPKiSA_SA_iPKfiiiPfSD_PS3_PT2_iSC_SC_,@object ; @__PRETTY_FUNCTION__._Z39paged_attention_ll4mi_QKV_mfma16_kernelI14__hip_bfloat16S0_LN4vllm18Fp8KVCacheDataTypeE0ES0_Li32ELi128ELi256ELb0ELi8EEvPKT_PKT0_S8_ifPKiSA_SA_iPKfiiiPfSD_PS3_PT2_iSC_SC_
__PRETTY_FUNCTION__._Z39paged_attention_ll4mi_QKV_mfma16_kernelI14__hip_bfloat16S0_LN4vllm18Fp8KVCacheDataTypeE0ES0_Li32ELi128ELi256ELb0ELi8EEvPKT_PKT0_S8_ifPKiSA_SA_iPKfiiiPfSD_PS3_PT2_iSC_SC_:
	.asciz	"void paged_attention_ll4mi_QKV_mfma16_kernel(const scalar_t *__restrict, const cache_t *__restrict, const cache_t *__restrict, const int, const float, const int *__restrict, const int *__restrict, const int *__restrict, const int, const float *__restrict, const int, const int, const int, float *__restrict, float *__restrict, scalar_t *__restrict, OUTT *__restrict, int, const float *, const float *) [scalar_t = __hip_bfloat16, cache_t = __hip_bfloat16, KV_DTYPE = vllm::Fp8KVCacheDataType::kAuto, OUTT = __hip_bfloat16, BLOCK_SIZE = 32, HEAD_SIZE = 128, NUM_THREADS = 256, ALIBI_ENABLED = false, GQA_RATIO = 8]"
	.size	__PRETTY_FUNCTION__._Z39paged_attention_ll4mi_QKV_mfma16_kernelI14__hip_bfloat16S0_LN4vllm18Fp8KVCacheDataTypeE0ES0_Li32ELi128ELi256ELb0ELi8EEvPKT_PKT0_S8_ifPKiSA_SA_iPKfiiiPfSD_PS3_PT2_iSC_SC_, 614

	.type	__PRETTY_FUNCTION__._Z39paged_attention_ll4mi_QKV_mfma16_kernelI14__hip_bfloat16S0_LN4vllm18Fp8KVCacheDataTypeE0ES0_Li32ELi128ELi256ELb0ELi9EEvPKT_PKT0_S8_ifPKiSA_SA_iPKfiiiPfSD_PS3_PT2_iSC_SC_,@object ; @__PRETTY_FUNCTION__._Z39paged_attention_ll4mi_QKV_mfma16_kernelI14__hip_bfloat16S0_LN4vllm18Fp8KVCacheDataTypeE0ES0_Li32ELi128ELi256ELb0ELi9EEvPKT_PKT0_S8_ifPKiSA_SA_iPKfiiiPfSD_PS3_PT2_iSC_SC_
__PRETTY_FUNCTION__._Z39paged_attention_ll4mi_QKV_mfma16_kernelI14__hip_bfloat16S0_LN4vllm18Fp8KVCacheDataTypeE0ES0_Li32ELi128ELi256ELb0ELi9EEvPKT_PKT0_S8_ifPKiSA_SA_iPKfiiiPfSD_PS3_PT2_iSC_SC_:
	.asciz	"void paged_attention_ll4mi_QKV_mfma16_kernel(const scalar_t *__restrict, const cache_t *__restrict, const cache_t *__restrict, const int, const float, const int *__restrict, const int *__restrict, const int *__restrict, const int, const float *__restrict, const int, const int, const int, float *__restrict, float *__restrict, scalar_t *__restrict, OUTT *__restrict, int, const float *, const float *) [scalar_t = __hip_bfloat16, cache_t = __hip_bfloat16, KV_DTYPE = vllm::Fp8KVCacheDataType::kAuto, OUTT = __hip_bfloat16, BLOCK_SIZE = 32, HEAD_SIZE = 128, NUM_THREADS = 256, ALIBI_ENABLED = false, GQA_RATIO = 9]"
	.size	__PRETTY_FUNCTION__._Z39paged_attention_ll4mi_QKV_mfma16_kernelI14__hip_bfloat16S0_LN4vllm18Fp8KVCacheDataTypeE0ES0_Li32ELi128ELi256ELb0ELi9EEvPKT_PKT0_S8_ifPKiSA_SA_iPKfiiiPfSD_PS3_PT2_iSC_SC_, 614

	.type	__PRETTY_FUNCTION__._Z39paged_attention_ll4mi_QKV_mfma16_kernelI14__hip_bfloat16S0_LN4vllm18Fp8KVCacheDataTypeE0ES0_Li32ELi128ELi256ELb0ELi10EEvPKT_PKT0_S8_ifPKiSA_SA_iPKfiiiPfSD_PS3_PT2_iSC_SC_,@object ; @__PRETTY_FUNCTION__._Z39paged_attention_ll4mi_QKV_mfma16_kernelI14__hip_bfloat16S0_LN4vllm18Fp8KVCacheDataTypeE0ES0_Li32ELi128ELi256ELb0ELi10EEvPKT_PKT0_S8_ifPKiSA_SA_iPKfiiiPfSD_PS3_PT2_iSC_SC_
__PRETTY_FUNCTION__._Z39paged_attention_ll4mi_QKV_mfma16_kernelI14__hip_bfloat16S0_LN4vllm18Fp8KVCacheDataTypeE0ES0_Li32ELi128ELi256ELb0ELi10EEvPKT_PKT0_S8_ifPKiSA_SA_iPKfiiiPfSD_PS3_PT2_iSC_SC_:
	.asciz	"void paged_attention_ll4mi_QKV_mfma16_kernel(const scalar_t *__restrict, const cache_t *__restrict, const cache_t *__restrict, const int, const float, const int *__restrict, const int *__restrict, const int *__restrict, const int, const float *__restrict, const int, const int, const int, float *__restrict, float *__restrict, scalar_t *__restrict, OUTT *__restrict, int, const float *, const float *) [scalar_t = __hip_bfloat16, cache_t = __hip_bfloat16, KV_DTYPE = vllm::Fp8KVCacheDataType::kAuto, OUTT = __hip_bfloat16, BLOCK_SIZE = 32, HEAD_SIZE = 128, NUM_THREADS = 256, ALIBI_ENABLED = false, GQA_RATIO = 10]"
	.size	__PRETTY_FUNCTION__._Z39paged_attention_ll4mi_QKV_mfma16_kernelI14__hip_bfloat16S0_LN4vllm18Fp8KVCacheDataTypeE0ES0_Li32ELi128ELi256ELb0ELi10EEvPKT_PKT0_S8_ifPKiSA_SA_iPKfiiiPfSD_PS3_PT2_iSC_SC_, 615

	.type	__PRETTY_FUNCTION__._Z39paged_attention_ll4mi_QKV_mfma16_kernelI14__hip_bfloat16S0_LN4vllm18Fp8KVCacheDataTypeE0ES0_Li32ELi128ELi256ELb0ELi11EEvPKT_PKT0_S8_ifPKiSA_SA_iPKfiiiPfSD_PS3_PT2_iSC_SC_,@object ; @__PRETTY_FUNCTION__._Z39paged_attention_ll4mi_QKV_mfma16_kernelI14__hip_bfloat16S0_LN4vllm18Fp8KVCacheDataTypeE0ES0_Li32ELi128ELi256ELb0ELi11EEvPKT_PKT0_S8_ifPKiSA_SA_iPKfiiiPfSD_PS3_PT2_iSC_SC_
__PRETTY_FUNCTION__._Z39paged_attention_ll4mi_QKV_mfma16_kernelI14__hip_bfloat16S0_LN4vllm18Fp8KVCacheDataTypeE0ES0_Li32ELi128ELi256ELb0ELi11EEvPKT_PKT0_S8_ifPKiSA_SA_iPKfiiiPfSD_PS3_PT2_iSC_SC_:
	.asciz	"void paged_attention_ll4mi_QKV_mfma16_kernel(const scalar_t *__restrict, const cache_t *__restrict, const cache_t *__restrict, const int, const float, const int *__restrict, const int *__restrict, const int *__restrict, const int, const float *__restrict, const int, const int, const int, float *__restrict, float *__restrict, scalar_t *__restrict, OUTT *__restrict, int, const float *, const float *) [scalar_t = __hip_bfloat16, cache_t = __hip_bfloat16, KV_DTYPE = vllm::Fp8KVCacheDataType::kAuto, OUTT = __hip_bfloat16, BLOCK_SIZE = 32, HEAD_SIZE = 128, NUM_THREADS = 256, ALIBI_ENABLED = false, GQA_RATIO = 11]"
	.size	__PRETTY_FUNCTION__._Z39paged_attention_ll4mi_QKV_mfma16_kernelI14__hip_bfloat16S0_LN4vllm18Fp8KVCacheDataTypeE0ES0_Li32ELi128ELi256ELb0ELi11EEvPKT_PKT0_S8_ifPKiSA_SA_iPKfiiiPfSD_PS3_PT2_iSC_SC_, 615

	.type	__PRETTY_FUNCTION__._Z39paged_attention_ll4mi_QKV_mfma16_kernelI14__hip_bfloat16S0_LN4vllm18Fp8KVCacheDataTypeE0ES0_Li32ELi128ELi256ELb0ELi12EEvPKT_PKT0_S8_ifPKiSA_SA_iPKfiiiPfSD_PS3_PT2_iSC_SC_,@object ; @__PRETTY_FUNCTION__._Z39paged_attention_ll4mi_QKV_mfma16_kernelI14__hip_bfloat16S0_LN4vllm18Fp8KVCacheDataTypeE0ES0_Li32ELi128ELi256ELb0ELi12EEvPKT_PKT0_S8_ifPKiSA_SA_iPKfiiiPfSD_PS3_PT2_iSC_SC_
__PRETTY_FUNCTION__._Z39paged_attention_ll4mi_QKV_mfma16_kernelI14__hip_bfloat16S0_LN4vllm18Fp8KVCacheDataTypeE0ES0_Li32ELi128ELi256ELb0ELi12EEvPKT_PKT0_S8_ifPKiSA_SA_iPKfiiiPfSD_PS3_PT2_iSC_SC_:
	.asciz	"void paged_attention_ll4mi_QKV_mfma16_kernel(const scalar_t *__restrict, const cache_t *__restrict, const cache_t *__restrict, const int, const float, const int *__restrict, const int *__restrict, const int *__restrict, const int, const float *__restrict, const int, const int, const int, float *__restrict, float *__restrict, scalar_t *__restrict, OUTT *__restrict, int, const float *, const float *) [scalar_t = __hip_bfloat16, cache_t = __hip_bfloat16, KV_DTYPE = vllm::Fp8KVCacheDataType::kAuto, OUTT = __hip_bfloat16, BLOCK_SIZE = 32, HEAD_SIZE = 128, NUM_THREADS = 256, ALIBI_ENABLED = false, GQA_RATIO = 12]"
	.size	__PRETTY_FUNCTION__._Z39paged_attention_ll4mi_QKV_mfma16_kernelI14__hip_bfloat16S0_LN4vllm18Fp8KVCacheDataTypeE0ES0_Li32ELi128ELi256ELb0ELi12EEvPKT_PKT0_S8_ifPKiSA_SA_iPKfiiiPfSD_PS3_PT2_iSC_SC_, 615

	.type	__PRETTY_FUNCTION__._Z39paged_attention_ll4mi_QKV_mfma16_kernelI14__hip_bfloat16S0_LN4vllm18Fp8KVCacheDataTypeE0ES0_Li32ELi128ELi256ELb0ELi13EEvPKT_PKT0_S8_ifPKiSA_SA_iPKfiiiPfSD_PS3_PT2_iSC_SC_,@object ; @__PRETTY_FUNCTION__._Z39paged_attention_ll4mi_QKV_mfma16_kernelI14__hip_bfloat16S0_LN4vllm18Fp8KVCacheDataTypeE0ES0_Li32ELi128ELi256ELb0ELi13EEvPKT_PKT0_S8_ifPKiSA_SA_iPKfiiiPfSD_PS3_PT2_iSC_SC_
__PRETTY_FUNCTION__._Z39paged_attention_ll4mi_QKV_mfma16_kernelI14__hip_bfloat16S0_LN4vllm18Fp8KVCacheDataTypeE0ES0_Li32ELi128ELi256ELb0ELi13EEvPKT_PKT0_S8_ifPKiSA_SA_iPKfiiiPfSD_PS3_PT2_iSC_SC_:
	.asciz	"void paged_attention_ll4mi_QKV_mfma16_kernel(const scalar_t *__restrict, const cache_t *__restrict, const cache_t *__restrict, const int, const float, const int *__restrict, const int *__restrict, const int *__restrict, const int, const float *__restrict, const int, const int, const int, float *__restrict, float *__restrict, scalar_t *__restrict, OUTT *__restrict, int, const float *, const float *) [scalar_t = __hip_bfloat16, cache_t = __hip_bfloat16, KV_DTYPE = vllm::Fp8KVCacheDataType::kAuto, OUTT = __hip_bfloat16, BLOCK_SIZE = 32, HEAD_SIZE = 128, NUM_THREADS = 256, ALIBI_ENABLED = false, GQA_RATIO = 13]"
	.size	__PRETTY_FUNCTION__._Z39paged_attention_ll4mi_QKV_mfma16_kernelI14__hip_bfloat16S0_LN4vllm18Fp8KVCacheDataTypeE0ES0_Li32ELi128ELi256ELb0ELi13EEvPKT_PKT0_S8_ifPKiSA_SA_iPKfiiiPfSD_PS3_PT2_iSC_SC_, 615

	.type	__PRETTY_FUNCTION__._Z39paged_attention_ll4mi_QKV_mfma16_kernelI14__hip_bfloat16S0_LN4vllm18Fp8KVCacheDataTypeE0ES0_Li32ELi128ELi256ELb0ELi14EEvPKT_PKT0_S8_ifPKiSA_SA_iPKfiiiPfSD_PS3_PT2_iSC_SC_,@object ; @__PRETTY_FUNCTION__._Z39paged_attention_ll4mi_QKV_mfma16_kernelI14__hip_bfloat16S0_LN4vllm18Fp8KVCacheDataTypeE0ES0_Li32ELi128ELi256ELb0ELi14EEvPKT_PKT0_S8_ifPKiSA_SA_iPKfiiiPfSD_PS3_PT2_iSC_SC_
__PRETTY_FUNCTION__._Z39paged_attention_ll4mi_QKV_mfma16_kernelI14__hip_bfloat16S0_LN4vllm18Fp8KVCacheDataTypeE0ES0_Li32ELi128ELi256ELb0ELi14EEvPKT_PKT0_S8_ifPKiSA_SA_iPKfiiiPfSD_PS3_PT2_iSC_SC_:
	.asciz	"void paged_attention_ll4mi_QKV_mfma16_kernel(const scalar_t *__restrict, const cache_t *__restrict, const cache_t *__restrict, const int, const float, const int *__restrict, const int *__restrict, const int *__restrict, const int, const float *__restrict, const int, const int, const int, float *__restrict, float *__restrict, scalar_t *__restrict, OUTT *__restrict, int, const float *, const float *) [scalar_t = __hip_bfloat16, cache_t = __hip_bfloat16, KV_DTYPE = vllm::Fp8KVCacheDataType::kAuto, OUTT = __hip_bfloat16, BLOCK_SIZE = 32, HEAD_SIZE = 128, NUM_THREADS = 256, ALIBI_ENABLED = false, GQA_RATIO = 14]"
	.size	__PRETTY_FUNCTION__._Z39paged_attention_ll4mi_QKV_mfma16_kernelI14__hip_bfloat16S0_LN4vllm18Fp8KVCacheDataTypeE0ES0_Li32ELi128ELi256ELb0ELi14EEvPKT_PKT0_S8_ifPKiSA_SA_iPKfiiiPfSD_PS3_PT2_iSC_SC_, 615

	.type	__PRETTY_FUNCTION__._Z39paged_attention_ll4mi_QKV_mfma16_kernelI14__hip_bfloat16S0_LN4vllm18Fp8KVCacheDataTypeE0ES0_Li32ELi128ELi256ELb0ELi15EEvPKT_PKT0_S8_ifPKiSA_SA_iPKfiiiPfSD_PS3_PT2_iSC_SC_,@object ; @__PRETTY_FUNCTION__._Z39paged_attention_ll4mi_QKV_mfma16_kernelI14__hip_bfloat16S0_LN4vllm18Fp8KVCacheDataTypeE0ES0_Li32ELi128ELi256ELb0ELi15EEvPKT_PKT0_S8_ifPKiSA_SA_iPKfiiiPfSD_PS3_PT2_iSC_SC_
__PRETTY_FUNCTION__._Z39paged_attention_ll4mi_QKV_mfma16_kernelI14__hip_bfloat16S0_LN4vllm18Fp8KVCacheDataTypeE0ES0_Li32ELi128ELi256ELb0ELi15EEvPKT_PKT0_S8_ifPKiSA_SA_iPKfiiiPfSD_PS3_PT2_iSC_SC_:
	.asciz	"void paged_attention_ll4mi_QKV_mfma16_kernel(const scalar_t *__restrict, const cache_t *__restrict, const cache_t *__restrict, const int, const float, const int *__restrict, const int *__restrict, const int *__restrict, const int, const float *__restrict, const int, const int, const int, float *__restrict, float *__restrict, scalar_t *__restrict, OUTT *__restrict, int, const float *, const float *) [scalar_t = __hip_bfloat16, cache_t = __hip_bfloat16, KV_DTYPE = vllm::Fp8KVCacheDataType::kAuto, OUTT = __hip_bfloat16, BLOCK_SIZE = 32, HEAD_SIZE = 128, NUM_THREADS = 256, ALIBI_ENABLED = false, GQA_RATIO = 15]"
	.size	__PRETTY_FUNCTION__._Z39paged_attention_ll4mi_QKV_mfma16_kernelI14__hip_bfloat16S0_LN4vllm18Fp8KVCacheDataTypeE0ES0_Li32ELi128ELi256ELb0ELi15EEvPKT_PKT0_S8_ifPKiSA_SA_iPKfiiiPfSD_PS3_PT2_iSC_SC_, 615

	.type	__PRETTY_FUNCTION__._Z39paged_attention_ll4mi_QKV_mfma16_kernelI14__hip_bfloat16S0_LN4vllm18Fp8KVCacheDataTypeE0ES0_Li32ELi128ELi256ELb0ELi16EEvPKT_PKT0_S8_ifPKiSA_SA_iPKfiiiPfSD_PS3_PT2_iSC_SC_,@object ; @__PRETTY_FUNCTION__._Z39paged_attention_ll4mi_QKV_mfma16_kernelI14__hip_bfloat16S0_LN4vllm18Fp8KVCacheDataTypeE0ES0_Li32ELi128ELi256ELb0ELi16EEvPKT_PKT0_S8_ifPKiSA_SA_iPKfiiiPfSD_PS3_PT2_iSC_SC_
__PRETTY_FUNCTION__._Z39paged_attention_ll4mi_QKV_mfma16_kernelI14__hip_bfloat16S0_LN4vllm18Fp8KVCacheDataTypeE0ES0_Li32ELi128ELi256ELb0ELi16EEvPKT_PKT0_S8_ifPKiSA_SA_iPKfiiiPfSD_PS3_PT2_iSC_SC_:
	.asciz	"void paged_attention_ll4mi_QKV_mfma16_kernel(const scalar_t *__restrict, const cache_t *__restrict, const cache_t *__restrict, const int, const float, const int *__restrict, const int *__restrict, const int *__restrict, const int, const float *__restrict, const int, const int, const int, float *__restrict, float *__restrict, scalar_t *__restrict, OUTT *__restrict, int, const float *, const float *) [scalar_t = __hip_bfloat16, cache_t = __hip_bfloat16, KV_DTYPE = vllm::Fp8KVCacheDataType::kAuto, OUTT = __hip_bfloat16, BLOCK_SIZE = 32, HEAD_SIZE = 128, NUM_THREADS = 256, ALIBI_ENABLED = false, GQA_RATIO = 16]"
	.size	__PRETTY_FUNCTION__._Z39paged_attention_ll4mi_QKV_mfma16_kernelI14__hip_bfloat16S0_LN4vllm18Fp8KVCacheDataTypeE0ES0_Li32ELi128ELi256ELb0ELi16EEvPKT_PKT0_S8_ifPKiSA_SA_iPKfiiiPfSD_PS3_PT2_iSC_SC_, 615

	.type	__PRETTY_FUNCTION__._Z39paged_attention_ll4mi_QKV_mfma16_kernelI14__hip_bfloat16S0_LN4vllm18Fp8KVCacheDataTypeE0ES0_Li32ELi128ELi256ELb0ELi1EEvPKT_PKT0_S8_ifPKiSA_SA_iPKfiiiPfSD_PS3_PT2_iSC_SC_,@object ; @__PRETTY_FUNCTION__._Z39paged_attention_ll4mi_QKV_mfma16_kernelI14__hip_bfloat16S0_LN4vllm18Fp8KVCacheDataTypeE0ES0_Li32ELi128ELi256ELb0ELi1EEvPKT_PKT0_S8_ifPKiSA_SA_iPKfiiiPfSD_PS3_PT2_iSC_SC_
__PRETTY_FUNCTION__._Z39paged_attention_ll4mi_QKV_mfma16_kernelI14__hip_bfloat16S0_LN4vllm18Fp8KVCacheDataTypeE0ES0_Li32ELi128ELi256ELb0ELi1EEvPKT_PKT0_S8_ifPKiSA_SA_iPKfiiiPfSD_PS3_PT2_iSC_SC_:
	.asciz	"void paged_attention_ll4mi_QKV_mfma16_kernel(const scalar_t *__restrict, const cache_t *__restrict, const cache_t *__restrict, const int, const float, const int *__restrict, const int *__restrict, const int *__restrict, const int, const float *__restrict, const int, const int, const int, float *__restrict, float *__restrict, scalar_t *__restrict, OUTT *__restrict, int, const float *, const float *) [scalar_t = __hip_bfloat16, cache_t = __hip_bfloat16, KV_DTYPE = vllm::Fp8KVCacheDataType::kAuto, OUTT = __hip_bfloat16, BLOCK_SIZE = 32, HEAD_SIZE = 128, NUM_THREADS = 256, ALIBI_ENABLED = false, GQA_RATIO = 1]"
	.size	__PRETTY_FUNCTION__._Z39paged_attention_ll4mi_QKV_mfma16_kernelI14__hip_bfloat16S0_LN4vllm18Fp8KVCacheDataTypeE0ES0_Li32ELi128ELi256ELb0ELi1EEvPKT_PKT0_S8_ifPKiSA_SA_iPKfiiiPfSD_PS3_PT2_iSC_SC_, 614

	.type	__PRETTY_FUNCTION__._Z39paged_attention_ll4mi_QKV_mfma16_kernelI14__hip_bfloat16S0_LN4vllm18Fp8KVCacheDataTypeE0ES0_Li32ELi128ELi256ELb0ELi2EEvPKT_PKT0_S8_ifPKiSA_SA_iPKfiiiPfSD_PS3_PT2_iSC_SC_,@object ; @__PRETTY_FUNCTION__._Z39paged_attention_ll4mi_QKV_mfma16_kernelI14__hip_bfloat16S0_LN4vllm18Fp8KVCacheDataTypeE0ES0_Li32ELi128ELi256ELb0ELi2EEvPKT_PKT0_S8_ifPKiSA_SA_iPKfiiiPfSD_PS3_PT2_iSC_SC_
__PRETTY_FUNCTION__._Z39paged_attention_ll4mi_QKV_mfma16_kernelI14__hip_bfloat16S0_LN4vllm18Fp8KVCacheDataTypeE0ES0_Li32ELi128ELi256ELb0ELi2EEvPKT_PKT0_S8_ifPKiSA_SA_iPKfiiiPfSD_PS3_PT2_iSC_SC_:
	.asciz	"void paged_attention_ll4mi_QKV_mfma16_kernel(const scalar_t *__restrict, const cache_t *__restrict, const cache_t *__restrict, const int, const float, const int *__restrict, const int *__restrict, const int *__restrict, const int, const float *__restrict, const int, const int, const int, float *__restrict, float *__restrict, scalar_t *__restrict, OUTT *__restrict, int, const float *, const float *) [scalar_t = __hip_bfloat16, cache_t = __hip_bfloat16, KV_DTYPE = vllm::Fp8KVCacheDataType::kAuto, OUTT = __hip_bfloat16, BLOCK_SIZE = 32, HEAD_SIZE = 128, NUM_THREADS = 256, ALIBI_ENABLED = false, GQA_RATIO = 2]"
	.size	__PRETTY_FUNCTION__._Z39paged_attention_ll4mi_QKV_mfma16_kernelI14__hip_bfloat16S0_LN4vllm18Fp8KVCacheDataTypeE0ES0_Li32ELi128ELi256ELb0ELi2EEvPKT_PKT0_S8_ifPKiSA_SA_iPKfiiiPfSD_PS3_PT2_iSC_SC_, 614

	.type	__PRETTY_FUNCTION__._Z39paged_attention_ll4mi_QKV_mfma16_kernelI14__hip_bfloat16S0_LN4vllm18Fp8KVCacheDataTypeE0ES0_Li32ELi128ELi256ELb0ELi3EEvPKT_PKT0_S8_ifPKiSA_SA_iPKfiiiPfSD_PS3_PT2_iSC_SC_,@object ; @__PRETTY_FUNCTION__._Z39paged_attention_ll4mi_QKV_mfma16_kernelI14__hip_bfloat16S0_LN4vllm18Fp8KVCacheDataTypeE0ES0_Li32ELi128ELi256ELb0ELi3EEvPKT_PKT0_S8_ifPKiSA_SA_iPKfiiiPfSD_PS3_PT2_iSC_SC_
__PRETTY_FUNCTION__._Z39paged_attention_ll4mi_QKV_mfma16_kernelI14__hip_bfloat16S0_LN4vllm18Fp8KVCacheDataTypeE0ES0_Li32ELi128ELi256ELb0ELi3EEvPKT_PKT0_S8_ifPKiSA_SA_iPKfiiiPfSD_PS3_PT2_iSC_SC_:
	.asciz	"void paged_attention_ll4mi_QKV_mfma16_kernel(const scalar_t *__restrict, const cache_t *__restrict, const cache_t *__restrict, const int, const float, const int *__restrict, const int *__restrict, const int *__restrict, const int, const float *__restrict, const int, const int, const int, float *__restrict, float *__restrict, scalar_t *__restrict, OUTT *__restrict, int, const float *, const float *) [scalar_t = __hip_bfloat16, cache_t = __hip_bfloat16, KV_DTYPE = vllm::Fp8KVCacheDataType::kAuto, OUTT = __hip_bfloat16, BLOCK_SIZE = 32, HEAD_SIZE = 128, NUM_THREADS = 256, ALIBI_ENABLED = false, GQA_RATIO = 3]"
	.size	__PRETTY_FUNCTION__._Z39paged_attention_ll4mi_QKV_mfma16_kernelI14__hip_bfloat16S0_LN4vllm18Fp8KVCacheDataTypeE0ES0_Li32ELi128ELi256ELb0ELi3EEvPKT_PKT0_S8_ifPKiSA_SA_iPKfiiiPfSD_PS3_PT2_iSC_SC_, 614

	.type	__PRETTY_FUNCTION__._Z39paged_attention_ll4mi_QKV_mfma16_kernelI14__hip_bfloat16S0_LN4vllm18Fp8KVCacheDataTypeE0ES0_Li32ELi128ELi256ELb0ELi4EEvPKT_PKT0_S8_ifPKiSA_SA_iPKfiiiPfSD_PS3_PT2_iSC_SC_,@object ; @__PRETTY_FUNCTION__._Z39paged_attention_ll4mi_QKV_mfma16_kernelI14__hip_bfloat16S0_LN4vllm18Fp8KVCacheDataTypeE0ES0_Li32ELi128ELi256ELb0ELi4EEvPKT_PKT0_S8_ifPKiSA_SA_iPKfiiiPfSD_PS3_PT2_iSC_SC_
__PRETTY_FUNCTION__._Z39paged_attention_ll4mi_QKV_mfma16_kernelI14__hip_bfloat16S0_LN4vllm18Fp8KVCacheDataTypeE0ES0_Li32ELi128ELi256ELb0ELi4EEvPKT_PKT0_S8_ifPKiSA_SA_iPKfiiiPfSD_PS3_PT2_iSC_SC_:
	.asciz	"void paged_attention_ll4mi_QKV_mfma16_kernel(const scalar_t *__restrict, const cache_t *__restrict, const cache_t *__restrict, const int, const float, const int *__restrict, const int *__restrict, const int *__restrict, const int, const float *__restrict, const int, const int, const int, float *__restrict, float *__restrict, scalar_t *__restrict, OUTT *__restrict, int, const float *, const float *) [scalar_t = __hip_bfloat16, cache_t = __hip_bfloat16, KV_DTYPE = vllm::Fp8KVCacheDataType::kAuto, OUTT = __hip_bfloat16, BLOCK_SIZE = 32, HEAD_SIZE = 128, NUM_THREADS = 256, ALIBI_ENABLED = false, GQA_RATIO = 4]"
	.size	__PRETTY_FUNCTION__._Z39paged_attention_ll4mi_QKV_mfma16_kernelI14__hip_bfloat16S0_LN4vllm18Fp8KVCacheDataTypeE0ES0_Li32ELi128ELi256ELb0ELi4EEvPKT_PKT0_S8_ifPKiSA_SA_iPKfiiiPfSD_PS3_PT2_iSC_SC_, 614

	.type	__PRETTY_FUNCTION__._Z38paged_attention_ll4mi_QKV_mfma4_kernelIDF16_hLN4vllm18Fp8KVCacheDataTypeE1EhLi16ELi64ELi256ELb1ELi1EEvPKT_PKT0_S7_ifPKiS9_S9_iPKfiiiPfSC_PS2_PT2_iSB_SB_,@object ; @__PRETTY_FUNCTION__._Z38paged_attention_ll4mi_QKV_mfma4_kernelIDF16_hLN4vllm18Fp8KVCacheDataTypeE1EhLi16ELi64ELi256ELb1ELi1EEvPKT_PKT0_S7_ifPKiS9_S9_iPKfiiiPfSC_PS2_PT2_iSB_SB_
__PRETTY_FUNCTION__._Z38paged_attention_ll4mi_QKV_mfma4_kernelIDF16_hLN4vllm18Fp8KVCacheDataTypeE1EhLi16ELi64ELi256ELb1ELi1EEvPKT_PKT0_S7_ifPKiS9_S9_iPKfiiiPfSC_PS2_PT2_iSB_SB_:
	.asciz	"void paged_attention_ll4mi_QKV_mfma4_kernel(const scalar_t *__restrict, const cache_t *__restrict, const cache_t *__restrict, const int, const float, const int *__restrict, const int *__restrict, const int *__restrict, const int, const float *__restrict, const int, const int, const int, float *__restrict, float *__restrict, scalar_t *__restrict, OUTT *__restrict, int, const float *, const float *) [scalar_t = _Float16, cache_t = unsigned char, KV_DTYPE = vllm::Fp8KVCacheDataType::kFp8E4M3, OUTT = unsigned char, BLOCK_SIZE = 16, HEAD_SIZE = 64, NUM_THREADS = 256, ALIBI_ENABLED = true, GQA_RATIO = 1]"
	.size	__PRETTY_FUNCTION__._Z38paged_attention_ll4mi_QKV_mfma4_kernelIDF16_hLN4vllm18Fp8KVCacheDataTypeE1EhLi16ELi64ELi256ELb1ELi1EEvPKT_PKT0_S7_ifPKiS9_S9_iPKfiiiPfSC_PS2_PT2_iSB_SB_, 606

	.type	__PRETTY_FUNCTION__._Z38paged_attention_ll4mi_QKV_mfma4_kernelIDF16_hLN4vllm18Fp8KVCacheDataTypeE1EhLi16ELi64ELi256ELb1ELi2EEvPKT_PKT0_S7_ifPKiS9_S9_iPKfiiiPfSC_PS2_PT2_iSB_SB_,@object ; @__PRETTY_FUNCTION__._Z38paged_attention_ll4mi_QKV_mfma4_kernelIDF16_hLN4vllm18Fp8KVCacheDataTypeE1EhLi16ELi64ELi256ELb1ELi2EEvPKT_PKT0_S7_ifPKiS9_S9_iPKfiiiPfSC_PS2_PT2_iSB_SB_
__PRETTY_FUNCTION__._Z38paged_attention_ll4mi_QKV_mfma4_kernelIDF16_hLN4vllm18Fp8KVCacheDataTypeE1EhLi16ELi64ELi256ELb1ELi2EEvPKT_PKT0_S7_ifPKiS9_S9_iPKfiiiPfSC_PS2_PT2_iSB_SB_:
	.asciz	"void paged_attention_ll4mi_QKV_mfma4_kernel(const scalar_t *__restrict, const cache_t *__restrict, const cache_t *__restrict, const int, const float, const int *__restrict, const int *__restrict, const int *__restrict, const int, const float *__restrict, const int, const int, const int, float *__restrict, float *__restrict, scalar_t *__restrict, OUTT *__restrict, int, const float *, const float *) [scalar_t = _Float16, cache_t = unsigned char, KV_DTYPE = vllm::Fp8KVCacheDataType::kFp8E4M3, OUTT = unsigned char, BLOCK_SIZE = 16, HEAD_SIZE = 64, NUM_THREADS = 256, ALIBI_ENABLED = true, GQA_RATIO = 2]"
	.size	__PRETTY_FUNCTION__._Z38paged_attention_ll4mi_QKV_mfma4_kernelIDF16_hLN4vllm18Fp8KVCacheDataTypeE1EhLi16ELi64ELi256ELb1ELi2EEvPKT_PKT0_S7_ifPKiS9_S9_iPKfiiiPfSC_PS2_PT2_iSB_SB_, 606

	.type	__PRETTY_FUNCTION__._Z38paged_attention_ll4mi_QKV_mfma4_kernelIDF16_hLN4vllm18Fp8KVCacheDataTypeE1EhLi16ELi64ELi256ELb1ELi3EEvPKT_PKT0_S7_ifPKiS9_S9_iPKfiiiPfSC_PS2_PT2_iSB_SB_,@object ; @__PRETTY_FUNCTION__._Z38paged_attention_ll4mi_QKV_mfma4_kernelIDF16_hLN4vllm18Fp8KVCacheDataTypeE1EhLi16ELi64ELi256ELb1ELi3EEvPKT_PKT0_S7_ifPKiS9_S9_iPKfiiiPfSC_PS2_PT2_iSB_SB_
__PRETTY_FUNCTION__._Z38paged_attention_ll4mi_QKV_mfma4_kernelIDF16_hLN4vllm18Fp8KVCacheDataTypeE1EhLi16ELi64ELi256ELb1ELi3EEvPKT_PKT0_S7_ifPKiS9_S9_iPKfiiiPfSC_PS2_PT2_iSB_SB_:
	.asciz	"void paged_attention_ll4mi_QKV_mfma4_kernel(const scalar_t *__restrict, const cache_t *__restrict, const cache_t *__restrict, const int, const float, const int *__restrict, const int *__restrict, const int *__restrict, const int, const float *__restrict, const int, const int, const int, float *__restrict, float *__restrict, scalar_t *__restrict, OUTT *__restrict, int, const float *, const float *) [scalar_t = _Float16, cache_t = unsigned char, KV_DTYPE = vllm::Fp8KVCacheDataType::kFp8E4M3, OUTT = unsigned char, BLOCK_SIZE = 16, HEAD_SIZE = 64, NUM_THREADS = 256, ALIBI_ENABLED = true, GQA_RATIO = 3]"
	.size	__PRETTY_FUNCTION__._Z38paged_attention_ll4mi_QKV_mfma4_kernelIDF16_hLN4vllm18Fp8KVCacheDataTypeE1EhLi16ELi64ELi256ELb1ELi3EEvPKT_PKT0_S7_ifPKiS9_S9_iPKfiiiPfSC_PS2_PT2_iSB_SB_, 606

	.type	__PRETTY_FUNCTION__._Z38paged_attention_ll4mi_QKV_mfma4_kernelIDF16_hLN4vllm18Fp8KVCacheDataTypeE1EhLi16ELi64ELi256ELb1ELi4EEvPKT_PKT0_S7_ifPKiS9_S9_iPKfiiiPfSC_PS2_PT2_iSB_SB_,@object ; @__PRETTY_FUNCTION__._Z38paged_attention_ll4mi_QKV_mfma4_kernelIDF16_hLN4vllm18Fp8KVCacheDataTypeE1EhLi16ELi64ELi256ELb1ELi4EEvPKT_PKT0_S7_ifPKiS9_S9_iPKfiiiPfSC_PS2_PT2_iSB_SB_
__PRETTY_FUNCTION__._Z38paged_attention_ll4mi_QKV_mfma4_kernelIDF16_hLN4vllm18Fp8KVCacheDataTypeE1EhLi16ELi64ELi256ELb1ELi4EEvPKT_PKT0_S7_ifPKiS9_S9_iPKfiiiPfSC_PS2_PT2_iSB_SB_:
	.asciz	"void paged_attention_ll4mi_QKV_mfma4_kernel(const scalar_t *__restrict, const cache_t *__restrict, const cache_t *__restrict, const int, const float, const int *__restrict, const int *__restrict, const int *__restrict, const int, const float *__restrict, const int, const int, const int, float *__restrict, float *__restrict, scalar_t *__restrict, OUTT *__restrict, int, const float *, const float *) [scalar_t = _Float16, cache_t = unsigned char, KV_DTYPE = vllm::Fp8KVCacheDataType::kFp8E4M3, OUTT = unsigned char, BLOCK_SIZE = 16, HEAD_SIZE = 64, NUM_THREADS = 256, ALIBI_ENABLED = true, GQA_RATIO = 4]"
	.size	__PRETTY_FUNCTION__._Z38paged_attention_ll4mi_QKV_mfma4_kernelIDF16_hLN4vllm18Fp8KVCacheDataTypeE1EhLi16ELi64ELi256ELb1ELi4EEvPKT_PKT0_S7_ifPKiS9_S9_iPKfiiiPfSC_PS2_PT2_iSB_SB_, 606

	.type	__PRETTY_FUNCTION__._Z39paged_attention_ll4mi_QKV_mfma16_kernelIDF16_hLN4vllm18Fp8KVCacheDataTypeE1EhLi16ELi64ELi256ELb1ELi5EEvPKT_PKT0_S7_ifPKiS9_S9_iPKfiiiPfSC_PS2_PT2_iSB_SB_,@object ; @__PRETTY_FUNCTION__._Z39paged_attention_ll4mi_QKV_mfma16_kernelIDF16_hLN4vllm18Fp8KVCacheDataTypeE1EhLi16ELi64ELi256ELb1ELi5EEvPKT_PKT0_S7_ifPKiS9_S9_iPKfiiiPfSC_PS2_PT2_iSB_SB_
__PRETTY_FUNCTION__._Z39paged_attention_ll4mi_QKV_mfma16_kernelIDF16_hLN4vllm18Fp8KVCacheDataTypeE1EhLi16ELi64ELi256ELb1ELi5EEvPKT_PKT0_S7_ifPKiS9_S9_iPKfiiiPfSC_PS2_PT2_iSB_SB_:
	.asciz	"void paged_attention_ll4mi_QKV_mfma16_kernel(const scalar_t *__restrict, const cache_t *__restrict, const cache_t *__restrict, const int, const float, const int *__restrict, const int *__restrict, const int *__restrict, const int, const float *__restrict, const int, const int, const int, float *__restrict, float *__restrict, scalar_t *__restrict, OUTT *__restrict, int, const float *, const float *) [scalar_t = _Float16, cache_t = unsigned char, KV_DTYPE = vllm::Fp8KVCacheDataType::kFp8E4M3, OUTT = unsigned char, BLOCK_SIZE = 16, HEAD_SIZE = 64, NUM_THREADS = 256, ALIBI_ENABLED = true, GQA_RATIO = 5]"
	.size	__PRETTY_FUNCTION__._Z39paged_attention_ll4mi_QKV_mfma16_kernelIDF16_hLN4vllm18Fp8KVCacheDataTypeE1EhLi16ELi64ELi256ELb1ELi5EEvPKT_PKT0_S7_ifPKiS9_S9_iPKfiiiPfSC_PS2_PT2_iSB_SB_, 607

	.type	__PRETTY_FUNCTION__._Z39paged_attention_ll4mi_QKV_mfma16_kernelIDF16_hLN4vllm18Fp8KVCacheDataTypeE1EhLi16ELi64ELi256ELb1ELi6EEvPKT_PKT0_S7_ifPKiS9_S9_iPKfiiiPfSC_PS2_PT2_iSB_SB_,@object ; @__PRETTY_FUNCTION__._Z39paged_attention_ll4mi_QKV_mfma16_kernelIDF16_hLN4vllm18Fp8KVCacheDataTypeE1EhLi16ELi64ELi256ELb1ELi6EEvPKT_PKT0_S7_ifPKiS9_S9_iPKfiiiPfSC_PS2_PT2_iSB_SB_
__PRETTY_FUNCTION__._Z39paged_attention_ll4mi_QKV_mfma16_kernelIDF16_hLN4vllm18Fp8KVCacheDataTypeE1EhLi16ELi64ELi256ELb1ELi6EEvPKT_PKT0_S7_ifPKiS9_S9_iPKfiiiPfSC_PS2_PT2_iSB_SB_:
	.asciz	"void paged_attention_ll4mi_QKV_mfma16_kernel(const scalar_t *__restrict, const cache_t *__restrict, const cache_t *__restrict, const int, const float, const int *__restrict, const int *__restrict, const int *__restrict, const int, const float *__restrict, const int, const int, const int, float *__restrict, float *__restrict, scalar_t *__restrict, OUTT *__restrict, int, const float *, const float *) [scalar_t = _Float16, cache_t = unsigned char, KV_DTYPE = vllm::Fp8KVCacheDataType::kFp8E4M3, OUTT = unsigned char, BLOCK_SIZE = 16, HEAD_SIZE = 64, NUM_THREADS = 256, ALIBI_ENABLED = true, GQA_RATIO = 6]"
	.size	__PRETTY_FUNCTION__._Z39paged_attention_ll4mi_QKV_mfma16_kernelIDF16_hLN4vllm18Fp8KVCacheDataTypeE1EhLi16ELi64ELi256ELb1ELi6EEvPKT_PKT0_S7_ifPKiS9_S9_iPKfiiiPfSC_PS2_PT2_iSB_SB_, 607

	.type	__PRETTY_FUNCTION__._Z39paged_attention_ll4mi_QKV_mfma16_kernelIDF16_hLN4vllm18Fp8KVCacheDataTypeE1EhLi16ELi64ELi256ELb1ELi7EEvPKT_PKT0_S7_ifPKiS9_S9_iPKfiiiPfSC_PS2_PT2_iSB_SB_,@object ; @__PRETTY_FUNCTION__._Z39paged_attention_ll4mi_QKV_mfma16_kernelIDF16_hLN4vllm18Fp8KVCacheDataTypeE1EhLi16ELi64ELi256ELb1ELi7EEvPKT_PKT0_S7_ifPKiS9_S9_iPKfiiiPfSC_PS2_PT2_iSB_SB_
__PRETTY_FUNCTION__._Z39paged_attention_ll4mi_QKV_mfma16_kernelIDF16_hLN4vllm18Fp8KVCacheDataTypeE1EhLi16ELi64ELi256ELb1ELi7EEvPKT_PKT0_S7_ifPKiS9_S9_iPKfiiiPfSC_PS2_PT2_iSB_SB_:
	.asciz	"void paged_attention_ll4mi_QKV_mfma16_kernel(const scalar_t *__restrict, const cache_t *__restrict, const cache_t *__restrict, const int, const float, const int *__restrict, const int *__restrict, const int *__restrict, const int, const float *__restrict, const int, const int, const int, float *__restrict, float *__restrict, scalar_t *__restrict, OUTT *__restrict, int, const float *, const float *) [scalar_t = _Float16, cache_t = unsigned char, KV_DTYPE = vllm::Fp8KVCacheDataType::kFp8E4M3, OUTT = unsigned char, BLOCK_SIZE = 16, HEAD_SIZE = 64, NUM_THREADS = 256, ALIBI_ENABLED = true, GQA_RATIO = 7]"
	.size	__PRETTY_FUNCTION__._Z39paged_attention_ll4mi_QKV_mfma16_kernelIDF16_hLN4vllm18Fp8KVCacheDataTypeE1EhLi16ELi64ELi256ELb1ELi7EEvPKT_PKT0_S7_ifPKiS9_S9_iPKfiiiPfSC_PS2_PT2_iSB_SB_, 607

	.type	__PRETTY_FUNCTION__._Z39paged_attention_ll4mi_QKV_mfma16_kernelIDF16_hLN4vllm18Fp8KVCacheDataTypeE1EhLi16ELi64ELi256ELb1ELi8EEvPKT_PKT0_S7_ifPKiS9_S9_iPKfiiiPfSC_PS2_PT2_iSB_SB_,@object ; @__PRETTY_FUNCTION__._Z39paged_attention_ll4mi_QKV_mfma16_kernelIDF16_hLN4vllm18Fp8KVCacheDataTypeE1EhLi16ELi64ELi256ELb1ELi8EEvPKT_PKT0_S7_ifPKiS9_S9_iPKfiiiPfSC_PS2_PT2_iSB_SB_
__PRETTY_FUNCTION__._Z39paged_attention_ll4mi_QKV_mfma16_kernelIDF16_hLN4vllm18Fp8KVCacheDataTypeE1EhLi16ELi64ELi256ELb1ELi8EEvPKT_PKT0_S7_ifPKiS9_S9_iPKfiiiPfSC_PS2_PT2_iSB_SB_:
	.asciz	"void paged_attention_ll4mi_QKV_mfma16_kernel(const scalar_t *__restrict, const cache_t *__restrict, const cache_t *__restrict, const int, const float, const int *__restrict, const int *__restrict, const int *__restrict, const int, const float *__restrict, const int, const int, const int, float *__restrict, float *__restrict, scalar_t *__restrict, OUTT *__restrict, int, const float *, const float *) [scalar_t = _Float16, cache_t = unsigned char, KV_DTYPE = vllm::Fp8KVCacheDataType::kFp8E4M3, OUTT = unsigned char, BLOCK_SIZE = 16, HEAD_SIZE = 64, NUM_THREADS = 256, ALIBI_ENABLED = true, GQA_RATIO = 8]"
	.size	__PRETTY_FUNCTION__._Z39paged_attention_ll4mi_QKV_mfma16_kernelIDF16_hLN4vllm18Fp8KVCacheDataTypeE1EhLi16ELi64ELi256ELb1ELi8EEvPKT_PKT0_S7_ifPKiS9_S9_iPKfiiiPfSC_PS2_PT2_iSB_SB_, 607

	.type	__PRETTY_FUNCTION__._Z39paged_attention_ll4mi_QKV_mfma16_kernelIDF16_hLN4vllm18Fp8KVCacheDataTypeE1EhLi16ELi64ELi256ELb1ELi9EEvPKT_PKT0_S7_ifPKiS9_S9_iPKfiiiPfSC_PS2_PT2_iSB_SB_,@object ; @__PRETTY_FUNCTION__._Z39paged_attention_ll4mi_QKV_mfma16_kernelIDF16_hLN4vllm18Fp8KVCacheDataTypeE1EhLi16ELi64ELi256ELb1ELi9EEvPKT_PKT0_S7_ifPKiS9_S9_iPKfiiiPfSC_PS2_PT2_iSB_SB_
__PRETTY_FUNCTION__._Z39paged_attention_ll4mi_QKV_mfma16_kernelIDF16_hLN4vllm18Fp8KVCacheDataTypeE1EhLi16ELi64ELi256ELb1ELi9EEvPKT_PKT0_S7_ifPKiS9_S9_iPKfiiiPfSC_PS2_PT2_iSB_SB_:
	.asciz	"void paged_attention_ll4mi_QKV_mfma16_kernel(const scalar_t *__restrict, const cache_t *__restrict, const cache_t *__restrict, const int, const float, const int *__restrict, const int *__restrict, const int *__restrict, const int, const float *__restrict, const int, const int, const int, float *__restrict, float *__restrict, scalar_t *__restrict, OUTT *__restrict, int, const float *, const float *) [scalar_t = _Float16, cache_t = unsigned char, KV_DTYPE = vllm::Fp8KVCacheDataType::kFp8E4M3, OUTT = unsigned char, BLOCK_SIZE = 16, HEAD_SIZE = 64, NUM_THREADS = 256, ALIBI_ENABLED = true, GQA_RATIO = 9]"
	.size	__PRETTY_FUNCTION__._Z39paged_attention_ll4mi_QKV_mfma16_kernelIDF16_hLN4vllm18Fp8KVCacheDataTypeE1EhLi16ELi64ELi256ELb1ELi9EEvPKT_PKT0_S7_ifPKiS9_S9_iPKfiiiPfSC_PS2_PT2_iSB_SB_, 607

	.type	__PRETTY_FUNCTION__._Z39paged_attention_ll4mi_QKV_mfma16_kernelIDF16_hLN4vllm18Fp8KVCacheDataTypeE1EhLi16ELi64ELi256ELb1ELi10EEvPKT_PKT0_S7_ifPKiS9_S9_iPKfiiiPfSC_PS2_PT2_iSB_SB_,@object ; @__PRETTY_FUNCTION__._Z39paged_attention_ll4mi_QKV_mfma16_kernelIDF16_hLN4vllm18Fp8KVCacheDataTypeE1EhLi16ELi64ELi256ELb1ELi10EEvPKT_PKT0_S7_ifPKiS9_S9_iPKfiiiPfSC_PS2_PT2_iSB_SB_
__PRETTY_FUNCTION__._Z39paged_attention_ll4mi_QKV_mfma16_kernelIDF16_hLN4vllm18Fp8KVCacheDataTypeE1EhLi16ELi64ELi256ELb1ELi10EEvPKT_PKT0_S7_ifPKiS9_S9_iPKfiiiPfSC_PS2_PT2_iSB_SB_:
	.asciz	"void paged_attention_ll4mi_QKV_mfma16_kernel(const scalar_t *__restrict, const cache_t *__restrict, const cache_t *__restrict, const int, const float, const int *__restrict, const int *__restrict, const int *__restrict, const int, const float *__restrict, const int, const int, const int, float *__restrict, float *__restrict, scalar_t *__restrict, OUTT *__restrict, int, const float *, const float *) [scalar_t = _Float16, cache_t = unsigned char, KV_DTYPE = vllm::Fp8KVCacheDataType::kFp8E4M3, OUTT = unsigned char, BLOCK_SIZE = 16, HEAD_SIZE = 64, NUM_THREADS = 256, ALIBI_ENABLED = true, GQA_RATIO = 10]"
	.size	__PRETTY_FUNCTION__._Z39paged_attention_ll4mi_QKV_mfma16_kernelIDF16_hLN4vllm18Fp8KVCacheDataTypeE1EhLi16ELi64ELi256ELb1ELi10EEvPKT_PKT0_S7_ifPKiS9_S9_iPKfiiiPfSC_PS2_PT2_iSB_SB_, 608

	.type	__PRETTY_FUNCTION__._Z39paged_attention_ll4mi_QKV_mfma16_kernelIDF16_hLN4vllm18Fp8KVCacheDataTypeE1EhLi16ELi64ELi256ELb1ELi11EEvPKT_PKT0_S7_ifPKiS9_S9_iPKfiiiPfSC_PS2_PT2_iSB_SB_,@object ; @__PRETTY_FUNCTION__._Z39paged_attention_ll4mi_QKV_mfma16_kernelIDF16_hLN4vllm18Fp8KVCacheDataTypeE1EhLi16ELi64ELi256ELb1ELi11EEvPKT_PKT0_S7_ifPKiS9_S9_iPKfiiiPfSC_PS2_PT2_iSB_SB_
__PRETTY_FUNCTION__._Z39paged_attention_ll4mi_QKV_mfma16_kernelIDF16_hLN4vllm18Fp8KVCacheDataTypeE1EhLi16ELi64ELi256ELb1ELi11EEvPKT_PKT0_S7_ifPKiS9_S9_iPKfiiiPfSC_PS2_PT2_iSB_SB_:
	.asciz	"void paged_attention_ll4mi_QKV_mfma16_kernel(const scalar_t *__restrict, const cache_t *__restrict, const cache_t *__restrict, const int, const float, const int *__restrict, const int *__restrict, const int *__restrict, const int, const float *__restrict, const int, const int, const int, float *__restrict, float *__restrict, scalar_t *__restrict, OUTT *__restrict, int, const float *, const float *) [scalar_t = _Float16, cache_t = unsigned char, KV_DTYPE = vllm::Fp8KVCacheDataType::kFp8E4M3, OUTT = unsigned char, BLOCK_SIZE = 16, HEAD_SIZE = 64, NUM_THREADS = 256, ALIBI_ENABLED = true, GQA_RATIO = 11]"
	.size	__PRETTY_FUNCTION__._Z39paged_attention_ll4mi_QKV_mfma16_kernelIDF16_hLN4vllm18Fp8KVCacheDataTypeE1EhLi16ELi64ELi256ELb1ELi11EEvPKT_PKT0_S7_ifPKiS9_S9_iPKfiiiPfSC_PS2_PT2_iSB_SB_, 608

	.type	__PRETTY_FUNCTION__._Z39paged_attention_ll4mi_QKV_mfma16_kernelIDF16_hLN4vllm18Fp8KVCacheDataTypeE1EhLi16ELi64ELi256ELb1ELi12EEvPKT_PKT0_S7_ifPKiS9_S9_iPKfiiiPfSC_PS2_PT2_iSB_SB_,@object ; @__PRETTY_FUNCTION__._Z39paged_attention_ll4mi_QKV_mfma16_kernelIDF16_hLN4vllm18Fp8KVCacheDataTypeE1EhLi16ELi64ELi256ELb1ELi12EEvPKT_PKT0_S7_ifPKiS9_S9_iPKfiiiPfSC_PS2_PT2_iSB_SB_
__PRETTY_FUNCTION__._Z39paged_attention_ll4mi_QKV_mfma16_kernelIDF16_hLN4vllm18Fp8KVCacheDataTypeE1EhLi16ELi64ELi256ELb1ELi12EEvPKT_PKT0_S7_ifPKiS9_S9_iPKfiiiPfSC_PS2_PT2_iSB_SB_:
	.asciz	"void paged_attention_ll4mi_QKV_mfma16_kernel(const scalar_t *__restrict, const cache_t *__restrict, const cache_t *__restrict, const int, const float, const int *__restrict, const int *__restrict, const int *__restrict, const int, const float *__restrict, const int, const int, const int, float *__restrict, float *__restrict, scalar_t *__restrict, OUTT *__restrict, int, const float *, const float *) [scalar_t = _Float16, cache_t = unsigned char, KV_DTYPE = vllm::Fp8KVCacheDataType::kFp8E4M3, OUTT = unsigned char, BLOCK_SIZE = 16, HEAD_SIZE = 64, NUM_THREADS = 256, ALIBI_ENABLED = true, GQA_RATIO = 12]"
	.size	__PRETTY_FUNCTION__._Z39paged_attention_ll4mi_QKV_mfma16_kernelIDF16_hLN4vllm18Fp8KVCacheDataTypeE1EhLi16ELi64ELi256ELb1ELi12EEvPKT_PKT0_S7_ifPKiS9_S9_iPKfiiiPfSC_PS2_PT2_iSB_SB_, 608

	.type	__PRETTY_FUNCTION__._Z39paged_attention_ll4mi_QKV_mfma16_kernelIDF16_hLN4vllm18Fp8KVCacheDataTypeE1EhLi16ELi64ELi256ELb1ELi13EEvPKT_PKT0_S7_ifPKiS9_S9_iPKfiiiPfSC_PS2_PT2_iSB_SB_,@object ; @__PRETTY_FUNCTION__._Z39paged_attention_ll4mi_QKV_mfma16_kernelIDF16_hLN4vllm18Fp8KVCacheDataTypeE1EhLi16ELi64ELi256ELb1ELi13EEvPKT_PKT0_S7_ifPKiS9_S9_iPKfiiiPfSC_PS2_PT2_iSB_SB_
__PRETTY_FUNCTION__._Z39paged_attention_ll4mi_QKV_mfma16_kernelIDF16_hLN4vllm18Fp8KVCacheDataTypeE1EhLi16ELi64ELi256ELb1ELi13EEvPKT_PKT0_S7_ifPKiS9_S9_iPKfiiiPfSC_PS2_PT2_iSB_SB_:
	.asciz	"void paged_attention_ll4mi_QKV_mfma16_kernel(const scalar_t *__restrict, const cache_t *__restrict, const cache_t *__restrict, const int, const float, const int *__restrict, const int *__restrict, const int *__restrict, const int, const float *__restrict, const int, const int, const int, float *__restrict, float *__restrict, scalar_t *__restrict, OUTT *__restrict, int, const float *, const float *) [scalar_t = _Float16, cache_t = unsigned char, KV_DTYPE = vllm::Fp8KVCacheDataType::kFp8E4M3, OUTT = unsigned char, BLOCK_SIZE = 16, HEAD_SIZE = 64, NUM_THREADS = 256, ALIBI_ENABLED = true, GQA_RATIO = 13]"
	.size	__PRETTY_FUNCTION__._Z39paged_attention_ll4mi_QKV_mfma16_kernelIDF16_hLN4vllm18Fp8KVCacheDataTypeE1EhLi16ELi64ELi256ELb1ELi13EEvPKT_PKT0_S7_ifPKiS9_S9_iPKfiiiPfSC_PS2_PT2_iSB_SB_, 608

	.type	__PRETTY_FUNCTION__._Z39paged_attention_ll4mi_QKV_mfma16_kernelIDF16_hLN4vllm18Fp8KVCacheDataTypeE1EhLi16ELi64ELi256ELb1ELi14EEvPKT_PKT0_S7_ifPKiS9_S9_iPKfiiiPfSC_PS2_PT2_iSB_SB_,@object ; @__PRETTY_FUNCTION__._Z39paged_attention_ll4mi_QKV_mfma16_kernelIDF16_hLN4vllm18Fp8KVCacheDataTypeE1EhLi16ELi64ELi256ELb1ELi14EEvPKT_PKT0_S7_ifPKiS9_S9_iPKfiiiPfSC_PS2_PT2_iSB_SB_
__PRETTY_FUNCTION__._Z39paged_attention_ll4mi_QKV_mfma16_kernelIDF16_hLN4vllm18Fp8KVCacheDataTypeE1EhLi16ELi64ELi256ELb1ELi14EEvPKT_PKT0_S7_ifPKiS9_S9_iPKfiiiPfSC_PS2_PT2_iSB_SB_:
	.asciz	"void paged_attention_ll4mi_QKV_mfma16_kernel(const scalar_t *__restrict, const cache_t *__restrict, const cache_t *__restrict, const int, const float, const int *__restrict, const int *__restrict, const int *__restrict, const int, const float *__restrict, const int, const int, const int, float *__restrict, float *__restrict, scalar_t *__restrict, OUTT *__restrict, int, const float *, const float *) [scalar_t = _Float16, cache_t = unsigned char, KV_DTYPE = vllm::Fp8KVCacheDataType::kFp8E4M3, OUTT = unsigned char, BLOCK_SIZE = 16, HEAD_SIZE = 64, NUM_THREADS = 256, ALIBI_ENABLED = true, GQA_RATIO = 14]"
	.size	__PRETTY_FUNCTION__._Z39paged_attention_ll4mi_QKV_mfma16_kernelIDF16_hLN4vllm18Fp8KVCacheDataTypeE1EhLi16ELi64ELi256ELb1ELi14EEvPKT_PKT0_S7_ifPKiS9_S9_iPKfiiiPfSC_PS2_PT2_iSB_SB_, 608

	.type	__PRETTY_FUNCTION__._Z39paged_attention_ll4mi_QKV_mfma16_kernelIDF16_hLN4vllm18Fp8KVCacheDataTypeE1EhLi16ELi64ELi256ELb1ELi15EEvPKT_PKT0_S7_ifPKiS9_S9_iPKfiiiPfSC_PS2_PT2_iSB_SB_,@object ; @__PRETTY_FUNCTION__._Z39paged_attention_ll4mi_QKV_mfma16_kernelIDF16_hLN4vllm18Fp8KVCacheDataTypeE1EhLi16ELi64ELi256ELb1ELi15EEvPKT_PKT0_S7_ifPKiS9_S9_iPKfiiiPfSC_PS2_PT2_iSB_SB_
__PRETTY_FUNCTION__._Z39paged_attention_ll4mi_QKV_mfma16_kernelIDF16_hLN4vllm18Fp8KVCacheDataTypeE1EhLi16ELi64ELi256ELb1ELi15EEvPKT_PKT0_S7_ifPKiS9_S9_iPKfiiiPfSC_PS2_PT2_iSB_SB_:
	.asciz	"void paged_attention_ll4mi_QKV_mfma16_kernel(const scalar_t *__restrict, const cache_t *__restrict, const cache_t *__restrict, const int, const float, const int *__restrict, const int *__restrict, const int *__restrict, const int, const float *__restrict, const int, const int, const int, float *__restrict, float *__restrict, scalar_t *__restrict, OUTT *__restrict, int, const float *, const float *) [scalar_t = _Float16, cache_t = unsigned char, KV_DTYPE = vllm::Fp8KVCacheDataType::kFp8E4M3, OUTT = unsigned char, BLOCK_SIZE = 16, HEAD_SIZE = 64, NUM_THREADS = 256, ALIBI_ENABLED = true, GQA_RATIO = 15]"
	.size	__PRETTY_FUNCTION__._Z39paged_attention_ll4mi_QKV_mfma16_kernelIDF16_hLN4vllm18Fp8KVCacheDataTypeE1EhLi16ELi64ELi256ELb1ELi15EEvPKT_PKT0_S7_ifPKiS9_S9_iPKfiiiPfSC_PS2_PT2_iSB_SB_, 608

	.type	__PRETTY_FUNCTION__._Z39paged_attention_ll4mi_QKV_mfma16_kernelIDF16_hLN4vllm18Fp8KVCacheDataTypeE1EhLi16ELi64ELi256ELb1ELi16EEvPKT_PKT0_S7_ifPKiS9_S9_iPKfiiiPfSC_PS2_PT2_iSB_SB_,@object ; @__PRETTY_FUNCTION__._Z39paged_attention_ll4mi_QKV_mfma16_kernelIDF16_hLN4vllm18Fp8KVCacheDataTypeE1EhLi16ELi64ELi256ELb1ELi16EEvPKT_PKT0_S7_ifPKiS9_S9_iPKfiiiPfSC_PS2_PT2_iSB_SB_
__PRETTY_FUNCTION__._Z39paged_attention_ll4mi_QKV_mfma16_kernelIDF16_hLN4vllm18Fp8KVCacheDataTypeE1EhLi16ELi64ELi256ELb1ELi16EEvPKT_PKT0_S7_ifPKiS9_S9_iPKfiiiPfSC_PS2_PT2_iSB_SB_:
	.asciz	"void paged_attention_ll4mi_QKV_mfma16_kernel(const scalar_t *__restrict, const cache_t *__restrict, const cache_t *__restrict, const int, const float, const int *__restrict, const int *__restrict, const int *__restrict, const int, const float *__restrict, const int, const int, const int, float *__restrict, float *__restrict, scalar_t *__restrict, OUTT *__restrict, int, const float *, const float *) [scalar_t = _Float16, cache_t = unsigned char, KV_DTYPE = vllm::Fp8KVCacheDataType::kFp8E4M3, OUTT = unsigned char, BLOCK_SIZE = 16, HEAD_SIZE = 64, NUM_THREADS = 256, ALIBI_ENABLED = true, GQA_RATIO = 16]"
	.size	__PRETTY_FUNCTION__._Z39paged_attention_ll4mi_QKV_mfma16_kernelIDF16_hLN4vllm18Fp8KVCacheDataTypeE1EhLi16ELi64ELi256ELb1ELi16EEvPKT_PKT0_S7_ifPKiS9_S9_iPKfiiiPfSC_PS2_PT2_iSB_SB_, 608

	.type	__PRETTY_FUNCTION__._Z39paged_attention_ll4mi_QKV_mfma16_kernelIDF16_hLN4vllm18Fp8KVCacheDataTypeE1EhLi16ELi64ELi256ELb1ELi1EEvPKT_PKT0_S7_ifPKiS9_S9_iPKfiiiPfSC_PS2_PT2_iSB_SB_,@object ; @__PRETTY_FUNCTION__._Z39paged_attention_ll4mi_QKV_mfma16_kernelIDF16_hLN4vllm18Fp8KVCacheDataTypeE1EhLi16ELi64ELi256ELb1ELi1EEvPKT_PKT0_S7_ifPKiS9_S9_iPKfiiiPfSC_PS2_PT2_iSB_SB_
__PRETTY_FUNCTION__._Z39paged_attention_ll4mi_QKV_mfma16_kernelIDF16_hLN4vllm18Fp8KVCacheDataTypeE1EhLi16ELi64ELi256ELb1ELi1EEvPKT_PKT0_S7_ifPKiS9_S9_iPKfiiiPfSC_PS2_PT2_iSB_SB_:
	.asciz	"void paged_attention_ll4mi_QKV_mfma16_kernel(const scalar_t *__restrict, const cache_t *__restrict, const cache_t *__restrict, const int, const float, const int *__restrict, const int *__restrict, const int *__restrict, const int, const float *__restrict, const int, const int, const int, float *__restrict, float *__restrict, scalar_t *__restrict, OUTT *__restrict, int, const float *, const float *) [scalar_t = _Float16, cache_t = unsigned char, KV_DTYPE = vllm::Fp8KVCacheDataType::kFp8E4M3, OUTT = unsigned char, BLOCK_SIZE = 16, HEAD_SIZE = 64, NUM_THREADS = 256, ALIBI_ENABLED = true, GQA_RATIO = 1]"
	.size	__PRETTY_FUNCTION__._Z39paged_attention_ll4mi_QKV_mfma16_kernelIDF16_hLN4vllm18Fp8KVCacheDataTypeE1EhLi16ELi64ELi256ELb1ELi1EEvPKT_PKT0_S7_ifPKiS9_S9_iPKfiiiPfSC_PS2_PT2_iSB_SB_, 607

	.type	__PRETTY_FUNCTION__._Z39paged_attention_ll4mi_QKV_mfma16_kernelIDF16_hLN4vllm18Fp8KVCacheDataTypeE1EhLi16ELi64ELi256ELb1ELi2EEvPKT_PKT0_S7_ifPKiS9_S9_iPKfiiiPfSC_PS2_PT2_iSB_SB_,@object ; @__PRETTY_FUNCTION__._Z39paged_attention_ll4mi_QKV_mfma16_kernelIDF16_hLN4vllm18Fp8KVCacheDataTypeE1EhLi16ELi64ELi256ELb1ELi2EEvPKT_PKT0_S7_ifPKiS9_S9_iPKfiiiPfSC_PS2_PT2_iSB_SB_
__PRETTY_FUNCTION__._Z39paged_attention_ll4mi_QKV_mfma16_kernelIDF16_hLN4vllm18Fp8KVCacheDataTypeE1EhLi16ELi64ELi256ELb1ELi2EEvPKT_PKT0_S7_ifPKiS9_S9_iPKfiiiPfSC_PS2_PT2_iSB_SB_:
	.asciz	"void paged_attention_ll4mi_QKV_mfma16_kernel(const scalar_t *__restrict, const cache_t *__restrict, const cache_t *__restrict, const int, const float, const int *__restrict, const int *__restrict, const int *__restrict, const int, const float *__restrict, const int, const int, const int, float *__restrict, float *__restrict, scalar_t *__restrict, OUTT *__restrict, int, const float *, const float *) [scalar_t = _Float16, cache_t = unsigned char, KV_DTYPE = vllm::Fp8KVCacheDataType::kFp8E4M3, OUTT = unsigned char, BLOCK_SIZE = 16, HEAD_SIZE = 64, NUM_THREADS = 256, ALIBI_ENABLED = true, GQA_RATIO = 2]"
	.size	__PRETTY_FUNCTION__._Z39paged_attention_ll4mi_QKV_mfma16_kernelIDF16_hLN4vllm18Fp8KVCacheDataTypeE1EhLi16ELi64ELi256ELb1ELi2EEvPKT_PKT0_S7_ifPKiS9_S9_iPKfiiiPfSC_PS2_PT2_iSB_SB_, 607

	.type	__PRETTY_FUNCTION__._Z39paged_attention_ll4mi_QKV_mfma16_kernelIDF16_hLN4vllm18Fp8KVCacheDataTypeE1EhLi16ELi64ELi256ELb1ELi3EEvPKT_PKT0_S7_ifPKiS9_S9_iPKfiiiPfSC_PS2_PT2_iSB_SB_,@object ; @__PRETTY_FUNCTION__._Z39paged_attention_ll4mi_QKV_mfma16_kernelIDF16_hLN4vllm18Fp8KVCacheDataTypeE1EhLi16ELi64ELi256ELb1ELi3EEvPKT_PKT0_S7_ifPKiS9_S9_iPKfiiiPfSC_PS2_PT2_iSB_SB_
__PRETTY_FUNCTION__._Z39paged_attention_ll4mi_QKV_mfma16_kernelIDF16_hLN4vllm18Fp8KVCacheDataTypeE1EhLi16ELi64ELi256ELb1ELi3EEvPKT_PKT0_S7_ifPKiS9_S9_iPKfiiiPfSC_PS2_PT2_iSB_SB_:
	.asciz	"void paged_attention_ll4mi_QKV_mfma16_kernel(const scalar_t *__restrict, const cache_t *__restrict, const cache_t *__restrict, const int, const float, const int *__restrict, const int *__restrict, const int *__restrict, const int, const float *__restrict, const int, const int, const int, float *__restrict, float *__restrict, scalar_t *__restrict, OUTT *__restrict, int, const float *, const float *) [scalar_t = _Float16, cache_t = unsigned char, KV_DTYPE = vllm::Fp8KVCacheDataType::kFp8E4M3, OUTT = unsigned char, BLOCK_SIZE = 16, HEAD_SIZE = 64, NUM_THREADS = 256, ALIBI_ENABLED = true, GQA_RATIO = 3]"
	.size	__PRETTY_FUNCTION__._Z39paged_attention_ll4mi_QKV_mfma16_kernelIDF16_hLN4vllm18Fp8KVCacheDataTypeE1EhLi16ELi64ELi256ELb1ELi3EEvPKT_PKT0_S7_ifPKiS9_S9_iPKfiiiPfSC_PS2_PT2_iSB_SB_, 607

	.type	__PRETTY_FUNCTION__._Z39paged_attention_ll4mi_QKV_mfma16_kernelIDF16_hLN4vllm18Fp8KVCacheDataTypeE1EhLi16ELi64ELi256ELb1ELi4EEvPKT_PKT0_S7_ifPKiS9_S9_iPKfiiiPfSC_PS2_PT2_iSB_SB_,@object ; @__PRETTY_FUNCTION__._Z39paged_attention_ll4mi_QKV_mfma16_kernelIDF16_hLN4vllm18Fp8KVCacheDataTypeE1EhLi16ELi64ELi256ELb1ELi4EEvPKT_PKT0_S7_ifPKiS9_S9_iPKfiiiPfSC_PS2_PT2_iSB_SB_
__PRETTY_FUNCTION__._Z39paged_attention_ll4mi_QKV_mfma16_kernelIDF16_hLN4vllm18Fp8KVCacheDataTypeE1EhLi16ELi64ELi256ELb1ELi4EEvPKT_PKT0_S7_ifPKiS9_S9_iPKfiiiPfSC_PS2_PT2_iSB_SB_:
	.asciz	"void paged_attention_ll4mi_QKV_mfma16_kernel(const scalar_t *__restrict, const cache_t *__restrict, const cache_t *__restrict, const int, const float, const int *__restrict, const int *__restrict, const int *__restrict, const int, const float *__restrict, const int, const int, const int, float *__restrict, float *__restrict, scalar_t *__restrict, OUTT *__restrict, int, const float *, const float *) [scalar_t = _Float16, cache_t = unsigned char, KV_DTYPE = vllm::Fp8KVCacheDataType::kFp8E4M3, OUTT = unsigned char, BLOCK_SIZE = 16, HEAD_SIZE = 64, NUM_THREADS = 256, ALIBI_ENABLED = true, GQA_RATIO = 4]"
	.size	__PRETTY_FUNCTION__._Z39paged_attention_ll4mi_QKV_mfma16_kernelIDF16_hLN4vllm18Fp8KVCacheDataTypeE1EhLi16ELi64ELi256ELb1ELi4EEvPKT_PKT0_S7_ifPKiS9_S9_iPKfiiiPfSC_PS2_PT2_iSB_SB_, 607

	.type	__PRETTY_FUNCTION__._Z38paged_attention_ll4mi_QKV_mfma4_kernelIDF16_hLN4vllm18Fp8KVCacheDataTypeE1EhLi16ELi64ELi256ELb0ELi1EEvPKT_PKT0_S7_ifPKiS9_S9_iPKfiiiPfSC_PS2_PT2_iSB_SB_,@object ; @__PRETTY_FUNCTION__._Z38paged_attention_ll4mi_QKV_mfma4_kernelIDF16_hLN4vllm18Fp8KVCacheDataTypeE1EhLi16ELi64ELi256ELb0ELi1EEvPKT_PKT0_S7_ifPKiS9_S9_iPKfiiiPfSC_PS2_PT2_iSB_SB_
__PRETTY_FUNCTION__._Z38paged_attention_ll4mi_QKV_mfma4_kernelIDF16_hLN4vllm18Fp8KVCacheDataTypeE1EhLi16ELi64ELi256ELb0ELi1EEvPKT_PKT0_S7_ifPKiS9_S9_iPKfiiiPfSC_PS2_PT2_iSB_SB_:
	.asciz	"void paged_attention_ll4mi_QKV_mfma4_kernel(const scalar_t *__restrict, const cache_t *__restrict, const cache_t *__restrict, const int, const float, const int *__restrict, const int *__restrict, const int *__restrict, const int, const float *__restrict, const int, const int, const int, float *__restrict, float *__restrict, scalar_t *__restrict, OUTT *__restrict, int, const float *, const float *) [scalar_t = _Float16, cache_t = unsigned char, KV_DTYPE = vllm::Fp8KVCacheDataType::kFp8E4M3, OUTT = unsigned char, BLOCK_SIZE = 16, HEAD_SIZE = 64, NUM_THREADS = 256, ALIBI_ENABLED = false, GQA_RATIO = 1]"
	.size	__PRETTY_FUNCTION__._Z38paged_attention_ll4mi_QKV_mfma4_kernelIDF16_hLN4vllm18Fp8KVCacheDataTypeE1EhLi16ELi64ELi256ELb0ELi1EEvPKT_PKT0_S7_ifPKiS9_S9_iPKfiiiPfSC_PS2_PT2_iSB_SB_, 607

	.type	__PRETTY_FUNCTION__._Z38paged_attention_ll4mi_QKV_mfma4_kernelIDF16_hLN4vllm18Fp8KVCacheDataTypeE1EhLi16ELi64ELi256ELb0ELi2EEvPKT_PKT0_S7_ifPKiS9_S9_iPKfiiiPfSC_PS2_PT2_iSB_SB_,@object ; @__PRETTY_FUNCTION__._Z38paged_attention_ll4mi_QKV_mfma4_kernelIDF16_hLN4vllm18Fp8KVCacheDataTypeE1EhLi16ELi64ELi256ELb0ELi2EEvPKT_PKT0_S7_ifPKiS9_S9_iPKfiiiPfSC_PS2_PT2_iSB_SB_
__PRETTY_FUNCTION__._Z38paged_attention_ll4mi_QKV_mfma4_kernelIDF16_hLN4vllm18Fp8KVCacheDataTypeE1EhLi16ELi64ELi256ELb0ELi2EEvPKT_PKT0_S7_ifPKiS9_S9_iPKfiiiPfSC_PS2_PT2_iSB_SB_:
	.asciz	"void paged_attention_ll4mi_QKV_mfma4_kernel(const scalar_t *__restrict, const cache_t *__restrict, const cache_t *__restrict, const int, const float, const int *__restrict, const int *__restrict, const int *__restrict, const int, const float *__restrict, const int, const int, const int, float *__restrict, float *__restrict, scalar_t *__restrict, OUTT *__restrict, int, const float *, const float *) [scalar_t = _Float16, cache_t = unsigned char, KV_DTYPE = vllm::Fp8KVCacheDataType::kFp8E4M3, OUTT = unsigned char, BLOCK_SIZE = 16, HEAD_SIZE = 64, NUM_THREADS = 256, ALIBI_ENABLED = false, GQA_RATIO = 2]"
	.size	__PRETTY_FUNCTION__._Z38paged_attention_ll4mi_QKV_mfma4_kernelIDF16_hLN4vllm18Fp8KVCacheDataTypeE1EhLi16ELi64ELi256ELb0ELi2EEvPKT_PKT0_S7_ifPKiS9_S9_iPKfiiiPfSC_PS2_PT2_iSB_SB_, 607

	.type	__PRETTY_FUNCTION__._Z38paged_attention_ll4mi_QKV_mfma4_kernelIDF16_hLN4vllm18Fp8KVCacheDataTypeE1EhLi16ELi64ELi256ELb0ELi3EEvPKT_PKT0_S7_ifPKiS9_S9_iPKfiiiPfSC_PS2_PT2_iSB_SB_,@object ; @__PRETTY_FUNCTION__._Z38paged_attention_ll4mi_QKV_mfma4_kernelIDF16_hLN4vllm18Fp8KVCacheDataTypeE1EhLi16ELi64ELi256ELb0ELi3EEvPKT_PKT0_S7_ifPKiS9_S9_iPKfiiiPfSC_PS2_PT2_iSB_SB_
__PRETTY_FUNCTION__._Z38paged_attention_ll4mi_QKV_mfma4_kernelIDF16_hLN4vllm18Fp8KVCacheDataTypeE1EhLi16ELi64ELi256ELb0ELi3EEvPKT_PKT0_S7_ifPKiS9_S9_iPKfiiiPfSC_PS2_PT2_iSB_SB_:
	.asciz	"void paged_attention_ll4mi_QKV_mfma4_kernel(const scalar_t *__restrict, const cache_t *__restrict, const cache_t *__restrict, const int, const float, const int *__restrict, const int *__restrict, const int *__restrict, const int, const float *__restrict, const int, const int, const int, float *__restrict, float *__restrict, scalar_t *__restrict, OUTT *__restrict, int, const float *, const float *) [scalar_t = _Float16, cache_t = unsigned char, KV_DTYPE = vllm::Fp8KVCacheDataType::kFp8E4M3, OUTT = unsigned char, BLOCK_SIZE = 16, HEAD_SIZE = 64, NUM_THREADS = 256, ALIBI_ENABLED = false, GQA_RATIO = 3]"
	.size	__PRETTY_FUNCTION__._Z38paged_attention_ll4mi_QKV_mfma4_kernelIDF16_hLN4vllm18Fp8KVCacheDataTypeE1EhLi16ELi64ELi256ELb0ELi3EEvPKT_PKT0_S7_ifPKiS9_S9_iPKfiiiPfSC_PS2_PT2_iSB_SB_, 607

	.type	__PRETTY_FUNCTION__._Z38paged_attention_ll4mi_QKV_mfma4_kernelIDF16_hLN4vllm18Fp8KVCacheDataTypeE1EhLi16ELi64ELi256ELb0ELi4EEvPKT_PKT0_S7_ifPKiS9_S9_iPKfiiiPfSC_PS2_PT2_iSB_SB_,@object ; @__PRETTY_FUNCTION__._Z38paged_attention_ll4mi_QKV_mfma4_kernelIDF16_hLN4vllm18Fp8KVCacheDataTypeE1EhLi16ELi64ELi256ELb0ELi4EEvPKT_PKT0_S7_ifPKiS9_S9_iPKfiiiPfSC_PS2_PT2_iSB_SB_
__PRETTY_FUNCTION__._Z38paged_attention_ll4mi_QKV_mfma4_kernelIDF16_hLN4vllm18Fp8KVCacheDataTypeE1EhLi16ELi64ELi256ELb0ELi4EEvPKT_PKT0_S7_ifPKiS9_S9_iPKfiiiPfSC_PS2_PT2_iSB_SB_:
	.asciz	"void paged_attention_ll4mi_QKV_mfma4_kernel(const scalar_t *__restrict, const cache_t *__restrict, const cache_t *__restrict, const int, const float, const int *__restrict, const int *__restrict, const int *__restrict, const int, const float *__restrict, const int, const int, const int, float *__restrict, float *__restrict, scalar_t *__restrict, OUTT *__restrict, int, const float *, const float *) [scalar_t = _Float16, cache_t = unsigned char, KV_DTYPE = vllm::Fp8KVCacheDataType::kFp8E4M3, OUTT = unsigned char, BLOCK_SIZE = 16, HEAD_SIZE = 64, NUM_THREADS = 256, ALIBI_ENABLED = false, GQA_RATIO = 4]"
	.size	__PRETTY_FUNCTION__._Z38paged_attention_ll4mi_QKV_mfma4_kernelIDF16_hLN4vllm18Fp8KVCacheDataTypeE1EhLi16ELi64ELi256ELb0ELi4EEvPKT_PKT0_S7_ifPKiS9_S9_iPKfiiiPfSC_PS2_PT2_iSB_SB_, 607

	.type	__PRETTY_FUNCTION__._Z39paged_attention_ll4mi_QKV_mfma16_kernelIDF16_hLN4vllm18Fp8KVCacheDataTypeE1EhLi16ELi64ELi256ELb0ELi5EEvPKT_PKT0_S7_ifPKiS9_S9_iPKfiiiPfSC_PS2_PT2_iSB_SB_,@object ; @__PRETTY_FUNCTION__._Z39paged_attention_ll4mi_QKV_mfma16_kernelIDF16_hLN4vllm18Fp8KVCacheDataTypeE1EhLi16ELi64ELi256ELb0ELi5EEvPKT_PKT0_S7_ifPKiS9_S9_iPKfiiiPfSC_PS2_PT2_iSB_SB_
__PRETTY_FUNCTION__._Z39paged_attention_ll4mi_QKV_mfma16_kernelIDF16_hLN4vllm18Fp8KVCacheDataTypeE1EhLi16ELi64ELi256ELb0ELi5EEvPKT_PKT0_S7_ifPKiS9_S9_iPKfiiiPfSC_PS2_PT2_iSB_SB_:
	.asciz	"void paged_attention_ll4mi_QKV_mfma16_kernel(const scalar_t *__restrict, const cache_t *__restrict, const cache_t *__restrict, const int, const float, const int *__restrict, const int *__restrict, const int *__restrict, const int, const float *__restrict, const int, const int, const int, float *__restrict, float *__restrict, scalar_t *__restrict, OUTT *__restrict, int, const float *, const float *) [scalar_t = _Float16, cache_t = unsigned char, KV_DTYPE = vllm::Fp8KVCacheDataType::kFp8E4M3, OUTT = unsigned char, BLOCK_SIZE = 16, HEAD_SIZE = 64, NUM_THREADS = 256, ALIBI_ENABLED = false, GQA_RATIO = 5]"
	.size	__PRETTY_FUNCTION__._Z39paged_attention_ll4mi_QKV_mfma16_kernelIDF16_hLN4vllm18Fp8KVCacheDataTypeE1EhLi16ELi64ELi256ELb0ELi5EEvPKT_PKT0_S7_ifPKiS9_S9_iPKfiiiPfSC_PS2_PT2_iSB_SB_, 608

	.type	__PRETTY_FUNCTION__._Z39paged_attention_ll4mi_QKV_mfma16_kernelIDF16_hLN4vllm18Fp8KVCacheDataTypeE1EhLi16ELi64ELi256ELb0ELi6EEvPKT_PKT0_S7_ifPKiS9_S9_iPKfiiiPfSC_PS2_PT2_iSB_SB_,@object ; @__PRETTY_FUNCTION__._Z39paged_attention_ll4mi_QKV_mfma16_kernelIDF16_hLN4vllm18Fp8KVCacheDataTypeE1EhLi16ELi64ELi256ELb0ELi6EEvPKT_PKT0_S7_ifPKiS9_S9_iPKfiiiPfSC_PS2_PT2_iSB_SB_
__PRETTY_FUNCTION__._Z39paged_attention_ll4mi_QKV_mfma16_kernelIDF16_hLN4vllm18Fp8KVCacheDataTypeE1EhLi16ELi64ELi256ELb0ELi6EEvPKT_PKT0_S7_ifPKiS9_S9_iPKfiiiPfSC_PS2_PT2_iSB_SB_:
	.asciz	"void paged_attention_ll4mi_QKV_mfma16_kernel(const scalar_t *__restrict, const cache_t *__restrict, const cache_t *__restrict, const int, const float, const int *__restrict, const int *__restrict, const int *__restrict, const int, const float *__restrict, const int, const int, const int, float *__restrict, float *__restrict, scalar_t *__restrict, OUTT *__restrict, int, const float *, const float *) [scalar_t = _Float16, cache_t = unsigned char, KV_DTYPE = vllm::Fp8KVCacheDataType::kFp8E4M3, OUTT = unsigned char, BLOCK_SIZE = 16, HEAD_SIZE = 64, NUM_THREADS = 256, ALIBI_ENABLED = false, GQA_RATIO = 6]"
	.size	__PRETTY_FUNCTION__._Z39paged_attention_ll4mi_QKV_mfma16_kernelIDF16_hLN4vllm18Fp8KVCacheDataTypeE1EhLi16ELi64ELi256ELb0ELi6EEvPKT_PKT0_S7_ifPKiS9_S9_iPKfiiiPfSC_PS2_PT2_iSB_SB_, 608

	.type	__PRETTY_FUNCTION__._Z39paged_attention_ll4mi_QKV_mfma16_kernelIDF16_hLN4vllm18Fp8KVCacheDataTypeE1EhLi16ELi64ELi256ELb0ELi7EEvPKT_PKT0_S7_ifPKiS9_S9_iPKfiiiPfSC_PS2_PT2_iSB_SB_,@object ; @__PRETTY_FUNCTION__._Z39paged_attention_ll4mi_QKV_mfma16_kernelIDF16_hLN4vllm18Fp8KVCacheDataTypeE1EhLi16ELi64ELi256ELb0ELi7EEvPKT_PKT0_S7_ifPKiS9_S9_iPKfiiiPfSC_PS2_PT2_iSB_SB_
__PRETTY_FUNCTION__._Z39paged_attention_ll4mi_QKV_mfma16_kernelIDF16_hLN4vllm18Fp8KVCacheDataTypeE1EhLi16ELi64ELi256ELb0ELi7EEvPKT_PKT0_S7_ifPKiS9_S9_iPKfiiiPfSC_PS2_PT2_iSB_SB_:
	.asciz	"void paged_attention_ll4mi_QKV_mfma16_kernel(const scalar_t *__restrict, const cache_t *__restrict, const cache_t *__restrict, const int, const float, const int *__restrict, const int *__restrict, const int *__restrict, const int, const float *__restrict, const int, const int, const int, float *__restrict, float *__restrict, scalar_t *__restrict, OUTT *__restrict, int, const float *, const float *) [scalar_t = _Float16, cache_t = unsigned char, KV_DTYPE = vllm::Fp8KVCacheDataType::kFp8E4M3, OUTT = unsigned char, BLOCK_SIZE = 16, HEAD_SIZE = 64, NUM_THREADS = 256, ALIBI_ENABLED = false, GQA_RATIO = 7]"
	.size	__PRETTY_FUNCTION__._Z39paged_attention_ll4mi_QKV_mfma16_kernelIDF16_hLN4vllm18Fp8KVCacheDataTypeE1EhLi16ELi64ELi256ELb0ELi7EEvPKT_PKT0_S7_ifPKiS9_S9_iPKfiiiPfSC_PS2_PT2_iSB_SB_, 608

	.type	__PRETTY_FUNCTION__._Z39paged_attention_ll4mi_QKV_mfma16_kernelIDF16_hLN4vllm18Fp8KVCacheDataTypeE1EhLi16ELi64ELi256ELb0ELi8EEvPKT_PKT0_S7_ifPKiS9_S9_iPKfiiiPfSC_PS2_PT2_iSB_SB_,@object ; @__PRETTY_FUNCTION__._Z39paged_attention_ll4mi_QKV_mfma16_kernelIDF16_hLN4vllm18Fp8KVCacheDataTypeE1EhLi16ELi64ELi256ELb0ELi8EEvPKT_PKT0_S7_ifPKiS9_S9_iPKfiiiPfSC_PS2_PT2_iSB_SB_
__PRETTY_FUNCTION__._Z39paged_attention_ll4mi_QKV_mfma16_kernelIDF16_hLN4vllm18Fp8KVCacheDataTypeE1EhLi16ELi64ELi256ELb0ELi8EEvPKT_PKT0_S7_ifPKiS9_S9_iPKfiiiPfSC_PS2_PT2_iSB_SB_:
	.asciz	"void paged_attention_ll4mi_QKV_mfma16_kernel(const scalar_t *__restrict, const cache_t *__restrict, const cache_t *__restrict, const int, const float, const int *__restrict, const int *__restrict, const int *__restrict, const int, const float *__restrict, const int, const int, const int, float *__restrict, float *__restrict, scalar_t *__restrict, OUTT *__restrict, int, const float *, const float *) [scalar_t = _Float16, cache_t = unsigned char, KV_DTYPE = vllm::Fp8KVCacheDataType::kFp8E4M3, OUTT = unsigned char, BLOCK_SIZE = 16, HEAD_SIZE = 64, NUM_THREADS = 256, ALIBI_ENABLED = false, GQA_RATIO = 8]"
	.size	__PRETTY_FUNCTION__._Z39paged_attention_ll4mi_QKV_mfma16_kernelIDF16_hLN4vllm18Fp8KVCacheDataTypeE1EhLi16ELi64ELi256ELb0ELi8EEvPKT_PKT0_S7_ifPKiS9_S9_iPKfiiiPfSC_PS2_PT2_iSB_SB_, 608

	.type	__PRETTY_FUNCTION__._Z39paged_attention_ll4mi_QKV_mfma16_kernelIDF16_hLN4vllm18Fp8KVCacheDataTypeE1EhLi16ELi64ELi256ELb0ELi9EEvPKT_PKT0_S7_ifPKiS9_S9_iPKfiiiPfSC_PS2_PT2_iSB_SB_,@object ; @__PRETTY_FUNCTION__._Z39paged_attention_ll4mi_QKV_mfma16_kernelIDF16_hLN4vllm18Fp8KVCacheDataTypeE1EhLi16ELi64ELi256ELb0ELi9EEvPKT_PKT0_S7_ifPKiS9_S9_iPKfiiiPfSC_PS2_PT2_iSB_SB_
__PRETTY_FUNCTION__._Z39paged_attention_ll4mi_QKV_mfma16_kernelIDF16_hLN4vllm18Fp8KVCacheDataTypeE1EhLi16ELi64ELi256ELb0ELi9EEvPKT_PKT0_S7_ifPKiS9_S9_iPKfiiiPfSC_PS2_PT2_iSB_SB_:
	.asciz	"void paged_attention_ll4mi_QKV_mfma16_kernel(const scalar_t *__restrict, const cache_t *__restrict, const cache_t *__restrict, const int, const float, const int *__restrict, const int *__restrict, const int *__restrict, const int, const float *__restrict, const int, const int, const int, float *__restrict, float *__restrict, scalar_t *__restrict, OUTT *__restrict, int, const float *, const float *) [scalar_t = _Float16, cache_t = unsigned char, KV_DTYPE = vllm::Fp8KVCacheDataType::kFp8E4M3, OUTT = unsigned char, BLOCK_SIZE = 16, HEAD_SIZE = 64, NUM_THREADS = 256, ALIBI_ENABLED = false, GQA_RATIO = 9]"
	.size	__PRETTY_FUNCTION__._Z39paged_attention_ll4mi_QKV_mfma16_kernelIDF16_hLN4vllm18Fp8KVCacheDataTypeE1EhLi16ELi64ELi256ELb0ELi9EEvPKT_PKT0_S7_ifPKiS9_S9_iPKfiiiPfSC_PS2_PT2_iSB_SB_, 608

	.type	__PRETTY_FUNCTION__._Z39paged_attention_ll4mi_QKV_mfma16_kernelIDF16_hLN4vllm18Fp8KVCacheDataTypeE1EhLi16ELi64ELi256ELb0ELi10EEvPKT_PKT0_S7_ifPKiS9_S9_iPKfiiiPfSC_PS2_PT2_iSB_SB_,@object ; @__PRETTY_FUNCTION__._Z39paged_attention_ll4mi_QKV_mfma16_kernelIDF16_hLN4vllm18Fp8KVCacheDataTypeE1EhLi16ELi64ELi256ELb0ELi10EEvPKT_PKT0_S7_ifPKiS9_S9_iPKfiiiPfSC_PS2_PT2_iSB_SB_
__PRETTY_FUNCTION__._Z39paged_attention_ll4mi_QKV_mfma16_kernelIDF16_hLN4vllm18Fp8KVCacheDataTypeE1EhLi16ELi64ELi256ELb0ELi10EEvPKT_PKT0_S7_ifPKiS9_S9_iPKfiiiPfSC_PS2_PT2_iSB_SB_:
	.asciz	"void paged_attention_ll4mi_QKV_mfma16_kernel(const scalar_t *__restrict, const cache_t *__restrict, const cache_t *__restrict, const int, const float, const int *__restrict, const int *__restrict, const int *__restrict, const int, const float *__restrict, const int, const int, const int, float *__restrict, float *__restrict, scalar_t *__restrict, OUTT *__restrict, int, const float *, const float *) [scalar_t = _Float16, cache_t = unsigned char, KV_DTYPE = vllm::Fp8KVCacheDataType::kFp8E4M3, OUTT = unsigned char, BLOCK_SIZE = 16, HEAD_SIZE = 64, NUM_THREADS = 256, ALIBI_ENABLED = false, GQA_RATIO = 10]"
	.size	__PRETTY_FUNCTION__._Z39paged_attention_ll4mi_QKV_mfma16_kernelIDF16_hLN4vllm18Fp8KVCacheDataTypeE1EhLi16ELi64ELi256ELb0ELi10EEvPKT_PKT0_S7_ifPKiS9_S9_iPKfiiiPfSC_PS2_PT2_iSB_SB_, 609

	.type	__PRETTY_FUNCTION__._Z39paged_attention_ll4mi_QKV_mfma16_kernelIDF16_hLN4vllm18Fp8KVCacheDataTypeE1EhLi16ELi64ELi256ELb0ELi11EEvPKT_PKT0_S7_ifPKiS9_S9_iPKfiiiPfSC_PS2_PT2_iSB_SB_,@object ; @__PRETTY_FUNCTION__._Z39paged_attention_ll4mi_QKV_mfma16_kernelIDF16_hLN4vllm18Fp8KVCacheDataTypeE1EhLi16ELi64ELi256ELb0ELi11EEvPKT_PKT0_S7_ifPKiS9_S9_iPKfiiiPfSC_PS2_PT2_iSB_SB_
__PRETTY_FUNCTION__._Z39paged_attention_ll4mi_QKV_mfma16_kernelIDF16_hLN4vllm18Fp8KVCacheDataTypeE1EhLi16ELi64ELi256ELb0ELi11EEvPKT_PKT0_S7_ifPKiS9_S9_iPKfiiiPfSC_PS2_PT2_iSB_SB_:
	.asciz	"void paged_attention_ll4mi_QKV_mfma16_kernel(const scalar_t *__restrict, const cache_t *__restrict, const cache_t *__restrict, const int, const float, const int *__restrict, const int *__restrict, const int *__restrict, const int, const float *__restrict, const int, const int, const int, float *__restrict, float *__restrict, scalar_t *__restrict, OUTT *__restrict, int, const float *, const float *) [scalar_t = _Float16, cache_t = unsigned char, KV_DTYPE = vllm::Fp8KVCacheDataType::kFp8E4M3, OUTT = unsigned char, BLOCK_SIZE = 16, HEAD_SIZE = 64, NUM_THREADS = 256, ALIBI_ENABLED = false, GQA_RATIO = 11]"
	.size	__PRETTY_FUNCTION__._Z39paged_attention_ll4mi_QKV_mfma16_kernelIDF16_hLN4vllm18Fp8KVCacheDataTypeE1EhLi16ELi64ELi256ELb0ELi11EEvPKT_PKT0_S7_ifPKiS9_S9_iPKfiiiPfSC_PS2_PT2_iSB_SB_, 609

	.type	__PRETTY_FUNCTION__._Z39paged_attention_ll4mi_QKV_mfma16_kernelIDF16_hLN4vllm18Fp8KVCacheDataTypeE1EhLi16ELi64ELi256ELb0ELi12EEvPKT_PKT0_S7_ifPKiS9_S9_iPKfiiiPfSC_PS2_PT2_iSB_SB_,@object ; @__PRETTY_FUNCTION__._Z39paged_attention_ll4mi_QKV_mfma16_kernelIDF16_hLN4vllm18Fp8KVCacheDataTypeE1EhLi16ELi64ELi256ELb0ELi12EEvPKT_PKT0_S7_ifPKiS9_S9_iPKfiiiPfSC_PS2_PT2_iSB_SB_
__PRETTY_FUNCTION__._Z39paged_attention_ll4mi_QKV_mfma16_kernelIDF16_hLN4vllm18Fp8KVCacheDataTypeE1EhLi16ELi64ELi256ELb0ELi12EEvPKT_PKT0_S7_ifPKiS9_S9_iPKfiiiPfSC_PS2_PT2_iSB_SB_:
	.asciz	"void paged_attention_ll4mi_QKV_mfma16_kernel(const scalar_t *__restrict, const cache_t *__restrict, const cache_t *__restrict, const int, const float, const int *__restrict, const int *__restrict, const int *__restrict, const int, const float *__restrict, const int, const int, const int, float *__restrict, float *__restrict, scalar_t *__restrict, OUTT *__restrict, int, const float *, const float *) [scalar_t = _Float16, cache_t = unsigned char, KV_DTYPE = vllm::Fp8KVCacheDataType::kFp8E4M3, OUTT = unsigned char, BLOCK_SIZE = 16, HEAD_SIZE = 64, NUM_THREADS = 256, ALIBI_ENABLED = false, GQA_RATIO = 12]"
	.size	__PRETTY_FUNCTION__._Z39paged_attention_ll4mi_QKV_mfma16_kernelIDF16_hLN4vllm18Fp8KVCacheDataTypeE1EhLi16ELi64ELi256ELb0ELi12EEvPKT_PKT0_S7_ifPKiS9_S9_iPKfiiiPfSC_PS2_PT2_iSB_SB_, 609

	.type	__PRETTY_FUNCTION__._Z39paged_attention_ll4mi_QKV_mfma16_kernelIDF16_hLN4vllm18Fp8KVCacheDataTypeE1EhLi16ELi64ELi256ELb0ELi13EEvPKT_PKT0_S7_ifPKiS9_S9_iPKfiiiPfSC_PS2_PT2_iSB_SB_,@object ; @__PRETTY_FUNCTION__._Z39paged_attention_ll4mi_QKV_mfma16_kernelIDF16_hLN4vllm18Fp8KVCacheDataTypeE1EhLi16ELi64ELi256ELb0ELi13EEvPKT_PKT0_S7_ifPKiS9_S9_iPKfiiiPfSC_PS2_PT2_iSB_SB_
__PRETTY_FUNCTION__._Z39paged_attention_ll4mi_QKV_mfma16_kernelIDF16_hLN4vllm18Fp8KVCacheDataTypeE1EhLi16ELi64ELi256ELb0ELi13EEvPKT_PKT0_S7_ifPKiS9_S9_iPKfiiiPfSC_PS2_PT2_iSB_SB_:
	.asciz	"void paged_attention_ll4mi_QKV_mfma16_kernel(const scalar_t *__restrict, const cache_t *__restrict, const cache_t *__restrict, const int, const float, const int *__restrict, const int *__restrict, const int *__restrict, const int, const float *__restrict, const int, const int, const int, float *__restrict, float *__restrict, scalar_t *__restrict, OUTT *__restrict, int, const float *, const float *) [scalar_t = _Float16, cache_t = unsigned char, KV_DTYPE = vllm::Fp8KVCacheDataType::kFp8E4M3, OUTT = unsigned char, BLOCK_SIZE = 16, HEAD_SIZE = 64, NUM_THREADS = 256, ALIBI_ENABLED = false, GQA_RATIO = 13]"
	.size	__PRETTY_FUNCTION__._Z39paged_attention_ll4mi_QKV_mfma16_kernelIDF16_hLN4vllm18Fp8KVCacheDataTypeE1EhLi16ELi64ELi256ELb0ELi13EEvPKT_PKT0_S7_ifPKiS9_S9_iPKfiiiPfSC_PS2_PT2_iSB_SB_, 609

	.type	__PRETTY_FUNCTION__._Z39paged_attention_ll4mi_QKV_mfma16_kernelIDF16_hLN4vllm18Fp8KVCacheDataTypeE1EhLi16ELi64ELi256ELb0ELi14EEvPKT_PKT0_S7_ifPKiS9_S9_iPKfiiiPfSC_PS2_PT2_iSB_SB_,@object ; @__PRETTY_FUNCTION__._Z39paged_attention_ll4mi_QKV_mfma16_kernelIDF16_hLN4vllm18Fp8KVCacheDataTypeE1EhLi16ELi64ELi256ELb0ELi14EEvPKT_PKT0_S7_ifPKiS9_S9_iPKfiiiPfSC_PS2_PT2_iSB_SB_
__PRETTY_FUNCTION__._Z39paged_attention_ll4mi_QKV_mfma16_kernelIDF16_hLN4vllm18Fp8KVCacheDataTypeE1EhLi16ELi64ELi256ELb0ELi14EEvPKT_PKT0_S7_ifPKiS9_S9_iPKfiiiPfSC_PS2_PT2_iSB_SB_:
	.asciz	"void paged_attention_ll4mi_QKV_mfma16_kernel(const scalar_t *__restrict, const cache_t *__restrict, const cache_t *__restrict, const int, const float, const int *__restrict, const int *__restrict, const int *__restrict, const int, const float *__restrict, const int, const int, const int, float *__restrict, float *__restrict, scalar_t *__restrict, OUTT *__restrict, int, const float *, const float *) [scalar_t = _Float16, cache_t = unsigned char, KV_DTYPE = vllm::Fp8KVCacheDataType::kFp8E4M3, OUTT = unsigned char, BLOCK_SIZE = 16, HEAD_SIZE = 64, NUM_THREADS = 256, ALIBI_ENABLED = false, GQA_RATIO = 14]"
	.size	__PRETTY_FUNCTION__._Z39paged_attention_ll4mi_QKV_mfma16_kernelIDF16_hLN4vllm18Fp8KVCacheDataTypeE1EhLi16ELi64ELi256ELb0ELi14EEvPKT_PKT0_S7_ifPKiS9_S9_iPKfiiiPfSC_PS2_PT2_iSB_SB_, 609

	.type	__PRETTY_FUNCTION__._Z39paged_attention_ll4mi_QKV_mfma16_kernelIDF16_hLN4vllm18Fp8KVCacheDataTypeE1EhLi16ELi64ELi256ELb0ELi15EEvPKT_PKT0_S7_ifPKiS9_S9_iPKfiiiPfSC_PS2_PT2_iSB_SB_,@object ; @__PRETTY_FUNCTION__._Z39paged_attention_ll4mi_QKV_mfma16_kernelIDF16_hLN4vllm18Fp8KVCacheDataTypeE1EhLi16ELi64ELi256ELb0ELi15EEvPKT_PKT0_S7_ifPKiS9_S9_iPKfiiiPfSC_PS2_PT2_iSB_SB_
__PRETTY_FUNCTION__._Z39paged_attention_ll4mi_QKV_mfma16_kernelIDF16_hLN4vllm18Fp8KVCacheDataTypeE1EhLi16ELi64ELi256ELb0ELi15EEvPKT_PKT0_S7_ifPKiS9_S9_iPKfiiiPfSC_PS2_PT2_iSB_SB_:
	.asciz	"void paged_attention_ll4mi_QKV_mfma16_kernel(const scalar_t *__restrict, const cache_t *__restrict, const cache_t *__restrict, const int, const float, const int *__restrict, const int *__restrict, const int *__restrict, const int, const float *__restrict, const int, const int, const int, float *__restrict, float *__restrict, scalar_t *__restrict, OUTT *__restrict, int, const float *, const float *) [scalar_t = _Float16, cache_t = unsigned char, KV_DTYPE = vllm::Fp8KVCacheDataType::kFp8E4M3, OUTT = unsigned char, BLOCK_SIZE = 16, HEAD_SIZE = 64, NUM_THREADS = 256, ALIBI_ENABLED = false, GQA_RATIO = 15]"
	.size	__PRETTY_FUNCTION__._Z39paged_attention_ll4mi_QKV_mfma16_kernelIDF16_hLN4vllm18Fp8KVCacheDataTypeE1EhLi16ELi64ELi256ELb0ELi15EEvPKT_PKT0_S7_ifPKiS9_S9_iPKfiiiPfSC_PS2_PT2_iSB_SB_, 609

	.type	__PRETTY_FUNCTION__._Z39paged_attention_ll4mi_QKV_mfma16_kernelIDF16_hLN4vllm18Fp8KVCacheDataTypeE1EhLi16ELi64ELi256ELb0ELi16EEvPKT_PKT0_S7_ifPKiS9_S9_iPKfiiiPfSC_PS2_PT2_iSB_SB_,@object ; @__PRETTY_FUNCTION__._Z39paged_attention_ll4mi_QKV_mfma16_kernelIDF16_hLN4vllm18Fp8KVCacheDataTypeE1EhLi16ELi64ELi256ELb0ELi16EEvPKT_PKT0_S7_ifPKiS9_S9_iPKfiiiPfSC_PS2_PT2_iSB_SB_
__PRETTY_FUNCTION__._Z39paged_attention_ll4mi_QKV_mfma16_kernelIDF16_hLN4vllm18Fp8KVCacheDataTypeE1EhLi16ELi64ELi256ELb0ELi16EEvPKT_PKT0_S7_ifPKiS9_S9_iPKfiiiPfSC_PS2_PT2_iSB_SB_:
	.asciz	"void paged_attention_ll4mi_QKV_mfma16_kernel(const scalar_t *__restrict, const cache_t *__restrict, const cache_t *__restrict, const int, const float, const int *__restrict, const int *__restrict, const int *__restrict, const int, const float *__restrict, const int, const int, const int, float *__restrict, float *__restrict, scalar_t *__restrict, OUTT *__restrict, int, const float *, const float *) [scalar_t = _Float16, cache_t = unsigned char, KV_DTYPE = vllm::Fp8KVCacheDataType::kFp8E4M3, OUTT = unsigned char, BLOCK_SIZE = 16, HEAD_SIZE = 64, NUM_THREADS = 256, ALIBI_ENABLED = false, GQA_RATIO = 16]"
	.size	__PRETTY_FUNCTION__._Z39paged_attention_ll4mi_QKV_mfma16_kernelIDF16_hLN4vllm18Fp8KVCacheDataTypeE1EhLi16ELi64ELi256ELb0ELi16EEvPKT_PKT0_S7_ifPKiS9_S9_iPKfiiiPfSC_PS2_PT2_iSB_SB_, 609

	.type	__PRETTY_FUNCTION__._Z39paged_attention_ll4mi_QKV_mfma16_kernelIDF16_hLN4vllm18Fp8KVCacheDataTypeE1EhLi16ELi64ELi256ELb0ELi1EEvPKT_PKT0_S7_ifPKiS9_S9_iPKfiiiPfSC_PS2_PT2_iSB_SB_,@object ; @__PRETTY_FUNCTION__._Z39paged_attention_ll4mi_QKV_mfma16_kernelIDF16_hLN4vllm18Fp8KVCacheDataTypeE1EhLi16ELi64ELi256ELb0ELi1EEvPKT_PKT0_S7_ifPKiS9_S9_iPKfiiiPfSC_PS2_PT2_iSB_SB_
__PRETTY_FUNCTION__._Z39paged_attention_ll4mi_QKV_mfma16_kernelIDF16_hLN4vllm18Fp8KVCacheDataTypeE1EhLi16ELi64ELi256ELb0ELi1EEvPKT_PKT0_S7_ifPKiS9_S9_iPKfiiiPfSC_PS2_PT2_iSB_SB_:
	.asciz	"void paged_attention_ll4mi_QKV_mfma16_kernel(const scalar_t *__restrict, const cache_t *__restrict, const cache_t *__restrict, const int, const float, const int *__restrict, const int *__restrict, const int *__restrict, const int, const float *__restrict, const int, const int, const int, float *__restrict, float *__restrict, scalar_t *__restrict, OUTT *__restrict, int, const float *, const float *) [scalar_t = _Float16, cache_t = unsigned char, KV_DTYPE = vllm::Fp8KVCacheDataType::kFp8E4M3, OUTT = unsigned char, BLOCK_SIZE = 16, HEAD_SIZE = 64, NUM_THREADS = 256, ALIBI_ENABLED = false, GQA_RATIO = 1]"
	.size	__PRETTY_FUNCTION__._Z39paged_attention_ll4mi_QKV_mfma16_kernelIDF16_hLN4vllm18Fp8KVCacheDataTypeE1EhLi16ELi64ELi256ELb0ELi1EEvPKT_PKT0_S7_ifPKiS9_S9_iPKfiiiPfSC_PS2_PT2_iSB_SB_, 608

	.type	__PRETTY_FUNCTION__._Z39paged_attention_ll4mi_QKV_mfma16_kernelIDF16_hLN4vllm18Fp8KVCacheDataTypeE1EhLi16ELi64ELi256ELb0ELi2EEvPKT_PKT0_S7_ifPKiS9_S9_iPKfiiiPfSC_PS2_PT2_iSB_SB_,@object ; @__PRETTY_FUNCTION__._Z39paged_attention_ll4mi_QKV_mfma16_kernelIDF16_hLN4vllm18Fp8KVCacheDataTypeE1EhLi16ELi64ELi256ELb0ELi2EEvPKT_PKT0_S7_ifPKiS9_S9_iPKfiiiPfSC_PS2_PT2_iSB_SB_
__PRETTY_FUNCTION__._Z39paged_attention_ll4mi_QKV_mfma16_kernelIDF16_hLN4vllm18Fp8KVCacheDataTypeE1EhLi16ELi64ELi256ELb0ELi2EEvPKT_PKT0_S7_ifPKiS9_S9_iPKfiiiPfSC_PS2_PT2_iSB_SB_:
	.asciz	"void paged_attention_ll4mi_QKV_mfma16_kernel(const scalar_t *__restrict, const cache_t *__restrict, const cache_t *__restrict, const int, const float, const int *__restrict, const int *__restrict, const int *__restrict, const int, const float *__restrict, const int, const int, const int, float *__restrict, float *__restrict, scalar_t *__restrict, OUTT *__restrict, int, const float *, const float *) [scalar_t = _Float16, cache_t = unsigned char, KV_DTYPE = vllm::Fp8KVCacheDataType::kFp8E4M3, OUTT = unsigned char, BLOCK_SIZE = 16, HEAD_SIZE = 64, NUM_THREADS = 256, ALIBI_ENABLED = false, GQA_RATIO = 2]"
	.size	__PRETTY_FUNCTION__._Z39paged_attention_ll4mi_QKV_mfma16_kernelIDF16_hLN4vllm18Fp8KVCacheDataTypeE1EhLi16ELi64ELi256ELb0ELi2EEvPKT_PKT0_S7_ifPKiS9_S9_iPKfiiiPfSC_PS2_PT2_iSB_SB_, 608

	.type	__PRETTY_FUNCTION__._Z39paged_attention_ll4mi_QKV_mfma16_kernelIDF16_hLN4vllm18Fp8KVCacheDataTypeE1EhLi16ELi64ELi256ELb0ELi3EEvPKT_PKT0_S7_ifPKiS9_S9_iPKfiiiPfSC_PS2_PT2_iSB_SB_,@object ; @__PRETTY_FUNCTION__._Z39paged_attention_ll4mi_QKV_mfma16_kernelIDF16_hLN4vllm18Fp8KVCacheDataTypeE1EhLi16ELi64ELi256ELb0ELi3EEvPKT_PKT0_S7_ifPKiS9_S9_iPKfiiiPfSC_PS2_PT2_iSB_SB_
__PRETTY_FUNCTION__._Z39paged_attention_ll4mi_QKV_mfma16_kernelIDF16_hLN4vllm18Fp8KVCacheDataTypeE1EhLi16ELi64ELi256ELb0ELi3EEvPKT_PKT0_S7_ifPKiS9_S9_iPKfiiiPfSC_PS2_PT2_iSB_SB_:
	.asciz	"void paged_attention_ll4mi_QKV_mfma16_kernel(const scalar_t *__restrict, const cache_t *__restrict, const cache_t *__restrict, const int, const float, const int *__restrict, const int *__restrict, const int *__restrict, const int, const float *__restrict, const int, const int, const int, float *__restrict, float *__restrict, scalar_t *__restrict, OUTT *__restrict, int, const float *, const float *) [scalar_t = _Float16, cache_t = unsigned char, KV_DTYPE = vllm::Fp8KVCacheDataType::kFp8E4M3, OUTT = unsigned char, BLOCK_SIZE = 16, HEAD_SIZE = 64, NUM_THREADS = 256, ALIBI_ENABLED = false, GQA_RATIO = 3]"
	.size	__PRETTY_FUNCTION__._Z39paged_attention_ll4mi_QKV_mfma16_kernelIDF16_hLN4vllm18Fp8KVCacheDataTypeE1EhLi16ELi64ELi256ELb0ELi3EEvPKT_PKT0_S7_ifPKiS9_S9_iPKfiiiPfSC_PS2_PT2_iSB_SB_, 608

	.type	__PRETTY_FUNCTION__._Z39paged_attention_ll4mi_QKV_mfma16_kernelIDF16_hLN4vllm18Fp8KVCacheDataTypeE1EhLi16ELi64ELi256ELb0ELi4EEvPKT_PKT0_S7_ifPKiS9_S9_iPKfiiiPfSC_PS2_PT2_iSB_SB_,@object ; @__PRETTY_FUNCTION__._Z39paged_attention_ll4mi_QKV_mfma16_kernelIDF16_hLN4vllm18Fp8KVCacheDataTypeE1EhLi16ELi64ELi256ELb0ELi4EEvPKT_PKT0_S7_ifPKiS9_S9_iPKfiiiPfSC_PS2_PT2_iSB_SB_
__PRETTY_FUNCTION__._Z39paged_attention_ll4mi_QKV_mfma16_kernelIDF16_hLN4vllm18Fp8KVCacheDataTypeE1EhLi16ELi64ELi256ELb0ELi4EEvPKT_PKT0_S7_ifPKiS9_S9_iPKfiiiPfSC_PS2_PT2_iSB_SB_:
	.asciz	"void paged_attention_ll4mi_QKV_mfma16_kernel(const scalar_t *__restrict, const cache_t *__restrict, const cache_t *__restrict, const int, const float, const int *__restrict, const int *__restrict, const int *__restrict, const int, const float *__restrict, const int, const int, const int, float *__restrict, float *__restrict, scalar_t *__restrict, OUTT *__restrict, int, const float *, const float *) [scalar_t = _Float16, cache_t = unsigned char, KV_DTYPE = vllm::Fp8KVCacheDataType::kFp8E4M3, OUTT = unsigned char, BLOCK_SIZE = 16, HEAD_SIZE = 64, NUM_THREADS = 256, ALIBI_ENABLED = false, GQA_RATIO = 4]"
	.size	__PRETTY_FUNCTION__._Z39paged_attention_ll4mi_QKV_mfma16_kernelIDF16_hLN4vllm18Fp8KVCacheDataTypeE1EhLi16ELi64ELi256ELb0ELi4EEvPKT_PKT0_S7_ifPKiS9_S9_iPKfiiiPfSC_PS2_PT2_iSB_SB_, 608

	.type	__PRETTY_FUNCTION__._Z38paged_attention_ll4mi_QKV_mfma4_kernelIDF16_hLN4vllm18Fp8KVCacheDataTypeE1EDF16_Li16ELi64ELi256ELb1ELi1EEvPKT_PKT0_S7_ifPKiS9_S9_iPKfiiiPfSC_PS2_PT2_iSB_SB_,@object ; @__PRETTY_FUNCTION__._Z38paged_attention_ll4mi_QKV_mfma4_kernelIDF16_hLN4vllm18Fp8KVCacheDataTypeE1EDF16_Li16ELi64ELi256ELb1ELi1EEvPKT_PKT0_S7_ifPKiS9_S9_iPKfiiiPfSC_PS2_PT2_iSB_SB_
__PRETTY_FUNCTION__._Z38paged_attention_ll4mi_QKV_mfma4_kernelIDF16_hLN4vllm18Fp8KVCacheDataTypeE1EDF16_Li16ELi64ELi256ELb1ELi1EEvPKT_PKT0_S7_ifPKiS9_S9_iPKfiiiPfSC_PS2_PT2_iSB_SB_:
	.asciz	"void paged_attention_ll4mi_QKV_mfma4_kernel(const scalar_t *__restrict, const cache_t *__restrict, const cache_t *__restrict, const int, const float, const int *__restrict, const int *__restrict, const int *__restrict, const int, const float *__restrict, const int, const int, const int, float *__restrict, float *__restrict, scalar_t *__restrict, OUTT *__restrict, int, const float *, const float *) [scalar_t = _Float16, cache_t = unsigned char, KV_DTYPE = vllm::Fp8KVCacheDataType::kFp8E4M3, OUTT = _Float16, BLOCK_SIZE = 16, HEAD_SIZE = 64, NUM_THREADS = 256, ALIBI_ENABLED = true, GQA_RATIO = 1]"
	.size	__PRETTY_FUNCTION__._Z38paged_attention_ll4mi_QKV_mfma4_kernelIDF16_hLN4vllm18Fp8KVCacheDataTypeE1EDF16_Li16ELi64ELi256ELb1ELi1EEvPKT_PKT0_S7_ifPKiS9_S9_iPKfiiiPfSC_PS2_PT2_iSB_SB_, 601

	.type	__PRETTY_FUNCTION__._Z38paged_attention_ll4mi_QKV_mfma4_kernelIDF16_hLN4vllm18Fp8KVCacheDataTypeE1EDF16_Li16ELi64ELi256ELb1ELi2EEvPKT_PKT0_S7_ifPKiS9_S9_iPKfiiiPfSC_PS2_PT2_iSB_SB_,@object ; @__PRETTY_FUNCTION__._Z38paged_attention_ll4mi_QKV_mfma4_kernelIDF16_hLN4vllm18Fp8KVCacheDataTypeE1EDF16_Li16ELi64ELi256ELb1ELi2EEvPKT_PKT0_S7_ifPKiS9_S9_iPKfiiiPfSC_PS2_PT2_iSB_SB_
__PRETTY_FUNCTION__._Z38paged_attention_ll4mi_QKV_mfma4_kernelIDF16_hLN4vllm18Fp8KVCacheDataTypeE1EDF16_Li16ELi64ELi256ELb1ELi2EEvPKT_PKT0_S7_ifPKiS9_S9_iPKfiiiPfSC_PS2_PT2_iSB_SB_:
	.asciz	"void paged_attention_ll4mi_QKV_mfma4_kernel(const scalar_t *__restrict, const cache_t *__restrict, const cache_t *__restrict, const int, const float, const int *__restrict, const int *__restrict, const int *__restrict, const int, const float *__restrict, const int, const int, const int, float *__restrict, float *__restrict, scalar_t *__restrict, OUTT *__restrict, int, const float *, const float *) [scalar_t = _Float16, cache_t = unsigned char, KV_DTYPE = vllm::Fp8KVCacheDataType::kFp8E4M3, OUTT = _Float16, BLOCK_SIZE = 16, HEAD_SIZE = 64, NUM_THREADS = 256, ALIBI_ENABLED = true, GQA_RATIO = 2]"
	.size	__PRETTY_FUNCTION__._Z38paged_attention_ll4mi_QKV_mfma4_kernelIDF16_hLN4vllm18Fp8KVCacheDataTypeE1EDF16_Li16ELi64ELi256ELb1ELi2EEvPKT_PKT0_S7_ifPKiS9_S9_iPKfiiiPfSC_PS2_PT2_iSB_SB_, 601

	.type	__PRETTY_FUNCTION__._Z38paged_attention_ll4mi_QKV_mfma4_kernelIDF16_hLN4vllm18Fp8KVCacheDataTypeE1EDF16_Li16ELi64ELi256ELb1ELi3EEvPKT_PKT0_S7_ifPKiS9_S9_iPKfiiiPfSC_PS2_PT2_iSB_SB_,@object ; @__PRETTY_FUNCTION__._Z38paged_attention_ll4mi_QKV_mfma4_kernelIDF16_hLN4vllm18Fp8KVCacheDataTypeE1EDF16_Li16ELi64ELi256ELb1ELi3EEvPKT_PKT0_S7_ifPKiS9_S9_iPKfiiiPfSC_PS2_PT2_iSB_SB_
__PRETTY_FUNCTION__._Z38paged_attention_ll4mi_QKV_mfma4_kernelIDF16_hLN4vllm18Fp8KVCacheDataTypeE1EDF16_Li16ELi64ELi256ELb1ELi3EEvPKT_PKT0_S7_ifPKiS9_S9_iPKfiiiPfSC_PS2_PT2_iSB_SB_:
	.asciz	"void paged_attention_ll4mi_QKV_mfma4_kernel(const scalar_t *__restrict, const cache_t *__restrict, const cache_t *__restrict, const int, const float, const int *__restrict, const int *__restrict, const int *__restrict, const int, const float *__restrict, const int, const int, const int, float *__restrict, float *__restrict, scalar_t *__restrict, OUTT *__restrict, int, const float *, const float *) [scalar_t = _Float16, cache_t = unsigned char, KV_DTYPE = vllm::Fp8KVCacheDataType::kFp8E4M3, OUTT = _Float16, BLOCK_SIZE = 16, HEAD_SIZE = 64, NUM_THREADS = 256, ALIBI_ENABLED = true, GQA_RATIO = 3]"
	.size	__PRETTY_FUNCTION__._Z38paged_attention_ll4mi_QKV_mfma4_kernelIDF16_hLN4vllm18Fp8KVCacheDataTypeE1EDF16_Li16ELi64ELi256ELb1ELi3EEvPKT_PKT0_S7_ifPKiS9_S9_iPKfiiiPfSC_PS2_PT2_iSB_SB_, 601

	.type	__PRETTY_FUNCTION__._Z38paged_attention_ll4mi_QKV_mfma4_kernelIDF16_hLN4vllm18Fp8KVCacheDataTypeE1EDF16_Li16ELi64ELi256ELb1ELi4EEvPKT_PKT0_S7_ifPKiS9_S9_iPKfiiiPfSC_PS2_PT2_iSB_SB_,@object ; @__PRETTY_FUNCTION__._Z38paged_attention_ll4mi_QKV_mfma4_kernelIDF16_hLN4vllm18Fp8KVCacheDataTypeE1EDF16_Li16ELi64ELi256ELb1ELi4EEvPKT_PKT0_S7_ifPKiS9_S9_iPKfiiiPfSC_PS2_PT2_iSB_SB_
__PRETTY_FUNCTION__._Z38paged_attention_ll4mi_QKV_mfma4_kernelIDF16_hLN4vllm18Fp8KVCacheDataTypeE1EDF16_Li16ELi64ELi256ELb1ELi4EEvPKT_PKT0_S7_ifPKiS9_S9_iPKfiiiPfSC_PS2_PT2_iSB_SB_:
	.asciz	"void paged_attention_ll4mi_QKV_mfma4_kernel(const scalar_t *__restrict, const cache_t *__restrict, const cache_t *__restrict, const int, const float, const int *__restrict, const int *__restrict, const int *__restrict, const int, const float *__restrict, const int, const int, const int, float *__restrict, float *__restrict, scalar_t *__restrict, OUTT *__restrict, int, const float *, const float *) [scalar_t = _Float16, cache_t = unsigned char, KV_DTYPE = vllm::Fp8KVCacheDataType::kFp8E4M3, OUTT = _Float16, BLOCK_SIZE = 16, HEAD_SIZE = 64, NUM_THREADS = 256, ALIBI_ENABLED = true, GQA_RATIO = 4]"
	.size	__PRETTY_FUNCTION__._Z38paged_attention_ll4mi_QKV_mfma4_kernelIDF16_hLN4vllm18Fp8KVCacheDataTypeE1EDF16_Li16ELi64ELi256ELb1ELi4EEvPKT_PKT0_S7_ifPKiS9_S9_iPKfiiiPfSC_PS2_PT2_iSB_SB_, 601

	.type	__PRETTY_FUNCTION__._Z39paged_attention_ll4mi_QKV_mfma16_kernelIDF16_hLN4vllm18Fp8KVCacheDataTypeE1EDF16_Li16ELi64ELi256ELb1ELi5EEvPKT_PKT0_S7_ifPKiS9_S9_iPKfiiiPfSC_PS2_PT2_iSB_SB_,@object ; @__PRETTY_FUNCTION__._Z39paged_attention_ll4mi_QKV_mfma16_kernelIDF16_hLN4vllm18Fp8KVCacheDataTypeE1EDF16_Li16ELi64ELi256ELb1ELi5EEvPKT_PKT0_S7_ifPKiS9_S9_iPKfiiiPfSC_PS2_PT2_iSB_SB_
__PRETTY_FUNCTION__._Z39paged_attention_ll4mi_QKV_mfma16_kernelIDF16_hLN4vllm18Fp8KVCacheDataTypeE1EDF16_Li16ELi64ELi256ELb1ELi5EEvPKT_PKT0_S7_ifPKiS9_S9_iPKfiiiPfSC_PS2_PT2_iSB_SB_:
	.asciz	"void paged_attention_ll4mi_QKV_mfma16_kernel(const scalar_t *__restrict, const cache_t *__restrict, const cache_t *__restrict, const int, const float, const int *__restrict, const int *__restrict, const int *__restrict, const int, const float *__restrict, const int, const int, const int, float *__restrict, float *__restrict, scalar_t *__restrict, OUTT *__restrict, int, const float *, const float *) [scalar_t = _Float16, cache_t = unsigned char, KV_DTYPE = vllm::Fp8KVCacheDataType::kFp8E4M3, OUTT = _Float16, BLOCK_SIZE = 16, HEAD_SIZE = 64, NUM_THREADS = 256, ALIBI_ENABLED = true, GQA_RATIO = 5]"
	.size	__PRETTY_FUNCTION__._Z39paged_attention_ll4mi_QKV_mfma16_kernelIDF16_hLN4vllm18Fp8KVCacheDataTypeE1EDF16_Li16ELi64ELi256ELb1ELi5EEvPKT_PKT0_S7_ifPKiS9_S9_iPKfiiiPfSC_PS2_PT2_iSB_SB_, 602

	.type	__PRETTY_FUNCTION__._Z39paged_attention_ll4mi_QKV_mfma16_kernelIDF16_hLN4vllm18Fp8KVCacheDataTypeE1EDF16_Li16ELi64ELi256ELb1ELi6EEvPKT_PKT0_S7_ifPKiS9_S9_iPKfiiiPfSC_PS2_PT2_iSB_SB_,@object ; @__PRETTY_FUNCTION__._Z39paged_attention_ll4mi_QKV_mfma16_kernelIDF16_hLN4vllm18Fp8KVCacheDataTypeE1EDF16_Li16ELi64ELi256ELb1ELi6EEvPKT_PKT0_S7_ifPKiS9_S9_iPKfiiiPfSC_PS2_PT2_iSB_SB_
__PRETTY_FUNCTION__._Z39paged_attention_ll4mi_QKV_mfma16_kernelIDF16_hLN4vllm18Fp8KVCacheDataTypeE1EDF16_Li16ELi64ELi256ELb1ELi6EEvPKT_PKT0_S7_ifPKiS9_S9_iPKfiiiPfSC_PS2_PT2_iSB_SB_:
	.asciz	"void paged_attention_ll4mi_QKV_mfma16_kernel(const scalar_t *__restrict, const cache_t *__restrict, const cache_t *__restrict, const int, const float, const int *__restrict, const int *__restrict, const int *__restrict, const int, const float *__restrict, const int, const int, const int, float *__restrict, float *__restrict, scalar_t *__restrict, OUTT *__restrict, int, const float *, const float *) [scalar_t = _Float16, cache_t = unsigned char, KV_DTYPE = vllm::Fp8KVCacheDataType::kFp8E4M3, OUTT = _Float16, BLOCK_SIZE = 16, HEAD_SIZE = 64, NUM_THREADS = 256, ALIBI_ENABLED = true, GQA_RATIO = 6]"
	.size	__PRETTY_FUNCTION__._Z39paged_attention_ll4mi_QKV_mfma16_kernelIDF16_hLN4vllm18Fp8KVCacheDataTypeE1EDF16_Li16ELi64ELi256ELb1ELi6EEvPKT_PKT0_S7_ifPKiS9_S9_iPKfiiiPfSC_PS2_PT2_iSB_SB_, 602

	.type	__PRETTY_FUNCTION__._Z39paged_attention_ll4mi_QKV_mfma16_kernelIDF16_hLN4vllm18Fp8KVCacheDataTypeE1EDF16_Li16ELi64ELi256ELb1ELi7EEvPKT_PKT0_S7_ifPKiS9_S9_iPKfiiiPfSC_PS2_PT2_iSB_SB_,@object ; @__PRETTY_FUNCTION__._Z39paged_attention_ll4mi_QKV_mfma16_kernelIDF16_hLN4vllm18Fp8KVCacheDataTypeE1EDF16_Li16ELi64ELi256ELb1ELi7EEvPKT_PKT0_S7_ifPKiS9_S9_iPKfiiiPfSC_PS2_PT2_iSB_SB_
__PRETTY_FUNCTION__._Z39paged_attention_ll4mi_QKV_mfma16_kernelIDF16_hLN4vllm18Fp8KVCacheDataTypeE1EDF16_Li16ELi64ELi256ELb1ELi7EEvPKT_PKT0_S7_ifPKiS9_S9_iPKfiiiPfSC_PS2_PT2_iSB_SB_:
	.asciz	"void paged_attention_ll4mi_QKV_mfma16_kernel(const scalar_t *__restrict, const cache_t *__restrict, const cache_t *__restrict, const int, const float, const int *__restrict, const int *__restrict, const int *__restrict, const int, const float *__restrict, const int, const int, const int, float *__restrict, float *__restrict, scalar_t *__restrict, OUTT *__restrict, int, const float *, const float *) [scalar_t = _Float16, cache_t = unsigned char, KV_DTYPE = vllm::Fp8KVCacheDataType::kFp8E4M3, OUTT = _Float16, BLOCK_SIZE = 16, HEAD_SIZE = 64, NUM_THREADS = 256, ALIBI_ENABLED = true, GQA_RATIO = 7]"
	.size	__PRETTY_FUNCTION__._Z39paged_attention_ll4mi_QKV_mfma16_kernelIDF16_hLN4vllm18Fp8KVCacheDataTypeE1EDF16_Li16ELi64ELi256ELb1ELi7EEvPKT_PKT0_S7_ifPKiS9_S9_iPKfiiiPfSC_PS2_PT2_iSB_SB_, 602

	.type	__PRETTY_FUNCTION__._Z39paged_attention_ll4mi_QKV_mfma16_kernelIDF16_hLN4vllm18Fp8KVCacheDataTypeE1EDF16_Li16ELi64ELi256ELb1ELi8EEvPKT_PKT0_S7_ifPKiS9_S9_iPKfiiiPfSC_PS2_PT2_iSB_SB_,@object ; @__PRETTY_FUNCTION__._Z39paged_attention_ll4mi_QKV_mfma16_kernelIDF16_hLN4vllm18Fp8KVCacheDataTypeE1EDF16_Li16ELi64ELi256ELb1ELi8EEvPKT_PKT0_S7_ifPKiS9_S9_iPKfiiiPfSC_PS2_PT2_iSB_SB_
__PRETTY_FUNCTION__._Z39paged_attention_ll4mi_QKV_mfma16_kernelIDF16_hLN4vllm18Fp8KVCacheDataTypeE1EDF16_Li16ELi64ELi256ELb1ELi8EEvPKT_PKT0_S7_ifPKiS9_S9_iPKfiiiPfSC_PS2_PT2_iSB_SB_:
	.asciz	"void paged_attention_ll4mi_QKV_mfma16_kernel(const scalar_t *__restrict, const cache_t *__restrict, const cache_t *__restrict, const int, const float, const int *__restrict, const int *__restrict, const int *__restrict, const int, const float *__restrict, const int, const int, const int, float *__restrict, float *__restrict, scalar_t *__restrict, OUTT *__restrict, int, const float *, const float *) [scalar_t = _Float16, cache_t = unsigned char, KV_DTYPE = vllm::Fp8KVCacheDataType::kFp8E4M3, OUTT = _Float16, BLOCK_SIZE = 16, HEAD_SIZE = 64, NUM_THREADS = 256, ALIBI_ENABLED = true, GQA_RATIO = 8]"
	.size	__PRETTY_FUNCTION__._Z39paged_attention_ll4mi_QKV_mfma16_kernelIDF16_hLN4vllm18Fp8KVCacheDataTypeE1EDF16_Li16ELi64ELi256ELb1ELi8EEvPKT_PKT0_S7_ifPKiS9_S9_iPKfiiiPfSC_PS2_PT2_iSB_SB_, 602

	.type	__PRETTY_FUNCTION__._Z39paged_attention_ll4mi_QKV_mfma16_kernelIDF16_hLN4vllm18Fp8KVCacheDataTypeE1EDF16_Li16ELi64ELi256ELb1ELi9EEvPKT_PKT0_S7_ifPKiS9_S9_iPKfiiiPfSC_PS2_PT2_iSB_SB_,@object ; @__PRETTY_FUNCTION__._Z39paged_attention_ll4mi_QKV_mfma16_kernelIDF16_hLN4vllm18Fp8KVCacheDataTypeE1EDF16_Li16ELi64ELi256ELb1ELi9EEvPKT_PKT0_S7_ifPKiS9_S9_iPKfiiiPfSC_PS2_PT2_iSB_SB_
__PRETTY_FUNCTION__._Z39paged_attention_ll4mi_QKV_mfma16_kernelIDF16_hLN4vllm18Fp8KVCacheDataTypeE1EDF16_Li16ELi64ELi256ELb1ELi9EEvPKT_PKT0_S7_ifPKiS9_S9_iPKfiiiPfSC_PS2_PT2_iSB_SB_:
	.asciz	"void paged_attention_ll4mi_QKV_mfma16_kernel(const scalar_t *__restrict, const cache_t *__restrict, const cache_t *__restrict, const int, const float, const int *__restrict, const int *__restrict, const int *__restrict, const int, const float *__restrict, const int, const int, const int, float *__restrict, float *__restrict, scalar_t *__restrict, OUTT *__restrict, int, const float *, const float *) [scalar_t = _Float16, cache_t = unsigned char, KV_DTYPE = vllm::Fp8KVCacheDataType::kFp8E4M3, OUTT = _Float16, BLOCK_SIZE = 16, HEAD_SIZE = 64, NUM_THREADS = 256, ALIBI_ENABLED = true, GQA_RATIO = 9]"
	.size	__PRETTY_FUNCTION__._Z39paged_attention_ll4mi_QKV_mfma16_kernelIDF16_hLN4vllm18Fp8KVCacheDataTypeE1EDF16_Li16ELi64ELi256ELb1ELi9EEvPKT_PKT0_S7_ifPKiS9_S9_iPKfiiiPfSC_PS2_PT2_iSB_SB_, 602

	.type	__PRETTY_FUNCTION__._Z39paged_attention_ll4mi_QKV_mfma16_kernelIDF16_hLN4vllm18Fp8KVCacheDataTypeE1EDF16_Li16ELi64ELi256ELb1ELi10EEvPKT_PKT0_S7_ifPKiS9_S9_iPKfiiiPfSC_PS2_PT2_iSB_SB_,@object ; @__PRETTY_FUNCTION__._Z39paged_attention_ll4mi_QKV_mfma16_kernelIDF16_hLN4vllm18Fp8KVCacheDataTypeE1EDF16_Li16ELi64ELi256ELb1ELi10EEvPKT_PKT0_S7_ifPKiS9_S9_iPKfiiiPfSC_PS2_PT2_iSB_SB_
__PRETTY_FUNCTION__._Z39paged_attention_ll4mi_QKV_mfma16_kernelIDF16_hLN4vllm18Fp8KVCacheDataTypeE1EDF16_Li16ELi64ELi256ELb1ELi10EEvPKT_PKT0_S7_ifPKiS9_S9_iPKfiiiPfSC_PS2_PT2_iSB_SB_:
	.asciz	"void paged_attention_ll4mi_QKV_mfma16_kernel(const scalar_t *__restrict, const cache_t *__restrict, const cache_t *__restrict, const int, const float, const int *__restrict, const int *__restrict, const int *__restrict, const int, const float *__restrict, const int, const int, const int, float *__restrict, float *__restrict, scalar_t *__restrict, OUTT *__restrict, int, const float *, const float *) [scalar_t = _Float16, cache_t = unsigned char, KV_DTYPE = vllm::Fp8KVCacheDataType::kFp8E4M3, OUTT = _Float16, BLOCK_SIZE = 16, HEAD_SIZE = 64, NUM_THREADS = 256, ALIBI_ENABLED = true, GQA_RATIO = 10]"
	.size	__PRETTY_FUNCTION__._Z39paged_attention_ll4mi_QKV_mfma16_kernelIDF16_hLN4vllm18Fp8KVCacheDataTypeE1EDF16_Li16ELi64ELi256ELb1ELi10EEvPKT_PKT0_S7_ifPKiS9_S9_iPKfiiiPfSC_PS2_PT2_iSB_SB_, 603

	.type	__PRETTY_FUNCTION__._Z39paged_attention_ll4mi_QKV_mfma16_kernelIDF16_hLN4vllm18Fp8KVCacheDataTypeE1EDF16_Li16ELi64ELi256ELb1ELi11EEvPKT_PKT0_S7_ifPKiS9_S9_iPKfiiiPfSC_PS2_PT2_iSB_SB_,@object ; @__PRETTY_FUNCTION__._Z39paged_attention_ll4mi_QKV_mfma16_kernelIDF16_hLN4vllm18Fp8KVCacheDataTypeE1EDF16_Li16ELi64ELi256ELb1ELi11EEvPKT_PKT0_S7_ifPKiS9_S9_iPKfiiiPfSC_PS2_PT2_iSB_SB_
__PRETTY_FUNCTION__._Z39paged_attention_ll4mi_QKV_mfma16_kernelIDF16_hLN4vllm18Fp8KVCacheDataTypeE1EDF16_Li16ELi64ELi256ELb1ELi11EEvPKT_PKT0_S7_ifPKiS9_S9_iPKfiiiPfSC_PS2_PT2_iSB_SB_:
	.asciz	"void paged_attention_ll4mi_QKV_mfma16_kernel(const scalar_t *__restrict, const cache_t *__restrict, const cache_t *__restrict, const int, const float, const int *__restrict, const int *__restrict, const int *__restrict, const int, const float *__restrict, const int, const int, const int, float *__restrict, float *__restrict, scalar_t *__restrict, OUTT *__restrict, int, const float *, const float *) [scalar_t = _Float16, cache_t = unsigned char, KV_DTYPE = vllm::Fp8KVCacheDataType::kFp8E4M3, OUTT = _Float16, BLOCK_SIZE = 16, HEAD_SIZE = 64, NUM_THREADS = 256, ALIBI_ENABLED = true, GQA_RATIO = 11]"
	.size	__PRETTY_FUNCTION__._Z39paged_attention_ll4mi_QKV_mfma16_kernelIDF16_hLN4vllm18Fp8KVCacheDataTypeE1EDF16_Li16ELi64ELi256ELb1ELi11EEvPKT_PKT0_S7_ifPKiS9_S9_iPKfiiiPfSC_PS2_PT2_iSB_SB_, 603

	.type	__PRETTY_FUNCTION__._Z39paged_attention_ll4mi_QKV_mfma16_kernelIDF16_hLN4vllm18Fp8KVCacheDataTypeE1EDF16_Li16ELi64ELi256ELb1ELi12EEvPKT_PKT0_S7_ifPKiS9_S9_iPKfiiiPfSC_PS2_PT2_iSB_SB_,@object ; @__PRETTY_FUNCTION__._Z39paged_attention_ll4mi_QKV_mfma16_kernelIDF16_hLN4vllm18Fp8KVCacheDataTypeE1EDF16_Li16ELi64ELi256ELb1ELi12EEvPKT_PKT0_S7_ifPKiS9_S9_iPKfiiiPfSC_PS2_PT2_iSB_SB_
__PRETTY_FUNCTION__._Z39paged_attention_ll4mi_QKV_mfma16_kernelIDF16_hLN4vllm18Fp8KVCacheDataTypeE1EDF16_Li16ELi64ELi256ELb1ELi12EEvPKT_PKT0_S7_ifPKiS9_S9_iPKfiiiPfSC_PS2_PT2_iSB_SB_:
	.asciz	"void paged_attention_ll4mi_QKV_mfma16_kernel(const scalar_t *__restrict, const cache_t *__restrict, const cache_t *__restrict, const int, const float, const int *__restrict, const int *__restrict, const int *__restrict, const int, const float *__restrict, const int, const int, const int, float *__restrict, float *__restrict, scalar_t *__restrict, OUTT *__restrict, int, const float *, const float *) [scalar_t = _Float16, cache_t = unsigned char, KV_DTYPE = vllm::Fp8KVCacheDataType::kFp8E4M3, OUTT = _Float16, BLOCK_SIZE = 16, HEAD_SIZE = 64, NUM_THREADS = 256, ALIBI_ENABLED = true, GQA_RATIO = 12]"
	.size	__PRETTY_FUNCTION__._Z39paged_attention_ll4mi_QKV_mfma16_kernelIDF16_hLN4vllm18Fp8KVCacheDataTypeE1EDF16_Li16ELi64ELi256ELb1ELi12EEvPKT_PKT0_S7_ifPKiS9_S9_iPKfiiiPfSC_PS2_PT2_iSB_SB_, 603

	.type	__PRETTY_FUNCTION__._Z39paged_attention_ll4mi_QKV_mfma16_kernelIDF16_hLN4vllm18Fp8KVCacheDataTypeE1EDF16_Li16ELi64ELi256ELb1ELi13EEvPKT_PKT0_S7_ifPKiS9_S9_iPKfiiiPfSC_PS2_PT2_iSB_SB_,@object ; @__PRETTY_FUNCTION__._Z39paged_attention_ll4mi_QKV_mfma16_kernelIDF16_hLN4vllm18Fp8KVCacheDataTypeE1EDF16_Li16ELi64ELi256ELb1ELi13EEvPKT_PKT0_S7_ifPKiS9_S9_iPKfiiiPfSC_PS2_PT2_iSB_SB_
__PRETTY_FUNCTION__._Z39paged_attention_ll4mi_QKV_mfma16_kernelIDF16_hLN4vllm18Fp8KVCacheDataTypeE1EDF16_Li16ELi64ELi256ELb1ELi13EEvPKT_PKT0_S7_ifPKiS9_S9_iPKfiiiPfSC_PS2_PT2_iSB_SB_:
	.asciz	"void paged_attention_ll4mi_QKV_mfma16_kernel(const scalar_t *__restrict, const cache_t *__restrict, const cache_t *__restrict, const int, const float, const int *__restrict, const int *__restrict, const int *__restrict, const int, const float *__restrict, const int, const int, const int, float *__restrict, float *__restrict, scalar_t *__restrict, OUTT *__restrict, int, const float *, const float *) [scalar_t = _Float16, cache_t = unsigned char, KV_DTYPE = vllm::Fp8KVCacheDataType::kFp8E4M3, OUTT = _Float16, BLOCK_SIZE = 16, HEAD_SIZE = 64, NUM_THREADS = 256, ALIBI_ENABLED = true, GQA_RATIO = 13]"
	.size	__PRETTY_FUNCTION__._Z39paged_attention_ll4mi_QKV_mfma16_kernelIDF16_hLN4vllm18Fp8KVCacheDataTypeE1EDF16_Li16ELi64ELi256ELb1ELi13EEvPKT_PKT0_S7_ifPKiS9_S9_iPKfiiiPfSC_PS2_PT2_iSB_SB_, 603

	.type	__PRETTY_FUNCTION__._Z39paged_attention_ll4mi_QKV_mfma16_kernelIDF16_hLN4vllm18Fp8KVCacheDataTypeE1EDF16_Li16ELi64ELi256ELb1ELi14EEvPKT_PKT0_S7_ifPKiS9_S9_iPKfiiiPfSC_PS2_PT2_iSB_SB_,@object ; @__PRETTY_FUNCTION__._Z39paged_attention_ll4mi_QKV_mfma16_kernelIDF16_hLN4vllm18Fp8KVCacheDataTypeE1EDF16_Li16ELi64ELi256ELb1ELi14EEvPKT_PKT0_S7_ifPKiS9_S9_iPKfiiiPfSC_PS2_PT2_iSB_SB_
__PRETTY_FUNCTION__._Z39paged_attention_ll4mi_QKV_mfma16_kernelIDF16_hLN4vllm18Fp8KVCacheDataTypeE1EDF16_Li16ELi64ELi256ELb1ELi14EEvPKT_PKT0_S7_ifPKiS9_S9_iPKfiiiPfSC_PS2_PT2_iSB_SB_:
	.asciz	"void paged_attention_ll4mi_QKV_mfma16_kernel(const scalar_t *__restrict, const cache_t *__restrict, const cache_t *__restrict, const int, const float, const int *__restrict, const int *__restrict, const int *__restrict, const int, const float *__restrict, const int, const int, const int, float *__restrict, float *__restrict, scalar_t *__restrict, OUTT *__restrict, int, const float *, const float *) [scalar_t = _Float16, cache_t = unsigned char, KV_DTYPE = vllm::Fp8KVCacheDataType::kFp8E4M3, OUTT = _Float16, BLOCK_SIZE = 16, HEAD_SIZE = 64, NUM_THREADS = 256, ALIBI_ENABLED = true, GQA_RATIO = 14]"
	.size	__PRETTY_FUNCTION__._Z39paged_attention_ll4mi_QKV_mfma16_kernelIDF16_hLN4vllm18Fp8KVCacheDataTypeE1EDF16_Li16ELi64ELi256ELb1ELi14EEvPKT_PKT0_S7_ifPKiS9_S9_iPKfiiiPfSC_PS2_PT2_iSB_SB_, 603

	.type	__PRETTY_FUNCTION__._Z39paged_attention_ll4mi_QKV_mfma16_kernelIDF16_hLN4vllm18Fp8KVCacheDataTypeE1EDF16_Li16ELi64ELi256ELb1ELi15EEvPKT_PKT0_S7_ifPKiS9_S9_iPKfiiiPfSC_PS2_PT2_iSB_SB_,@object ; @__PRETTY_FUNCTION__._Z39paged_attention_ll4mi_QKV_mfma16_kernelIDF16_hLN4vllm18Fp8KVCacheDataTypeE1EDF16_Li16ELi64ELi256ELb1ELi15EEvPKT_PKT0_S7_ifPKiS9_S9_iPKfiiiPfSC_PS2_PT2_iSB_SB_
__PRETTY_FUNCTION__._Z39paged_attention_ll4mi_QKV_mfma16_kernelIDF16_hLN4vllm18Fp8KVCacheDataTypeE1EDF16_Li16ELi64ELi256ELb1ELi15EEvPKT_PKT0_S7_ifPKiS9_S9_iPKfiiiPfSC_PS2_PT2_iSB_SB_:
	.asciz	"void paged_attention_ll4mi_QKV_mfma16_kernel(const scalar_t *__restrict, const cache_t *__restrict, const cache_t *__restrict, const int, const float, const int *__restrict, const int *__restrict, const int *__restrict, const int, const float *__restrict, const int, const int, const int, float *__restrict, float *__restrict, scalar_t *__restrict, OUTT *__restrict, int, const float *, const float *) [scalar_t = _Float16, cache_t = unsigned char, KV_DTYPE = vllm::Fp8KVCacheDataType::kFp8E4M3, OUTT = _Float16, BLOCK_SIZE = 16, HEAD_SIZE = 64, NUM_THREADS = 256, ALIBI_ENABLED = true, GQA_RATIO = 15]"
	.size	__PRETTY_FUNCTION__._Z39paged_attention_ll4mi_QKV_mfma16_kernelIDF16_hLN4vllm18Fp8KVCacheDataTypeE1EDF16_Li16ELi64ELi256ELb1ELi15EEvPKT_PKT0_S7_ifPKiS9_S9_iPKfiiiPfSC_PS2_PT2_iSB_SB_, 603

	.type	__PRETTY_FUNCTION__._Z39paged_attention_ll4mi_QKV_mfma16_kernelIDF16_hLN4vllm18Fp8KVCacheDataTypeE1EDF16_Li16ELi64ELi256ELb1ELi16EEvPKT_PKT0_S7_ifPKiS9_S9_iPKfiiiPfSC_PS2_PT2_iSB_SB_,@object ; @__PRETTY_FUNCTION__._Z39paged_attention_ll4mi_QKV_mfma16_kernelIDF16_hLN4vllm18Fp8KVCacheDataTypeE1EDF16_Li16ELi64ELi256ELb1ELi16EEvPKT_PKT0_S7_ifPKiS9_S9_iPKfiiiPfSC_PS2_PT2_iSB_SB_
__PRETTY_FUNCTION__._Z39paged_attention_ll4mi_QKV_mfma16_kernelIDF16_hLN4vllm18Fp8KVCacheDataTypeE1EDF16_Li16ELi64ELi256ELb1ELi16EEvPKT_PKT0_S7_ifPKiS9_S9_iPKfiiiPfSC_PS2_PT2_iSB_SB_:
	.asciz	"void paged_attention_ll4mi_QKV_mfma16_kernel(const scalar_t *__restrict, const cache_t *__restrict, const cache_t *__restrict, const int, const float, const int *__restrict, const int *__restrict, const int *__restrict, const int, const float *__restrict, const int, const int, const int, float *__restrict, float *__restrict, scalar_t *__restrict, OUTT *__restrict, int, const float *, const float *) [scalar_t = _Float16, cache_t = unsigned char, KV_DTYPE = vllm::Fp8KVCacheDataType::kFp8E4M3, OUTT = _Float16, BLOCK_SIZE = 16, HEAD_SIZE = 64, NUM_THREADS = 256, ALIBI_ENABLED = true, GQA_RATIO = 16]"
	.size	__PRETTY_FUNCTION__._Z39paged_attention_ll4mi_QKV_mfma16_kernelIDF16_hLN4vllm18Fp8KVCacheDataTypeE1EDF16_Li16ELi64ELi256ELb1ELi16EEvPKT_PKT0_S7_ifPKiS9_S9_iPKfiiiPfSC_PS2_PT2_iSB_SB_, 603

	.type	__PRETTY_FUNCTION__._Z39paged_attention_ll4mi_QKV_mfma16_kernelIDF16_hLN4vllm18Fp8KVCacheDataTypeE1EDF16_Li16ELi64ELi256ELb1ELi1EEvPKT_PKT0_S7_ifPKiS9_S9_iPKfiiiPfSC_PS2_PT2_iSB_SB_,@object ; @__PRETTY_FUNCTION__._Z39paged_attention_ll4mi_QKV_mfma16_kernelIDF16_hLN4vllm18Fp8KVCacheDataTypeE1EDF16_Li16ELi64ELi256ELb1ELi1EEvPKT_PKT0_S7_ifPKiS9_S9_iPKfiiiPfSC_PS2_PT2_iSB_SB_
__PRETTY_FUNCTION__._Z39paged_attention_ll4mi_QKV_mfma16_kernelIDF16_hLN4vllm18Fp8KVCacheDataTypeE1EDF16_Li16ELi64ELi256ELb1ELi1EEvPKT_PKT0_S7_ifPKiS9_S9_iPKfiiiPfSC_PS2_PT2_iSB_SB_:
	.asciz	"void paged_attention_ll4mi_QKV_mfma16_kernel(const scalar_t *__restrict, const cache_t *__restrict, const cache_t *__restrict, const int, const float, const int *__restrict, const int *__restrict, const int *__restrict, const int, const float *__restrict, const int, const int, const int, float *__restrict, float *__restrict, scalar_t *__restrict, OUTT *__restrict, int, const float *, const float *) [scalar_t = _Float16, cache_t = unsigned char, KV_DTYPE = vllm::Fp8KVCacheDataType::kFp8E4M3, OUTT = _Float16, BLOCK_SIZE = 16, HEAD_SIZE = 64, NUM_THREADS = 256, ALIBI_ENABLED = true, GQA_RATIO = 1]"
	.size	__PRETTY_FUNCTION__._Z39paged_attention_ll4mi_QKV_mfma16_kernelIDF16_hLN4vllm18Fp8KVCacheDataTypeE1EDF16_Li16ELi64ELi256ELb1ELi1EEvPKT_PKT0_S7_ifPKiS9_S9_iPKfiiiPfSC_PS2_PT2_iSB_SB_, 602

	.type	__PRETTY_FUNCTION__._Z39paged_attention_ll4mi_QKV_mfma16_kernelIDF16_hLN4vllm18Fp8KVCacheDataTypeE1EDF16_Li16ELi64ELi256ELb1ELi2EEvPKT_PKT0_S7_ifPKiS9_S9_iPKfiiiPfSC_PS2_PT2_iSB_SB_,@object ; @__PRETTY_FUNCTION__._Z39paged_attention_ll4mi_QKV_mfma16_kernelIDF16_hLN4vllm18Fp8KVCacheDataTypeE1EDF16_Li16ELi64ELi256ELb1ELi2EEvPKT_PKT0_S7_ifPKiS9_S9_iPKfiiiPfSC_PS2_PT2_iSB_SB_
__PRETTY_FUNCTION__._Z39paged_attention_ll4mi_QKV_mfma16_kernelIDF16_hLN4vllm18Fp8KVCacheDataTypeE1EDF16_Li16ELi64ELi256ELb1ELi2EEvPKT_PKT0_S7_ifPKiS9_S9_iPKfiiiPfSC_PS2_PT2_iSB_SB_:
	.asciz	"void paged_attention_ll4mi_QKV_mfma16_kernel(const scalar_t *__restrict, const cache_t *__restrict, const cache_t *__restrict, const int, const float, const int *__restrict, const int *__restrict, const int *__restrict, const int, const float *__restrict, const int, const int, const int, float *__restrict, float *__restrict, scalar_t *__restrict, OUTT *__restrict, int, const float *, const float *) [scalar_t = _Float16, cache_t = unsigned char, KV_DTYPE = vllm::Fp8KVCacheDataType::kFp8E4M3, OUTT = _Float16, BLOCK_SIZE = 16, HEAD_SIZE = 64, NUM_THREADS = 256, ALIBI_ENABLED = true, GQA_RATIO = 2]"
	.size	__PRETTY_FUNCTION__._Z39paged_attention_ll4mi_QKV_mfma16_kernelIDF16_hLN4vllm18Fp8KVCacheDataTypeE1EDF16_Li16ELi64ELi256ELb1ELi2EEvPKT_PKT0_S7_ifPKiS9_S9_iPKfiiiPfSC_PS2_PT2_iSB_SB_, 602

	.type	__PRETTY_FUNCTION__._Z39paged_attention_ll4mi_QKV_mfma16_kernelIDF16_hLN4vllm18Fp8KVCacheDataTypeE1EDF16_Li16ELi64ELi256ELb1ELi3EEvPKT_PKT0_S7_ifPKiS9_S9_iPKfiiiPfSC_PS2_PT2_iSB_SB_,@object ; @__PRETTY_FUNCTION__._Z39paged_attention_ll4mi_QKV_mfma16_kernelIDF16_hLN4vllm18Fp8KVCacheDataTypeE1EDF16_Li16ELi64ELi256ELb1ELi3EEvPKT_PKT0_S7_ifPKiS9_S9_iPKfiiiPfSC_PS2_PT2_iSB_SB_
__PRETTY_FUNCTION__._Z39paged_attention_ll4mi_QKV_mfma16_kernelIDF16_hLN4vllm18Fp8KVCacheDataTypeE1EDF16_Li16ELi64ELi256ELb1ELi3EEvPKT_PKT0_S7_ifPKiS9_S9_iPKfiiiPfSC_PS2_PT2_iSB_SB_:
	.asciz	"void paged_attention_ll4mi_QKV_mfma16_kernel(const scalar_t *__restrict, const cache_t *__restrict, const cache_t *__restrict, const int, const float, const int *__restrict, const int *__restrict, const int *__restrict, const int, const float *__restrict, const int, const int, const int, float *__restrict, float *__restrict, scalar_t *__restrict, OUTT *__restrict, int, const float *, const float *) [scalar_t = _Float16, cache_t = unsigned char, KV_DTYPE = vllm::Fp8KVCacheDataType::kFp8E4M3, OUTT = _Float16, BLOCK_SIZE = 16, HEAD_SIZE = 64, NUM_THREADS = 256, ALIBI_ENABLED = true, GQA_RATIO = 3]"
	.size	__PRETTY_FUNCTION__._Z39paged_attention_ll4mi_QKV_mfma16_kernelIDF16_hLN4vllm18Fp8KVCacheDataTypeE1EDF16_Li16ELi64ELi256ELb1ELi3EEvPKT_PKT0_S7_ifPKiS9_S9_iPKfiiiPfSC_PS2_PT2_iSB_SB_, 602

	.type	__PRETTY_FUNCTION__._Z39paged_attention_ll4mi_QKV_mfma16_kernelIDF16_hLN4vllm18Fp8KVCacheDataTypeE1EDF16_Li16ELi64ELi256ELb1ELi4EEvPKT_PKT0_S7_ifPKiS9_S9_iPKfiiiPfSC_PS2_PT2_iSB_SB_,@object ; @__PRETTY_FUNCTION__._Z39paged_attention_ll4mi_QKV_mfma16_kernelIDF16_hLN4vllm18Fp8KVCacheDataTypeE1EDF16_Li16ELi64ELi256ELb1ELi4EEvPKT_PKT0_S7_ifPKiS9_S9_iPKfiiiPfSC_PS2_PT2_iSB_SB_
__PRETTY_FUNCTION__._Z39paged_attention_ll4mi_QKV_mfma16_kernelIDF16_hLN4vllm18Fp8KVCacheDataTypeE1EDF16_Li16ELi64ELi256ELb1ELi4EEvPKT_PKT0_S7_ifPKiS9_S9_iPKfiiiPfSC_PS2_PT2_iSB_SB_:
	.asciz	"void paged_attention_ll4mi_QKV_mfma16_kernel(const scalar_t *__restrict, const cache_t *__restrict, const cache_t *__restrict, const int, const float, const int *__restrict, const int *__restrict, const int *__restrict, const int, const float *__restrict, const int, const int, const int, float *__restrict, float *__restrict, scalar_t *__restrict, OUTT *__restrict, int, const float *, const float *) [scalar_t = _Float16, cache_t = unsigned char, KV_DTYPE = vllm::Fp8KVCacheDataType::kFp8E4M3, OUTT = _Float16, BLOCK_SIZE = 16, HEAD_SIZE = 64, NUM_THREADS = 256, ALIBI_ENABLED = true, GQA_RATIO = 4]"
	.size	__PRETTY_FUNCTION__._Z39paged_attention_ll4mi_QKV_mfma16_kernelIDF16_hLN4vllm18Fp8KVCacheDataTypeE1EDF16_Li16ELi64ELi256ELb1ELi4EEvPKT_PKT0_S7_ifPKiS9_S9_iPKfiiiPfSC_PS2_PT2_iSB_SB_, 602

	.type	__PRETTY_FUNCTION__._Z38paged_attention_ll4mi_QKV_mfma4_kernelIDF16_hLN4vllm18Fp8KVCacheDataTypeE1EDF16_Li16ELi64ELi256ELb0ELi1EEvPKT_PKT0_S7_ifPKiS9_S9_iPKfiiiPfSC_PS2_PT2_iSB_SB_,@object ; @__PRETTY_FUNCTION__._Z38paged_attention_ll4mi_QKV_mfma4_kernelIDF16_hLN4vllm18Fp8KVCacheDataTypeE1EDF16_Li16ELi64ELi256ELb0ELi1EEvPKT_PKT0_S7_ifPKiS9_S9_iPKfiiiPfSC_PS2_PT2_iSB_SB_
__PRETTY_FUNCTION__._Z38paged_attention_ll4mi_QKV_mfma4_kernelIDF16_hLN4vllm18Fp8KVCacheDataTypeE1EDF16_Li16ELi64ELi256ELb0ELi1EEvPKT_PKT0_S7_ifPKiS9_S9_iPKfiiiPfSC_PS2_PT2_iSB_SB_:
	.asciz	"void paged_attention_ll4mi_QKV_mfma4_kernel(const scalar_t *__restrict, const cache_t *__restrict, const cache_t *__restrict, const int, const float, const int *__restrict, const int *__restrict, const int *__restrict, const int, const float *__restrict, const int, const int, const int, float *__restrict, float *__restrict, scalar_t *__restrict, OUTT *__restrict, int, const float *, const float *) [scalar_t = _Float16, cache_t = unsigned char, KV_DTYPE = vllm::Fp8KVCacheDataType::kFp8E4M3, OUTT = _Float16, BLOCK_SIZE = 16, HEAD_SIZE = 64, NUM_THREADS = 256, ALIBI_ENABLED = false, GQA_RATIO = 1]"
	.size	__PRETTY_FUNCTION__._Z38paged_attention_ll4mi_QKV_mfma4_kernelIDF16_hLN4vllm18Fp8KVCacheDataTypeE1EDF16_Li16ELi64ELi256ELb0ELi1EEvPKT_PKT0_S7_ifPKiS9_S9_iPKfiiiPfSC_PS2_PT2_iSB_SB_, 602

	.type	__PRETTY_FUNCTION__._Z38paged_attention_ll4mi_QKV_mfma4_kernelIDF16_hLN4vllm18Fp8KVCacheDataTypeE1EDF16_Li16ELi64ELi256ELb0ELi2EEvPKT_PKT0_S7_ifPKiS9_S9_iPKfiiiPfSC_PS2_PT2_iSB_SB_,@object ; @__PRETTY_FUNCTION__._Z38paged_attention_ll4mi_QKV_mfma4_kernelIDF16_hLN4vllm18Fp8KVCacheDataTypeE1EDF16_Li16ELi64ELi256ELb0ELi2EEvPKT_PKT0_S7_ifPKiS9_S9_iPKfiiiPfSC_PS2_PT2_iSB_SB_
__PRETTY_FUNCTION__._Z38paged_attention_ll4mi_QKV_mfma4_kernelIDF16_hLN4vllm18Fp8KVCacheDataTypeE1EDF16_Li16ELi64ELi256ELb0ELi2EEvPKT_PKT0_S7_ifPKiS9_S9_iPKfiiiPfSC_PS2_PT2_iSB_SB_:
	.asciz	"void paged_attention_ll4mi_QKV_mfma4_kernel(const scalar_t *__restrict, const cache_t *__restrict, const cache_t *__restrict, const int, const float, const int *__restrict, const int *__restrict, const int *__restrict, const int, const float *__restrict, const int, const int, const int, float *__restrict, float *__restrict, scalar_t *__restrict, OUTT *__restrict, int, const float *, const float *) [scalar_t = _Float16, cache_t = unsigned char, KV_DTYPE = vllm::Fp8KVCacheDataType::kFp8E4M3, OUTT = _Float16, BLOCK_SIZE = 16, HEAD_SIZE = 64, NUM_THREADS = 256, ALIBI_ENABLED = false, GQA_RATIO = 2]"
	.size	__PRETTY_FUNCTION__._Z38paged_attention_ll4mi_QKV_mfma4_kernelIDF16_hLN4vllm18Fp8KVCacheDataTypeE1EDF16_Li16ELi64ELi256ELb0ELi2EEvPKT_PKT0_S7_ifPKiS9_S9_iPKfiiiPfSC_PS2_PT2_iSB_SB_, 602

	.type	__PRETTY_FUNCTION__._Z38paged_attention_ll4mi_QKV_mfma4_kernelIDF16_hLN4vllm18Fp8KVCacheDataTypeE1EDF16_Li16ELi64ELi256ELb0ELi3EEvPKT_PKT0_S7_ifPKiS9_S9_iPKfiiiPfSC_PS2_PT2_iSB_SB_,@object ; @__PRETTY_FUNCTION__._Z38paged_attention_ll4mi_QKV_mfma4_kernelIDF16_hLN4vllm18Fp8KVCacheDataTypeE1EDF16_Li16ELi64ELi256ELb0ELi3EEvPKT_PKT0_S7_ifPKiS9_S9_iPKfiiiPfSC_PS2_PT2_iSB_SB_
__PRETTY_FUNCTION__._Z38paged_attention_ll4mi_QKV_mfma4_kernelIDF16_hLN4vllm18Fp8KVCacheDataTypeE1EDF16_Li16ELi64ELi256ELb0ELi3EEvPKT_PKT0_S7_ifPKiS9_S9_iPKfiiiPfSC_PS2_PT2_iSB_SB_:
	.asciz	"void paged_attention_ll4mi_QKV_mfma4_kernel(const scalar_t *__restrict, const cache_t *__restrict, const cache_t *__restrict, const int, const float, const int *__restrict, const int *__restrict, const int *__restrict, const int, const float *__restrict, const int, const int, const int, float *__restrict, float *__restrict, scalar_t *__restrict, OUTT *__restrict, int, const float *, const float *) [scalar_t = _Float16, cache_t = unsigned char, KV_DTYPE = vllm::Fp8KVCacheDataType::kFp8E4M3, OUTT = _Float16, BLOCK_SIZE = 16, HEAD_SIZE = 64, NUM_THREADS = 256, ALIBI_ENABLED = false, GQA_RATIO = 3]"
	.size	__PRETTY_FUNCTION__._Z38paged_attention_ll4mi_QKV_mfma4_kernelIDF16_hLN4vllm18Fp8KVCacheDataTypeE1EDF16_Li16ELi64ELi256ELb0ELi3EEvPKT_PKT0_S7_ifPKiS9_S9_iPKfiiiPfSC_PS2_PT2_iSB_SB_, 602

	.type	__PRETTY_FUNCTION__._Z38paged_attention_ll4mi_QKV_mfma4_kernelIDF16_hLN4vllm18Fp8KVCacheDataTypeE1EDF16_Li16ELi64ELi256ELb0ELi4EEvPKT_PKT0_S7_ifPKiS9_S9_iPKfiiiPfSC_PS2_PT2_iSB_SB_,@object ; @__PRETTY_FUNCTION__._Z38paged_attention_ll4mi_QKV_mfma4_kernelIDF16_hLN4vllm18Fp8KVCacheDataTypeE1EDF16_Li16ELi64ELi256ELb0ELi4EEvPKT_PKT0_S7_ifPKiS9_S9_iPKfiiiPfSC_PS2_PT2_iSB_SB_
__PRETTY_FUNCTION__._Z38paged_attention_ll4mi_QKV_mfma4_kernelIDF16_hLN4vllm18Fp8KVCacheDataTypeE1EDF16_Li16ELi64ELi256ELb0ELi4EEvPKT_PKT0_S7_ifPKiS9_S9_iPKfiiiPfSC_PS2_PT2_iSB_SB_:
	.asciz	"void paged_attention_ll4mi_QKV_mfma4_kernel(const scalar_t *__restrict, const cache_t *__restrict, const cache_t *__restrict, const int, const float, const int *__restrict, const int *__restrict, const int *__restrict, const int, const float *__restrict, const int, const int, const int, float *__restrict, float *__restrict, scalar_t *__restrict, OUTT *__restrict, int, const float *, const float *) [scalar_t = _Float16, cache_t = unsigned char, KV_DTYPE = vllm::Fp8KVCacheDataType::kFp8E4M3, OUTT = _Float16, BLOCK_SIZE = 16, HEAD_SIZE = 64, NUM_THREADS = 256, ALIBI_ENABLED = false, GQA_RATIO = 4]"
	.size	__PRETTY_FUNCTION__._Z38paged_attention_ll4mi_QKV_mfma4_kernelIDF16_hLN4vllm18Fp8KVCacheDataTypeE1EDF16_Li16ELi64ELi256ELb0ELi4EEvPKT_PKT0_S7_ifPKiS9_S9_iPKfiiiPfSC_PS2_PT2_iSB_SB_, 602

	.type	__PRETTY_FUNCTION__._Z39paged_attention_ll4mi_QKV_mfma16_kernelIDF16_hLN4vllm18Fp8KVCacheDataTypeE1EDF16_Li16ELi64ELi256ELb0ELi5EEvPKT_PKT0_S7_ifPKiS9_S9_iPKfiiiPfSC_PS2_PT2_iSB_SB_,@object ; @__PRETTY_FUNCTION__._Z39paged_attention_ll4mi_QKV_mfma16_kernelIDF16_hLN4vllm18Fp8KVCacheDataTypeE1EDF16_Li16ELi64ELi256ELb0ELi5EEvPKT_PKT0_S7_ifPKiS9_S9_iPKfiiiPfSC_PS2_PT2_iSB_SB_
__PRETTY_FUNCTION__._Z39paged_attention_ll4mi_QKV_mfma16_kernelIDF16_hLN4vllm18Fp8KVCacheDataTypeE1EDF16_Li16ELi64ELi256ELb0ELi5EEvPKT_PKT0_S7_ifPKiS9_S9_iPKfiiiPfSC_PS2_PT2_iSB_SB_:
	.asciz	"void paged_attention_ll4mi_QKV_mfma16_kernel(const scalar_t *__restrict, const cache_t *__restrict, const cache_t *__restrict, const int, const float, const int *__restrict, const int *__restrict, const int *__restrict, const int, const float *__restrict, const int, const int, const int, float *__restrict, float *__restrict, scalar_t *__restrict, OUTT *__restrict, int, const float *, const float *) [scalar_t = _Float16, cache_t = unsigned char, KV_DTYPE = vllm::Fp8KVCacheDataType::kFp8E4M3, OUTT = _Float16, BLOCK_SIZE = 16, HEAD_SIZE = 64, NUM_THREADS = 256, ALIBI_ENABLED = false, GQA_RATIO = 5]"
	.size	__PRETTY_FUNCTION__._Z39paged_attention_ll4mi_QKV_mfma16_kernelIDF16_hLN4vllm18Fp8KVCacheDataTypeE1EDF16_Li16ELi64ELi256ELb0ELi5EEvPKT_PKT0_S7_ifPKiS9_S9_iPKfiiiPfSC_PS2_PT2_iSB_SB_, 603

	.type	__PRETTY_FUNCTION__._Z39paged_attention_ll4mi_QKV_mfma16_kernelIDF16_hLN4vllm18Fp8KVCacheDataTypeE1EDF16_Li16ELi64ELi256ELb0ELi6EEvPKT_PKT0_S7_ifPKiS9_S9_iPKfiiiPfSC_PS2_PT2_iSB_SB_,@object ; @__PRETTY_FUNCTION__._Z39paged_attention_ll4mi_QKV_mfma16_kernelIDF16_hLN4vllm18Fp8KVCacheDataTypeE1EDF16_Li16ELi64ELi256ELb0ELi6EEvPKT_PKT0_S7_ifPKiS9_S9_iPKfiiiPfSC_PS2_PT2_iSB_SB_
__PRETTY_FUNCTION__._Z39paged_attention_ll4mi_QKV_mfma16_kernelIDF16_hLN4vllm18Fp8KVCacheDataTypeE1EDF16_Li16ELi64ELi256ELb0ELi6EEvPKT_PKT0_S7_ifPKiS9_S9_iPKfiiiPfSC_PS2_PT2_iSB_SB_:
	.asciz	"void paged_attention_ll4mi_QKV_mfma16_kernel(const scalar_t *__restrict, const cache_t *__restrict, const cache_t *__restrict, const int, const float, const int *__restrict, const int *__restrict, const int *__restrict, const int, const float *__restrict, const int, const int, const int, float *__restrict, float *__restrict, scalar_t *__restrict, OUTT *__restrict, int, const float *, const float *) [scalar_t = _Float16, cache_t = unsigned char, KV_DTYPE = vllm::Fp8KVCacheDataType::kFp8E4M3, OUTT = _Float16, BLOCK_SIZE = 16, HEAD_SIZE = 64, NUM_THREADS = 256, ALIBI_ENABLED = false, GQA_RATIO = 6]"
	.size	__PRETTY_FUNCTION__._Z39paged_attention_ll4mi_QKV_mfma16_kernelIDF16_hLN4vllm18Fp8KVCacheDataTypeE1EDF16_Li16ELi64ELi256ELb0ELi6EEvPKT_PKT0_S7_ifPKiS9_S9_iPKfiiiPfSC_PS2_PT2_iSB_SB_, 603

	.type	__PRETTY_FUNCTION__._Z39paged_attention_ll4mi_QKV_mfma16_kernelIDF16_hLN4vllm18Fp8KVCacheDataTypeE1EDF16_Li16ELi64ELi256ELb0ELi7EEvPKT_PKT0_S7_ifPKiS9_S9_iPKfiiiPfSC_PS2_PT2_iSB_SB_,@object ; @__PRETTY_FUNCTION__._Z39paged_attention_ll4mi_QKV_mfma16_kernelIDF16_hLN4vllm18Fp8KVCacheDataTypeE1EDF16_Li16ELi64ELi256ELb0ELi7EEvPKT_PKT0_S7_ifPKiS9_S9_iPKfiiiPfSC_PS2_PT2_iSB_SB_
__PRETTY_FUNCTION__._Z39paged_attention_ll4mi_QKV_mfma16_kernelIDF16_hLN4vllm18Fp8KVCacheDataTypeE1EDF16_Li16ELi64ELi256ELb0ELi7EEvPKT_PKT0_S7_ifPKiS9_S9_iPKfiiiPfSC_PS2_PT2_iSB_SB_:
	.asciz	"void paged_attention_ll4mi_QKV_mfma16_kernel(const scalar_t *__restrict, const cache_t *__restrict, const cache_t *__restrict, const int, const float, const int *__restrict, const int *__restrict, const int *__restrict, const int, const float *__restrict, const int, const int, const int, float *__restrict, float *__restrict, scalar_t *__restrict, OUTT *__restrict, int, const float *, const float *) [scalar_t = _Float16, cache_t = unsigned char, KV_DTYPE = vllm::Fp8KVCacheDataType::kFp8E4M3, OUTT = _Float16, BLOCK_SIZE = 16, HEAD_SIZE = 64, NUM_THREADS = 256, ALIBI_ENABLED = false, GQA_RATIO = 7]"
	.size	__PRETTY_FUNCTION__._Z39paged_attention_ll4mi_QKV_mfma16_kernelIDF16_hLN4vllm18Fp8KVCacheDataTypeE1EDF16_Li16ELi64ELi256ELb0ELi7EEvPKT_PKT0_S7_ifPKiS9_S9_iPKfiiiPfSC_PS2_PT2_iSB_SB_, 603

	.type	__PRETTY_FUNCTION__._Z39paged_attention_ll4mi_QKV_mfma16_kernelIDF16_hLN4vllm18Fp8KVCacheDataTypeE1EDF16_Li16ELi64ELi256ELb0ELi8EEvPKT_PKT0_S7_ifPKiS9_S9_iPKfiiiPfSC_PS2_PT2_iSB_SB_,@object ; @__PRETTY_FUNCTION__._Z39paged_attention_ll4mi_QKV_mfma16_kernelIDF16_hLN4vllm18Fp8KVCacheDataTypeE1EDF16_Li16ELi64ELi256ELb0ELi8EEvPKT_PKT0_S7_ifPKiS9_S9_iPKfiiiPfSC_PS2_PT2_iSB_SB_
__PRETTY_FUNCTION__._Z39paged_attention_ll4mi_QKV_mfma16_kernelIDF16_hLN4vllm18Fp8KVCacheDataTypeE1EDF16_Li16ELi64ELi256ELb0ELi8EEvPKT_PKT0_S7_ifPKiS9_S9_iPKfiiiPfSC_PS2_PT2_iSB_SB_:
	.asciz	"void paged_attention_ll4mi_QKV_mfma16_kernel(const scalar_t *__restrict, const cache_t *__restrict, const cache_t *__restrict, const int, const float, const int *__restrict, const int *__restrict, const int *__restrict, const int, const float *__restrict, const int, const int, const int, float *__restrict, float *__restrict, scalar_t *__restrict, OUTT *__restrict, int, const float *, const float *) [scalar_t = _Float16, cache_t = unsigned char, KV_DTYPE = vllm::Fp8KVCacheDataType::kFp8E4M3, OUTT = _Float16, BLOCK_SIZE = 16, HEAD_SIZE = 64, NUM_THREADS = 256, ALIBI_ENABLED = false, GQA_RATIO = 8]"
	.size	__PRETTY_FUNCTION__._Z39paged_attention_ll4mi_QKV_mfma16_kernelIDF16_hLN4vllm18Fp8KVCacheDataTypeE1EDF16_Li16ELi64ELi256ELb0ELi8EEvPKT_PKT0_S7_ifPKiS9_S9_iPKfiiiPfSC_PS2_PT2_iSB_SB_, 603

	.type	__PRETTY_FUNCTION__._Z39paged_attention_ll4mi_QKV_mfma16_kernelIDF16_hLN4vllm18Fp8KVCacheDataTypeE1EDF16_Li16ELi64ELi256ELb0ELi9EEvPKT_PKT0_S7_ifPKiS9_S9_iPKfiiiPfSC_PS2_PT2_iSB_SB_,@object ; @__PRETTY_FUNCTION__._Z39paged_attention_ll4mi_QKV_mfma16_kernelIDF16_hLN4vllm18Fp8KVCacheDataTypeE1EDF16_Li16ELi64ELi256ELb0ELi9EEvPKT_PKT0_S7_ifPKiS9_S9_iPKfiiiPfSC_PS2_PT2_iSB_SB_
__PRETTY_FUNCTION__._Z39paged_attention_ll4mi_QKV_mfma16_kernelIDF16_hLN4vllm18Fp8KVCacheDataTypeE1EDF16_Li16ELi64ELi256ELb0ELi9EEvPKT_PKT0_S7_ifPKiS9_S9_iPKfiiiPfSC_PS2_PT2_iSB_SB_:
	.asciz	"void paged_attention_ll4mi_QKV_mfma16_kernel(const scalar_t *__restrict, const cache_t *__restrict, const cache_t *__restrict, const int, const float, const int *__restrict, const int *__restrict, const int *__restrict, const int, const float *__restrict, const int, const int, const int, float *__restrict, float *__restrict, scalar_t *__restrict, OUTT *__restrict, int, const float *, const float *) [scalar_t = _Float16, cache_t = unsigned char, KV_DTYPE = vllm::Fp8KVCacheDataType::kFp8E4M3, OUTT = _Float16, BLOCK_SIZE = 16, HEAD_SIZE = 64, NUM_THREADS = 256, ALIBI_ENABLED = false, GQA_RATIO = 9]"
	.size	__PRETTY_FUNCTION__._Z39paged_attention_ll4mi_QKV_mfma16_kernelIDF16_hLN4vllm18Fp8KVCacheDataTypeE1EDF16_Li16ELi64ELi256ELb0ELi9EEvPKT_PKT0_S7_ifPKiS9_S9_iPKfiiiPfSC_PS2_PT2_iSB_SB_, 603

	.type	__PRETTY_FUNCTION__._Z39paged_attention_ll4mi_QKV_mfma16_kernelIDF16_hLN4vllm18Fp8KVCacheDataTypeE1EDF16_Li16ELi64ELi256ELb0ELi10EEvPKT_PKT0_S7_ifPKiS9_S9_iPKfiiiPfSC_PS2_PT2_iSB_SB_,@object ; @__PRETTY_FUNCTION__._Z39paged_attention_ll4mi_QKV_mfma16_kernelIDF16_hLN4vllm18Fp8KVCacheDataTypeE1EDF16_Li16ELi64ELi256ELb0ELi10EEvPKT_PKT0_S7_ifPKiS9_S9_iPKfiiiPfSC_PS2_PT2_iSB_SB_
__PRETTY_FUNCTION__._Z39paged_attention_ll4mi_QKV_mfma16_kernelIDF16_hLN4vllm18Fp8KVCacheDataTypeE1EDF16_Li16ELi64ELi256ELb0ELi10EEvPKT_PKT0_S7_ifPKiS9_S9_iPKfiiiPfSC_PS2_PT2_iSB_SB_:
	.asciz	"void paged_attention_ll4mi_QKV_mfma16_kernel(const scalar_t *__restrict, const cache_t *__restrict, const cache_t *__restrict, const int, const float, const int *__restrict, const int *__restrict, const int *__restrict, const int, const float *__restrict, const int, const int, const int, float *__restrict, float *__restrict, scalar_t *__restrict, OUTT *__restrict, int, const float *, const float *) [scalar_t = _Float16, cache_t = unsigned char, KV_DTYPE = vllm::Fp8KVCacheDataType::kFp8E4M3, OUTT = _Float16, BLOCK_SIZE = 16, HEAD_SIZE = 64, NUM_THREADS = 256, ALIBI_ENABLED = false, GQA_RATIO = 10]"
	.size	__PRETTY_FUNCTION__._Z39paged_attention_ll4mi_QKV_mfma16_kernelIDF16_hLN4vllm18Fp8KVCacheDataTypeE1EDF16_Li16ELi64ELi256ELb0ELi10EEvPKT_PKT0_S7_ifPKiS9_S9_iPKfiiiPfSC_PS2_PT2_iSB_SB_, 604

	.type	__PRETTY_FUNCTION__._Z39paged_attention_ll4mi_QKV_mfma16_kernelIDF16_hLN4vllm18Fp8KVCacheDataTypeE1EDF16_Li16ELi64ELi256ELb0ELi11EEvPKT_PKT0_S7_ifPKiS9_S9_iPKfiiiPfSC_PS2_PT2_iSB_SB_,@object ; @__PRETTY_FUNCTION__._Z39paged_attention_ll4mi_QKV_mfma16_kernelIDF16_hLN4vllm18Fp8KVCacheDataTypeE1EDF16_Li16ELi64ELi256ELb0ELi11EEvPKT_PKT0_S7_ifPKiS9_S9_iPKfiiiPfSC_PS2_PT2_iSB_SB_
__PRETTY_FUNCTION__._Z39paged_attention_ll4mi_QKV_mfma16_kernelIDF16_hLN4vllm18Fp8KVCacheDataTypeE1EDF16_Li16ELi64ELi256ELb0ELi11EEvPKT_PKT0_S7_ifPKiS9_S9_iPKfiiiPfSC_PS2_PT2_iSB_SB_:
	.asciz	"void paged_attention_ll4mi_QKV_mfma16_kernel(const scalar_t *__restrict, const cache_t *__restrict, const cache_t *__restrict, const int, const float, const int *__restrict, const int *__restrict, const int *__restrict, const int, const float *__restrict, const int, const int, const int, float *__restrict, float *__restrict, scalar_t *__restrict, OUTT *__restrict, int, const float *, const float *) [scalar_t = _Float16, cache_t = unsigned char, KV_DTYPE = vllm::Fp8KVCacheDataType::kFp8E4M3, OUTT = _Float16, BLOCK_SIZE = 16, HEAD_SIZE = 64, NUM_THREADS = 256, ALIBI_ENABLED = false, GQA_RATIO = 11]"
	.size	__PRETTY_FUNCTION__._Z39paged_attention_ll4mi_QKV_mfma16_kernelIDF16_hLN4vllm18Fp8KVCacheDataTypeE1EDF16_Li16ELi64ELi256ELb0ELi11EEvPKT_PKT0_S7_ifPKiS9_S9_iPKfiiiPfSC_PS2_PT2_iSB_SB_, 604

	.type	__PRETTY_FUNCTION__._Z39paged_attention_ll4mi_QKV_mfma16_kernelIDF16_hLN4vllm18Fp8KVCacheDataTypeE1EDF16_Li16ELi64ELi256ELb0ELi12EEvPKT_PKT0_S7_ifPKiS9_S9_iPKfiiiPfSC_PS2_PT2_iSB_SB_,@object ; @__PRETTY_FUNCTION__._Z39paged_attention_ll4mi_QKV_mfma16_kernelIDF16_hLN4vllm18Fp8KVCacheDataTypeE1EDF16_Li16ELi64ELi256ELb0ELi12EEvPKT_PKT0_S7_ifPKiS9_S9_iPKfiiiPfSC_PS2_PT2_iSB_SB_
__PRETTY_FUNCTION__._Z39paged_attention_ll4mi_QKV_mfma16_kernelIDF16_hLN4vllm18Fp8KVCacheDataTypeE1EDF16_Li16ELi64ELi256ELb0ELi12EEvPKT_PKT0_S7_ifPKiS9_S9_iPKfiiiPfSC_PS2_PT2_iSB_SB_:
	.asciz	"void paged_attention_ll4mi_QKV_mfma16_kernel(const scalar_t *__restrict, const cache_t *__restrict, const cache_t *__restrict, const int, const float, const int *__restrict, const int *__restrict, const int *__restrict, const int, const float *__restrict, const int, const int, const int, float *__restrict, float *__restrict, scalar_t *__restrict, OUTT *__restrict, int, const float *, const float *) [scalar_t = _Float16, cache_t = unsigned char, KV_DTYPE = vllm::Fp8KVCacheDataType::kFp8E4M3, OUTT = _Float16, BLOCK_SIZE = 16, HEAD_SIZE = 64, NUM_THREADS = 256, ALIBI_ENABLED = false, GQA_RATIO = 12]"
	.size	__PRETTY_FUNCTION__._Z39paged_attention_ll4mi_QKV_mfma16_kernelIDF16_hLN4vllm18Fp8KVCacheDataTypeE1EDF16_Li16ELi64ELi256ELb0ELi12EEvPKT_PKT0_S7_ifPKiS9_S9_iPKfiiiPfSC_PS2_PT2_iSB_SB_, 604

	.type	__PRETTY_FUNCTION__._Z39paged_attention_ll4mi_QKV_mfma16_kernelIDF16_hLN4vllm18Fp8KVCacheDataTypeE1EDF16_Li16ELi64ELi256ELb0ELi13EEvPKT_PKT0_S7_ifPKiS9_S9_iPKfiiiPfSC_PS2_PT2_iSB_SB_,@object ; @__PRETTY_FUNCTION__._Z39paged_attention_ll4mi_QKV_mfma16_kernelIDF16_hLN4vllm18Fp8KVCacheDataTypeE1EDF16_Li16ELi64ELi256ELb0ELi13EEvPKT_PKT0_S7_ifPKiS9_S9_iPKfiiiPfSC_PS2_PT2_iSB_SB_
__PRETTY_FUNCTION__._Z39paged_attention_ll4mi_QKV_mfma16_kernelIDF16_hLN4vllm18Fp8KVCacheDataTypeE1EDF16_Li16ELi64ELi256ELb0ELi13EEvPKT_PKT0_S7_ifPKiS9_S9_iPKfiiiPfSC_PS2_PT2_iSB_SB_:
	.asciz	"void paged_attention_ll4mi_QKV_mfma16_kernel(const scalar_t *__restrict, const cache_t *__restrict, const cache_t *__restrict, const int, const float, const int *__restrict, const int *__restrict, const int *__restrict, const int, const float *__restrict, const int, const int, const int, float *__restrict, float *__restrict, scalar_t *__restrict, OUTT *__restrict, int, const float *, const float *) [scalar_t = _Float16, cache_t = unsigned char, KV_DTYPE = vllm::Fp8KVCacheDataType::kFp8E4M3, OUTT = _Float16, BLOCK_SIZE = 16, HEAD_SIZE = 64, NUM_THREADS = 256, ALIBI_ENABLED = false, GQA_RATIO = 13]"
	.size	__PRETTY_FUNCTION__._Z39paged_attention_ll4mi_QKV_mfma16_kernelIDF16_hLN4vllm18Fp8KVCacheDataTypeE1EDF16_Li16ELi64ELi256ELb0ELi13EEvPKT_PKT0_S7_ifPKiS9_S9_iPKfiiiPfSC_PS2_PT2_iSB_SB_, 604

	.type	__PRETTY_FUNCTION__._Z39paged_attention_ll4mi_QKV_mfma16_kernelIDF16_hLN4vllm18Fp8KVCacheDataTypeE1EDF16_Li16ELi64ELi256ELb0ELi14EEvPKT_PKT0_S7_ifPKiS9_S9_iPKfiiiPfSC_PS2_PT2_iSB_SB_,@object ; @__PRETTY_FUNCTION__._Z39paged_attention_ll4mi_QKV_mfma16_kernelIDF16_hLN4vllm18Fp8KVCacheDataTypeE1EDF16_Li16ELi64ELi256ELb0ELi14EEvPKT_PKT0_S7_ifPKiS9_S9_iPKfiiiPfSC_PS2_PT2_iSB_SB_
__PRETTY_FUNCTION__._Z39paged_attention_ll4mi_QKV_mfma16_kernelIDF16_hLN4vllm18Fp8KVCacheDataTypeE1EDF16_Li16ELi64ELi256ELb0ELi14EEvPKT_PKT0_S7_ifPKiS9_S9_iPKfiiiPfSC_PS2_PT2_iSB_SB_:
	.asciz	"void paged_attention_ll4mi_QKV_mfma16_kernel(const scalar_t *__restrict, const cache_t *__restrict, const cache_t *__restrict, const int, const float, const int *__restrict, const int *__restrict, const int *__restrict, const int, const float *__restrict, const int, const int, const int, float *__restrict, float *__restrict, scalar_t *__restrict, OUTT *__restrict, int, const float *, const float *) [scalar_t = _Float16, cache_t = unsigned char, KV_DTYPE = vllm::Fp8KVCacheDataType::kFp8E4M3, OUTT = _Float16, BLOCK_SIZE = 16, HEAD_SIZE = 64, NUM_THREADS = 256, ALIBI_ENABLED = false, GQA_RATIO = 14]"
	.size	__PRETTY_FUNCTION__._Z39paged_attention_ll4mi_QKV_mfma16_kernelIDF16_hLN4vllm18Fp8KVCacheDataTypeE1EDF16_Li16ELi64ELi256ELb0ELi14EEvPKT_PKT0_S7_ifPKiS9_S9_iPKfiiiPfSC_PS2_PT2_iSB_SB_, 604

	.type	__PRETTY_FUNCTION__._Z39paged_attention_ll4mi_QKV_mfma16_kernelIDF16_hLN4vllm18Fp8KVCacheDataTypeE1EDF16_Li16ELi64ELi256ELb0ELi15EEvPKT_PKT0_S7_ifPKiS9_S9_iPKfiiiPfSC_PS2_PT2_iSB_SB_,@object ; @__PRETTY_FUNCTION__._Z39paged_attention_ll4mi_QKV_mfma16_kernelIDF16_hLN4vllm18Fp8KVCacheDataTypeE1EDF16_Li16ELi64ELi256ELb0ELi15EEvPKT_PKT0_S7_ifPKiS9_S9_iPKfiiiPfSC_PS2_PT2_iSB_SB_
__PRETTY_FUNCTION__._Z39paged_attention_ll4mi_QKV_mfma16_kernelIDF16_hLN4vllm18Fp8KVCacheDataTypeE1EDF16_Li16ELi64ELi256ELb0ELi15EEvPKT_PKT0_S7_ifPKiS9_S9_iPKfiiiPfSC_PS2_PT2_iSB_SB_:
	.asciz	"void paged_attention_ll4mi_QKV_mfma16_kernel(const scalar_t *__restrict, const cache_t *__restrict, const cache_t *__restrict, const int, const float, const int *__restrict, const int *__restrict, const int *__restrict, const int, const float *__restrict, const int, const int, const int, float *__restrict, float *__restrict, scalar_t *__restrict, OUTT *__restrict, int, const float *, const float *) [scalar_t = _Float16, cache_t = unsigned char, KV_DTYPE = vllm::Fp8KVCacheDataType::kFp8E4M3, OUTT = _Float16, BLOCK_SIZE = 16, HEAD_SIZE = 64, NUM_THREADS = 256, ALIBI_ENABLED = false, GQA_RATIO = 15]"
	.size	__PRETTY_FUNCTION__._Z39paged_attention_ll4mi_QKV_mfma16_kernelIDF16_hLN4vllm18Fp8KVCacheDataTypeE1EDF16_Li16ELi64ELi256ELb0ELi15EEvPKT_PKT0_S7_ifPKiS9_S9_iPKfiiiPfSC_PS2_PT2_iSB_SB_, 604

	.type	__PRETTY_FUNCTION__._Z39paged_attention_ll4mi_QKV_mfma16_kernelIDF16_hLN4vllm18Fp8KVCacheDataTypeE1EDF16_Li16ELi64ELi256ELb0ELi16EEvPKT_PKT0_S7_ifPKiS9_S9_iPKfiiiPfSC_PS2_PT2_iSB_SB_,@object ; @__PRETTY_FUNCTION__._Z39paged_attention_ll4mi_QKV_mfma16_kernelIDF16_hLN4vllm18Fp8KVCacheDataTypeE1EDF16_Li16ELi64ELi256ELb0ELi16EEvPKT_PKT0_S7_ifPKiS9_S9_iPKfiiiPfSC_PS2_PT2_iSB_SB_
__PRETTY_FUNCTION__._Z39paged_attention_ll4mi_QKV_mfma16_kernelIDF16_hLN4vllm18Fp8KVCacheDataTypeE1EDF16_Li16ELi64ELi256ELb0ELi16EEvPKT_PKT0_S7_ifPKiS9_S9_iPKfiiiPfSC_PS2_PT2_iSB_SB_:
	.asciz	"void paged_attention_ll4mi_QKV_mfma16_kernel(const scalar_t *__restrict, const cache_t *__restrict, const cache_t *__restrict, const int, const float, const int *__restrict, const int *__restrict, const int *__restrict, const int, const float *__restrict, const int, const int, const int, float *__restrict, float *__restrict, scalar_t *__restrict, OUTT *__restrict, int, const float *, const float *) [scalar_t = _Float16, cache_t = unsigned char, KV_DTYPE = vllm::Fp8KVCacheDataType::kFp8E4M3, OUTT = _Float16, BLOCK_SIZE = 16, HEAD_SIZE = 64, NUM_THREADS = 256, ALIBI_ENABLED = false, GQA_RATIO = 16]"
	.size	__PRETTY_FUNCTION__._Z39paged_attention_ll4mi_QKV_mfma16_kernelIDF16_hLN4vllm18Fp8KVCacheDataTypeE1EDF16_Li16ELi64ELi256ELb0ELi16EEvPKT_PKT0_S7_ifPKiS9_S9_iPKfiiiPfSC_PS2_PT2_iSB_SB_, 604

	.type	__PRETTY_FUNCTION__._Z39paged_attention_ll4mi_QKV_mfma16_kernelIDF16_hLN4vllm18Fp8KVCacheDataTypeE1EDF16_Li16ELi64ELi256ELb0ELi1EEvPKT_PKT0_S7_ifPKiS9_S9_iPKfiiiPfSC_PS2_PT2_iSB_SB_,@object ; @__PRETTY_FUNCTION__._Z39paged_attention_ll4mi_QKV_mfma16_kernelIDF16_hLN4vllm18Fp8KVCacheDataTypeE1EDF16_Li16ELi64ELi256ELb0ELi1EEvPKT_PKT0_S7_ifPKiS9_S9_iPKfiiiPfSC_PS2_PT2_iSB_SB_
__PRETTY_FUNCTION__._Z39paged_attention_ll4mi_QKV_mfma16_kernelIDF16_hLN4vllm18Fp8KVCacheDataTypeE1EDF16_Li16ELi64ELi256ELb0ELi1EEvPKT_PKT0_S7_ifPKiS9_S9_iPKfiiiPfSC_PS2_PT2_iSB_SB_:
	.asciz	"void paged_attention_ll4mi_QKV_mfma16_kernel(const scalar_t *__restrict, const cache_t *__restrict, const cache_t *__restrict, const int, const float, const int *__restrict, const int *__restrict, const int *__restrict, const int, const float *__restrict, const int, const int, const int, float *__restrict, float *__restrict, scalar_t *__restrict, OUTT *__restrict, int, const float *, const float *) [scalar_t = _Float16, cache_t = unsigned char, KV_DTYPE = vllm::Fp8KVCacheDataType::kFp8E4M3, OUTT = _Float16, BLOCK_SIZE = 16, HEAD_SIZE = 64, NUM_THREADS = 256, ALIBI_ENABLED = false, GQA_RATIO = 1]"
	.size	__PRETTY_FUNCTION__._Z39paged_attention_ll4mi_QKV_mfma16_kernelIDF16_hLN4vllm18Fp8KVCacheDataTypeE1EDF16_Li16ELi64ELi256ELb0ELi1EEvPKT_PKT0_S7_ifPKiS9_S9_iPKfiiiPfSC_PS2_PT2_iSB_SB_, 603

	.type	__PRETTY_FUNCTION__._Z39paged_attention_ll4mi_QKV_mfma16_kernelIDF16_hLN4vllm18Fp8KVCacheDataTypeE1EDF16_Li16ELi64ELi256ELb0ELi2EEvPKT_PKT0_S7_ifPKiS9_S9_iPKfiiiPfSC_PS2_PT2_iSB_SB_,@object ; @__PRETTY_FUNCTION__._Z39paged_attention_ll4mi_QKV_mfma16_kernelIDF16_hLN4vllm18Fp8KVCacheDataTypeE1EDF16_Li16ELi64ELi256ELb0ELi2EEvPKT_PKT0_S7_ifPKiS9_S9_iPKfiiiPfSC_PS2_PT2_iSB_SB_
__PRETTY_FUNCTION__._Z39paged_attention_ll4mi_QKV_mfma16_kernelIDF16_hLN4vllm18Fp8KVCacheDataTypeE1EDF16_Li16ELi64ELi256ELb0ELi2EEvPKT_PKT0_S7_ifPKiS9_S9_iPKfiiiPfSC_PS2_PT2_iSB_SB_:
	.asciz	"void paged_attention_ll4mi_QKV_mfma16_kernel(const scalar_t *__restrict, const cache_t *__restrict, const cache_t *__restrict, const int, const float, const int *__restrict, const int *__restrict, const int *__restrict, const int, const float *__restrict, const int, const int, const int, float *__restrict, float *__restrict, scalar_t *__restrict, OUTT *__restrict, int, const float *, const float *) [scalar_t = _Float16, cache_t = unsigned char, KV_DTYPE = vllm::Fp8KVCacheDataType::kFp8E4M3, OUTT = _Float16, BLOCK_SIZE = 16, HEAD_SIZE = 64, NUM_THREADS = 256, ALIBI_ENABLED = false, GQA_RATIO = 2]"
	.size	__PRETTY_FUNCTION__._Z39paged_attention_ll4mi_QKV_mfma16_kernelIDF16_hLN4vllm18Fp8KVCacheDataTypeE1EDF16_Li16ELi64ELi256ELb0ELi2EEvPKT_PKT0_S7_ifPKiS9_S9_iPKfiiiPfSC_PS2_PT2_iSB_SB_, 603

	.type	__PRETTY_FUNCTION__._Z39paged_attention_ll4mi_QKV_mfma16_kernelIDF16_hLN4vllm18Fp8KVCacheDataTypeE1EDF16_Li16ELi64ELi256ELb0ELi3EEvPKT_PKT0_S7_ifPKiS9_S9_iPKfiiiPfSC_PS2_PT2_iSB_SB_,@object ; @__PRETTY_FUNCTION__._Z39paged_attention_ll4mi_QKV_mfma16_kernelIDF16_hLN4vllm18Fp8KVCacheDataTypeE1EDF16_Li16ELi64ELi256ELb0ELi3EEvPKT_PKT0_S7_ifPKiS9_S9_iPKfiiiPfSC_PS2_PT2_iSB_SB_
__PRETTY_FUNCTION__._Z39paged_attention_ll4mi_QKV_mfma16_kernelIDF16_hLN4vllm18Fp8KVCacheDataTypeE1EDF16_Li16ELi64ELi256ELb0ELi3EEvPKT_PKT0_S7_ifPKiS9_S9_iPKfiiiPfSC_PS2_PT2_iSB_SB_:
	.asciz	"void paged_attention_ll4mi_QKV_mfma16_kernel(const scalar_t *__restrict, const cache_t *__restrict, const cache_t *__restrict, const int, const float, const int *__restrict, const int *__restrict, const int *__restrict, const int, const float *__restrict, const int, const int, const int, float *__restrict, float *__restrict, scalar_t *__restrict, OUTT *__restrict, int, const float *, const float *) [scalar_t = _Float16, cache_t = unsigned char, KV_DTYPE = vllm::Fp8KVCacheDataType::kFp8E4M3, OUTT = _Float16, BLOCK_SIZE = 16, HEAD_SIZE = 64, NUM_THREADS = 256, ALIBI_ENABLED = false, GQA_RATIO = 3]"
	.size	__PRETTY_FUNCTION__._Z39paged_attention_ll4mi_QKV_mfma16_kernelIDF16_hLN4vllm18Fp8KVCacheDataTypeE1EDF16_Li16ELi64ELi256ELb0ELi3EEvPKT_PKT0_S7_ifPKiS9_S9_iPKfiiiPfSC_PS2_PT2_iSB_SB_, 603

	.type	__PRETTY_FUNCTION__._Z39paged_attention_ll4mi_QKV_mfma16_kernelIDF16_hLN4vllm18Fp8KVCacheDataTypeE1EDF16_Li16ELi64ELi256ELb0ELi4EEvPKT_PKT0_S7_ifPKiS9_S9_iPKfiiiPfSC_PS2_PT2_iSB_SB_,@object ; @__PRETTY_FUNCTION__._Z39paged_attention_ll4mi_QKV_mfma16_kernelIDF16_hLN4vllm18Fp8KVCacheDataTypeE1EDF16_Li16ELi64ELi256ELb0ELi4EEvPKT_PKT0_S7_ifPKiS9_S9_iPKfiiiPfSC_PS2_PT2_iSB_SB_
__PRETTY_FUNCTION__._Z39paged_attention_ll4mi_QKV_mfma16_kernelIDF16_hLN4vllm18Fp8KVCacheDataTypeE1EDF16_Li16ELi64ELi256ELb0ELi4EEvPKT_PKT0_S7_ifPKiS9_S9_iPKfiiiPfSC_PS2_PT2_iSB_SB_:
	.asciz	"void paged_attention_ll4mi_QKV_mfma16_kernel(const scalar_t *__restrict, const cache_t *__restrict, const cache_t *__restrict, const int, const float, const int *__restrict, const int *__restrict, const int *__restrict, const int, const float *__restrict, const int, const int, const int, float *__restrict, float *__restrict, scalar_t *__restrict, OUTT *__restrict, int, const float *, const float *) [scalar_t = _Float16, cache_t = unsigned char, KV_DTYPE = vllm::Fp8KVCacheDataType::kFp8E4M3, OUTT = _Float16, BLOCK_SIZE = 16, HEAD_SIZE = 64, NUM_THREADS = 256, ALIBI_ENABLED = false, GQA_RATIO = 4]"
	.size	__PRETTY_FUNCTION__._Z39paged_attention_ll4mi_QKV_mfma16_kernelIDF16_hLN4vllm18Fp8KVCacheDataTypeE1EDF16_Li16ELi64ELi256ELb0ELi4EEvPKT_PKT0_S7_ifPKiS9_S9_iPKfiiiPfSC_PS2_PT2_iSB_SB_, 603

	.type	__PRETTY_FUNCTION__._Z38paged_attention_ll4mi_QKV_mfma4_kernelIDF16_hLN4vllm18Fp8KVCacheDataTypeE1EhLi32ELi64ELi256ELb1ELi1EEvPKT_PKT0_S7_ifPKiS9_S9_iPKfiiiPfSC_PS2_PT2_iSB_SB_,@object ; @__PRETTY_FUNCTION__._Z38paged_attention_ll4mi_QKV_mfma4_kernelIDF16_hLN4vllm18Fp8KVCacheDataTypeE1EhLi32ELi64ELi256ELb1ELi1EEvPKT_PKT0_S7_ifPKiS9_S9_iPKfiiiPfSC_PS2_PT2_iSB_SB_
__PRETTY_FUNCTION__._Z38paged_attention_ll4mi_QKV_mfma4_kernelIDF16_hLN4vllm18Fp8KVCacheDataTypeE1EhLi32ELi64ELi256ELb1ELi1EEvPKT_PKT0_S7_ifPKiS9_S9_iPKfiiiPfSC_PS2_PT2_iSB_SB_:
	.asciz	"void paged_attention_ll4mi_QKV_mfma4_kernel(const scalar_t *__restrict, const cache_t *__restrict, const cache_t *__restrict, const int, const float, const int *__restrict, const int *__restrict, const int *__restrict, const int, const float *__restrict, const int, const int, const int, float *__restrict, float *__restrict, scalar_t *__restrict, OUTT *__restrict, int, const float *, const float *) [scalar_t = _Float16, cache_t = unsigned char, KV_DTYPE = vllm::Fp8KVCacheDataType::kFp8E4M3, OUTT = unsigned char, BLOCK_SIZE = 32, HEAD_SIZE = 64, NUM_THREADS = 256, ALIBI_ENABLED = true, GQA_RATIO = 1]"
	.size	__PRETTY_FUNCTION__._Z38paged_attention_ll4mi_QKV_mfma4_kernelIDF16_hLN4vllm18Fp8KVCacheDataTypeE1EhLi32ELi64ELi256ELb1ELi1EEvPKT_PKT0_S7_ifPKiS9_S9_iPKfiiiPfSC_PS2_PT2_iSB_SB_, 606

	.type	__PRETTY_FUNCTION__._Z38paged_attention_ll4mi_QKV_mfma4_kernelIDF16_hLN4vllm18Fp8KVCacheDataTypeE1EhLi32ELi64ELi256ELb1ELi2EEvPKT_PKT0_S7_ifPKiS9_S9_iPKfiiiPfSC_PS2_PT2_iSB_SB_,@object ; @__PRETTY_FUNCTION__._Z38paged_attention_ll4mi_QKV_mfma4_kernelIDF16_hLN4vllm18Fp8KVCacheDataTypeE1EhLi32ELi64ELi256ELb1ELi2EEvPKT_PKT0_S7_ifPKiS9_S9_iPKfiiiPfSC_PS2_PT2_iSB_SB_
__PRETTY_FUNCTION__._Z38paged_attention_ll4mi_QKV_mfma4_kernelIDF16_hLN4vllm18Fp8KVCacheDataTypeE1EhLi32ELi64ELi256ELb1ELi2EEvPKT_PKT0_S7_ifPKiS9_S9_iPKfiiiPfSC_PS2_PT2_iSB_SB_:
	.asciz	"void paged_attention_ll4mi_QKV_mfma4_kernel(const scalar_t *__restrict, const cache_t *__restrict, const cache_t *__restrict, const int, const float, const int *__restrict, const int *__restrict, const int *__restrict, const int, const float *__restrict, const int, const int, const int, float *__restrict, float *__restrict, scalar_t *__restrict, OUTT *__restrict, int, const float *, const float *) [scalar_t = _Float16, cache_t = unsigned char, KV_DTYPE = vllm::Fp8KVCacheDataType::kFp8E4M3, OUTT = unsigned char, BLOCK_SIZE = 32, HEAD_SIZE = 64, NUM_THREADS = 256, ALIBI_ENABLED = true, GQA_RATIO = 2]"
	.size	__PRETTY_FUNCTION__._Z38paged_attention_ll4mi_QKV_mfma4_kernelIDF16_hLN4vllm18Fp8KVCacheDataTypeE1EhLi32ELi64ELi256ELb1ELi2EEvPKT_PKT0_S7_ifPKiS9_S9_iPKfiiiPfSC_PS2_PT2_iSB_SB_, 606

	.type	__PRETTY_FUNCTION__._Z38paged_attention_ll4mi_QKV_mfma4_kernelIDF16_hLN4vllm18Fp8KVCacheDataTypeE1EhLi32ELi64ELi256ELb1ELi3EEvPKT_PKT0_S7_ifPKiS9_S9_iPKfiiiPfSC_PS2_PT2_iSB_SB_,@object ; @__PRETTY_FUNCTION__._Z38paged_attention_ll4mi_QKV_mfma4_kernelIDF16_hLN4vllm18Fp8KVCacheDataTypeE1EhLi32ELi64ELi256ELb1ELi3EEvPKT_PKT0_S7_ifPKiS9_S9_iPKfiiiPfSC_PS2_PT2_iSB_SB_
__PRETTY_FUNCTION__._Z38paged_attention_ll4mi_QKV_mfma4_kernelIDF16_hLN4vllm18Fp8KVCacheDataTypeE1EhLi32ELi64ELi256ELb1ELi3EEvPKT_PKT0_S7_ifPKiS9_S9_iPKfiiiPfSC_PS2_PT2_iSB_SB_:
	.asciz	"void paged_attention_ll4mi_QKV_mfma4_kernel(const scalar_t *__restrict, const cache_t *__restrict, const cache_t *__restrict, const int, const float, const int *__restrict, const int *__restrict, const int *__restrict, const int, const float *__restrict, const int, const int, const int, float *__restrict, float *__restrict, scalar_t *__restrict, OUTT *__restrict, int, const float *, const float *) [scalar_t = _Float16, cache_t = unsigned char, KV_DTYPE = vllm::Fp8KVCacheDataType::kFp8E4M3, OUTT = unsigned char, BLOCK_SIZE = 32, HEAD_SIZE = 64, NUM_THREADS = 256, ALIBI_ENABLED = true, GQA_RATIO = 3]"
	.size	__PRETTY_FUNCTION__._Z38paged_attention_ll4mi_QKV_mfma4_kernelIDF16_hLN4vllm18Fp8KVCacheDataTypeE1EhLi32ELi64ELi256ELb1ELi3EEvPKT_PKT0_S7_ifPKiS9_S9_iPKfiiiPfSC_PS2_PT2_iSB_SB_, 606

	.type	__PRETTY_FUNCTION__._Z38paged_attention_ll4mi_QKV_mfma4_kernelIDF16_hLN4vllm18Fp8KVCacheDataTypeE1EhLi32ELi64ELi256ELb1ELi4EEvPKT_PKT0_S7_ifPKiS9_S9_iPKfiiiPfSC_PS2_PT2_iSB_SB_,@object ; @__PRETTY_FUNCTION__._Z38paged_attention_ll4mi_QKV_mfma4_kernelIDF16_hLN4vllm18Fp8KVCacheDataTypeE1EhLi32ELi64ELi256ELb1ELi4EEvPKT_PKT0_S7_ifPKiS9_S9_iPKfiiiPfSC_PS2_PT2_iSB_SB_
__PRETTY_FUNCTION__._Z38paged_attention_ll4mi_QKV_mfma4_kernelIDF16_hLN4vllm18Fp8KVCacheDataTypeE1EhLi32ELi64ELi256ELb1ELi4EEvPKT_PKT0_S7_ifPKiS9_S9_iPKfiiiPfSC_PS2_PT2_iSB_SB_:
	.asciz	"void paged_attention_ll4mi_QKV_mfma4_kernel(const scalar_t *__restrict, const cache_t *__restrict, const cache_t *__restrict, const int, const float, const int *__restrict, const int *__restrict, const int *__restrict, const int, const float *__restrict, const int, const int, const int, float *__restrict, float *__restrict, scalar_t *__restrict, OUTT *__restrict, int, const float *, const float *) [scalar_t = _Float16, cache_t = unsigned char, KV_DTYPE = vllm::Fp8KVCacheDataType::kFp8E4M3, OUTT = unsigned char, BLOCK_SIZE = 32, HEAD_SIZE = 64, NUM_THREADS = 256, ALIBI_ENABLED = true, GQA_RATIO = 4]"
	.size	__PRETTY_FUNCTION__._Z38paged_attention_ll4mi_QKV_mfma4_kernelIDF16_hLN4vllm18Fp8KVCacheDataTypeE1EhLi32ELi64ELi256ELb1ELi4EEvPKT_PKT0_S7_ifPKiS9_S9_iPKfiiiPfSC_PS2_PT2_iSB_SB_, 606

	.type	__PRETTY_FUNCTION__._Z39paged_attention_ll4mi_QKV_mfma16_kernelIDF16_hLN4vllm18Fp8KVCacheDataTypeE1EhLi32ELi64ELi256ELb1ELi5EEvPKT_PKT0_S7_ifPKiS9_S9_iPKfiiiPfSC_PS2_PT2_iSB_SB_,@object ; @__PRETTY_FUNCTION__._Z39paged_attention_ll4mi_QKV_mfma16_kernelIDF16_hLN4vllm18Fp8KVCacheDataTypeE1EhLi32ELi64ELi256ELb1ELi5EEvPKT_PKT0_S7_ifPKiS9_S9_iPKfiiiPfSC_PS2_PT2_iSB_SB_
__PRETTY_FUNCTION__._Z39paged_attention_ll4mi_QKV_mfma16_kernelIDF16_hLN4vllm18Fp8KVCacheDataTypeE1EhLi32ELi64ELi256ELb1ELi5EEvPKT_PKT0_S7_ifPKiS9_S9_iPKfiiiPfSC_PS2_PT2_iSB_SB_:
	.asciz	"void paged_attention_ll4mi_QKV_mfma16_kernel(const scalar_t *__restrict, const cache_t *__restrict, const cache_t *__restrict, const int, const float, const int *__restrict, const int *__restrict, const int *__restrict, const int, const float *__restrict, const int, const int, const int, float *__restrict, float *__restrict, scalar_t *__restrict, OUTT *__restrict, int, const float *, const float *) [scalar_t = _Float16, cache_t = unsigned char, KV_DTYPE = vllm::Fp8KVCacheDataType::kFp8E4M3, OUTT = unsigned char, BLOCK_SIZE = 32, HEAD_SIZE = 64, NUM_THREADS = 256, ALIBI_ENABLED = true, GQA_RATIO = 5]"
	.size	__PRETTY_FUNCTION__._Z39paged_attention_ll4mi_QKV_mfma16_kernelIDF16_hLN4vllm18Fp8KVCacheDataTypeE1EhLi32ELi64ELi256ELb1ELi5EEvPKT_PKT0_S7_ifPKiS9_S9_iPKfiiiPfSC_PS2_PT2_iSB_SB_, 607

	.type	__PRETTY_FUNCTION__._Z39paged_attention_ll4mi_QKV_mfma16_kernelIDF16_hLN4vllm18Fp8KVCacheDataTypeE1EhLi32ELi64ELi256ELb1ELi6EEvPKT_PKT0_S7_ifPKiS9_S9_iPKfiiiPfSC_PS2_PT2_iSB_SB_,@object ; @__PRETTY_FUNCTION__._Z39paged_attention_ll4mi_QKV_mfma16_kernelIDF16_hLN4vllm18Fp8KVCacheDataTypeE1EhLi32ELi64ELi256ELb1ELi6EEvPKT_PKT0_S7_ifPKiS9_S9_iPKfiiiPfSC_PS2_PT2_iSB_SB_
__PRETTY_FUNCTION__._Z39paged_attention_ll4mi_QKV_mfma16_kernelIDF16_hLN4vllm18Fp8KVCacheDataTypeE1EhLi32ELi64ELi256ELb1ELi6EEvPKT_PKT0_S7_ifPKiS9_S9_iPKfiiiPfSC_PS2_PT2_iSB_SB_:
	.asciz	"void paged_attention_ll4mi_QKV_mfma16_kernel(const scalar_t *__restrict, const cache_t *__restrict, const cache_t *__restrict, const int, const float, const int *__restrict, const int *__restrict, const int *__restrict, const int, const float *__restrict, const int, const int, const int, float *__restrict, float *__restrict, scalar_t *__restrict, OUTT *__restrict, int, const float *, const float *) [scalar_t = _Float16, cache_t = unsigned char, KV_DTYPE = vllm::Fp8KVCacheDataType::kFp8E4M3, OUTT = unsigned char, BLOCK_SIZE = 32, HEAD_SIZE = 64, NUM_THREADS = 256, ALIBI_ENABLED = true, GQA_RATIO = 6]"
	.size	__PRETTY_FUNCTION__._Z39paged_attention_ll4mi_QKV_mfma16_kernelIDF16_hLN4vllm18Fp8KVCacheDataTypeE1EhLi32ELi64ELi256ELb1ELi6EEvPKT_PKT0_S7_ifPKiS9_S9_iPKfiiiPfSC_PS2_PT2_iSB_SB_, 607

	.type	__PRETTY_FUNCTION__._Z39paged_attention_ll4mi_QKV_mfma16_kernelIDF16_hLN4vllm18Fp8KVCacheDataTypeE1EhLi32ELi64ELi256ELb1ELi7EEvPKT_PKT0_S7_ifPKiS9_S9_iPKfiiiPfSC_PS2_PT2_iSB_SB_,@object ; @__PRETTY_FUNCTION__._Z39paged_attention_ll4mi_QKV_mfma16_kernelIDF16_hLN4vllm18Fp8KVCacheDataTypeE1EhLi32ELi64ELi256ELb1ELi7EEvPKT_PKT0_S7_ifPKiS9_S9_iPKfiiiPfSC_PS2_PT2_iSB_SB_
__PRETTY_FUNCTION__._Z39paged_attention_ll4mi_QKV_mfma16_kernelIDF16_hLN4vllm18Fp8KVCacheDataTypeE1EhLi32ELi64ELi256ELb1ELi7EEvPKT_PKT0_S7_ifPKiS9_S9_iPKfiiiPfSC_PS2_PT2_iSB_SB_:
	.asciz	"void paged_attention_ll4mi_QKV_mfma16_kernel(const scalar_t *__restrict, const cache_t *__restrict, const cache_t *__restrict, const int, const float, const int *__restrict, const int *__restrict, const int *__restrict, const int, const float *__restrict, const int, const int, const int, float *__restrict, float *__restrict, scalar_t *__restrict, OUTT *__restrict, int, const float *, const float *) [scalar_t = _Float16, cache_t = unsigned char, KV_DTYPE = vllm::Fp8KVCacheDataType::kFp8E4M3, OUTT = unsigned char, BLOCK_SIZE = 32, HEAD_SIZE = 64, NUM_THREADS = 256, ALIBI_ENABLED = true, GQA_RATIO = 7]"
	.size	__PRETTY_FUNCTION__._Z39paged_attention_ll4mi_QKV_mfma16_kernelIDF16_hLN4vllm18Fp8KVCacheDataTypeE1EhLi32ELi64ELi256ELb1ELi7EEvPKT_PKT0_S7_ifPKiS9_S9_iPKfiiiPfSC_PS2_PT2_iSB_SB_, 607

	.type	__PRETTY_FUNCTION__._Z39paged_attention_ll4mi_QKV_mfma16_kernelIDF16_hLN4vllm18Fp8KVCacheDataTypeE1EhLi32ELi64ELi256ELb1ELi8EEvPKT_PKT0_S7_ifPKiS9_S9_iPKfiiiPfSC_PS2_PT2_iSB_SB_,@object ; @__PRETTY_FUNCTION__._Z39paged_attention_ll4mi_QKV_mfma16_kernelIDF16_hLN4vllm18Fp8KVCacheDataTypeE1EhLi32ELi64ELi256ELb1ELi8EEvPKT_PKT0_S7_ifPKiS9_S9_iPKfiiiPfSC_PS2_PT2_iSB_SB_
__PRETTY_FUNCTION__._Z39paged_attention_ll4mi_QKV_mfma16_kernelIDF16_hLN4vllm18Fp8KVCacheDataTypeE1EhLi32ELi64ELi256ELb1ELi8EEvPKT_PKT0_S7_ifPKiS9_S9_iPKfiiiPfSC_PS2_PT2_iSB_SB_:
	.asciz	"void paged_attention_ll4mi_QKV_mfma16_kernel(const scalar_t *__restrict, const cache_t *__restrict, const cache_t *__restrict, const int, const float, const int *__restrict, const int *__restrict, const int *__restrict, const int, const float *__restrict, const int, const int, const int, float *__restrict, float *__restrict, scalar_t *__restrict, OUTT *__restrict, int, const float *, const float *) [scalar_t = _Float16, cache_t = unsigned char, KV_DTYPE = vllm::Fp8KVCacheDataType::kFp8E4M3, OUTT = unsigned char, BLOCK_SIZE = 32, HEAD_SIZE = 64, NUM_THREADS = 256, ALIBI_ENABLED = true, GQA_RATIO = 8]"
	.size	__PRETTY_FUNCTION__._Z39paged_attention_ll4mi_QKV_mfma16_kernelIDF16_hLN4vllm18Fp8KVCacheDataTypeE1EhLi32ELi64ELi256ELb1ELi8EEvPKT_PKT0_S7_ifPKiS9_S9_iPKfiiiPfSC_PS2_PT2_iSB_SB_, 607

	.type	__PRETTY_FUNCTION__._Z39paged_attention_ll4mi_QKV_mfma16_kernelIDF16_hLN4vllm18Fp8KVCacheDataTypeE1EhLi32ELi64ELi256ELb1ELi9EEvPKT_PKT0_S7_ifPKiS9_S9_iPKfiiiPfSC_PS2_PT2_iSB_SB_,@object ; @__PRETTY_FUNCTION__._Z39paged_attention_ll4mi_QKV_mfma16_kernelIDF16_hLN4vllm18Fp8KVCacheDataTypeE1EhLi32ELi64ELi256ELb1ELi9EEvPKT_PKT0_S7_ifPKiS9_S9_iPKfiiiPfSC_PS2_PT2_iSB_SB_
__PRETTY_FUNCTION__._Z39paged_attention_ll4mi_QKV_mfma16_kernelIDF16_hLN4vllm18Fp8KVCacheDataTypeE1EhLi32ELi64ELi256ELb1ELi9EEvPKT_PKT0_S7_ifPKiS9_S9_iPKfiiiPfSC_PS2_PT2_iSB_SB_:
	.asciz	"void paged_attention_ll4mi_QKV_mfma16_kernel(const scalar_t *__restrict, const cache_t *__restrict, const cache_t *__restrict, const int, const float, const int *__restrict, const int *__restrict, const int *__restrict, const int, const float *__restrict, const int, const int, const int, float *__restrict, float *__restrict, scalar_t *__restrict, OUTT *__restrict, int, const float *, const float *) [scalar_t = _Float16, cache_t = unsigned char, KV_DTYPE = vllm::Fp8KVCacheDataType::kFp8E4M3, OUTT = unsigned char, BLOCK_SIZE = 32, HEAD_SIZE = 64, NUM_THREADS = 256, ALIBI_ENABLED = true, GQA_RATIO = 9]"
	.size	__PRETTY_FUNCTION__._Z39paged_attention_ll4mi_QKV_mfma16_kernelIDF16_hLN4vllm18Fp8KVCacheDataTypeE1EhLi32ELi64ELi256ELb1ELi9EEvPKT_PKT0_S7_ifPKiS9_S9_iPKfiiiPfSC_PS2_PT2_iSB_SB_, 607

	.type	__PRETTY_FUNCTION__._Z39paged_attention_ll4mi_QKV_mfma16_kernelIDF16_hLN4vllm18Fp8KVCacheDataTypeE1EhLi32ELi64ELi256ELb1ELi10EEvPKT_PKT0_S7_ifPKiS9_S9_iPKfiiiPfSC_PS2_PT2_iSB_SB_,@object ; @__PRETTY_FUNCTION__._Z39paged_attention_ll4mi_QKV_mfma16_kernelIDF16_hLN4vllm18Fp8KVCacheDataTypeE1EhLi32ELi64ELi256ELb1ELi10EEvPKT_PKT0_S7_ifPKiS9_S9_iPKfiiiPfSC_PS2_PT2_iSB_SB_
__PRETTY_FUNCTION__._Z39paged_attention_ll4mi_QKV_mfma16_kernelIDF16_hLN4vllm18Fp8KVCacheDataTypeE1EhLi32ELi64ELi256ELb1ELi10EEvPKT_PKT0_S7_ifPKiS9_S9_iPKfiiiPfSC_PS2_PT2_iSB_SB_:
	.asciz	"void paged_attention_ll4mi_QKV_mfma16_kernel(const scalar_t *__restrict, const cache_t *__restrict, const cache_t *__restrict, const int, const float, const int *__restrict, const int *__restrict, const int *__restrict, const int, const float *__restrict, const int, const int, const int, float *__restrict, float *__restrict, scalar_t *__restrict, OUTT *__restrict, int, const float *, const float *) [scalar_t = _Float16, cache_t = unsigned char, KV_DTYPE = vllm::Fp8KVCacheDataType::kFp8E4M3, OUTT = unsigned char, BLOCK_SIZE = 32, HEAD_SIZE = 64, NUM_THREADS = 256, ALIBI_ENABLED = true, GQA_RATIO = 10]"
	.size	__PRETTY_FUNCTION__._Z39paged_attention_ll4mi_QKV_mfma16_kernelIDF16_hLN4vllm18Fp8KVCacheDataTypeE1EhLi32ELi64ELi256ELb1ELi10EEvPKT_PKT0_S7_ifPKiS9_S9_iPKfiiiPfSC_PS2_PT2_iSB_SB_, 608

	.type	__PRETTY_FUNCTION__._Z39paged_attention_ll4mi_QKV_mfma16_kernelIDF16_hLN4vllm18Fp8KVCacheDataTypeE1EhLi32ELi64ELi256ELb1ELi11EEvPKT_PKT0_S7_ifPKiS9_S9_iPKfiiiPfSC_PS2_PT2_iSB_SB_,@object ; @__PRETTY_FUNCTION__._Z39paged_attention_ll4mi_QKV_mfma16_kernelIDF16_hLN4vllm18Fp8KVCacheDataTypeE1EhLi32ELi64ELi256ELb1ELi11EEvPKT_PKT0_S7_ifPKiS9_S9_iPKfiiiPfSC_PS2_PT2_iSB_SB_
__PRETTY_FUNCTION__._Z39paged_attention_ll4mi_QKV_mfma16_kernelIDF16_hLN4vllm18Fp8KVCacheDataTypeE1EhLi32ELi64ELi256ELb1ELi11EEvPKT_PKT0_S7_ifPKiS9_S9_iPKfiiiPfSC_PS2_PT2_iSB_SB_:
	.asciz	"void paged_attention_ll4mi_QKV_mfma16_kernel(const scalar_t *__restrict, const cache_t *__restrict, const cache_t *__restrict, const int, const float, const int *__restrict, const int *__restrict, const int *__restrict, const int, const float *__restrict, const int, const int, const int, float *__restrict, float *__restrict, scalar_t *__restrict, OUTT *__restrict, int, const float *, const float *) [scalar_t = _Float16, cache_t = unsigned char, KV_DTYPE = vllm::Fp8KVCacheDataType::kFp8E4M3, OUTT = unsigned char, BLOCK_SIZE = 32, HEAD_SIZE = 64, NUM_THREADS = 256, ALIBI_ENABLED = true, GQA_RATIO = 11]"
	.size	__PRETTY_FUNCTION__._Z39paged_attention_ll4mi_QKV_mfma16_kernelIDF16_hLN4vllm18Fp8KVCacheDataTypeE1EhLi32ELi64ELi256ELb1ELi11EEvPKT_PKT0_S7_ifPKiS9_S9_iPKfiiiPfSC_PS2_PT2_iSB_SB_, 608

	.type	__PRETTY_FUNCTION__._Z39paged_attention_ll4mi_QKV_mfma16_kernelIDF16_hLN4vllm18Fp8KVCacheDataTypeE1EhLi32ELi64ELi256ELb1ELi12EEvPKT_PKT0_S7_ifPKiS9_S9_iPKfiiiPfSC_PS2_PT2_iSB_SB_,@object ; @__PRETTY_FUNCTION__._Z39paged_attention_ll4mi_QKV_mfma16_kernelIDF16_hLN4vllm18Fp8KVCacheDataTypeE1EhLi32ELi64ELi256ELb1ELi12EEvPKT_PKT0_S7_ifPKiS9_S9_iPKfiiiPfSC_PS2_PT2_iSB_SB_
__PRETTY_FUNCTION__._Z39paged_attention_ll4mi_QKV_mfma16_kernelIDF16_hLN4vllm18Fp8KVCacheDataTypeE1EhLi32ELi64ELi256ELb1ELi12EEvPKT_PKT0_S7_ifPKiS9_S9_iPKfiiiPfSC_PS2_PT2_iSB_SB_:
	.asciz	"void paged_attention_ll4mi_QKV_mfma16_kernel(const scalar_t *__restrict, const cache_t *__restrict, const cache_t *__restrict, const int, const float, const int *__restrict, const int *__restrict, const int *__restrict, const int, const float *__restrict, const int, const int, const int, float *__restrict, float *__restrict, scalar_t *__restrict, OUTT *__restrict, int, const float *, const float *) [scalar_t = _Float16, cache_t = unsigned char, KV_DTYPE = vllm::Fp8KVCacheDataType::kFp8E4M3, OUTT = unsigned char, BLOCK_SIZE = 32, HEAD_SIZE = 64, NUM_THREADS = 256, ALIBI_ENABLED = true, GQA_RATIO = 12]"
	.size	__PRETTY_FUNCTION__._Z39paged_attention_ll4mi_QKV_mfma16_kernelIDF16_hLN4vllm18Fp8KVCacheDataTypeE1EhLi32ELi64ELi256ELb1ELi12EEvPKT_PKT0_S7_ifPKiS9_S9_iPKfiiiPfSC_PS2_PT2_iSB_SB_, 608

	.type	__PRETTY_FUNCTION__._Z39paged_attention_ll4mi_QKV_mfma16_kernelIDF16_hLN4vllm18Fp8KVCacheDataTypeE1EhLi32ELi64ELi256ELb1ELi13EEvPKT_PKT0_S7_ifPKiS9_S9_iPKfiiiPfSC_PS2_PT2_iSB_SB_,@object ; @__PRETTY_FUNCTION__._Z39paged_attention_ll4mi_QKV_mfma16_kernelIDF16_hLN4vllm18Fp8KVCacheDataTypeE1EhLi32ELi64ELi256ELb1ELi13EEvPKT_PKT0_S7_ifPKiS9_S9_iPKfiiiPfSC_PS2_PT2_iSB_SB_
__PRETTY_FUNCTION__._Z39paged_attention_ll4mi_QKV_mfma16_kernelIDF16_hLN4vllm18Fp8KVCacheDataTypeE1EhLi32ELi64ELi256ELb1ELi13EEvPKT_PKT0_S7_ifPKiS9_S9_iPKfiiiPfSC_PS2_PT2_iSB_SB_:
	.asciz	"void paged_attention_ll4mi_QKV_mfma16_kernel(const scalar_t *__restrict, const cache_t *__restrict, const cache_t *__restrict, const int, const float, const int *__restrict, const int *__restrict, const int *__restrict, const int, const float *__restrict, const int, const int, const int, float *__restrict, float *__restrict, scalar_t *__restrict, OUTT *__restrict, int, const float *, const float *) [scalar_t = _Float16, cache_t = unsigned char, KV_DTYPE = vllm::Fp8KVCacheDataType::kFp8E4M3, OUTT = unsigned char, BLOCK_SIZE = 32, HEAD_SIZE = 64, NUM_THREADS = 256, ALIBI_ENABLED = true, GQA_RATIO = 13]"
	.size	__PRETTY_FUNCTION__._Z39paged_attention_ll4mi_QKV_mfma16_kernelIDF16_hLN4vllm18Fp8KVCacheDataTypeE1EhLi32ELi64ELi256ELb1ELi13EEvPKT_PKT0_S7_ifPKiS9_S9_iPKfiiiPfSC_PS2_PT2_iSB_SB_, 608

	.type	__PRETTY_FUNCTION__._Z39paged_attention_ll4mi_QKV_mfma16_kernelIDF16_hLN4vllm18Fp8KVCacheDataTypeE1EhLi32ELi64ELi256ELb1ELi14EEvPKT_PKT0_S7_ifPKiS9_S9_iPKfiiiPfSC_PS2_PT2_iSB_SB_,@object ; @__PRETTY_FUNCTION__._Z39paged_attention_ll4mi_QKV_mfma16_kernelIDF16_hLN4vllm18Fp8KVCacheDataTypeE1EhLi32ELi64ELi256ELb1ELi14EEvPKT_PKT0_S7_ifPKiS9_S9_iPKfiiiPfSC_PS2_PT2_iSB_SB_
__PRETTY_FUNCTION__._Z39paged_attention_ll4mi_QKV_mfma16_kernelIDF16_hLN4vllm18Fp8KVCacheDataTypeE1EhLi32ELi64ELi256ELb1ELi14EEvPKT_PKT0_S7_ifPKiS9_S9_iPKfiiiPfSC_PS2_PT2_iSB_SB_:
	.asciz	"void paged_attention_ll4mi_QKV_mfma16_kernel(const scalar_t *__restrict, const cache_t *__restrict, const cache_t *__restrict, const int, const float, const int *__restrict, const int *__restrict, const int *__restrict, const int, const float *__restrict, const int, const int, const int, float *__restrict, float *__restrict, scalar_t *__restrict, OUTT *__restrict, int, const float *, const float *) [scalar_t = _Float16, cache_t = unsigned char, KV_DTYPE = vllm::Fp8KVCacheDataType::kFp8E4M3, OUTT = unsigned char, BLOCK_SIZE = 32, HEAD_SIZE = 64, NUM_THREADS = 256, ALIBI_ENABLED = true, GQA_RATIO = 14]"
	.size	__PRETTY_FUNCTION__._Z39paged_attention_ll4mi_QKV_mfma16_kernelIDF16_hLN4vllm18Fp8KVCacheDataTypeE1EhLi32ELi64ELi256ELb1ELi14EEvPKT_PKT0_S7_ifPKiS9_S9_iPKfiiiPfSC_PS2_PT2_iSB_SB_, 608

	.type	__PRETTY_FUNCTION__._Z39paged_attention_ll4mi_QKV_mfma16_kernelIDF16_hLN4vllm18Fp8KVCacheDataTypeE1EhLi32ELi64ELi256ELb1ELi15EEvPKT_PKT0_S7_ifPKiS9_S9_iPKfiiiPfSC_PS2_PT2_iSB_SB_,@object ; @__PRETTY_FUNCTION__._Z39paged_attention_ll4mi_QKV_mfma16_kernelIDF16_hLN4vllm18Fp8KVCacheDataTypeE1EhLi32ELi64ELi256ELb1ELi15EEvPKT_PKT0_S7_ifPKiS9_S9_iPKfiiiPfSC_PS2_PT2_iSB_SB_
__PRETTY_FUNCTION__._Z39paged_attention_ll4mi_QKV_mfma16_kernelIDF16_hLN4vllm18Fp8KVCacheDataTypeE1EhLi32ELi64ELi256ELb1ELi15EEvPKT_PKT0_S7_ifPKiS9_S9_iPKfiiiPfSC_PS2_PT2_iSB_SB_:
	.asciz	"void paged_attention_ll4mi_QKV_mfma16_kernel(const scalar_t *__restrict, const cache_t *__restrict, const cache_t *__restrict, const int, const float, const int *__restrict, const int *__restrict, const int *__restrict, const int, const float *__restrict, const int, const int, const int, float *__restrict, float *__restrict, scalar_t *__restrict, OUTT *__restrict, int, const float *, const float *) [scalar_t = _Float16, cache_t = unsigned char, KV_DTYPE = vllm::Fp8KVCacheDataType::kFp8E4M3, OUTT = unsigned char, BLOCK_SIZE = 32, HEAD_SIZE = 64, NUM_THREADS = 256, ALIBI_ENABLED = true, GQA_RATIO = 15]"
	.size	__PRETTY_FUNCTION__._Z39paged_attention_ll4mi_QKV_mfma16_kernelIDF16_hLN4vllm18Fp8KVCacheDataTypeE1EhLi32ELi64ELi256ELb1ELi15EEvPKT_PKT0_S7_ifPKiS9_S9_iPKfiiiPfSC_PS2_PT2_iSB_SB_, 608

	.type	__PRETTY_FUNCTION__._Z39paged_attention_ll4mi_QKV_mfma16_kernelIDF16_hLN4vllm18Fp8KVCacheDataTypeE1EhLi32ELi64ELi256ELb1ELi16EEvPKT_PKT0_S7_ifPKiS9_S9_iPKfiiiPfSC_PS2_PT2_iSB_SB_,@object ; @__PRETTY_FUNCTION__._Z39paged_attention_ll4mi_QKV_mfma16_kernelIDF16_hLN4vllm18Fp8KVCacheDataTypeE1EhLi32ELi64ELi256ELb1ELi16EEvPKT_PKT0_S7_ifPKiS9_S9_iPKfiiiPfSC_PS2_PT2_iSB_SB_
__PRETTY_FUNCTION__._Z39paged_attention_ll4mi_QKV_mfma16_kernelIDF16_hLN4vllm18Fp8KVCacheDataTypeE1EhLi32ELi64ELi256ELb1ELi16EEvPKT_PKT0_S7_ifPKiS9_S9_iPKfiiiPfSC_PS2_PT2_iSB_SB_:
	.asciz	"void paged_attention_ll4mi_QKV_mfma16_kernel(const scalar_t *__restrict, const cache_t *__restrict, const cache_t *__restrict, const int, const float, const int *__restrict, const int *__restrict, const int *__restrict, const int, const float *__restrict, const int, const int, const int, float *__restrict, float *__restrict, scalar_t *__restrict, OUTT *__restrict, int, const float *, const float *) [scalar_t = _Float16, cache_t = unsigned char, KV_DTYPE = vllm::Fp8KVCacheDataType::kFp8E4M3, OUTT = unsigned char, BLOCK_SIZE = 32, HEAD_SIZE = 64, NUM_THREADS = 256, ALIBI_ENABLED = true, GQA_RATIO = 16]"
	.size	__PRETTY_FUNCTION__._Z39paged_attention_ll4mi_QKV_mfma16_kernelIDF16_hLN4vllm18Fp8KVCacheDataTypeE1EhLi32ELi64ELi256ELb1ELi16EEvPKT_PKT0_S7_ifPKiS9_S9_iPKfiiiPfSC_PS2_PT2_iSB_SB_, 608

	.type	__PRETTY_FUNCTION__._Z39paged_attention_ll4mi_QKV_mfma16_kernelIDF16_hLN4vllm18Fp8KVCacheDataTypeE1EhLi32ELi64ELi256ELb1ELi1EEvPKT_PKT0_S7_ifPKiS9_S9_iPKfiiiPfSC_PS2_PT2_iSB_SB_,@object ; @__PRETTY_FUNCTION__._Z39paged_attention_ll4mi_QKV_mfma16_kernelIDF16_hLN4vllm18Fp8KVCacheDataTypeE1EhLi32ELi64ELi256ELb1ELi1EEvPKT_PKT0_S7_ifPKiS9_S9_iPKfiiiPfSC_PS2_PT2_iSB_SB_
__PRETTY_FUNCTION__._Z39paged_attention_ll4mi_QKV_mfma16_kernelIDF16_hLN4vllm18Fp8KVCacheDataTypeE1EhLi32ELi64ELi256ELb1ELi1EEvPKT_PKT0_S7_ifPKiS9_S9_iPKfiiiPfSC_PS2_PT2_iSB_SB_:
	.asciz	"void paged_attention_ll4mi_QKV_mfma16_kernel(const scalar_t *__restrict, const cache_t *__restrict, const cache_t *__restrict, const int, const float, const int *__restrict, const int *__restrict, const int *__restrict, const int, const float *__restrict, const int, const int, const int, float *__restrict, float *__restrict, scalar_t *__restrict, OUTT *__restrict, int, const float *, const float *) [scalar_t = _Float16, cache_t = unsigned char, KV_DTYPE = vllm::Fp8KVCacheDataType::kFp8E4M3, OUTT = unsigned char, BLOCK_SIZE = 32, HEAD_SIZE = 64, NUM_THREADS = 256, ALIBI_ENABLED = true, GQA_RATIO = 1]"
	.size	__PRETTY_FUNCTION__._Z39paged_attention_ll4mi_QKV_mfma16_kernelIDF16_hLN4vllm18Fp8KVCacheDataTypeE1EhLi32ELi64ELi256ELb1ELi1EEvPKT_PKT0_S7_ifPKiS9_S9_iPKfiiiPfSC_PS2_PT2_iSB_SB_, 607

	.type	__PRETTY_FUNCTION__._Z39paged_attention_ll4mi_QKV_mfma16_kernelIDF16_hLN4vllm18Fp8KVCacheDataTypeE1EhLi32ELi64ELi256ELb1ELi2EEvPKT_PKT0_S7_ifPKiS9_S9_iPKfiiiPfSC_PS2_PT2_iSB_SB_,@object ; @__PRETTY_FUNCTION__._Z39paged_attention_ll4mi_QKV_mfma16_kernelIDF16_hLN4vllm18Fp8KVCacheDataTypeE1EhLi32ELi64ELi256ELb1ELi2EEvPKT_PKT0_S7_ifPKiS9_S9_iPKfiiiPfSC_PS2_PT2_iSB_SB_
__PRETTY_FUNCTION__._Z39paged_attention_ll4mi_QKV_mfma16_kernelIDF16_hLN4vllm18Fp8KVCacheDataTypeE1EhLi32ELi64ELi256ELb1ELi2EEvPKT_PKT0_S7_ifPKiS9_S9_iPKfiiiPfSC_PS2_PT2_iSB_SB_:
	.asciz	"void paged_attention_ll4mi_QKV_mfma16_kernel(const scalar_t *__restrict, const cache_t *__restrict, const cache_t *__restrict, const int, const float, const int *__restrict, const int *__restrict, const int *__restrict, const int, const float *__restrict, const int, const int, const int, float *__restrict, float *__restrict, scalar_t *__restrict, OUTT *__restrict, int, const float *, const float *) [scalar_t = _Float16, cache_t = unsigned char, KV_DTYPE = vllm::Fp8KVCacheDataType::kFp8E4M3, OUTT = unsigned char, BLOCK_SIZE = 32, HEAD_SIZE = 64, NUM_THREADS = 256, ALIBI_ENABLED = true, GQA_RATIO = 2]"
	.size	__PRETTY_FUNCTION__._Z39paged_attention_ll4mi_QKV_mfma16_kernelIDF16_hLN4vllm18Fp8KVCacheDataTypeE1EhLi32ELi64ELi256ELb1ELi2EEvPKT_PKT0_S7_ifPKiS9_S9_iPKfiiiPfSC_PS2_PT2_iSB_SB_, 607

	.type	__PRETTY_FUNCTION__._Z39paged_attention_ll4mi_QKV_mfma16_kernelIDF16_hLN4vllm18Fp8KVCacheDataTypeE1EhLi32ELi64ELi256ELb1ELi3EEvPKT_PKT0_S7_ifPKiS9_S9_iPKfiiiPfSC_PS2_PT2_iSB_SB_,@object ; @__PRETTY_FUNCTION__._Z39paged_attention_ll4mi_QKV_mfma16_kernelIDF16_hLN4vllm18Fp8KVCacheDataTypeE1EhLi32ELi64ELi256ELb1ELi3EEvPKT_PKT0_S7_ifPKiS9_S9_iPKfiiiPfSC_PS2_PT2_iSB_SB_
__PRETTY_FUNCTION__._Z39paged_attention_ll4mi_QKV_mfma16_kernelIDF16_hLN4vllm18Fp8KVCacheDataTypeE1EhLi32ELi64ELi256ELb1ELi3EEvPKT_PKT0_S7_ifPKiS9_S9_iPKfiiiPfSC_PS2_PT2_iSB_SB_:
	.asciz	"void paged_attention_ll4mi_QKV_mfma16_kernel(const scalar_t *__restrict, const cache_t *__restrict, const cache_t *__restrict, const int, const float, const int *__restrict, const int *__restrict, const int *__restrict, const int, const float *__restrict, const int, const int, const int, float *__restrict, float *__restrict, scalar_t *__restrict, OUTT *__restrict, int, const float *, const float *) [scalar_t = _Float16, cache_t = unsigned char, KV_DTYPE = vllm::Fp8KVCacheDataType::kFp8E4M3, OUTT = unsigned char, BLOCK_SIZE = 32, HEAD_SIZE = 64, NUM_THREADS = 256, ALIBI_ENABLED = true, GQA_RATIO = 3]"
	.size	__PRETTY_FUNCTION__._Z39paged_attention_ll4mi_QKV_mfma16_kernelIDF16_hLN4vllm18Fp8KVCacheDataTypeE1EhLi32ELi64ELi256ELb1ELi3EEvPKT_PKT0_S7_ifPKiS9_S9_iPKfiiiPfSC_PS2_PT2_iSB_SB_, 607

	.type	__PRETTY_FUNCTION__._Z39paged_attention_ll4mi_QKV_mfma16_kernelIDF16_hLN4vllm18Fp8KVCacheDataTypeE1EhLi32ELi64ELi256ELb1ELi4EEvPKT_PKT0_S7_ifPKiS9_S9_iPKfiiiPfSC_PS2_PT2_iSB_SB_,@object ; @__PRETTY_FUNCTION__._Z39paged_attention_ll4mi_QKV_mfma16_kernelIDF16_hLN4vllm18Fp8KVCacheDataTypeE1EhLi32ELi64ELi256ELb1ELi4EEvPKT_PKT0_S7_ifPKiS9_S9_iPKfiiiPfSC_PS2_PT2_iSB_SB_
__PRETTY_FUNCTION__._Z39paged_attention_ll4mi_QKV_mfma16_kernelIDF16_hLN4vllm18Fp8KVCacheDataTypeE1EhLi32ELi64ELi256ELb1ELi4EEvPKT_PKT0_S7_ifPKiS9_S9_iPKfiiiPfSC_PS2_PT2_iSB_SB_:
	.asciz	"void paged_attention_ll4mi_QKV_mfma16_kernel(const scalar_t *__restrict, const cache_t *__restrict, const cache_t *__restrict, const int, const float, const int *__restrict, const int *__restrict, const int *__restrict, const int, const float *__restrict, const int, const int, const int, float *__restrict, float *__restrict, scalar_t *__restrict, OUTT *__restrict, int, const float *, const float *) [scalar_t = _Float16, cache_t = unsigned char, KV_DTYPE = vllm::Fp8KVCacheDataType::kFp8E4M3, OUTT = unsigned char, BLOCK_SIZE = 32, HEAD_SIZE = 64, NUM_THREADS = 256, ALIBI_ENABLED = true, GQA_RATIO = 4]"
	.size	__PRETTY_FUNCTION__._Z39paged_attention_ll4mi_QKV_mfma16_kernelIDF16_hLN4vllm18Fp8KVCacheDataTypeE1EhLi32ELi64ELi256ELb1ELi4EEvPKT_PKT0_S7_ifPKiS9_S9_iPKfiiiPfSC_PS2_PT2_iSB_SB_, 607

	.type	__PRETTY_FUNCTION__._Z38paged_attention_ll4mi_QKV_mfma4_kernelIDF16_hLN4vllm18Fp8KVCacheDataTypeE1EhLi32ELi64ELi256ELb0ELi1EEvPKT_PKT0_S7_ifPKiS9_S9_iPKfiiiPfSC_PS2_PT2_iSB_SB_,@object ; @__PRETTY_FUNCTION__._Z38paged_attention_ll4mi_QKV_mfma4_kernelIDF16_hLN4vllm18Fp8KVCacheDataTypeE1EhLi32ELi64ELi256ELb0ELi1EEvPKT_PKT0_S7_ifPKiS9_S9_iPKfiiiPfSC_PS2_PT2_iSB_SB_
__PRETTY_FUNCTION__._Z38paged_attention_ll4mi_QKV_mfma4_kernelIDF16_hLN4vllm18Fp8KVCacheDataTypeE1EhLi32ELi64ELi256ELb0ELi1EEvPKT_PKT0_S7_ifPKiS9_S9_iPKfiiiPfSC_PS2_PT2_iSB_SB_:
	.asciz	"void paged_attention_ll4mi_QKV_mfma4_kernel(const scalar_t *__restrict, const cache_t *__restrict, const cache_t *__restrict, const int, const float, const int *__restrict, const int *__restrict, const int *__restrict, const int, const float *__restrict, const int, const int, const int, float *__restrict, float *__restrict, scalar_t *__restrict, OUTT *__restrict, int, const float *, const float *) [scalar_t = _Float16, cache_t = unsigned char, KV_DTYPE = vllm::Fp8KVCacheDataType::kFp8E4M3, OUTT = unsigned char, BLOCK_SIZE = 32, HEAD_SIZE = 64, NUM_THREADS = 256, ALIBI_ENABLED = false, GQA_RATIO = 1]"
	.size	__PRETTY_FUNCTION__._Z38paged_attention_ll4mi_QKV_mfma4_kernelIDF16_hLN4vllm18Fp8KVCacheDataTypeE1EhLi32ELi64ELi256ELb0ELi1EEvPKT_PKT0_S7_ifPKiS9_S9_iPKfiiiPfSC_PS2_PT2_iSB_SB_, 607

	.type	__PRETTY_FUNCTION__._Z38paged_attention_ll4mi_QKV_mfma4_kernelIDF16_hLN4vllm18Fp8KVCacheDataTypeE1EhLi32ELi64ELi256ELb0ELi2EEvPKT_PKT0_S7_ifPKiS9_S9_iPKfiiiPfSC_PS2_PT2_iSB_SB_,@object ; @__PRETTY_FUNCTION__._Z38paged_attention_ll4mi_QKV_mfma4_kernelIDF16_hLN4vllm18Fp8KVCacheDataTypeE1EhLi32ELi64ELi256ELb0ELi2EEvPKT_PKT0_S7_ifPKiS9_S9_iPKfiiiPfSC_PS2_PT2_iSB_SB_
__PRETTY_FUNCTION__._Z38paged_attention_ll4mi_QKV_mfma4_kernelIDF16_hLN4vllm18Fp8KVCacheDataTypeE1EhLi32ELi64ELi256ELb0ELi2EEvPKT_PKT0_S7_ifPKiS9_S9_iPKfiiiPfSC_PS2_PT2_iSB_SB_:
	.asciz	"void paged_attention_ll4mi_QKV_mfma4_kernel(const scalar_t *__restrict, const cache_t *__restrict, const cache_t *__restrict, const int, const float, const int *__restrict, const int *__restrict, const int *__restrict, const int, const float *__restrict, const int, const int, const int, float *__restrict, float *__restrict, scalar_t *__restrict, OUTT *__restrict, int, const float *, const float *) [scalar_t = _Float16, cache_t = unsigned char, KV_DTYPE = vllm::Fp8KVCacheDataType::kFp8E4M3, OUTT = unsigned char, BLOCK_SIZE = 32, HEAD_SIZE = 64, NUM_THREADS = 256, ALIBI_ENABLED = false, GQA_RATIO = 2]"
	.size	__PRETTY_FUNCTION__._Z38paged_attention_ll4mi_QKV_mfma4_kernelIDF16_hLN4vllm18Fp8KVCacheDataTypeE1EhLi32ELi64ELi256ELb0ELi2EEvPKT_PKT0_S7_ifPKiS9_S9_iPKfiiiPfSC_PS2_PT2_iSB_SB_, 607

	.type	__PRETTY_FUNCTION__._Z38paged_attention_ll4mi_QKV_mfma4_kernelIDF16_hLN4vllm18Fp8KVCacheDataTypeE1EhLi32ELi64ELi256ELb0ELi3EEvPKT_PKT0_S7_ifPKiS9_S9_iPKfiiiPfSC_PS2_PT2_iSB_SB_,@object ; @__PRETTY_FUNCTION__._Z38paged_attention_ll4mi_QKV_mfma4_kernelIDF16_hLN4vllm18Fp8KVCacheDataTypeE1EhLi32ELi64ELi256ELb0ELi3EEvPKT_PKT0_S7_ifPKiS9_S9_iPKfiiiPfSC_PS2_PT2_iSB_SB_
__PRETTY_FUNCTION__._Z38paged_attention_ll4mi_QKV_mfma4_kernelIDF16_hLN4vllm18Fp8KVCacheDataTypeE1EhLi32ELi64ELi256ELb0ELi3EEvPKT_PKT0_S7_ifPKiS9_S9_iPKfiiiPfSC_PS2_PT2_iSB_SB_:
	.asciz	"void paged_attention_ll4mi_QKV_mfma4_kernel(const scalar_t *__restrict, const cache_t *__restrict, const cache_t *__restrict, const int, const float, const int *__restrict, const int *__restrict, const int *__restrict, const int, const float *__restrict, const int, const int, const int, float *__restrict, float *__restrict, scalar_t *__restrict, OUTT *__restrict, int, const float *, const float *) [scalar_t = _Float16, cache_t = unsigned char, KV_DTYPE = vllm::Fp8KVCacheDataType::kFp8E4M3, OUTT = unsigned char, BLOCK_SIZE = 32, HEAD_SIZE = 64, NUM_THREADS = 256, ALIBI_ENABLED = false, GQA_RATIO = 3]"
	.size	__PRETTY_FUNCTION__._Z38paged_attention_ll4mi_QKV_mfma4_kernelIDF16_hLN4vllm18Fp8KVCacheDataTypeE1EhLi32ELi64ELi256ELb0ELi3EEvPKT_PKT0_S7_ifPKiS9_S9_iPKfiiiPfSC_PS2_PT2_iSB_SB_, 607

	.type	__PRETTY_FUNCTION__._Z38paged_attention_ll4mi_QKV_mfma4_kernelIDF16_hLN4vllm18Fp8KVCacheDataTypeE1EhLi32ELi64ELi256ELb0ELi4EEvPKT_PKT0_S7_ifPKiS9_S9_iPKfiiiPfSC_PS2_PT2_iSB_SB_,@object ; @__PRETTY_FUNCTION__._Z38paged_attention_ll4mi_QKV_mfma4_kernelIDF16_hLN4vllm18Fp8KVCacheDataTypeE1EhLi32ELi64ELi256ELb0ELi4EEvPKT_PKT0_S7_ifPKiS9_S9_iPKfiiiPfSC_PS2_PT2_iSB_SB_
__PRETTY_FUNCTION__._Z38paged_attention_ll4mi_QKV_mfma4_kernelIDF16_hLN4vllm18Fp8KVCacheDataTypeE1EhLi32ELi64ELi256ELb0ELi4EEvPKT_PKT0_S7_ifPKiS9_S9_iPKfiiiPfSC_PS2_PT2_iSB_SB_:
	.asciz	"void paged_attention_ll4mi_QKV_mfma4_kernel(const scalar_t *__restrict, const cache_t *__restrict, const cache_t *__restrict, const int, const float, const int *__restrict, const int *__restrict, const int *__restrict, const int, const float *__restrict, const int, const int, const int, float *__restrict, float *__restrict, scalar_t *__restrict, OUTT *__restrict, int, const float *, const float *) [scalar_t = _Float16, cache_t = unsigned char, KV_DTYPE = vllm::Fp8KVCacheDataType::kFp8E4M3, OUTT = unsigned char, BLOCK_SIZE = 32, HEAD_SIZE = 64, NUM_THREADS = 256, ALIBI_ENABLED = false, GQA_RATIO = 4]"
	.size	__PRETTY_FUNCTION__._Z38paged_attention_ll4mi_QKV_mfma4_kernelIDF16_hLN4vllm18Fp8KVCacheDataTypeE1EhLi32ELi64ELi256ELb0ELi4EEvPKT_PKT0_S7_ifPKiS9_S9_iPKfiiiPfSC_PS2_PT2_iSB_SB_, 607

	.type	__PRETTY_FUNCTION__._Z39paged_attention_ll4mi_QKV_mfma16_kernelIDF16_hLN4vllm18Fp8KVCacheDataTypeE1EhLi32ELi64ELi256ELb0ELi5EEvPKT_PKT0_S7_ifPKiS9_S9_iPKfiiiPfSC_PS2_PT2_iSB_SB_,@object ; @__PRETTY_FUNCTION__._Z39paged_attention_ll4mi_QKV_mfma16_kernelIDF16_hLN4vllm18Fp8KVCacheDataTypeE1EhLi32ELi64ELi256ELb0ELi5EEvPKT_PKT0_S7_ifPKiS9_S9_iPKfiiiPfSC_PS2_PT2_iSB_SB_
__PRETTY_FUNCTION__._Z39paged_attention_ll4mi_QKV_mfma16_kernelIDF16_hLN4vllm18Fp8KVCacheDataTypeE1EhLi32ELi64ELi256ELb0ELi5EEvPKT_PKT0_S7_ifPKiS9_S9_iPKfiiiPfSC_PS2_PT2_iSB_SB_:
	.asciz	"void paged_attention_ll4mi_QKV_mfma16_kernel(const scalar_t *__restrict, const cache_t *__restrict, const cache_t *__restrict, const int, const float, const int *__restrict, const int *__restrict, const int *__restrict, const int, const float *__restrict, const int, const int, const int, float *__restrict, float *__restrict, scalar_t *__restrict, OUTT *__restrict, int, const float *, const float *) [scalar_t = _Float16, cache_t = unsigned char, KV_DTYPE = vllm::Fp8KVCacheDataType::kFp8E4M3, OUTT = unsigned char, BLOCK_SIZE = 32, HEAD_SIZE = 64, NUM_THREADS = 256, ALIBI_ENABLED = false, GQA_RATIO = 5]"
	.size	__PRETTY_FUNCTION__._Z39paged_attention_ll4mi_QKV_mfma16_kernelIDF16_hLN4vllm18Fp8KVCacheDataTypeE1EhLi32ELi64ELi256ELb0ELi5EEvPKT_PKT0_S7_ifPKiS9_S9_iPKfiiiPfSC_PS2_PT2_iSB_SB_, 608

	.type	__PRETTY_FUNCTION__._Z39paged_attention_ll4mi_QKV_mfma16_kernelIDF16_hLN4vllm18Fp8KVCacheDataTypeE1EhLi32ELi64ELi256ELb0ELi6EEvPKT_PKT0_S7_ifPKiS9_S9_iPKfiiiPfSC_PS2_PT2_iSB_SB_,@object ; @__PRETTY_FUNCTION__._Z39paged_attention_ll4mi_QKV_mfma16_kernelIDF16_hLN4vllm18Fp8KVCacheDataTypeE1EhLi32ELi64ELi256ELb0ELi6EEvPKT_PKT0_S7_ifPKiS9_S9_iPKfiiiPfSC_PS2_PT2_iSB_SB_
__PRETTY_FUNCTION__._Z39paged_attention_ll4mi_QKV_mfma16_kernelIDF16_hLN4vllm18Fp8KVCacheDataTypeE1EhLi32ELi64ELi256ELb0ELi6EEvPKT_PKT0_S7_ifPKiS9_S9_iPKfiiiPfSC_PS2_PT2_iSB_SB_:
	.asciz	"void paged_attention_ll4mi_QKV_mfma16_kernel(const scalar_t *__restrict, const cache_t *__restrict, const cache_t *__restrict, const int, const float, const int *__restrict, const int *__restrict, const int *__restrict, const int, const float *__restrict, const int, const int, const int, float *__restrict, float *__restrict, scalar_t *__restrict, OUTT *__restrict, int, const float *, const float *) [scalar_t = _Float16, cache_t = unsigned char, KV_DTYPE = vllm::Fp8KVCacheDataType::kFp8E4M3, OUTT = unsigned char, BLOCK_SIZE = 32, HEAD_SIZE = 64, NUM_THREADS = 256, ALIBI_ENABLED = false, GQA_RATIO = 6]"
	.size	__PRETTY_FUNCTION__._Z39paged_attention_ll4mi_QKV_mfma16_kernelIDF16_hLN4vllm18Fp8KVCacheDataTypeE1EhLi32ELi64ELi256ELb0ELi6EEvPKT_PKT0_S7_ifPKiS9_S9_iPKfiiiPfSC_PS2_PT2_iSB_SB_, 608

	.type	__PRETTY_FUNCTION__._Z39paged_attention_ll4mi_QKV_mfma16_kernelIDF16_hLN4vllm18Fp8KVCacheDataTypeE1EhLi32ELi64ELi256ELb0ELi7EEvPKT_PKT0_S7_ifPKiS9_S9_iPKfiiiPfSC_PS2_PT2_iSB_SB_,@object ; @__PRETTY_FUNCTION__._Z39paged_attention_ll4mi_QKV_mfma16_kernelIDF16_hLN4vllm18Fp8KVCacheDataTypeE1EhLi32ELi64ELi256ELb0ELi7EEvPKT_PKT0_S7_ifPKiS9_S9_iPKfiiiPfSC_PS2_PT2_iSB_SB_
__PRETTY_FUNCTION__._Z39paged_attention_ll4mi_QKV_mfma16_kernelIDF16_hLN4vllm18Fp8KVCacheDataTypeE1EhLi32ELi64ELi256ELb0ELi7EEvPKT_PKT0_S7_ifPKiS9_S9_iPKfiiiPfSC_PS2_PT2_iSB_SB_:
	.asciz	"void paged_attention_ll4mi_QKV_mfma16_kernel(const scalar_t *__restrict, const cache_t *__restrict, const cache_t *__restrict, const int, const float, const int *__restrict, const int *__restrict, const int *__restrict, const int, const float *__restrict, const int, const int, const int, float *__restrict, float *__restrict, scalar_t *__restrict, OUTT *__restrict, int, const float *, const float *) [scalar_t = _Float16, cache_t = unsigned char, KV_DTYPE = vllm::Fp8KVCacheDataType::kFp8E4M3, OUTT = unsigned char, BLOCK_SIZE = 32, HEAD_SIZE = 64, NUM_THREADS = 256, ALIBI_ENABLED = false, GQA_RATIO = 7]"
	.size	__PRETTY_FUNCTION__._Z39paged_attention_ll4mi_QKV_mfma16_kernelIDF16_hLN4vllm18Fp8KVCacheDataTypeE1EhLi32ELi64ELi256ELb0ELi7EEvPKT_PKT0_S7_ifPKiS9_S9_iPKfiiiPfSC_PS2_PT2_iSB_SB_, 608

	.type	__PRETTY_FUNCTION__._Z39paged_attention_ll4mi_QKV_mfma16_kernelIDF16_hLN4vllm18Fp8KVCacheDataTypeE1EhLi32ELi64ELi256ELb0ELi8EEvPKT_PKT0_S7_ifPKiS9_S9_iPKfiiiPfSC_PS2_PT2_iSB_SB_,@object ; @__PRETTY_FUNCTION__._Z39paged_attention_ll4mi_QKV_mfma16_kernelIDF16_hLN4vllm18Fp8KVCacheDataTypeE1EhLi32ELi64ELi256ELb0ELi8EEvPKT_PKT0_S7_ifPKiS9_S9_iPKfiiiPfSC_PS2_PT2_iSB_SB_
__PRETTY_FUNCTION__._Z39paged_attention_ll4mi_QKV_mfma16_kernelIDF16_hLN4vllm18Fp8KVCacheDataTypeE1EhLi32ELi64ELi256ELb0ELi8EEvPKT_PKT0_S7_ifPKiS9_S9_iPKfiiiPfSC_PS2_PT2_iSB_SB_:
	.asciz	"void paged_attention_ll4mi_QKV_mfma16_kernel(const scalar_t *__restrict, const cache_t *__restrict, const cache_t *__restrict, const int, const float, const int *__restrict, const int *__restrict, const int *__restrict, const int, const float *__restrict, const int, const int, const int, float *__restrict, float *__restrict, scalar_t *__restrict, OUTT *__restrict, int, const float *, const float *) [scalar_t = _Float16, cache_t = unsigned char, KV_DTYPE = vllm::Fp8KVCacheDataType::kFp8E4M3, OUTT = unsigned char, BLOCK_SIZE = 32, HEAD_SIZE = 64, NUM_THREADS = 256, ALIBI_ENABLED = false, GQA_RATIO = 8]"
	.size	__PRETTY_FUNCTION__._Z39paged_attention_ll4mi_QKV_mfma16_kernelIDF16_hLN4vllm18Fp8KVCacheDataTypeE1EhLi32ELi64ELi256ELb0ELi8EEvPKT_PKT0_S7_ifPKiS9_S9_iPKfiiiPfSC_PS2_PT2_iSB_SB_, 608

	.type	__PRETTY_FUNCTION__._Z39paged_attention_ll4mi_QKV_mfma16_kernelIDF16_hLN4vllm18Fp8KVCacheDataTypeE1EhLi32ELi64ELi256ELb0ELi9EEvPKT_PKT0_S7_ifPKiS9_S9_iPKfiiiPfSC_PS2_PT2_iSB_SB_,@object ; @__PRETTY_FUNCTION__._Z39paged_attention_ll4mi_QKV_mfma16_kernelIDF16_hLN4vllm18Fp8KVCacheDataTypeE1EhLi32ELi64ELi256ELb0ELi9EEvPKT_PKT0_S7_ifPKiS9_S9_iPKfiiiPfSC_PS2_PT2_iSB_SB_
__PRETTY_FUNCTION__._Z39paged_attention_ll4mi_QKV_mfma16_kernelIDF16_hLN4vllm18Fp8KVCacheDataTypeE1EhLi32ELi64ELi256ELb0ELi9EEvPKT_PKT0_S7_ifPKiS9_S9_iPKfiiiPfSC_PS2_PT2_iSB_SB_:
	.asciz	"void paged_attention_ll4mi_QKV_mfma16_kernel(const scalar_t *__restrict, const cache_t *__restrict, const cache_t *__restrict, const int, const float, const int *__restrict, const int *__restrict, const int *__restrict, const int, const float *__restrict, const int, const int, const int, float *__restrict, float *__restrict, scalar_t *__restrict, OUTT *__restrict, int, const float *, const float *) [scalar_t = _Float16, cache_t = unsigned char, KV_DTYPE = vllm::Fp8KVCacheDataType::kFp8E4M3, OUTT = unsigned char, BLOCK_SIZE = 32, HEAD_SIZE = 64, NUM_THREADS = 256, ALIBI_ENABLED = false, GQA_RATIO = 9]"
	.size	__PRETTY_FUNCTION__._Z39paged_attention_ll4mi_QKV_mfma16_kernelIDF16_hLN4vllm18Fp8KVCacheDataTypeE1EhLi32ELi64ELi256ELb0ELi9EEvPKT_PKT0_S7_ifPKiS9_S9_iPKfiiiPfSC_PS2_PT2_iSB_SB_, 608

	.type	__PRETTY_FUNCTION__._Z39paged_attention_ll4mi_QKV_mfma16_kernelIDF16_hLN4vllm18Fp8KVCacheDataTypeE1EhLi32ELi64ELi256ELb0ELi10EEvPKT_PKT0_S7_ifPKiS9_S9_iPKfiiiPfSC_PS2_PT2_iSB_SB_,@object ; @__PRETTY_FUNCTION__._Z39paged_attention_ll4mi_QKV_mfma16_kernelIDF16_hLN4vllm18Fp8KVCacheDataTypeE1EhLi32ELi64ELi256ELb0ELi10EEvPKT_PKT0_S7_ifPKiS9_S9_iPKfiiiPfSC_PS2_PT2_iSB_SB_
__PRETTY_FUNCTION__._Z39paged_attention_ll4mi_QKV_mfma16_kernelIDF16_hLN4vllm18Fp8KVCacheDataTypeE1EhLi32ELi64ELi256ELb0ELi10EEvPKT_PKT0_S7_ifPKiS9_S9_iPKfiiiPfSC_PS2_PT2_iSB_SB_:
	.asciz	"void paged_attention_ll4mi_QKV_mfma16_kernel(const scalar_t *__restrict, const cache_t *__restrict, const cache_t *__restrict, const int, const float, const int *__restrict, const int *__restrict, const int *__restrict, const int, const float *__restrict, const int, const int, const int, float *__restrict, float *__restrict, scalar_t *__restrict, OUTT *__restrict, int, const float *, const float *) [scalar_t = _Float16, cache_t = unsigned char, KV_DTYPE = vllm::Fp8KVCacheDataType::kFp8E4M3, OUTT = unsigned char, BLOCK_SIZE = 32, HEAD_SIZE = 64, NUM_THREADS = 256, ALIBI_ENABLED = false, GQA_RATIO = 10]"
	.size	__PRETTY_FUNCTION__._Z39paged_attention_ll4mi_QKV_mfma16_kernelIDF16_hLN4vllm18Fp8KVCacheDataTypeE1EhLi32ELi64ELi256ELb0ELi10EEvPKT_PKT0_S7_ifPKiS9_S9_iPKfiiiPfSC_PS2_PT2_iSB_SB_, 609

	.type	__PRETTY_FUNCTION__._Z39paged_attention_ll4mi_QKV_mfma16_kernelIDF16_hLN4vllm18Fp8KVCacheDataTypeE1EhLi32ELi64ELi256ELb0ELi11EEvPKT_PKT0_S7_ifPKiS9_S9_iPKfiiiPfSC_PS2_PT2_iSB_SB_,@object ; @__PRETTY_FUNCTION__._Z39paged_attention_ll4mi_QKV_mfma16_kernelIDF16_hLN4vllm18Fp8KVCacheDataTypeE1EhLi32ELi64ELi256ELb0ELi11EEvPKT_PKT0_S7_ifPKiS9_S9_iPKfiiiPfSC_PS2_PT2_iSB_SB_
__PRETTY_FUNCTION__._Z39paged_attention_ll4mi_QKV_mfma16_kernelIDF16_hLN4vllm18Fp8KVCacheDataTypeE1EhLi32ELi64ELi256ELb0ELi11EEvPKT_PKT0_S7_ifPKiS9_S9_iPKfiiiPfSC_PS2_PT2_iSB_SB_:
	.asciz	"void paged_attention_ll4mi_QKV_mfma16_kernel(const scalar_t *__restrict, const cache_t *__restrict, const cache_t *__restrict, const int, const float, const int *__restrict, const int *__restrict, const int *__restrict, const int, const float *__restrict, const int, const int, const int, float *__restrict, float *__restrict, scalar_t *__restrict, OUTT *__restrict, int, const float *, const float *) [scalar_t = _Float16, cache_t = unsigned char, KV_DTYPE = vllm::Fp8KVCacheDataType::kFp8E4M3, OUTT = unsigned char, BLOCK_SIZE = 32, HEAD_SIZE = 64, NUM_THREADS = 256, ALIBI_ENABLED = false, GQA_RATIO = 11]"
	.size	__PRETTY_FUNCTION__._Z39paged_attention_ll4mi_QKV_mfma16_kernelIDF16_hLN4vllm18Fp8KVCacheDataTypeE1EhLi32ELi64ELi256ELb0ELi11EEvPKT_PKT0_S7_ifPKiS9_S9_iPKfiiiPfSC_PS2_PT2_iSB_SB_, 609

	.type	__PRETTY_FUNCTION__._Z39paged_attention_ll4mi_QKV_mfma16_kernelIDF16_hLN4vllm18Fp8KVCacheDataTypeE1EhLi32ELi64ELi256ELb0ELi12EEvPKT_PKT0_S7_ifPKiS9_S9_iPKfiiiPfSC_PS2_PT2_iSB_SB_,@object ; @__PRETTY_FUNCTION__._Z39paged_attention_ll4mi_QKV_mfma16_kernelIDF16_hLN4vllm18Fp8KVCacheDataTypeE1EhLi32ELi64ELi256ELb0ELi12EEvPKT_PKT0_S7_ifPKiS9_S9_iPKfiiiPfSC_PS2_PT2_iSB_SB_
__PRETTY_FUNCTION__._Z39paged_attention_ll4mi_QKV_mfma16_kernelIDF16_hLN4vllm18Fp8KVCacheDataTypeE1EhLi32ELi64ELi256ELb0ELi12EEvPKT_PKT0_S7_ifPKiS9_S9_iPKfiiiPfSC_PS2_PT2_iSB_SB_:
	.asciz	"void paged_attention_ll4mi_QKV_mfma16_kernel(const scalar_t *__restrict, const cache_t *__restrict, const cache_t *__restrict, const int, const float, const int *__restrict, const int *__restrict, const int *__restrict, const int, const float *__restrict, const int, const int, const int, float *__restrict, float *__restrict, scalar_t *__restrict, OUTT *__restrict, int, const float *, const float *) [scalar_t = _Float16, cache_t = unsigned char, KV_DTYPE = vllm::Fp8KVCacheDataType::kFp8E4M3, OUTT = unsigned char, BLOCK_SIZE = 32, HEAD_SIZE = 64, NUM_THREADS = 256, ALIBI_ENABLED = false, GQA_RATIO = 12]"
	.size	__PRETTY_FUNCTION__._Z39paged_attention_ll4mi_QKV_mfma16_kernelIDF16_hLN4vllm18Fp8KVCacheDataTypeE1EhLi32ELi64ELi256ELb0ELi12EEvPKT_PKT0_S7_ifPKiS9_S9_iPKfiiiPfSC_PS2_PT2_iSB_SB_, 609

	.type	__PRETTY_FUNCTION__._Z39paged_attention_ll4mi_QKV_mfma16_kernelIDF16_hLN4vllm18Fp8KVCacheDataTypeE1EhLi32ELi64ELi256ELb0ELi13EEvPKT_PKT0_S7_ifPKiS9_S9_iPKfiiiPfSC_PS2_PT2_iSB_SB_,@object ; @__PRETTY_FUNCTION__._Z39paged_attention_ll4mi_QKV_mfma16_kernelIDF16_hLN4vllm18Fp8KVCacheDataTypeE1EhLi32ELi64ELi256ELb0ELi13EEvPKT_PKT0_S7_ifPKiS9_S9_iPKfiiiPfSC_PS2_PT2_iSB_SB_
__PRETTY_FUNCTION__._Z39paged_attention_ll4mi_QKV_mfma16_kernelIDF16_hLN4vllm18Fp8KVCacheDataTypeE1EhLi32ELi64ELi256ELb0ELi13EEvPKT_PKT0_S7_ifPKiS9_S9_iPKfiiiPfSC_PS2_PT2_iSB_SB_:
	.asciz	"void paged_attention_ll4mi_QKV_mfma16_kernel(const scalar_t *__restrict, const cache_t *__restrict, const cache_t *__restrict, const int, const float, const int *__restrict, const int *__restrict, const int *__restrict, const int, const float *__restrict, const int, const int, const int, float *__restrict, float *__restrict, scalar_t *__restrict, OUTT *__restrict, int, const float *, const float *) [scalar_t = _Float16, cache_t = unsigned char, KV_DTYPE = vllm::Fp8KVCacheDataType::kFp8E4M3, OUTT = unsigned char, BLOCK_SIZE = 32, HEAD_SIZE = 64, NUM_THREADS = 256, ALIBI_ENABLED = false, GQA_RATIO = 13]"
	.size	__PRETTY_FUNCTION__._Z39paged_attention_ll4mi_QKV_mfma16_kernelIDF16_hLN4vllm18Fp8KVCacheDataTypeE1EhLi32ELi64ELi256ELb0ELi13EEvPKT_PKT0_S7_ifPKiS9_S9_iPKfiiiPfSC_PS2_PT2_iSB_SB_, 609

	.type	__PRETTY_FUNCTION__._Z39paged_attention_ll4mi_QKV_mfma16_kernelIDF16_hLN4vllm18Fp8KVCacheDataTypeE1EhLi32ELi64ELi256ELb0ELi14EEvPKT_PKT0_S7_ifPKiS9_S9_iPKfiiiPfSC_PS2_PT2_iSB_SB_,@object ; @__PRETTY_FUNCTION__._Z39paged_attention_ll4mi_QKV_mfma16_kernelIDF16_hLN4vllm18Fp8KVCacheDataTypeE1EhLi32ELi64ELi256ELb0ELi14EEvPKT_PKT0_S7_ifPKiS9_S9_iPKfiiiPfSC_PS2_PT2_iSB_SB_
__PRETTY_FUNCTION__._Z39paged_attention_ll4mi_QKV_mfma16_kernelIDF16_hLN4vllm18Fp8KVCacheDataTypeE1EhLi32ELi64ELi256ELb0ELi14EEvPKT_PKT0_S7_ifPKiS9_S9_iPKfiiiPfSC_PS2_PT2_iSB_SB_:
	.asciz	"void paged_attention_ll4mi_QKV_mfma16_kernel(const scalar_t *__restrict, const cache_t *__restrict, const cache_t *__restrict, const int, const float, const int *__restrict, const int *__restrict, const int *__restrict, const int, const float *__restrict, const int, const int, const int, float *__restrict, float *__restrict, scalar_t *__restrict, OUTT *__restrict, int, const float *, const float *) [scalar_t = _Float16, cache_t = unsigned char, KV_DTYPE = vllm::Fp8KVCacheDataType::kFp8E4M3, OUTT = unsigned char, BLOCK_SIZE = 32, HEAD_SIZE = 64, NUM_THREADS = 256, ALIBI_ENABLED = false, GQA_RATIO = 14]"
	.size	__PRETTY_FUNCTION__._Z39paged_attention_ll4mi_QKV_mfma16_kernelIDF16_hLN4vllm18Fp8KVCacheDataTypeE1EhLi32ELi64ELi256ELb0ELi14EEvPKT_PKT0_S7_ifPKiS9_S9_iPKfiiiPfSC_PS2_PT2_iSB_SB_, 609

	.type	__PRETTY_FUNCTION__._Z39paged_attention_ll4mi_QKV_mfma16_kernelIDF16_hLN4vllm18Fp8KVCacheDataTypeE1EhLi32ELi64ELi256ELb0ELi15EEvPKT_PKT0_S7_ifPKiS9_S9_iPKfiiiPfSC_PS2_PT2_iSB_SB_,@object ; @__PRETTY_FUNCTION__._Z39paged_attention_ll4mi_QKV_mfma16_kernelIDF16_hLN4vllm18Fp8KVCacheDataTypeE1EhLi32ELi64ELi256ELb0ELi15EEvPKT_PKT0_S7_ifPKiS9_S9_iPKfiiiPfSC_PS2_PT2_iSB_SB_
__PRETTY_FUNCTION__._Z39paged_attention_ll4mi_QKV_mfma16_kernelIDF16_hLN4vllm18Fp8KVCacheDataTypeE1EhLi32ELi64ELi256ELb0ELi15EEvPKT_PKT0_S7_ifPKiS9_S9_iPKfiiiPfSC_PS2_PT2_iSB_SB_:
	.asciz	"void paged_attention_ll4mi_QKV_mfma16_kernel(const scalar_t *__restrict, const cache_t *__restrict, const cache_t *__restrict, const int, const float, const int *__restrict, const int *__restrict, const int *__restrict, const int, const float *__restrict, const int, const int, const int, float *__restrict, float *__restrict, scalar_t *__restrict, OUTT *__restrict, int, const float *, const float *) [scalar_t = _Float16, cache_t = unsigned char, KV_DTYPE = vllm::Fp8KVCacheDataType::kFp8E4M3, OUTT = unsigned char, BLOCK_SIZE = 32, HEAD_SIZE = 64, NUM_THREADS = 256, ALIBI_ENABLED = false, GQA_RATIO = 15]"
	.size	__PRETTY_FUNCTION__._Z39paged_attention_ll4mi_QKV_mfma16_kernelIDF16_hLN4vllm18Fp8KVCacheDataTypeE1EhLi32ELi64ELi256ELb0ELi15EEvPKT_PKT0_S7_ifPKiS9_S9_iPKfiiiPfSC_PS2_PT2_iSB_SB_, 609

	.type	__PRETTY_FUNCTION__._Z39paged_attention_ll4mi_QKV_mfma16_kernelIDF16_hLN4vllm18Fp8KVCacheDataTypeE1EhLi32ELi64ELi256ELb0ELi16EEvPKT_PKT0_S7_ifPKiS9_S9_iPKfiiiPfSC_PS2_PT2_iSB_SB_,@object ; @__PRETTY_FUNCTION__._Z39paged_attention_ll4mi_QKV_mfma16_kernelIDF16_hLN4vllm18Fp8KVCacheDataTypeE1EhLi32ELi64ELi256ELb0ELi16EEvPKT_PKT0_S7_ifPKiS9_S9_iPKfiiiPfSC_PS2_PT2_iSB_SB_
__PRETTY_FUNCTION__._Z39paged_attention_ll4mi_QKV_mfma16_kernelIDF16_hLN4vllm18Fp8KVCacheDataTypeE1EhLi32ELi64ELi256ELb0ELi16EEvPKT_PKT0_S7_ifPKiS9_S9_iPKfiiiPfSC_PS2_PT2_iSB_SB_:
	.asciz	"void paged_attention_ll4mi_QKV_mfma16_kernel(const scalar_t *__restrict, const cache_t *__restrict, const cache_t *__restrict, const int, const float, const int *__restrict, const int *__restrict, const int *__restrict, const int, const float *__restrict, const int, const int, const int, float *__restrict, float *__restrict, scalar_t *__restrict, OUTT *__restrict, int, const float *, const float *) [scalar_t = _Float16, cache_t = unsigned char, KV_DTYPE = vllm::Fp8KVCacheDataType::kFp8E4M3, OUTT = unsigned char, BLOCK_SIZE = 32, HEAD_SIZE = 64, NUM_THREADS = 256, ALIBI_ENABLED = false, GQA_RATIO = 16]"
	.size	__PRETTY_FUNCTION__._Z39paged_attention_ll4mi_QKV_mfma16_kernelIDF16_hLN4vllm18Fp8KVCacheDataTypeE1EhLi32ELi64ELi256ELb0ELi16EEvPKT_PKT0_S7_ifPKiS9_S9_iPKfiiiPfSC_PS2_PT2_iSB_SB_, 609

	.type	__PRETTY_FUNCTION__._Z39paged_attention_ll4mi_QKV_mfma16_kernelIDF16_hLN4vllm18Fp8KVCacheDataTypeE1EhLi32ELi64ELi256ELb0ELi1EEvPKT_PKT0_S7_ifPKiS9_S9_iPKfiiiPfSC_PS2_PT2_iSB_SB_,@object ; @__PRETTY_FUNCTION__._Z39paged_attention_ll4mi_QKV_mfma16_kernelIDF16_hLN4vllm18Fp8KVCacheDataTypeE1EhLi32ELi64ELi256ELb0ELi1EEvPKT_PKT0_S7_ifPKiS9_S9_iPKfiiiPfSC_PS2_PT2_iSB_SB_
__PRETTY_FUNCTION__._Z39paged_attention_ll4mi_QKV_mfma16_kernelIDF16_hLN4vllm18Fp8KVCacheDataTypeE1EhLi32ELi64ELi256ELb0ELi1EEvPKT_PKT0_S7_ifPKiS9_S9_iPKfiiiPfSC_PS2_PT2_iSB_SB_:
	.asciz	"void paged_attention_ll4mi_QKV_mfma16_kernel(const scalar_t *__restrict, const cache_t *__restrict, const cache_t *__restrict, const int, const float, const int *__restrict, const int *__restrict, const int *__restrict, const int, const float *__restrict, const int, const int, const int, float *__restrict, float *__restrict, scalar_t *__restrict, OUTT *__restrict, int, const float *, const float *) [scalar_t = _Float16, cache_t = unsigned char, KV_DTYPE = vllm::Fp8KVCacheDataType::kFp8E4M3, OUTT = unsigned char, BLOCK_SIZE = 32, HEAD_SIZE = 64, NUM_THREADS = 256, ALIBI_ENABLED = false, GQA_RATIO = 1]"
	.size	__PRETTY_FUNCTION__._Z39paged_attention_ll4mi_QKV_mfma16_kernelIDF16_hLN4vllm18Fp8KVCacheDataTypeE1EhLi32ELi64ELi256ELb0ELi1EEvPKT_PKT0_S7_ifPKiS9_S9_iPKfiiiPfSC_PS2_PT2_iSB_SB_, 608

	.type	__PRETTY_FUNCTION__._Z39paged_attention_ll4mi_QKV_mfma16_kernelIDF16_hLN4vllm18Fp8KVCacheDataTypeE1EhLi32ELi64ELi256ELb0ELi2EEvPKT_PKT0_S7_ifPKiS9_S9_iPKfiiiPfSC_PS2_PT2_iSB_SB_,@object ; @__PRETTY_FUNCTION__._Z39paged_attention_ll4mi_QKV_mfma16_kernelIDF16_hLN4vllm18Fp8KVCacheDataTypeE1EhLi32ELi64ELi256ELb0ELi2EEvPKT_PKT0_S7_ifPKiS9_S9_iPKfiiiPfSC_PS2_PT2_iSB_SB_
__PRETTY_FUNCTION__._Z39paged_attention_ll4mi_QKV_mfma16_kernelIDF16_hLN4vllm18Fp8KVCacheDataTypeE1EhLi32ELi64ELi256ELb0ELi2EEvPKT_PKT0_S7_ifPKiS9_S9_iPKfiiiPfSC_PS2_PT2_iSB_SB_:
	.asciz	"void paged_attention_ll4mi_QKV_mfma16_kernel(const scalar_t *__restrict, const cache_t *__restrict, const cache_t *__restrict, const int, const float, const int *__restrict, const int *__restrict, const int *__restrict, const int, const float *__restrict, const int, const int, const int, float *__restrict, float *__restrict, scalar_t *__restrict, OUTT *__restrict, int, const float *, const float *) [scalar_t = _Float16, cache_t = unsigned char, KV_DTYPE = vllm::Fp8KVCacheDataType::kFp8E4M3, OUTT = unsigned char, BLOCK_SIZE = 32, HEAD_SIZE = 64, NUM_THREADS = 256, ALIBI_ENABLED = false, GQA_RATIO = 2]"
	.size	__PRETTY_FUNCTION__._Z39paged_attention_ll4mi_QKV_mfma16_kernelIDF16_hLN4vllm18Fp8KVCacheDataTypeE1EhLi32ELi64ELi256ELb0ELi2EEvPKT_PKT0_S7_ifPKiS9_S9_iPKfiiiPfSC_PS2_PT2_iSB_SB_, 608

	.type	__PRETTY_FUNCTION__._Z39paged_attention_ll4mi_QKV_mfma16_kernelIDF16_hLN4vllm18Fp8KVCacheDataTypeE1EhLi32ELi64ELi256ELb0ELi3EEvPKT_PKT0_S7_ifPKiS9_S9_iPKfiiiPfSC_PS2_PT2_iSB_SB_,@object ; @__PRETTY_FUNCTION__._Z39paged_attention_ll4mi_QKV_mfma16_kernelIDF16_hLN4vllm18Fp8KVCacheDataTypeE1EhLi32ELi64ELi256ELb0ELi3EEvPKT_PKT0_S7_ifPKiS9_S9_iPKfiiiPfSC_PS2_PT2_iSB_SB_
__PRETTY_FUNCTION__._Z39paged_attention_ll4mi_QKV_mfma16_kernelIDF16_hLN4vllm18Fp8KVCacheDataTypeE1EhLi32ELi64ELi256ELb0ELi3EEvPKT_PKT0_S7_ifPKiS9_S9_iPKfiiiPfSC_PS2_PT2_iSB_SB_:
	.asciz	"void paged_attention_ll4mi_QKV_mfma16_kernel(const scalar_t *__restrict, const cache_t *__restrict, const cache_t *__restrict, const int, const float, const int *__restrict, const int *__restrict, const int *__restrict, const int, const float *__restrict, const int, const int, const int, float *__restrict, float *__restrict, scalar_t *__restrict, OUTT *__restrict, int, const float *, const float *) [scalar_t = _Float16, cache_t = unsigned char, KV_DTYPE = vllm::Fp8KVCacheDataType::kFp8E4M3, OUTT = unsigned char, BLOCK_SIZE = 32, HEAD_SIZE = 64, NUM_THREADS = 256, ALIBI_ENABLED = false, GQA_RATIO = 3]"
	.size	__PRETTY_FUNCTION__._Z39paged_attention_ll4mi_QKV_mfma16_kernelIDF16_hLN4vllm18Fp8KVCacheDataTypeE1EhLi32ELi64ELi256ELb0ELi3EEvPKT_PKT0_S7_ifPKiS9_S9_iPKfiiiPfSC_PS2_PT2_iSB_SB_, 608

	.type	__PRETTY_FUNCTION__._Z39paged_attention_ll4mi_QKV_mfma16_kernelIDF16_hLN4vllm18Fp8KVCacheDataTypeE1EhLi32ELi64ELi256ELb0ELi4EEvPKT_PKT0_S7_ifPKiS9_S9_iPKfiiiPfSC_PS2_PT2_iSB_SB_,@object ; @__PRETTY_FUNCTION__._Z39paged_attention_ll4mi_QKV_mfma16_kernelIDF16_hLN4vllm18Fp8KVCacheDataTypeE1EhLi32ELi64ELi256ELb0ELi4EEvPKT_PKT0_S7_ifPKiS9_S9_iPKfiiiPfSC_PS2_PT2_iSB_SB_
__PRETTY_FUNCTION__._Z39paged_attention_ll4mi_QKV_mfma16_kernelIDF16_hLN4vllm18Fp8KVCacheDataTypeE1EhLi32ELi64ELi256ELb0ELi4EEvPKT_PKT0_S7_ifPKiS9_S9_iPKfiiiPfSC_PS2_PT2_iSB_SB_:
	.asciz	"void paged_attention_ll4mi_QKV_mfma16_kernel(const scalar_t *__restrict, const cache_t *__restrict, const cache_t *__restrict, const int, const float, const int *__restrict, const int *__restrict, const int *__restrict, const int, const float *__restrict, const int, const int, const int, float *__restrict, float *__restrict, scalar_t *__restrict, OUTT *__restrict, int, const float *, const float *) [scalar_t = _Float16, cache_t = unsigned char, KV_DTYPE = vllm::Fp8KVCacheDataType::kFp8E4M3, OUTT = unsigned char, BLOCK_SIZE = 32, HEAD_SIZE = 64, NUM_THREADS = 256, ALIBI_ENABLED = false, GQA_RATIO = 4]"
	.size	__PRETTY_FUNCTION__._Z39paged_attention_ll4mi_QKV_mfma16_kernelIDF16_hLN4vllm18Fp8KVCacheDataTypeE1EhLi32ELi64ELi256ELb0ELi4EEvPKT_PKT0_S7_ifPKiS9_S9_iPKfiiiPfSC_PS2_PT2_iSB_SB_, 608

	.type	__PRETTY_FUNCTION__._Z38paged_attention_ll4mi_QKV_mfma4_kernelIDF16_hLN4vllm18Fp8KVCacheDataTypeE1EDF16_Li32ELi64ELi256ELb1ELi1EEvPKT_PKT0_S7_ifPKiS9_S9_iPKfiiiPfSC_PS2_PT2_iSB_SB_,@object ; @__PRETTY_FUNCTION__._Z38paged_attention_ll4mi_QKV_mfma4_kernelIDF16_hLN4vllm18Fp8KVCacheDataTypeE1EDF16_Li32ELi64ELi256ELb1ELi1EEvPKT_PKT0_S7_ifPKiS9_S9_iPKfiiiPfSC_PS2_PT2_iSB_SB_
__PRETTY_FUNCTION__._Z38paged_attention_ll4mi_QKV_mfma4_kernelIDF16_hLN4vllm18Fp8KVCacheDataTypeE1EDF16_Li32ELi64ELi256ELb1ELi1EEvPKT_PKT0_S7_ifPKiS9_S9_iPKfiiiPfSC_PS2_PT2_iSB_SB_:
	.asciz	"void paged_attention_ll4mi_QKV_mfma4_kernel(const scalar_t *__restrict, const cache_t *__restrict, const cache_t *__restrict, const int, const float, const int *__restrict, const int *__restrict, const int *__restrict, const int, const float *__restrict, const int, const int, const int, float *__restrict, float *__restrict, scalar_t *__restrict, OUTT *__restrict, int, const float *, const float *) [scalar_t = _Float16, cache_t = unsigned char, KV_DTYPE = vllm::Fp8KVCacheDataType::kFp8E4M3, OUTT = _Float16, BLOCK_SIZE = 32, HEAD_SIZE = 64, NUM_THREADS = 256, ALIBI_ENABLED = true, GQA_RATIO = 1]"
	.size	__PRETTY_FUNCTION__._Z38paged_attention_ll4mi_QKV_mfma4_kernelIDF16_hLN4vllm18Fp8KVCacheDataTypeE1EDF16_Li32ELi64ELi256ELb1ELi1EEvPKT_PKT0_S7_ifPKiS9_S9_iPKfiiiPfSC_PS2_PT2_iSB_SB_, 601

	.type	__PRETTY_FUNCTION__._Z38paged_attention_ll4mi_QKV_mfma4_kernelIDF16_hLN4vllm18Fp8KVCacheDataTypeE1EDF16_Li32ELi64ELi256ELb1ELi2EEvPKT_PKT0_S7_ifPKiS9_S9_iPKfiiiPfSC_PS2_PT2_iSB_SB_,@object ; @__PRETTY_FUNCTION__._Z38paged_attention_ll4mi_QKV_mfma4_kernelIDF16_hLN4vllm18Fp8KVCacheDataTypeE1EDF16_Li32ELi64ELi256ELb1ELi2EEvPKT_PKT0_S7_ifPKiS9_S9_iPKfiiiPfSC_PS2_PT2_iSB_SB_
__PRETTY_FUNCTION__._Z38paged_attention_ll4mi_QKV_mfma4_kernelIDF16_hLN4vllm18Fp8KVCacheDataTypeE1EDF16_Li32ELi64ELi256ELb1ELi2EEvPKT_PKT0_S7_ifPKiS9_S9_iPKfiiiPfSC_PS2_PT2_iSB_SB_:
	.asciz	"void paged_attention_ll4mi_QKV_mfma4_kernel(const scalar_t *__restrict, const cache_t *__restrict, const cache_t *__restrict, const int, const float, const int *__restrict, const int *__restrict, const int *__restrict, const int, const float *__restrict, const int, const int, const int, float *__restrict, float *__restrict, scalar_t *__restrict, OUTT *__restrict, int, const float *, const float *) [scalar_t = _Float16, cache_t = unsigned char, KV_DTYPE = vllm::Fp8KVCacheDataType::kFp8E4M3, OUTT = _Float16, BLOCK_SIZE = 32, HEAD_SIZE = 64, NUM_THREADS = 256, ALIBI_ENABLED = true, GQA_RATIO = 2]"
	.size	__PRETTY_FUNCTION__._Z38paged_attention_ll4mi_QKV_mfma4_kernelIDF16_hLN4vllm18Fp8KVCacheDataTypeE1EDF16_Li32ELi64ELi256ELb1ELi2EEvPKT_PKT0_S7_ifPKiS9_S9_iPKfiiiPfSC_PS2_PT2_iSB_SB_, 601

	.type	__PRETTY_FUNCTION__._Z38paged_attention_ll4mi_QKV_mfma4_kernelIDF16_hLN4vllm18Fp8KVCacheDataTypeE1EDF16_Li32ELi64ELi256ELb1ELi3EEvPKT_PKT0_S7_ifPKiS9_S9_iPKfiiiPfSC_PS2_PT2_iSB_SB_,@object ; @__PRETTY_FUNCTION__._Z38paged_attention_ll4mi_QKV_mfma4_kernelIDF16_hLN4vllm18Fp8KVCacheDataTypeE1EDF16_Li32ELi64ELi256ELb1ELi3EEvPKT_PKT0_S7_ifPKiS9_S9_iPKfiiiPfSC_PS2_PT2_iSB_SB_
__PRETTY_FUNCTION__._Z38paged_attention_ll4mi_QKV_mfma4_kernelIDF16_hLN4vllm18Fp8KVCacheDataTypeE1EDF16_Li32ELi64ELi256ELb1ELi3EEvPKT_PKT0_S7_ifPKiS9_S9_iPKfiiiPfSC_PS2_PT2_iSB_SB_:
	.asciz	"void paged_attention_ll4mi_QKV_mfma4_kernel(const scalar_t *__restrict, const cache_t *__restrict, const cache_t *__restrict, const int, const float, const int *__restrict, const int *__restrict, const int *__restrict, const int, const float *__restrict, const int, const int, const int, float *__restrict, float *__restrict, scalar_t *__restrict, OUTT *__restrict, int, const float *, const float *) [scalar_t = _Float16, cache_t = unsigned char, KV_DTYPE = vllm::Fp8KVCacheDataType::kFp8E4M3, OUTT = _Float16, BLOCK_SIZE = 32, HEAD_SIZE = 64, NUM_THREADS = 256, ALIBI_ENABLED = true, GQA_RATIO = 3]"
	.size	__PRETTY_FUNCTION__._Z38paged_attention_ll4mi_QKV_mfma4_kernelIDF16_hLN4vllm18Fp8KVCacheDataTypeE1EDF16_Li32ELi64ELi256ELb1ELi3EEvPKT_PKT0_S7_ifPKiS9_S9_iPKfiiiPfSC_PS2_PT2_iSB_SB_, 601

	.type	__PRETTY_FUNCTION__._Z38paged_attention_ll4mi_QKV_mfma4_kernelIDF16_hLN4vllm18Fp8KVCacheDataTypeE1EDF16_Li32ELi64ELi256ELb1ELi4EEvPKT_PKT0_S7_ifPKiS9_S9_iPKfiiiPfSC_PS2_PT2_iSB_SB_,@object ; @__PRETTY_FUNCTION__._Z38paged_attention_ll4mi_QKV_mfma4_kernelIDF16_hLN4vllm18Fp8KVCacheDataTypeE1EDF16_Li32ELi64ELi256ELb1ELi4EEvPKT_PKT0_S7_ifPKiS9_S9_iPKfiiiPfSC_PS2_PT2_iSB_SB_
__PRETTY_FUNCTION__._Z38paged_attention_ll4mi_QKV_mfma4_kernelIDF16_hLN4vllm18Fp8KVCacheDataTypeE1EDF16_Li32ELi64ELi256ELb1ELi4EEvPKT_PKT0_S7_ifPKiS9_S9_iPKfiiiPfSC_PS2_PT2_iSB_SB_:
	.asciz	"void paged_attention_ll4mi_QKV_mfma4_kernel(const scalar_t *__restrict, const cache_t *__restrict, const cache_t *__restrict, const int, const float, const int *__restrict, const int *__restrict, const int *__restrict, const int, const float *__restrict, const int, const int, const int, float *__restrict, float *__restrict, scalar_t *__restrict, OUTT *__restrict, int, const float *, const float *) [scalar_t = _Float16, cache_t = unsigned char, KV_DTYPE = vllm::Fp8KVCacheDataType::kFp8E4M3, OUTT = _Float16, BLOCK_SIZE = 32, HEAD_SIZE = 64, NUM_THREADS = 256, ALIBI_ENABLED = true, GQA_RATIO = 4]"
	.size	__PRETTY_FUNCTION__._Z38paged_attention_ll4mi_QKV_mfma4_kernelIDF16_hLN4vllm18Fp8KVCacheDataTypeE1EDF16_Li32ELi64ELi256ELb1ELi4EEvPKT_PKT0_S7_ifPKiS9_S9_iPKfiiiPfSC_PS2_PT2_iSB_SB_, 601

	.type	__PRETTY_FUNCTION__._Z39paged_attention_ll4mi_QKV_mfma16_kernelIDF16_hLN4vllm18Fp8KVCacheDataTypeE1EDF16_Li32ELi64ELi256ELb1ELi5EEvPKT_PKT0_S7_ifPKiS9_S9_iPKfiiiPfSC_PS2_PT2_iSB_SB_,@object ; @__PRETTY_FUNCTION__._Z39paged_attention_ll4mi_QKV_mfma16_kernelIDF16_hLN4vllm18Fp8KVCacheDataTypeE1EDF16_Li32ELi64ELi256ELb1ELi5EEvPKT_PKT0_S7_ifPKiS9_S9_iPKfiiiPfSC_PS2_PT2_iSB_SB_
__PRETTY_FUNCTION__._Z39paged_attention_ll4mi_QKV_mfma16_kernelIDF16_hLN4vllm18Fp8KVCacheDataTypeE1EDF16_Li32ELi64ELi256ELb1ELi5EEvPKT_PKT0_S7_ifPKiS9_S9_iPKfiiiPfSC_PS2_PT2_iSB_SB_:
	.asciz	"void paged_attention_ll4mi_QKV_mfma16_kernel(const scalar_t *__restrict, const cache_t *__restrict, const cache_t *__restrict, const int, const float, const int *__restrict, const int *__restrict, const int *__restrict, const int, const float *__restrict, const int, const int, const int, float *__restrict, float *__restrict, scalar_t *__restrict, OUTT *__restrict, int, const float *, const float *) [scalar_t = _Float16, cache_t = unsigned char, KV_DTYPE = vllm::Fp8KVCacheDataType::kFp8E4M3, OUTT = _Float16, BLOCK_SIZE = 32, HEAD_SIZE = 64, NUM_THREADS = 256, ALIBI_ENABLED = true, GQA_RATIO = 5]"
	.size	__PRETTY_FUNCTION__._Z39paged_attention_ll4mi_QKV_mfma16_kernelIDF16_hLN4vllm18Fp8KVCacheDataTypeE1EDF16_Li32ELi64ELi256ELb1ELi5EEvPKT_PKT0_S7_ifPKiS9_S9_iPKfiiiPfSC_PS2_PT2_iSB_SB_, 602

	.type	__PRETTY_FUNCTION__._Z39paged_attention_ll4mi_QKV_mfma16_kernelIDF16_hLN4vllm18Fp8KVCacheDataTypeE1EDF16_Li32ELi64ELi256ELb1ELi6EEvPKT_PKT0_S7_ifPKiS9_S9_iPKfiiiPfSC_PS2_PT2_iSB_SB_,@object ; @__PRETTY_FUNCTION__._Z39paged_attention_ll4mi_QKV_mfma16_kernelIDF16_hLN4vllm18Fp8KVCacheDataTypeE1EDF16_Li32ELi64ELi256ELb1ELi6EEvPKT_PKT0_S7_ifPKiS9_S9_iPKfiiiPfSC_PS2_PT2_iSB_SB_
__PRETTY_FUNCTION__._Z39paged_attention_ll4mi_QKV_mfma16_kernelIDF16_hLN4vllm18Fp8KVCacheDataTypeE1EDF16_Li32ELi64ELi256ELb1ELi6EEvPKT_PKT0_S7_ifPKiS9_S9_iPKfiiiPfSC_PS2_PT2_iSB_SB_:
	.asciz	"void paged_attention_ll4mi_QKV_mfma16_kernel(const scalar_t *__restrict, const cache_t *__restrict, const cache_t *__restrict, const int, const float, const int *__restrict, const int *__restrict, const int *__restrict, const int, const float *__restrict, const int, const int, const int, float *__restrict, float *__restrict, scalar_t *__restrict, OUTT *__restrict, int, const float *, const float *) [scalar_t = _Float16, cache_t = unsigned char, KV_DTYPE = vllm::Fp8KVCacheDataType::kFp8E4M3, OUTT = _Float16, BLOCK_SIZE = 32, HEAD_SIZE = 64, NUM_THREADS = 256, ALIBI_ENABLED = true, GQA_RATIO = 6]"
	.size	__PRETTY_FUNCTION__._Z39paged_attention_ll4mi_QKV_mfma16_kernelIDF16_hLN4vllm18Fp8KVCacheDataTypeE1EDF16_Li32ELi64ELi256ELb1ELi6EEvPKT_PKT0_S7_ifPKiS9_S9_iPKfiiiPfSC_PS2_PT2_iSB_SB_, 602

	.type	__PRETTY_FUNCTION__._Z39paged_attention_ll4mi_QKV_mfma16_kernelIDF16_hLN4vllm18Fp8KVCacheDataTypeE1EDF16_Li32ELi64ELi256ELb1ELi7EEvPKT_PKT0_S7_ifPKiS9_S9_iPKfiiiPfSC_PS2_PT2_iSB_SB_,@object ; @__PRETTY_FUNCTION__._Z39paged_attention_ll4mi_QKV_mfma16_kernelIDF16_hLN4vllm18Fp8KVCacheDataTypeE1EDF16_Li32ELi64ELi256ELb1ELi7EEvPKT_PKT0_S7_ifPKiS9_S9_iPKfiiiPfSC_PS2_PT2_iSB_SB_
__PRETTY_FUNCTION__._Z39paged_attention_ll4mi_QKV_mfma16_kernelIDF16_hLN4vllm18Fp8KVCacheDataTypeE1EDF16_Li32ELi64ELi256ELb1ELi7EEvPKT_PKT0_S7_ifPKiS9_S9_iPKfiiiPfSC_PS2_PT2_iSB_SB_:
	.asciz	"void paged_attention_ll4mi_QKV_mfma16_kernel(const scalar_t *__restrict, const cache_t *__restrict, const cache_t *__restrict, const int, const float, const int *__restrict, const int *__restrict, const int *__restrict, const int, const float *__restrict, const int, const int, const int, float *__restrict, float *__restrict, scalar_t *__restrict, OUTT *__restrict, int, const float *, const float *) [scalar_t = _Float16, cache_t = unsigned char, KV_DTYPE = vllm::Fp8KVCacheDataType::kFp8E4M3, OUTT = _Float16, BLOCK_SIZE = 32, HEAD_SIZE = 64, NUM_THREADS = 256, ALIBI_ENABLED = true, GQA_RATIO = 7]"
	.size	__PRETTY_FUNCTION__._Z39paged_attention_ll4mi_QKV_mfma16_kernelIDF16_hLN4vllm18Fp8KVCacheDataTypeE1EDF16_Li32ELi64ELi256ELb1ELi7EEvPKT_PKT0_S7_ifPKiS9_S9_iPKfiiiPfSC_PS2_PT2_iSB_SB_, 602

	.type	__PRETTY_FUNCTION__._Z39paged_attention_ll4mi_QKV_mfma16_kernelIDF16_hLN4vllm18Fp8KVCacheDataTypeE1EDF16_Li32ELi64ELi256ELb1ELi8EEvPKT_PKT0_S7_ifPKiS9_S9_iPKfiiiPfSC_PS2_PT2_iSB_SB_,@object ; @__PRETTY_FUNCTION__._Z39paged_attention_ll4mi_QKV_mfma16_kernelIDF16_hLN4vllm18Fp8KVCacheDataTypeE1EDF16_Li32ELi64ELi256ELb1ELi8EEvPKT_PKT0_S7_ifPKiS9_S9_iPKfiiiPfSC_PS2_PT2_iSB_SB_
__PRETTY_FUNCTION__._Z39paged_attention_ll4mi_QKV_mfma16_kernelIDF16_hLN4vllm18Fp8KVCacheDataTypeE1EDF16_Li32ELi64ELi256ELb1ELi8EEvPKT_PKT0_S7_ifPKiS9_S9_iPKfiiiPfSC_PS2_PT2_iSB_SB_:
	.asciz	"void paged_attention_ll4mi_QKV_mfma16_kernel(const scalar_t *__restrict, const cache_t *__restrict, const cache_t *__restrict, const int, const float, const int *__restrict, const int *__restrict, const int *__restrict, const int, const float *__restrict, const int, const int, const int, float *__restrict, float *__restrict, scalar_t *__restrict, OUTT *__restrict, int, const float *, const float *) [scalar_t = _Float16, cache_t = unsigned char, KV_DTYPE = vllm::Fp8KVCacheDataType::kFp8E4M3, OUTT = _Float16, BLOCK_SIZE = 32, HEAD_SIZE = 64, NUM_THREADS = 256, ALIBI_ENABLED = true, GQA_RATIO = 8]"
	.size	__PRETTY_FUNCTION__._Z39paged_attention_ll4mi_QKV_mfma16_kernelIDF16_hLN4vllm18Fp8KVCacheDataTypeE1EDF16_Li32ELi64ELi256ELb1ELi8EEvPKT_PKT0_S7_ifPKiS9_S9_iPKfiiiPfSC_PS2_PT2_iSB_SB_, 602

	.type	__PRETTY_FUNCTION__._Z39paged_attention_ll4mi_QKV_mfma16_kernelIDF16_hLN4vllm18Fp8KVCacheDataTypeE1EDF16_Li32ELi64ELi256ELb1ELi9EEvPKT_PKT0_S7_ifPKiS9_S9_iPKfiiiPfSC_PS2_PT2_iSB_SB_,@object ; @__PRETTY_FUNCTION__._Z39paged_attention_ll4mi_QKV_mfma16_kernelIDF16_hLN4vllm18Fp8KVCacheDataTypeE1EDF16_Li32ELi64ELi256ELb1ELi9EEvPKT_PKT0_S7_ifPKiS9_S9_iPKfiiiPfSC_PS2_PT2_iSB_SB_
__PRETTY_FUNCTION__._Z39paged_attention_ll4mi_QKV_mfma16_kernelIDF16_hLN4vllm18Fp8KVCacheDataTypeE1EDF16_Li32ELi64ELi256ELb1ELi9EEvPKT_PKT0_S7_ifPKiS9_S9_iPKfiiiPfSC_PS2_PT2_iSB_SB_:
	.asciz	"void paged_attention_ll4mi_QKV_mfma16_kernel(const scalar_t *__restrict, const cache_t *__restrict, const cache_t *__restrict, const int, const float, const int *__restrict, const int *__restrict, const int *__restrict, const int, const float *__restrict, const int, const int, const int, float *__restrict, float *__restrict, scalar_t *__restrict, OUTT *__restrict, int, const float *, const float *) [scalar_t = _Float16, cache_t = unsigned char, KV_DTYPE = vllm::Fp8KVCacheDataType::kFp8E4M3, OUTT = _Float16, BLOCK_SIZE = 32, HEAD_SIZE = 64, NUM_THREADS = 256, ALIBI_ENABLED = true, GQA_RATIO = 9]"
	.size	__PRETTY_FUNCTION__._Z39paged_attention_ll4mi_QKV_mfma16_kernelIDF16_hLN4vllm18Fp8KVCacheDataTypeE1EDF16_Li32ELi64ELi256ELb1ELi9EEvPKT_PKT0_S7_ifPKiS9_S9_iPKfiiiPfSC_PS2_PT2_iSB_SB_, 602

	.type	__PRETTY_FUNCTION__._Z39paged_attention_ll4mi_QKV_mfma16_kernelIDF16_hLN4vllm18Fp8KVCacheDataTypeE1EDF16_Li32ELi64ELi256ELb1ELi10EEvPKT_PKT0_S7_ifPKiS9_S9_iPKfiiiPfSC_PS2_PT2_iSB_SB_,@object ; @__PRETTY_FUNCTION__._Z39paged_attention_ll4mi_QKV_mfma16_kernelIDF16_hLN4vllm18Fp8KVCacheDataTypeE1EDF16_Li32ELi64ELi256ELb1ELi10EEvPKT_PKT0_S7_ifPKiS9_S9_iPKfiiiPfSC_PS2_PT2_iSB_SB_
__PRETTY_FUNCTION__._Z39paged_attention_ll4mi_QKV_mfma16_kernelIDF16_hLN4vllm18Fp8KVCacheDataTypeE1EDF16_Li32ELi64ELi256ELb1ELi10EEvPKT_PKT0_S7_ifPKiS9_S9_iPKfiiiPfSC_PS2_PT2_iSB_SB_:
	.asciz	"void paged_attention_ll4mi_QKV_mfma16_kernel(const scalar_t *__restrict, const cache_t *__restrict, const cache_t *__restrict, const int, const float, const int *__restrict, const int *__restrict, const int *__restrict, const int, const float *__restrict, const int, const int, const int, float *__restrict, float *__restrict, scalar_t *__restrict, OUTT *__restrict, int, const float *, const float *) [scalar_t = _Float16, cache_t = unsigned char, KV_DTYPE = vllm::Fp8KVCacheDataType::kFp8E4M3, OUTT = _Float16, BLOCK_SIZE = 32, HEAD_SIZE = 64, NUM_THREADS = 256, ALIBI_ENABLED = true, GQA_RATIO = 10]"
	.size	__PRETTY_FUNCTION__._Z39paged_attention_ll4mi_QKV_mfma16_kernelIDF16_hLN4vllm18Fp8KVCacheDataTypeE1EDF16_Li32ELi64ELi256ELb1ELi10EEvPKT_PKT0_S7_ifPKiS9_S9_iPKfiiiPfSC_PS2_PT2_iSB_SB_, 603

	.type	__PRETTY_FUNCTION__._Z39paged_attention_ll4mi_QKV_mfma16_kernelIDF16_hLN4vllm18Fp8KVCacheDataTypeE1EDF16_Li32ELi64ELi256ELb1ELi11EEvPKT_PKT0_S7_ifPKiS9_S9_iPKfiiiPfSC_PS2_PT2_iSB_SB_,@object ; @__PRETTY_FUNCTION__._Z39paged_attention_ll4mi_QKV_mfma16_kernelIDF16_hLN4vllm18Fp8KVCacheDataTypeE1EDF16_Li32ELi64ELi256ELb1ELi11EEvPKT_PKT0_S7_ifPKiS9_S9_iPKfiiiPfSC_PS2_PT2_iSB_SB_
__PRETTY_FUNCTION__._Z39paged_attention_ll4mi_QKV_mfma16_kernelIDF16_hLN4vllm18Fp8KVCacheDataTypeE1EDF16_Li32ELi64ELi256ELb1ELi11EEvPKT_PKT0_S7_ifPKiS9_S9_iPKfiiiPfSC_PS2_PT2_iSB_SB_:
	.asciz	"void paged_attention_ll4mi_QKV_mfma16_kernel(const scalar_t *__restrict, const cache_t *__restrict, const cache_t *__restrict, const int, const float, const int *__restrict, const int *__restrict, const int *__restrict, const int, const float *__restrict, const int, const int, const int, float *__restrict, float *__restrict, scalar_t *__restrict, OUTT *__restrict, int, const float *, const float *) [scalar_t = _Float16, cache_t = unsigned char, KV_DTYPE = vllm::Fp8KVCacheDataType::kFp8E4M3, OUTT = _Float16, BLOCK_SIZE = 32, HEAD_SIZE = 64, NUM_THREADS = 256, ALIBI_ENABLED = true, GQA_RATIO = 11]"
	.size	__PRETTY_FUNCTION__._Z39paged_attention_ll4mi_QKV_mfma16_kernelIDF16_hLN4vllm18Fp8KVCacheDataTypeE1EDF16_Li32ELi64ELi256ELb1ELi11EEvPKT_PKT0_S7_ifPKiS9_S9_iPKfiiiPfSC_PS2_PT2_iSB_SB_, 603

	.type	__PRETTY_FUNCTION__._Z39paged_attention_ll4mi_QKV_mfma16_kernelIDF16_hLN4vllm18Fp8KVCacheDataTypeE1EDF16_Li32ELi64ELi256ELb1ELi12EEvPKT_PKT0_S7_ifPKiS9_S9_iPKfiiiPfSC_PS2_PT2_iSB_SB_,@object ; @__PRETTY_FUNCTION__._Z39paged_attention_ll4mi_QKV_mfma16_kernelIDF16_hLN4vllm18Fp8KVCacheDataTypeE1EDF16_Li32ELi64ELi256ELb1ELi12EEvPKT_PKT0_S7_ifPKiS9_S9_iPKfiiiPfSC_PS2_PT2_iSB_SB_
__PRETTY_FUNCTION__._Z39paged_attention_ll4mi_QKV_mfma16_kernelIDF16_hLN4vllm18Fp8KVCacheDataTypeE1EDF16_Li32ELi64ELi256ELb1ELi12EEvPKT_PKT0_S7_ifPKiS9_S9_iPKfiiiPfSC_PS2_PT2_iSB_SB_:
	.asciz	"void paged_attention_ll4mi_QKV_mfma16_kernel(const scalar_t *__restrict, const cache_t *__restrict, const cache_t *__restrict, const int, const float, const int *__restrict, const int *__restrict, const int *__restrict, const int, const float *__restrict, const int, const int, const int, float *__restrict, float *__restrict, scalar_t *__restrict, OUTT *__restrict, int, const float *, const float *) [scalar_t = _Float16, cache_t = unsigned char, KV_DTYPE = vllm::Fp8KVCacheDataType::kFp8E4M3, OUTT = _Float16, BLOCK_SIZE = 32, HEAD_SIZE = 64, NUM_THREADS = 256, ALIBI_ENABLED = true, GQA_RATIO = 12]"
	.size	__PRETTY_FUNCTION__._Z39paged_attention_ll4mi_QKV_mfma16_kernelIDF16_hLN4vllm18Fp8KVCacheDataTypeE1EDF16_Li32ELi64ELi256ELb1ELi12EEvPKT_PKT0_S7_ifPKiS9_S9_iPKfiiiPfSC_PS2_PT2_iSB_SB_, 603

	.type	__PRETTY_FUNCTION__._Z39paged_attention_ll4mi_QKV_mfma16_kernelIDF16_hLN4vllm18Fp8KVCacheDataTypeE1EDF16_Li32ELi64ELi256ELb1ELi13EEvPKT_PKT0_S7_ifPKiS9_S9_iPKfiiiPfSC_PS2_PT2_iSB_SB_,@object ; @__PRETTY_FUNCTION__._Z39paged_attention_ll4mi_QKV_mfma16_kernelIDF16_hLN4vllm18Fp8KVCacheDataTypeE1EDF16_Li32ELi64ELi256ELb1ELi13EEvPKT_PKT0_S7_ifPKiS9_S9_iPKfiiiPfSC_PS2_PT2_iSB_SB_
__PRETTY_FUNCTION__._Z39paged_attention_ll4mi_QKV_mfma16_kernelIDF16_hLN4vllm18Fp8KVCacheDataTypeE1EDF16_Li32ELi64ELi256ELb1ELi13EEvPKT_PKT0_S7_ifPKiS9_S9_iPKfiiiPfSC_PS2_PT2_iSB_SB_:
	.asciz	"void paged_attention_ll4mi_QKV_mfma16_kernel(const scalar_t *__restrict, const cache_t *__restrict, const cache_t *__restrict, const int, const float, const int *__restrict, const int *__restrict, const int *__restrict, const int, const float *__restrict, const int, const int, const int, float *__restrict, float *__restrict, scalar_t *__restrict, OUTT *__restrict, int, const float *, const float *) [scalar_t = _Float16, cache_t = unsigned char, KV_DTYPE = vllm::Fp8KVCacheDataType::kFp8E4M3, OUTT = _Float16, BLOCK_SIZE = 32, HEAD_SIZE = 64, NUM_THREADS = 256, ALIBI_ENABLED = true, GQA_RATIO = 13]"
	.size	__PRETTY_FUNCTION__._Z39paged_attention_ll4mi_QKV_mfma16_kernelIDF16_hLN4vllm18Fp8KVCacheDataTypeE1EDF16_Li32ELi64ELi256ELb1ELi13EEvPKT_PKT0_S7_ifPKiS9_S9_iPKfiiiPfSC_PS2_PT2_iSB_SB_, 603

	.type	__PRETTY_FUNCTION__._Z39paged_attention_ll4mi_QKV_mfma16_kernelIDF16_hLN4vllm18Fp8KVCacheDataTypeE1EDF16_Li32ELi64ELi256ELb1ELi14EEvPKT_PKT0_S7_ifPKiS9_S9_iPKfiiiPfSC_PS2_PT2_iSB_SB_,@object ; @__PRETTY_FUNCTION__._Z39paged_attention_ll4mi_QKV_mfma16_kernelIDF16_hLN4vllm18Fp8KVCacheDataTypeE1EDF16_Li32ELi64ELi256ELb1ELi14EEvPKT_PKT0_S7_ifPKiS9_S9_iPKfiiiPfSC_PS2_PT2_iSB_SB_
__PRETTY_FUNCTION__._Z39paged_attention_ll4mi_QKV_mfma16_kernelIDF16_hLN4vllm18Fp8KVCacheDataTypeE1EDF16_Li32ELi64ELi256ELb1ELi14EEvPKT_PKT0_S7_ifPKiS9_S9_iPKfiiiPfSC_PS2_PT2_iSB_SB_:
	.asciz	"void paged_attention_ll4mi_QKV_mfma16_kernel(const scalar_t *__restrict, const cache_t *__restrict, const cache_t *__restrict, const int, const float, const int *__restrict, const int *__restrict, const int *__restrict, const int, const float *__restrict, const int, const int, const int, float *__restrict, float *__restrict, scalar_t *__restrict, OUTT *__restrict, int, const float *, const float *) [scalar_t = _Float16, cache_t = unsigned char, KV_DTYPE = vllm::Fp8KVCacheDataType::kFp8E4M3, OUTT = _Float16, BLOCK_SIZE = 32, HEAD_SIZE = 64, NUM_THREADS = 256, ALIBI_ENABLED = true, GQA_RATIO = 14]"
	.size	__PRETTY_FUNCTION__._Z39paged_attention_ll4mi_QKV_mfma16_kernelIDF16_hLN4vllm18Fp8KVCacheDataTypeE1EDF16_Li32ELi64ELi256ELb1ELi14EEvPKT_PKT0_S7_ifPKiS9_S9_iPKfiiiPfSC_PS2_PT2_iSB_SB_, 603

	.type	__PRETTY_FUNCTION__._Z39paged_attention_ll4mi_QKV_mfma16_kernelIDF16_hLN4vllm18Fp8KVCacheDataTypeE1EDF16_Li32ELi64ELi256ELb1ELi15EEvPKT_PKT0_S7_ifPKiS9_S9_iPKfiiiPfSC_PS2_PT2_iSB_SB_,@object ; @__PRETTY_FUNCTION__._Z39paged_attention_ll4mi_QKV_mfma16_kernelIDF16_hLN4vllm18Fp8KVCacheDataTypeE1EDF16_Li32ELi64ELi256ELb1ELi15EEvPKT_PKT0_S7_ifPKiS9_S9_iPKfiiiPfSC_PS2_PT2_iSB_SB_
__PRETTY_FUNCTION__._Z39paged_attention_ll4mi_QKV_mfma16_kernelIDF16_hLN4vllm18Fp8KVCacheDataTypeE1EDF16_Li32ELi64ELi256ELb1ELi15EEvPKT_PKT0_S7_ifPKiS9_S9_iPKfiiiPfSC_PS2_PT2_iSB_SB_:
	.asciz	"void paged_attention_ll4mi_QKV_mfma16_kernel(const scalar_t *__restrict, const cache_t *__restrict, const cache_t *__restrict, const int, const float, const int *__restrict, const int *__restrict, const int *__restrict, const int, const float *__restrict, const int, const int, const int, float *__restrict, float *__restrict, scalar_t *__restrict, OUTT *__restrict, int, const float *, const float *) [scalar_t = _Float16, cache_t = unsigned char, KV_DTYPE = vllm::Fp8KVCacheDataType::kFp8E4M3, OUTT = _Float16, BLOCK_SIZE = 32, HEAD_SIZE = 64, NUM_THREADS = 256, ALIBI_ENABLED = true, GQA_RATIO = 15]"
	.size	__PRETTY_FUNCTION__._Z39paged_attention_ll4mi_QKV_mfma16_kernelIDF16_hLN4vllm18Fp8KVCacheDataTypeE1EDF16_Li32ELi64ELi256ELb1ELi15EEvPKT_PKT0_S7_ifPKiS9_S9_iPKfiiiPfSC_PS2_PT2_iSB_SB_, 603

	.type	__PRETTY_FUNCTION__._Z39paged_attention_ll4mi_QKV_mfma16_kernelIDF16_hLN4vllm18Fp8KVCacheDataTypeE1EDF16_Li32ELi64ELi256ELb1ELi16EEvPKT_PKT0_S7_ifPKiS9_S9_iPKfiiiPfSC_PS2_PT2_iSB_SB_,@object ; @__PRETTY_FUNCTION__._Z39paged_attention_ll4mi_QKV_mfma16_kernelIDF16_hLN4vllm18Fp8KVCacheDataTypeE1EDF16_Li32ELi64ELi256ELb1ELi16EEvPKT_PKT0_S7_ifPKiS9_S9_iPKfiiiPfSC_PS2_PT2_iSB_SB_
__PRETTY_FUNCTION__._Z39paged_attention_ll4mi_QKV_mfma16_kernelIDF16_hLN4vllm18Fp8KVCacheDataTypeE1EDF16_Li32ELi64ELi256ELb1ELi16EEvPKT_PKT0_S7_ifPKiS9_S9_iPKfiiiPfSC_PS2_PT2_iSB_SB_:
	.asciz	"void paged_attention_ll4mi_QKV_mfma16_kernel(const scalar_t *__restrict, const cache_t *__restrict, const cache_t *__restrict, const int, const float, const int *__restrict, const int *__restrict, const int *__restrict, const int, const float *__restrict, const int, const int, const int, float *__restrict, float *__restrict, scalar_t *__restrict, OUTT *__restrict, int, const float *, const float *) [scalar_t = _Float16, cache_t = unsigned char, KV_DTYPE = vllm::Fp8KVCacheDataType::kFp8E4M3, OUTT = _Float16, BLOCK_SIZE = 32, HEAD_SIZE = 64, NUM_THREADS = 256, ALIBI_ENABLED = true, GQA_RATIO = 16]"
	.size	__PRETTY_FUNCTION__._Z39paged_attention_ll4mi_QKV_mfma16_kernelIDF16_hLN4vllm18Fp8KVCacheDataTypeE1EDF16_Li32ELi64ELi256ELb1ELi16EEvPKT_PKT0_S7_ifPKiS9_S9_iPKfiiiPfSC_PS2_PT2_iSB_SB_, 603

	.type	__PRETTY_FUNCTION__._Z39paged_attention_ll4mi_QKV_mfma16_kernelIDF16_hLN4vllm18Fp8KVCacheDataTypeE1EDF16_Li32ELi64ELi256ELb1ELi1EEvPKT_PKT0_S7_ifPKiS9_S9_iPKfiiiPfSC_PS2_PT2_iSB_SB_,@object ; @__PRETTY_FUNCTION__._Z39paged_attention_ll4mi_QKV_mfma16_kernelIDF16_hLN4vllm18Fp8KVCacheDataTypeE1EDF16_Li32ELi64ELi256ELb1ELi1EEvPKT_PKT0_S7_ifPKiS9_S9_iPKfiiiPfSC_PS2_PT2_iSB_SB_
__PRETTY_FUNCTION__._Z39paged_attention_ll4mi_QKV_mfma16_kernelIDF16_hLN4vllm18Fp8KVCacheDataTypeE1EDF16_Li32ELi64ELi256ELb1ELi1EEvPKT_PKT0_S7_ifPKiS9_S9_iPKfiiiPfSC_PS2_PT2_iSB_SB_:
	.asciz	"void paged_attention_ll4mi_QKV_mfma16_kernel(const scalar_t *__restrict, const cache_t *__restrict, const cache_t *__restrict, const int, const float, const int *__restrict, const int *__restrict, const int *__restrict, const int, const float *__restrict, const int, const int, const int, float *__restrict, float *__restrict, scalar_t *__restrict, OUTT *__restrict, int, const float *, const float *) [scalar_t = _Float16, cache_t = unsigned char, KV_DTYPE = vllm::Fp8KVCacheDataType::kFp8E4M3, OUTT = _Float16, BLOCK_SIZE = 32, HEAD_SIZE = 64, NUM_THREADS = 256, ALIBI_ENABLED = true, GQA_RATIO = 1]"
	.size	__PRETTY_FUNCTION__._Z39paged_attention_ll4mi_QKV_mfma16_kernelIDF16_hLN4vllm18Fp8KVCacheDataTypeE1EDF16_Li32ELi64ELi256ELb1ELi1EEvPKT_PKT0_S7_ifPKiS9_S9_iPKfiiiPfSC_PS2_PT2_iSB_SB_, 602

	.type	__PRETTY_FUNCTION__._Z39paged_attention_ll4mi_QKV_mfma16_kernelIDF16_hLN4vllm18Fp8KVCacheDataTypeE1EDF16_Li32ELi64ELi256ELb1ELi2EEvPKT_PKT0_S7_ifPKiS9_S9_iPKfiiiPfSC_PS2_PT2_iSB_SB_,@object ; @__PRETTY_FUNCTION__._Z39paged_attention_ll4mi_QKV_mfma16_kernelIDF16_hLN4vllm18Fp8KVCacheDataTypeE1EDF16_Li32ELi64ELi256ELb1ELi2EEvPKT_PKT0_S7_ifPKiS9_S9_iPKfiiiPfSC_PS2_PT2_iSB_SB_
__PRETTY_FUNCTION__._Z39paged_attention_ll4mi_QKV_mfma16_kernelIDF16_hLN4vllm18Fp8KVCacheDataTypeE1EDF16_Li32ELi64ELi256ELb1ELi2EEvPKT_PKT0_S7_ifPKiS9_S9_iPKfiiiPfSC_PS2_PT2_iSB_SB_:
	.asciz	"void paged_attention_ll4mi_QKV_mfma16_kernel(const scalar_t *__restrict, const cache_t *__restrict, const cache_t *__restrict, const int, const float, const int *__restrict, const int *__restrict, const int *__restrict, const int, const float *__restrict, const int, const int, const int, float *__restrict, float *__restrict, scalar_t *__restrict, OUTT *__restrict, int, const float *, const float *) [scalar_t = _Float16, cache_t = unsigned char, KV_DTYPE = vllm::Fp8KVCacheDataType::kFp8E4M3, OUTT = _Float16, BLOCK_SIZE = 32, HEAD_SIZE = 64, NUM_THREADS = 256, ALIBI_ENABLED = true, GQA_RATIO = 2]"
	.size	__PRETTY_FUNCTION__._Z39paged_attention_ll4mi_QKV_mfma16_kernelIDF16_hLN4vllm18Fp8KVCacheDataTypeE1EDF16_Li32ELi64ELi256ELb1ELi2EEvPKT_PKT0_S7_ifPKiS9_S9_iPKfiiiPfSC_PS2_PT2_iSB_SB_, 602

	.type	__PRETTY_FUNCTION__._Z39paged_attention_ll4mi_QKV_mfma16_kernelIDF16_hLN4vllm18Fp8KVCacheDataTypeE1EDF16_Li32ELi64ELi256ELb1ELi3EEvPKT_PKT0_S7_ifPKiS9_S9_iPKfiiiPfSC_PS2_PT2_iSB_SB_,@object ; @__PRETTY_FUNCTION__._Z39paged_attention_ll4mi_QKV_mfma16_kernelIDF16_hLN4vllm18Fp8KVCacheDataTypeE1EDF16_Li32ELi64ELi256ELb1ELi3EEvPKT_PKT0_S7_ifPKiS9_S9_iPKfiiiPfSC_PS2_PT2_iSB_SB_
__PRETTY_FUNCTION__._Z39paged_attention_ll4mi_QKV_mfma16_kernelIDF16_hLN4vllm18Fp8KVCacheDataTypeE1EDF16_Li32ELi64ELi256ELb1ELi3EEvPKT_PKT0_S7_ifPKiS9_S9_iPKfiiiPfSC_PS2_PT2_iSB_SB_:
	.asciz	"void paged_attention_ll4mi_QKV_mfma16_kernel(const scalar_t *__restrict, const cache_t *__restrict, const cache_t *__restrict, const int, const float, const int *__restrict, const int *__restrict, const int *__restrict, const int, const float *__restrict, const int, const int, const int, float *__restrict, float *__restrict, scalar_t *__restrict, OUTT *__restrict, int, const float *, const float *) [scalar_t = _Float16, cache_t = unsigned char, KV_DTYPE = vllm::Fp8KVCacheDataType::kFp8E4M3, OUTT = _Float16, BLOCK_SIZE = 32, HEAD_SIZE = 64, NUM_THREADS = 256, ALIBI_ENABLED = true, GQA_RATIO = 3]"
	.size	__PRETTY_FUNCTION__._Z39paged_attention_ll4mi_QKV_mfma16_kernelIDF16_hLN4vllm18Fp8KVCacheDataTypeE1EDF16_Li32ELi64ELi256ELb1ELi3EEvPKT_PKT0_S7_ifPKiS9_S9_iPKfiiiPfSC_PS2_PT2_iSB_SB_, 602

	.type	__PRETTY_FUNCTION__._Z39paged_attention_ll4mi_QKV_mfma16_kernelIDF16_hLN4vllm18Fp8KVCacheDataTypeE1EDF16_Li32ELi64ELi256ELb1ELi4EEvPKT_PKT0_S7_ifPKiS9_S9_iPKfiiiPfSC_PS2_PT2_iSB_SB_,@object ; @__PRETTY_FUNCTION__._Z39paged_attention_ll4mi_QKV_mfma16_kernelIDF16_hLN4vllm18Fp8KVCacheDataTypeE1EDF16_Li32ELi64ELi256ELb1ELi4EEvPKT_PKT0_S7_ifPKiS9_S9_iPKfiiiPfSC_PS2_PT2_iSB_SB_
__PRETTY_FUNCTION__._Z39paged_attention_ll4mi_QKV_mfma16_kernelIDF16_hLN4vllm18Fp8KVCacheDataTypeE1EDF16_Li32ELi64ELi256ELb1ELi4EEvPKT_PKT0_S7_ifPKiS9_S9_iPKfiiiPfSC_PS2_PT2_iSB_SB_:
	.asciz	"void paged_attention_ll4mi_QKV_mfma16_kernel(const scalar_t *__restrict, const cache_t *__restrict, const cache_t *__restrict, const int, const float, const int *__restrict, const int *__restrict, const int *__restrict, const int, const float *__restrict, const int, const int, const int, float *__restrict, float *__restrict, scalar_t *__restrict, OUTT *__restrict, int, const float *, const float *) [scalar_t = _Float16, cache_t = unsigned char, KV_DTYPE = vllm::Fp8KVCacheDataType::kFp8E4M3, OUTT = _Float16, BLOCK_SIZE = 32, HEAD_SIZE = 64, NUM_THREADS = 256, ALIBI_ENABLED = true, GQA_RATIO = 4]"
	.size	__PRETTY_FUNCTION__._Z39paged_attention_ll4mi_QKV_mfma16_kernelIDF16_hLN4vllm18Fp8KVCacheDataTypeE1EDF16_Li32ELi64ELi256ELb1ELi4EEvPKT_PKT0_S7_ifPKiS9_S9_iPKfiiiPfSC_PS2_PT2_iSB_SB_, 602

	.type	__PRETTY_FUNCTION__._Z38paged_attention_ll4mi_QKV_mfma4_kernelIDF16_hLN4vllm18Fp8KVCacheDataTypeE1EDF16_Li32ELi64ELi256ELb0ELi1EEvPKT_PKT0_S7_ifPKiS9_S9_iPKfiiiPfSC_PS2_PT2_iSB_SB_,@object ; @__PRETTY_FUNCTION__._Z38paged_attention_ll4mi_QKV_mfma4_kernelIDF16_hLN4vllm18Fp8KVCacheDataTypeE1EDF16_Li32ELi64ELi256ELb0ELi1EEvPKT_PKT0_S7_ifPKiS9_S9_iPKfiiiPfSC_PS2_PT2_iSB_SB_
__PRETTY_FUNCTION__._Z38paged_attention_ll4mi_QKV_mfma4_kernelIDF16_hLN4vllm18Fp8KVCacheDataTypeE1EDF16_Li32ELi64ELi256ELb0ELi1EEvPKT_PKT0_S7_ifPKiS9_S9_iPKfiiiPfSC_PS2_PT2_iSB_SB_:
	.asciz	"void paged_attention_ll4mi_QKV_mfma4_kernel(const scalar_t *__restrict, const cache_t *__restrict, const cache_t *__restrict, const int, const float, const int *__restrict, const int *__restrict, const int *__restrict, const int, const float *__restrict, const int, const int, const int, float *__restrict, float *__restrict, scalar_t *__restrict, OUTT *__restrict, int, const float *, const float *) [scalar_t = _Float16, cache_t = unsigned char, KV_DTYPE = vllm::Fp8KVCacheDataType::kFp8E4M3, OUTT = _Float16, BLOCK_SIZE = 32, HEAD_SIZE = 64, NUM_THREADS = 256, ALIBI_ENABLED = false, GQA_RATIO = 1]"
	.size	__PRETTY_FUNCTION__._Z38paged_attention_ll4mi_QKV_mfma4_kernelIDF16_hLN4vllm18Fp8KVCacheDataTypeE1EDF16_Li32ELi64ELi256ELb0ELi1EEvPKT_PKT0_S7_ifPKiS9_S9_iPKfiiiPfSC_PS2_PT2_iSB_SB_, 602

	.type	__PRETTY_FUNCTION__._Z38paged_attention_ll4mi_QKV_mfma4_kernelIDF16_hLN4vllm18Fp8KVCacheDataTypeE1EDF16_Li32ELi64ELi256ELb0ELi2EEvPKT_PKT0_S7_ifPKiS9_S9_iPKfiiiPfSC_PS2_PT2_iSB_SB_,@object ; @__PRETTY_FUNCTION__._Z38paged_attention_ll4mi_QKV_mfma4_kernelIDF16_hLN4vllm18Fp8KVCacheDataTypeE1EDF16_Li32ELi64ELi256ELb0ELi2EEvPKT_PKT0_S7_ifPKiS9_S9_iPKfiiiPfSC_PS2_PT2_iSB_SB_
__PRETTY_FUNCTION__._Z38paged_attention_ll4mi_QKV_mfma4_kernelIDF16_hLN4vllm18Fp8KVCacheDataTypeE1EDF16_Li32ELi64ELi256ELb0ELi2EEvPKT_PKT0_S7_ifPKiS9_S9_iPKfiiiPfSC_PS2_PT2_iSB_SB_:
	.asciz	"void paged_attention_ll4mi_QKV_mfma4_kernel(const scalar_t *__restrict, const cache_t *__restrict, const cache_t *__restrict, const int, const float, const int *__restrict, const int *__restrict, const int *__restrict, const int, const float *__restrict, const int, const int, const int, float *__restrict, float *__restrict, scalar_t *__restrict, OUTT *__restrict, int, const float *, const float *) [scalar_t = _Float16, cache_t = unsigned char, KV_DTYPE = vllm::Fp8KVCacheDataType::kFp8E4M3, OUTT = _Float16, BLOCK_SIZE = 32, HEAD_SIZE = 64, NUM_THREADS = 256, ALIBI_ENABLED = false, GQA_RATIO = 2]"
	.size	__PRETTY_FUNCTION__._Z38paged_attention_ll4mi_QKV_mfma4_kernelIDF16_hLN4vllm18Fp8KVCacheDataTypeE1EDF16_Li32ELi64ELi256ELb0ELi2EEvPKT_PKT0_S7_ifPKiS9_S9_iPKfiiiPfSC_PS2_PT2_iSB_SB_, 602

	.type	__PRETTY_FUNCTION__._Z38paged_attention_ll4mi_QKV_mfma4_kernelIDF16_hLN4vllm18Fp8KVCacheDataTypeE1EDF16_Li32ELi64ELi256ELb0ELi3EEvPKT_PKT0_S7_ifPKiS9_S9_iPKfiiiPfSC_PS2_PT2_iSB_SB_,@object ; @__PRETTY_FUNCTION__._Z38paged_attention_ll4mi_QKV_mfma4_kernelIDF16_hLN4vllm18Fp8KVCacheDataTypeE1EDF16_Li32ELi64ELi256ELb0ELi3EEvPKT_PKT0_S7_ifPKiS9_S9_iPKfiiiPfSC_PS2_PT2_iSB_SB_
__PRETTY_FUNCTION__._Z38paged_attention_ll4mi_QKV_mfma4_kernelIDF16_hLN4vllm18Fp8KVCacheDataTypeE1EDF16_Li32ELi64ELi256ELb0ELi3EEvPKT_PKT0_S7_ifPKiS9_S9_iPKfiiiPfSC_PS2_PT2_iSB_SB_:
	.asciz	"void paged_attention_ll4mi_QKV_mfma4_kernel(const scalar_t *__restrict, const cache_t *__restrict, const cache_t *__restrict, const int, const float, const int *__restrict, const int *__restrict, const int *__restrict, const int, const float *__restrict, const int, const int, const int, float *__restrict, float *__restrict, scalar_t *__restrict, OUTT *__restrict, int, const float *, const float *) [scalar_t = _Float16, cache_t = unsigned char, KV_DTYPE = vllm::Fp8KVCacheDataType::kFp8E4M3, OUTT = _Float16, BLOCK_SIZE = 32, HEAD_SIZE = 64, NUM_THREADS = 256, ALIBI_ENABLED = false, GQA_RATIO = 3]"
	.size	__PRETTY_FUNCTION__._Z38paged_attention_ll4mi_QKV_mfma4_kernelIDF16_hLN4vllm18Fp8KVCacheDataTypeE1EDF16_Li32ELi64ELi256ELb0ELi3EEvPKT_PKT0_S7_ifPKiS9_S9_iPKfiiiPfSC_PS2_PT2_iSB_SB_, 602

	.type	__PRETTY_FUNCTION__._Z38paged_attention_ll4mi_QKV_mfma4_kernelIDF16_hLN4vllm18Fp8KVCacheDataTypeE1EDF16_Li32ELi64ELi256ELb0ELi4EEvPKT_PKT0_S7_ifPKiS9_S9_iPKfiiiPfSC_PS2_PT2_iSB_SB_,@object ; @__PRETTY_FUNCTION__._Z38paged_attention_ll4mi_QKV_mfma4_kernelIDF16_hLN4vllm18Fp8KVCacheDataTypeE1EDF16_Li32ELi64ELi256ELb0ELi4EEvPKT_PKT0_S7_ifPKiS9_S9_iPKfiiiPfSC_PS2_PT2_iSB_SB_
__PRETTY_FUNCTION__._Z38paged_attention_ll4mi_QKV_mfma4_kernelIDF16_hLN4vllm18Fp8KVCacheDataTypeE1EDF16_Li32ELi64ELi256ELb0ELi4EEvPKT_PKT0_S7_ifPKiS9_S9_iPKfiiiPfSC_PS2_PT2_iSB_SB_:
	.asciz	"void paged_attention_ll4mi_QKV_mfma4_kernel(const scalar_t *__restrict, const cache_t *__restrict, const cache_t *__restrict, const int, const float, const int *__restrict, const int *__restrict, const int *__restrict, const int, const float *__restrict, const int, const int, const int, float *__restrict, float *__restrict, scalar_t *__restrict, OUTT *__restrict, int, const float *, const float *) [scalar_t = _Float16, cache_t = unsigned char, KV_DTYPE = vllm::Fp8KVCacheDataType::kFp8E4M3, OUTT = _Float16, BLOCK_SIZE = 32, HEAD_SIZE = 64, NUM_THREADS = 256, ALIBI_ENABLED = false, GQA_RATIO = 4]"
	.size	__PRETTY_FUNCTION__._Z38paged_attention_ll4mi_QKV_mfma4_kernelIDF16_hLN4vllm18Fp8KVCacheDataTypeE1EDF16_Li32ELi64ELi256ELb0ELi4EEvPKT_PKT0_S7_ifPKiS9_S9_iPKfiiiPfSC_PS2_PT2_iSB_SB_, 602

	.type	__PRETTY_FUNCTION__._Z39paged_attention_ll4mi_QKV_mfma16_kernelIDF16_hLN4vllm18Fp8KVCacheDataTypeE1EDF16_Li32ELi64ELi256ELb0ELi5EEvPKT_PKT0_S7_ifPKiS9_S9_iPKfiiiPfSC_PS2_PT2_iSB_SB_,@object ; @__PRETTY_FUNCTION__._Z39paged_attention_ll4mi_QKV_mfma16_kernelIDF16_hLN4vllm18Fp8KVCacheDataTypeE1EDF16_Li32ELi64ELi256ELb0ELi5EEvPKT_PKT0_S7_ifPKiS9_S9_iPKfiiiPfSC_PS2_PT2_iSB_SB_
__PRETTY_FUNCTION__._Z39paged_attention_ll4mi_QKV_mfma16_kernelIDF16_hLN4vllm18Fp8KVCacheDataTypeE1EDF16_Li32ELi64ELi256ELb0ELi5EEvPKT_PKT0_S7_ifPKiS9_S9_iPKfiiiPfSC_PS2_PT2_iSB_SB_:
	.asciz	"void paged_attention_ll4mi_QKV_mfma16_kernel(const scalar_t *__restrict, const cache_t *__restrict, const cache_t *__restrict, const int, const float, const int *__restrict, const int *__restrict, const int *__restrict, const int, const float *__restrict, const int, const int, const int, float *__restrict, float *__restrict, scalar_t *__restrict, OUTT *__restrict, int, const float *, const float *) [scalar_t = _Float16, cache_t = unsigned char, KV_DTYPE = vllm::Fp8KVCacheDataType::kFp8E4M3, OUTT = _Float16, BLOCK_SIZE = 32, HEAD_SIZE = 64, NUM_THREADS = 256, ALIBI_ENABLED = false, GQA_RATIO = 5]"
	.size	__PRETTY_FUNCTION__._Z39paged_attention_ll4mi_QKV_mfma16_kernelIDF16_hLN4vllm18Fp8KVCacheDataTypeE1EDF16_Li32ELi64ELi256ELb0ELi5EEvPKT_PKT0_S7_ifPKiS9_S9_iPKfiiiPfSC_PS2_PT2_iSB_SB_, 603

	.type	__PRETTY_FUNCTION__._Z39paged_attention_ll4mi_QKV_mfma16_kernelIDF16_hLN4vllm18Fp8KVCacheDataTypeE1EDF16_Li32ELi64ELi256ELb0ELi6EEvPKT_PKT0_S7_ifPKiS9_S9_iPKfiiiPfSC_PS2_PT2_iSB_SB_,@object ; @__PRETTY_FUNCTION__._Z39paged_attention_ll4mi_QKV_mfma16_kernelIDF16_hLN4vllm18Fp8KVCacheDataTypeE1EDF16_Li32ELi64ELi256ELb0ELi6EEvPKT_PKT0_S7_ifPKiS9_S9_iPKfiiiPfSC_PS2_PT2_iSB_SB_
__PRETTY_FUNCTION__._Z39paged_attention_ll4mi_QKV_mfma16_kernelIDF16_hLN4vllm18Fp8KVCacheDataTypeE1EDF16_Li32ELi64ELi256ELb0ELi6EEvPKT_PKT0_S7_ifPKiS9_S9_iPKfiiiPfSC_PS2_PT2_iSB_SB_:
	.asciz	"void paged_attention_ll4mi_QKV_mfma16_kernel(const scalar_t *__restrict, const cache_t *__restrict, const cache_t *__restrict, const int, const float, const int *__restrict, const int *__restrict, const int *__restrict, const int, const float *__restrict, const int, const int, const int, float *__restrict, float *__restrict, scalar_t *__restrict, OUTT *__restrict, int, const float *, const float *) [scalar_t = _Float16, cache_t = unsigned char, KV_DTYPE = vllm::Fp8KVCacheDataType::kFp8E4M3, OUTT = _Float16, BLOCK_SIZE = 32, HEAD_SIZE = 64, NUM_THREADS = 256, ALIBI_ENABLED = false, GQA_RATIO = 6]"
	.size	__PRETTY_FUNCTION__._Z39paged_attention_ll4mi_QKV_mfma16_kernelIDF16_hLN4vllm18Fp8KVCacheDataTypeE1EDF16_Li32ELi64ELi256ELb0ELi6EEvPKT_PKT0_S7_ifPKiS9_S9_iPKfiiiPfSC_PS2_PT2_iSB_SB_, 603

	.type	__PRETTY_FUNCTION__._Z39paged_attention_ll4mi_QKV_mfma16_kernelIDF16_hLN4vllm18Fp8KVCacheDataTypeE1EDF16_Li32ELi64ELi256ELb0ELi7EEvPKT_PKT0_S7_ifPKiS9_S9_iPKfiiiPfSC_PS2_PT2_iSB_SB_,@object ; @__PRETTY_FUNCTION__._Z39paged_attention_ll4mi_QKV_mfma16_kernelIDF16_hLN4vllm18Fp8KVCacheDataTypeE1EDF16_Li32ELi64ELi256ELb0ELi7EEvPKT_PKT0_S7_ifPKiS9_S9_iPKfiiiPfSC_PS2_PT2_iSB_SB_
__PRETTY_FUNCTION__._Z39paged_attention_ll4mi_QKV_mfma16_kernelIDF16_hLN4vllm18Fp8KVCacheDataTypeE1EDF16_Li32ELi64ELi256ELb0ELi7EEvPKT_PKT0_S7_ifPKiS9_S9_iPKfiiiPfSC_PS2_PT2_iSB_SB_:
	.asciz	"void paged_attention_ll4mi_QKV_mfma16_kernel(const scalar_t *__restrict, const cache_t *__restrict, const cache_t *__restrict, const int, const float, const int *__restrict, const int *__restrict, const int *__restrict, const int, const float *__restrict, const int, const int, const int, float *__restrict, float *__restrict, scalar_t *__restrict, OUTT *__restrict, int, const float *, const float *) [scalar_t = _Float16, cache_t = unsigned char, KV_DTYPE = vllm::Fp8KVCacheDataType::kFp8E4M3, OUTT = _Float16, BLOCK_SIZE = 32, HEAD_SIZE = 64, NUM_THREADS = 256, ALIBI_ENABLED = false, GQA_RATIO = 7]"
	.size	__PRETTY_FUNCTION__._Z39paged_attention_ll4mi_QKV_mfma16_kernelIDF16_hLN4vllm18Fp8KVCacheDataTypeE1EDF16_Li32ELi64ELi256ELb0ELi7EEvPKT_PKT0_S7_ifPKiS9_S9_iPKfiiiPfSC_PS2_PT2_iSB_SB_, 603

	.type	__PRETTY_FUNCTION__._Z39paged_attention_ll4mi_QKV_mfma16_kernelIDF16_hLN4vllm18Fp8KVCacheDataTypeE1EDF16_Li32ELi64ELi256ELb0ELi8EEvPKT_PKT0_S7_ifPKiS9_S9_iPKfiiiPfSC_PS2_PT2_iSB_SB_,@object ; @__PRETTY_FUNCTION__._Z39paged_attention_ll4mi_QKV_mfma16_kernelIDF16_hLN4vllm18Fp8KVCacheDataTypeE1EDF16_Li32ELi64ELi256ELb0ELi8EEvPKT_PKT0_S7_ifPKiS9_S9_iPKfiiiPfSC_PS2_PT2_iSB_SB_
__PRETTY_FUNCTION__._Z39paged_attention_ll4mi_QKV_mfma16_kernelIDF16_hLN4vllm18Fp8KVCacheDataTypeE1EDF16_Li32ELi64ELi256ELb0ELi8EEvPKT_PKT0_S7_ifPKiS9_S9_iPKfiiiPfSC_PS2_PT2_iSB_SB_:
	.asciz	"void paged_attention_ll4mi_QKV_mfma16_kernel(const scalar_t *__restrict, const cache_t *__restrict, const cache_t *__restrict, const int, const float, const int *__restrict, const int *__restrict, const int *__restrict, const int, const float *__restrict, const int, const int, const int, float *__restrict, float *__restrict, scalar_t *__restrict, OUTT *__restrict, int, const float *, const float *) [scalar_t = _Float16, cache_t = unsigned char, KV_DTYPE = vllm::Fp8KVCacheDataType::kFp8E4M3, OUTT = _Float16, BLOCK_SIZE = 32, HEAD_SIZE = 64, NUM_THREADS = 256, ALIBI_ENABLED = false, GQA_RATIO = 8]"
	.size	__PRETTY_FUNCTION__._Z39paged_attention_ll4mi_QKV_mfma16_kernelIDF16_hLN4vllm18Fp8KVCacheDataTypeE1EDF16_Li32ELi64ELi256ELb0ELi8EEvPKT_PKT0_S7_ifPKiS9_S9_iPKfiiiPfSC_PS2_PT2_iSB_SB_, 603

	.type	__PRETTY_FUNCTION__._Z39paged_attention_ll4mi_QKV_mfma16_kernelIDF16_hLN4vllm18Fp8KVCacheDataTypeE1EDF16_Li32ELi64ELi256ELb0ELi9EEvPKT_PKT0_S7_ifPKiS9_S9_iPKfiiiPfSC_PS2_PT2_iSB_SB_,@object ; @__PRETTY_FUNCTION__._Z39paged_attention_ll4mi_QKV_mfma16_kernelIDF16_hLN4vllm18Fp8KVCacheDataTypeE1EDF16_Li32ELi64ELi256ELb0ELi9EEvPKT_PKT0_S7_ifPKiS9_S9_iPKfiiiPfSC_PS2_PT2_iSB_SB_
__PRETTY_FUNCTION__._Z39paged_attention_ll4mi_QKV_mfma16_kernelIDF16_hLN4vllm18Fp8KVCacheDataTypeE1EDF16_Li32ELi64ELi256ELb0ELi9EEvPKT_PKT0_S7_ifPKiS9_S9_iPKfiiiPfSC_PS2_PT2_iSB_SB_:
	.asciz	"void paged_attention_ll4mi_QKV_mfma16_kernel(const scalar_t *__restrict, const cache_t *__restrict, const cache_t *__restrict, const int, const float, const int *__restrict, const int *__restrict, const int *__restrict, const int, const float *__restrict, const int, const int, const int, float *__restrict, float *__restrict, scalar_t *__restrict, OUTT *__restrict, int, const float *, const float *) [scalar_t = _Float16, cache_t = unsigned char, KV_DTYPE = vllm::Fp8KVCacheDataType::kFp8E4M3, OUTT = _Float16, BLOCK_SIZE = 32, HEAD_SIZE = 64, NUM_THREADS = 256, ALIBI_ENABLED = false, GQA_RATIO = 9]"
	.size	__PRETTY_FUNCTION__._Z39paged_attention_ll4mi_QKV_mfma16_kernelIDF16_hLN4vllm18Fp8KVCacheDataTypeE1EDF16_Li32ELi64ELi256ELb0ELi9EEvPKT_PKT0_S7_ifPKiS9_S9_iPKfiiiPfSC_PS2_PT2_iSB_SB_, 603

	.type	__PRETTY_FUNCTION__._Z39paged_attention_ll4mi_QKV_mfma16_kernelIDF16_hLN4vllm18Fp8KVCacheDataTypeE1EDF16_Li32ELi64ELi256ELb0ELi10EEvPKT_PKT0_S7_ifPKiS9_S9_iPKfiiiPfSC_PS2_PT2_iSB_SB_,@object ; @__PRETTY_FUNCTION__._Z39paged_attention_ll4mi_QKV_mfma16_kernelIDF16_hLN4vllm18Fp8KVCacheDataTypeE1EDF16_Li32ELi64ELi256ELb0ELi10EEvPKT_PKT0_S7_ifPKiS9_S9_iPKfiiiPfSC_PS2_PT2_iSB_SB_
__PRETTY_FUNCTION__._Z39paged_attention_ll4mi_QKV_mfma16_kernelIDF16_hLN4vllm18Fp8KVCacheDataTypeE1EDF16_Li32ELi64ELi256ELb0ELi10EEvPKT_PKT0_S7_ifPKiS9_S9_iPKfiiiPfSC_PS2_PT2_iSB_SB_:
	.asciz	"void paged_attention_ll4mi_QKV_mfma16_kernel(const scalar_t *__restrict, const cache_t *__restrict, const cache_t *__restrict, const int, const float, const int *__restrict, const int *__restrict, const int *__restrict, const int, const float *__restrict, const int, const int, const int, float *__restrict, float *__restrict, scalar_t *__restrict, OUTT *__restrict, int, const float *, const float *) [scalar_t = _Float16, cache_t = unsigned char, KV_DTYPE = vllm::Fp8KVCacheDataType::kFp8E4M3, OUTT = _Float16, BLOCK_SIZE = 32, HEAD_SIZE = 64, NUM_THREADS = 256, ALIBI_ENABLED = false, GQA_RATIO = 10]"
	.size	__PRETTY_FUNCTION__._Z39paged_attention_ll4mi_QKV_mfma16_kernelIDF16_hLN4vllm18Fp8KVCacheDataTypeE1EDF16_Li32ELi64ELi256ELb0ELi10EEvPKT_PKT0_S7_ifPKiS9_S9_iPKfiiiPfSC_PS2_PT2_iSB_SB_, 604

	.type	__PRETTY_FUNCTION__._Z39paged_attention_ll4mi_QKV_mfma16_kernelIDF16_hLN4vllm18Fp8KVCacheDataTypeE1EDF16_Li32ELi64ELi256ELb0ELi11EEvPKT_PKT0_S7_ifPKiS9_S9_iPKfiiiPfSC_PS2_PT2_iSB_SB_,@object ; @__PRETTY_FUNCTION__._Z39paged_attention_ll4mi_QKV_mfma16_kernelIDF16_hLN4vllm18Fp8KVCacheDataTypeE1EDF16_Li32ELi64ELi256ELb0ELi11EEvPKT_PKT0_S7_ifPKiS9_S9_iPKfiiiPfSC_PS2_PT2_iSB_SB_
__PRETTY_FUNCTION__._Z39paged_attention_ll4mi_QKV_mfma16_kernelIDF16_hLN4vllm18Fp8KVCacheDataTypeE1EDF16_Li32ELi64ELi256ELb0ELi11EEvPKT_PKT0_S7_ifPKiS9_S9_iPKfiiiPfSC_PS2_PT2_iSB_SB_:
	.asciz	"void paged_attention_ll4mi_QKV_mfma16_kernel(const scalar_t *__restrict, const cache_t *__restrict, const cache_t *__restrict, const int, const float, const int *__restrict, const int *__restrict, const int *__restrict, const int, const float *__restrict, const int, const int, const int, float *__restrict, float *__restrict, scalar_t *__restrict, OUTT *__restrict, int, const float *, const float *) [scalar_t = _Float16, cache_t = unsigned char, KV_DTYPE = vllm::Fp8KVCacheDataType::kFp8E4M3, OUTT = _Float16, BLOCK_SIZE = 32, HEAD_SIZE = 64, NUM_THREADS = 256, ALIBI_ENABLED = false, GQA_RATIO = 11]"
	.size	__PRETTY_FUNCTION__._Z39paged_attention_ll4mi_QKV_mfma16_kernelIDF16_hLN4vllm18Fp8KVCacheDataTypeE1EDF16_Li32ELi64ELi256ELb0ELi11EEvPKT_PKT0_S7_ifPKiS9_S9_iPKfiiiPfSC_PS2_PT2_iSB_SB_, 604

	.type	__PRETTY_FUNCTION__._Z39paged_attention_ll4mi_QKV_mfma16_kernelIDF16_hLN4vllm18Fp8KVCacheDataTypeE1EDF16_Li32ELi64ELi256ELb0ELi12EEvPKT_PKT0_S7_ifPKiS9_S9_iPKfiiiPfSC_PS2_PT2_iSB_SB_,@object ; @__PRETTY_FUNCTION__._Z39paged_attention_ll4mi_QKV_mfma16_kernelIDF16_hLN4vllm18Fp8KVCacheDataTypeE1EDF16_Li32ELi64ELi256ELb0ELi12EEvPKT_PKT0_S7_ifPKiS9_S9_iPKfiiiPfSC_PS2_PT2_iSB_SB_
__PRETTY_FUNCTION__._Z39paged_attention_ll4mi_QKV_mfma16_kernelIDF16_hLN4vllm18Fp8KVCacheDataTypeE1EDF16_Li32ELi64ELi256ELb0ELi12EEvPKT_PKT0_S7_ifPKiS9_S9_iPKfiiiPfSC_PS2_PT2_iSB_SB_:
	.asciz	"void paged_attention_ll4mi_QKV_mfma16_kernel(const scalar_t *__restrict, const cache_t *__restrict, const cache_t *__restrict, const int, const float, const int *__restrict, const int *__restrict, const int *__restrict, const int, const float *__restrict, const int, const int, const int, float *__restrict, float *__restrict, scalar_t *__restrict, OUTT *__restrict, int, const float *, const float *) [scalar_t = _Float16, cache_t = unsigned char, KV_DTYPE = vllm::Fp8KVCacheDataType::kFp8E4M3, OUTT = _Float16, BLOCK_SIZE = 32, HEAD_SIZE = 64, NUM_THREADS = 256, ALIBI_ENABLED = false, GQA_RATIO = 12]"
	.size	__PRETTY_FUNCTION__._Z39paged_attention_ll4mi_QKV_mfma16_kernelIDF16_hLN4vllm18Fp8KVCacheDataTypeE1EDF16_Li32ELi64ELi256ELb0ELi12EEvPKT_PKT0_S7_ifPKiS9_S9_iPKfiiiPfSC_PS2_PT2_iSB_SB_, 604

	.type	__PRETTY_FUNCTION__._Z39paged_attention_ll4mi_QKV_mfma16_kernelIDF16_hLN4vllm18Fp8KVCacheDataTypeE1EDF16_Li32ELi64ELi256ELb0ELi13EEvPKT_PKT0_S7_ifPKiS9_S9_iPKfiiiPfSC_PS2_PT2_iSB_SB_,@object ; @__PRETTY_FUNCTION__._Z39paged_attention_ll4mi_QKV_mfma16_kernelIDF16_hLN4vllm18Fp8KVCacheDataTypeE1EDF16_Li32ELi64ELi256ELb0ELi13EEvPKT_PKT0_S7_ifPKiS9_S9_iPKfiiiPfSC_PS2_PT2_iSB_SB_
__PRETTY_FUNCTION__._Z39paged_attention_ll4mi_QKV_mfma16_kernelIDF16_hLN4vllm18Fp8KVCacheDataTypeE1EDF16_Li32ELi64ELi256ELb0ELi13EEvPKT_PKT0_S7_ifPKiS9_S9_iPKfiiiPfSC_PS2_PT2_iSB_SB_:
	.asciz	"void paged_attention_ll4mi_QKV_mfma16_kernel(const scalar_t *__restrict, const cache_t *__restrict, const cache_t *__restrict, const int, const float, const int *__restrict, const int *__restrict, const int *__restrict, const int, const float *__restrict, const int, const int, const int, float *__restrict, float *__restrict, scalar_t *__restrict, OUTT *__restrict, int, const float *, const float *) [scalar_t = _Float16, cache_t = unsigned char, KV_DTYPE = vllm::Fp8KVCacheDataType::kFp8E4M3, OUTT = _Float16, BLOCK_SIZE = 32, HEAD_SIZE = 64, NUM_THREADS = 256, ALIBI_ENABLED = false, GQA_RATIO = 13]"
	.size	__PRETTY_FUNCTION__._Z39paged_attention_ll4mi_QKV_mfma16_kernelIDF16_hLN4vllm18Fp8KVCacheDataTypeE1EDF16_Li32ELi64ELi256ELb0ELi13EEvPKT_PKT0_S7_ifPKiS9_S9_iPKfiiiPfSC_PS2_PT2_iSB_SB_, 604

	.type	__PRETTY_FUNCTION__._Z39paged_attention_ll4mi_QKV_mfma16_kernelIDF16_hLN4vllm18Fp8KVCacheDataTypeE1EDF16_Li32ELi64ELi256ELb0ELi14EEvPKT_PKT0_S7_ifPKiS9_S9_iPKfiiiPfSC_PS2_PT2_iSB_SB_,@object ; @__PRETTY_FUNCTION__._Z39paged_attention_ll4mi_QKV_mfma16_kernelIDF16_hLN4vllm18Fp8KVCacheDataTypeE1EDF16_Li32ELi64ELi256ELb0ELi14EEvPKT_PKT0_S7_ifPKiS9_S9_iPKfiiiPfSC_PS2_PT2_iSB_SB_
__PRETTY_FUNCTION__._Z39paged_attention_ll4mi_QKV_mfma16_kernelIDF16_hLN4vllm18Fp8KVCacheDataTypeE1EDF16_Li32ELi64ELi256ELb0ELi14EEvPKT_PKT0_S7_ifPKiS9_S9_iPKfiiiPfSC_PS2_PT2_iSB_SB_:
	.asciz	"void paged_attention_ll4mi_QKV_mfma16_kernel(const scalar_t *__restrict, const cache_t *__restrict, const cache_t *__restrict, const int, const float, const int *__restrict, const int *__restrict, const int *__restrict, const int, const float *__restrict, const int, const int, const int, float *__restrict, float *__restrict, scalar_t *__restrict, OUTT *__restrict, int, const float *, const float *) [scalar_t = _Float16, cache_t = unsigned char, KV_DTYPE = vllm::Fp8KVCacheDataType::kFp8E4M3, OUTT = _Float16, BLOCK_SIZE = 32, HEAD_SIZE = 64, NUM_THREADS = 256, ALIBI_ENABLED = false, GQA_RATIO = 14]"
	.size	__PRETTY_FUNCTION__._Z39paged_attention_ll4mi_QKV_mfma16_kernelIDF16_hLN4vllm18Fp8KVCacheDataTypeE1EDF16_Li32ELi64ELi256ELb0ELi14EEvPKT_PKT0_S7_ifPKiS9_S9_iPKfiiiPfSC_PS2_PT2_iSB_SB_, 604

	.type	__PRETTY_FUNCTION__._Z39paged_attention_ll4mi_QKV_mfma16_kernelIDF16_hLN4vllm18Fp8KVCacheDataTypeE1EDF16_Li32ELi64ELi256ELb0ELi15EEvPKT_PKT0_S7_ifPKiS9_S9_iPKfiiiPfSC_PS2_PT2_iSB_SB_,@object ; @__PRETTY_FUNCTION__._Z39paged_attention_ll4mi_QKV_mfma16_kernelIDF16_hLN4vllm18Fp8KVCacheDataTypeE1EDF16_Li32ELi64ELi256ELb0ELi15EEvPKT_PKT0_S7_ifPKiS9_S9_iPKfiiiPfSC_PS2_PT2_iSB_SB_
__PRETTY_FUNCTION__._Z39paged_attention_ll4mi_QKV_mfma16_kernelIDF16_hLN4vllm18Fp8KVCacheDataTypeE1EDF16_Li32ELi64ELi256ELb0ELi15EEvPKT_PKT0_S7_ifPKiS9_S9_iPKfiiiPfSC_PS2_PT2_iSB_SB_:
	.asciz	"void paged_attention_ll4mi_QKV_mfma16_kernel(const scalar_t *__restrict, const cache_t *__restrict, const cache_t *__restrict, const int, const float, const int *__restrict, const int *__restrict, const int *__restrict, const int, const float *__restrict, const int, const int, const int, float *__restrict, float *__restrict, scalar_t *__restrict, OUTT *__restrict, int, const float *, const float *) [scalar_t = _Float16, cache_t = unsigned char, KV_DTYPE = vllm::Fp8KVCacheDataType::kFp8E4M3, OUTT = _Float16, BLOCK_SIZE = 32, HEAD_SIZE = 64, NUM_THREADS = 256, ALIBI_ENABLED = false, GQA_RATIO = 15]"
	.size	__PRETTY_FUNCTION__._Z39paged_attention_ll4mi_QKV_mfma16_kernelIDF16_hLN4vllm18Fp8KVCacheDataTypeE1EDF16_Li32ELi64ELi256ELb0ELi15EEvPKT_PKT0_S7_ifPKiS9_S9_iPKfiiiPfSC_PS2_PT2_iSB_SB_, 604

	.type	__PRETTY_FUNCTION__._Z39paged_attention_ll4mi_QKV_mfma16_kernelIDF16_hLN4vllm18Fp8KVCacheDataTypeE1EDF16_Li32ELi64ELi256ELb0ELi16EEvPKT_PKT0_S7_ifPKiS9_S9_iPKfiiiPfSC_PS2_PT2_iSB_SB_,@object ; @__PRETTY_FUNCTION__._Z39paged_attention_ll4mi_QKV_mfma16_kernelIDF16_hLN4vllm18Fp8KVCacheDataTypeE1EDF16_Li32ELi64ELi256ELb0ELi16EEvPKT_PKT0_S7_ifPKiS9_S9_iPKfiiiPfSC_PS2_PT2_iSB_SB_
__PRETTY_FUNCTION__._Z39paged_attention_ll4mi_QKV_mfma16_kernelIDF16_hLN4vllm18Fp8KVCacheDataTypeE1EDF16_Li32ELi64ELi256ELb0ELi16EEvPKT_PKT0_S7_ifPKiS9_S9_iPKfiiiPfSC_PS2_PT2_iSB_SB_:
	.asciz	"void paged_attention_ll4mi_QKV_mfma16_kernel(const scalar_t *__restrict, const cache_t *__restrict, const cache_t *__restrict, const int, const float, const int *__restrict, const int *__restrict, const int *__restrict, const int, const float *__restrict, const int, const int, const int, float *__restrict, float *__restrict, scalar_t *__restrict, OUTT *__restrict, int, const float *, const float *) [scalar_t = _Float16, cache_t = unsigned char, KV_DTYPE = vllm::Fp8KVCacheDataType::kFp8E4M3, OUTT = _Float16, BLOCK_SIZE = 32, HEAD_SIZE = 64, NUM_THREADS = 256, ALIBI_ENABLED = false, GQA_RATIO = 16]"
	.size	__PRETTY_FUNCTION__._Z39paged_attention_ll4mi_QKV_mfma16_kernelIDF16_hLN4vllm18Fp8KVCacheDataTypeE1EDF16_Li32ELi64ELi256ELb0ELi16EEvPKT_PKT0_S7_ifPKiS9_S9_iPKfiiiPfSC_PS2_PT2_iSB_SB_, 604

	.type	__PRETTY_FUNCTION__._Z39paged_attention_ll4mi_QKV_mfma16_kernelIDF16_hLN4vllm18Fp8KVCacheDataTypeE1EDF16_Li32ELi64ELi256ELb0ELi1EEvPKT_PKT0_S7_ifPKiS9_S9_iPKfiiiPfSC_PS2_PT2_iSB_SB_,@object ; @__PRETTY_FUNCTION__._Z39paged_attention_ll4mi_QKV_mfma16_kernelIDF16_hLN4vllm18Fp8KVCacheDataTypeE1EDF16_Li32ELi64ELi256ELb0ELi1EEvPKT_PKT0_S7_ifPKiS9_S9_iPKfiiiPfSC_PS2_PT2_iSB_SB_
__PRETTY_FUNCTION__._Z39paged_attention_ll4mi_QKV_mfma16_kernelIDF16_hLN4vllm18Fp8KVCacheDataTypeE1EDF16_Li32ELi64ELi256ELb0ELi1EEvPKT_PKT0_S7_ifPKiS9_S9_iPKfiiiPfSC_PS2_PT2_iSB_SB_:
	.asciz	"void paged_attention_ll4mi_QKV_mfma16_kernel(const scalar_t *__restrict, const cache_t *__restrict, const cache_t *__restrict, const int, const float, const int *__restrict, const int *__restrict, const int *__restrict, const int, const float *__restrict, const int, const int, const int, float *__restrict, float *__restrict, scalar_t *__restrict, OUTT *__restrict, int, const float *, const float *) [scalar_t = _Float16, cache_t = unsigned char, KV_DTYPE = vllm::Fp8KVCacheDataType::kFp8E4M3, OUTT = _Float16, BLOCK_SIZE = 32, HEAD_SIZE = 64, NUM_THREADS = 256, ALIBI_ENABLED = false, GQA_RATIO = 1]"
	.size	__PRETTY_FUNCTION__._Z39paged_attention_ll4mi_QKV_mfma16_kernelIDF16_hLN4vllm18Fp8KVCacheDataTypeE1EDF16_Li32ELi64ELi256ELb0ELi1EEvPKT_PKT0_S7_ifPKiS9_S9_iPKfiiiPfSC_PS2_PT2_iSB_SB_, 603

	.type	__PRETTY_FUNCTION__._Z39paged_attention_ll4mi_QKV_mfma16_kernelIDF16_hLN4vllm18Fp8KVCacheDataTypeE1EDF16_Li32ELi64ELi256ELb0ELi2EEvPKT_PKT0_S7_ifPKiS9_S9_iPKfiiiPfSC_PS2_PT2_iSB_SB_,@object ; @__PRETTY_FUNCTION__._Z39paged_attention_ll4mi_QKV_mfma16_kernelIDF16_hLN4vllm18Fp8KVCacheDataTypeE1EDF16_Li32ELi64ELi256ELb0ELi2EEvPKT_PKT0_S7_ifPKiS9_S9_iPKfiiiPfSC_PS2_PT2_iSB_SB_
__PRETTY_FUNCTION__._Z39paged_attention_ll4mi_QKV_mfma16_kernelIDF16_hLN4vllm18Fp8KVCacheDataTypeE1EDF16_Li32ELi64ELi256ELb0ELi2EEvPKT_PKT0_S7_ifPKiS9_S9_iPKfiiiPfSC_PS2_PT2_iSB_SB_:
	.asciz	"void paged_attention_ll4mi_QKV_mfma16_kernel(const scalar_t *__restrict, const cache_t *__restrict, const cache_t *__restrict, const int, const float, const int *__restrict, const int *__restrict, const int *__restrict, const int, const float *__restrict, const int, const int, const int, float *__restrict, float *__restrict, scalar_t *__restrict, OUTT *__restrict, int, const float *, const float *) [scalar_t = _Float16, cache_t = unsigned char, KV_DTYPE = vllm::Fp8KVCacheDataType::kFp8E4M3, OUTT = _Float16, BLOCK_SIZE = 32, HEAD_SIZE = 64, NUM_THREADS = 256, ALIBI_ENABLED = false, GQA_RATIO = 2]"
	.size	__PRETTY_FUNCTION__._Z39paged_attention_ll4mi_QKV_mfma16_kernelIDF16_hLN4vllm18Fp8KVCacheDataTypeE1EDF16_Li32ELi64ELi256ELb0ELi2EEvPKT_PKT0_S7_ifPKiS9_S9_iPKfiiiPfSC_PS2_PT2_iSB_SB_, 603

	.type	__PRETTY_FUNCTION__._Z39paged_attention_ll4mi_QKV_mfma16_kernelIDF16_hLN4vllm18Fp8KVCacheDataTypeE1EDF16_Li32ELi64ELi256ELb0ELi3EEvPKT_PKT0_S7_ifPKiS9_S9_iPKfiiiPfSC_PS2_PT2_iSB_SB_,@object ; @__PRETTY_FUNCTION__._Z39paged_attention_ll4mi_QKV_mfma16_kernelIDF16_hLN4vllm18Fp8KVCacheDataTypeE1EDF16_Li32ELi64ELi256ELb0ELi3EEvPKT_PKT0_S7_ifPKiS9_S9_iPKfiiiPfSC_PS2_PT2_iSB_SB_
__PRETTY_FUNCTION__._Z39paged_attention_ll4mi_QKV_mfma16_kernelIDF16_hLN4vllm18Fp8KVCacheDataTypeE1EDF16_Li32ELi64ELi256ELb0ELi3EEvPKT_PKT0_S7_ifPKiS9_S9_iPKfiiiPfSC_PS2_PT2_iSB_SB_:
	.asciz	"void paged_attention_ll4mi_QKV_mfma16_kernel(const scalar_t *__restrict, const cache_t *__restrict, const cache_t *__restrict, const int, const float, const int *__restrict, const int *__restrict, const int *__restrict, const int, const float *__restrict, const int, const int, const int, float *__restrict, float *__restrict, scalar_t *__restrict, OUTT *__restrict, int, const float *, const float *) [scalar_t = _Float16, cache_t = unsigned char, KV_DTYPE = vllm::Fp8KVCacheDataType::kFp8E4M3, OUTT = _Float16, BLOCK_SIZE = 32, HEAD_SIZE = 64, NUM_THREADS = 256, ALIBI_ENABLED = false, GQA_RATIO = 3]"
	.size	__PRETTY_FUNCTION__._Z39paged_attention_ll4mi_QKV_mfma16_kernelIDF16_hLN4vllm18Fp8KVCacheDataTypeE1EDF16_Li32ELi64ELi256ELb0ELi3EEvPKT_PKT0_S7_ifPKiS9_S9_iPKfiiiPfSC_PS2_PT2_iSB_SB_, 603

	.type	__PRETTY_FUNCTION__._Z39paged_attention_ll4mi_QKV_mfma16_kernelIDF16_hLN4vllm18Fp8KVCacheDataTypeE1EDF16_Li32ELi64ELi256ELb0ELi4EEvPKT_PKT0_S7_ifPKiS9_S9_iPKfiiiPfSC_PS2_PT2_iSB_SB_,@object ; @__PRETTY_FUNCTION__._Z39paged_attention_ll4mi_QKV_mfma16_kernelIDF16_hLN4vllm18Fp8KVCacheDataTypeE1EDF16_Li32ELi64ELi256ELb0ELi4EEvPKT_PKT0_S7_ifPKiS9_S9_iPKfiiiPfSC_PS2_PT2_iSB_SB_
__PRETTY_FUNCTION__._Z39paged_attention_ll4mi_QKV_mfma16_kernelIDF16_hLN4vllm18Fp8KVCacheDataTypeE1EDF16_Li32ELi64ELi256ELb0ELi4EEvPKT_PKT0_S7_ifPKiS9_S9_iPKfiiiPfSC_PS2_PT2_iSB_SB_:
	.asciz	"void paged_attention_ll4mi_QKV_mfma16_kernel(const scalar_t *__restrict, const cache_t *__restrict, const cache_t *__restrict, const int, const float, const int *__restrict, const int *__restrict, const int *__restrict, const int, const float *__restrict, const int, const int, const int, float *__restrict, float *__restrict, scalar_t *__restrict, OUTT *__restrict, int, const float *, const float *) [scalar_t = _Float16, cache_t = unsigned char, KV_DTYPE = vllm::Fp8KVCacheDataType::kFp8E4M3, OUTT = _Float16, BLOCK_SIZE = 32, HEAD_SIZE = 64, NUM_THREADS = 256, ALIBI_ENABLED = false, GQA_RATIO = 4]"
	.size	__PRETTY_FUNCTION__._Z39paged_attention_ll4mi_QKV_mfma16_kernelIDF16_hLN4vllm18Fp8KVCacheDataTypeE1EDF16_Li32ELi64ELi256ELb0ELi4EEvPKT_PKT0_S7_ifPKiS9_S9_iPKfiiiPfSC_PS2_PT2_iSB_SB_, 603

	.type	__PRETTY_FUNCTION__._Z38paged_attention_ll4mi_QKV_mfma4_kernelIDF16_hLN4vllm18Fp8KVCacheDataTypeE1EhLi16ELi128ELi256ELb1ELi1EEvPKT_PKT0_S7_ifPKiS9_S9_iPKfiiiPfSC_PS2_PT2_iSB_SB_,@object ; @__PRETTY_FUNCTION__._Z38paged_attention_ll4mi_QKV_mfma4_kernelIDF16_hLN4vllm18Fp8KVCacheDataTypeE1EhLi16ELi128ELi256ELb1ELi1EEvPKT_PKT0_S7_ifPKiS9_S9_iPKfiiiPfSC_PS2_PT2_iSB_SB_
__PRETTY_FUNCTION__._Z38paged_attention_ll4mi_QKV_mfma4_kernelIDF16_hLN4vllm18Fp8KVCacheDataTypeE1EhLi16ELi128ELi256ELb1ELi1EEvPKT_PKT0_S7_ifPKiS9_S9_iPKfiiiPfSC_PS2_PT2_iSB_SB_:
	.asciz	"void paged_attention_ll4mi_QKV_mfma4_kernel(const scalar_t *__restrict, const cache_t *__restrict, const cache_t *__restrict, const int, const float, const int *__restrict, const int *__restrict, const int *__restrict, const int, const float *__restrict, const int, const int, const int, float *__restrict, float *__restrict, scalar_t *__restrict, OUTT *__restrict, int, const float *, const float *) [scalar_t = _Float16, cache_t = unsigned char, KV_DTYPE = vllm::Fp8KVCacheDataType::kFp8E4M3, OUTT = unsigned char, BLOCK_SIZE = 16, HEAD_SIZE = 128, NUM_THREADS = 256, ALIBI_ENABLED = true, GQA_RATIO = 1]"
	.size	__PRETTY_FUNCTION__._Z38paged_attention_ll4mi_QKV_mfma4_kernelIDF16_hLN4vllm18Fp8KVCacheDataTypeE1EhLi16ELi128ELi256ELb1ELi1EEvPKT_PKT0_S7_ifPKiS9_S9_iPKfiiiPfSC_PS2_PT2_iSB_SB_, 607

	.type	__PRETTY_FUNCTION__._Z38paged_attention_ll4mi_QKV_mfma4_kernelIDF16_hLN4vllm18Fp8KVCacheDataTypeE1EhLi16ELi128ELi256ELb1ELi2EEvPKT_PKT0_S7_ifPKiS9_S9_iPKfiiiPfSC_PS2_PT2_iSB_SB_,@object ; @__PRETTY_FUNCTION__._Z38paged_attention_ll4mi_QKV_mfma4_kernelIDF16_hLN4vllm18Fp8KVCacheDataTypeE1EhLi16ELi128ELi256ELb1ELi2EEvPKT_PKT0_S7_ifPKiS9_S9_iPKfiiiPfSC_PS2_PT2_iSB_SB_
__PRETTY_FUNCTION__._Z38paged_attention_ll4mi_QKV_mfma4_kernelIDF16_hLN4vllm18Fp8KVCacheDataTypeE1EhLi16ELi128ELi256ELb1ELi2EEvPKT_PKT0_S7_ifPKiS9_S9_iPKfiiiPfSC_PS2_PT2_iSB_SB_:
	.asciz	"void paged_attention_ll4mi_QKV_mfma4_kernel(const scalar_t *__restrict, const cache_t *__restrict, const cache_t *__restrict, const int, const float, const int *__restrict, const int *__restrict, const int *__restrict, const int, const float *__restrict, const int, const int, const int, float *__restrict, float *__restrict, scalar_t *__restrict, OUTT *__restrict, int, const float *, const float *) [scalar_t = _Float16, cache_t = unsigned char, KV_DTYPE = vllm::Fp8KVCacheDataType::kFp8E4M3, OUTT = unsigned char, BLOCK_SIZE = 16, HEAD_SIZE = 128, NUM_THREADS = 256, ALIBI_ENABLED = true, GQA_RATIO = 2]"
	.size	__PRETTY_FUNCTION__._Z38paged_attention_ll4mi_QKV_mfma4_kernelIDF16_hLN4vllm18Fp8KVCacheDataTypeE1EhLi16ELi128ELi256ELb1ELi2EEvPKT_PKT0_S7_ifPKiS9_S9_iPKfiiiPfSC_PS2_PT2_iSB_SB_, 607

	.type	__PRETTY_FUNCTION__._Z38paged_attention_ll4mi_QKV_mfma4_kernelIDF16_hLN4vllm18Fp8KVCacheDataTypeE1EhLi16ELi128ELi256ELb1ELi3EEvPKT_PKT0_S7_ifPKiS9_S9_iPKfiiiPfSC_PS2_PT2_iSB_SB_,@object ; @__PRETTY_FUNCTION__._Z38paged_attention_ll4mi_QKV_mfma4_kernelIDF16_hLN4vllm18Fp8KVCacheDataTypeE1EhLi16ELi128ELi256ELb1ELi3EEvPKT_PKT0_S7_ifPKiS9_S9_iPKfiiiPfSC_PS2_PT2_iSB_SB_
__PRETTY_FUNCTION__._Z38paged_attention_ll4mi_QKV_mfma4_kernelIDF16_hLN4vllm18Fp8KVCacheDataTypeE1EhLi16ELi128ELi256ELb1ELi3EEvPKT_PKT0_S7_ifPKiS9_S9_iPKfiiiPfSC_PS2_PT2_iSB_SB_:
	.asciz	"void paged_attention_ll4mi_QKV_mfma4_kernel(const scalar_t *__restrict, const cache_t *__restrict, const cache_t *__restrict, const int, const float, const int *__restrict, const int *__restrict, const int *__restrict, const int, const float *__restrict, const int, const int, const int, float *__restrict, float *__restrict, scalar_t *__restrict, OUTT *__restrict, int, const float *, const float *) [scalar_t = _Float16, cache_t = unsigned char, KV_DTYPE = vllm::Fp8KVCacheDataType::kFp8E4M3, OUTT = unsigned char, BLOCK_SIZE = 16, HEAD_SIZE = 128, NUM_THREADS = 256, ALIBI_ENABLED = true, GQA_RATIO = 3]"
	.size	__PRETTY_FUNCTION__._Z38paged_attention_ll4mi_QKV_mfma4_kernelIDF16_hLN4vllm18Fp8KVCacheDataTypeE1EhLi16ELi128ELi256ELb1ELi3EEvPKT_PKT0_S7_ifPKiS9_S9_iPKfiiiPfSC_PS2_PT2_iSB_SB_, 607

	.type	__PRETTY_FUNCTION__._Z38paged_attention_ll4mi_QKV_mfma4_kernelIDF16_hLN4vllm18Fp8KVCacheDataTypeE1EhLi16ELi128ELi256ELb1ELi4EEvPKT_PKT0_S7_ifPKiS9_S9_iPKfiiiPfSC_PS2_PT2_iSB_SB_,@object ; @__PRETTY_FUNCTION__._Z38paged_attention_ll4mi_QKV_mfma4_kernelIDF16_hLN4vllm18Fp8KVCacheDataTypeE1EhLi16ELi128ELi256ELb1ELi4EEvPKT_PKT0_S7_ifPKiS9_S9_iPKfiiiPfSC_PS2_PT2_iSB_SB_
__PRETTY_FUNCTION__._Z38paged_attention_ll4mi_QKV_mfma4_kernelIDF16_hLN4vllm18Fp8KVCacheDataTypeE1EhLi16ELi128ELi256ELb1ELi4EEvPKT_PKT0_S7_ifPKiS9_S9_iPKfiiiPfSC_PS2_PT2_iSB_SB_:
	.asciz	"void paged_attention_ll4mi_QKV_mfma4_kernel(const scalar_t *__restrict, const cache_t *__restrict, const cache_t *__restrict, const int, const float, const int *__restrict, const int *__restrict, const int *__restrict, const int, const float *__restrict, const int, const int, const int, float *__restrict, float *__restrict, scalar_t *__restrict, OUTT *__restrict, int, const float *, const float *) [scalar_t = _Float16, cache_t = unsigned char, KV_DTYPE = vllm::Fp8KVCacheDataType::kFp8E4M3, OUTT = unsigned char, BLOCK_SIZE = 16, HEAD_SIZE = 128, NUM_THREADS = 256, ALIBI_ENABLED = true, GQA_RATIO = 4]"
	.size	__PRETTY_FUNCTION__._Z38paged_attention_ll4mi_QKV_mfma4_kernelIDF16_hLN4vllm18Fp8KVCacheDataTypeE1EhLi16ELi128ELi256ELb1ELi4EEvPKT_PKT0_S7_ifPKiS9_S9_iPKfiiiPfSC_PS2_PT2_iSB_SB_, 607

	.type	__PRETTY_FUNCTION__._Z39paged_attention_ll4mi_QKV_mfma16_kernelIDF16_hLN4vllm18Fp8KVCacheDataTypeE1EhLi16ELi128ELi256ELb1ELi5EEvPKT_PKT0_S7_ifPKiS9_S9_iPKfiiiPfSC_PS2_PT2_iSB_SB_,@object ; @__PRETTY_FUNCTION__._Z39paged_attention_ll4mi_QKV_mfma16_kernelIDF16_hLN4vllm18Fp8KVCacheDataTypeE1EhLi16ELi128ELi256ELb1ELi5EEvPKT_PKT0_S7_ifPKiS9_S9_iPKfiiiPfSC_PS2_PT2_iSB_SB_
__PRETTY_FUNCTION__._Z39paged_attention_ll4mi_QKV_mfma16_kernelIDF16_hLN4vllm18Fp8KVCacheDataTypeE1EhLi16ELi128ELi256ELb1ELi5EEvPKT_PKT0_S7_ifPKiS9_S9_iPKfiiiPfSC_PS2_PT2_iSB_SB_:
	.asciz	"void paged_attention_ll4mi_QKV_mfma16_kernel(const scalar_t *__restrict, const cache_t *__restrict, const cache_t *__restrict, const int, const float, const int *__restrict, const int *__restrict, const int *__restrict, const int, const float *__restrict, const int, const int, const int, float *__restrict, float *__restrict, scalar_t *__restrict, OUTT *__restrict, int, const float *, const float *) [scalar_t = _Float16, cache_t = unsigned char, KV_DTYPE = vllm::Fp8KVCacheDataType::kFp8E4M3, OUTT = unsigned char, BLOCK_SIZE = 16, HEAD_SIZE = 128, NUM_THREADS = 256, ALIBI_ENABLED = true, GQA_RATIO = 5]"
	.size	__PRETTY_FUNCTION__._Z39paged_attention_ll4mi_QKV_mfma16_kernelIDF16_hLN4vllm18Fp8KVCacheDataTypeE1EhLi16ELi128ELi256ELb1ELi5EEvPKT_PKT0_S7_ifPKiS9_S9_iPKfiiiPfSC_PS2_PT2_iSB_SB_, 608

	.type	__PRETTY_FUNCTION__._Z39paged_attention_ll4mi_QKV_mfma16_kernelIDF16_hLN4vllm18Fp8KVCacheDataTypeE1EhLi16ELi128ELi256ELb1ELi6EEvPKT_PKT0_S7_ifPKiS9_S9_iPKfiiiPfSC_PS2_PT2_iSB_SB_,@object ; @__PRETTY_FUNCTION__._Z39paged_attention_ll4mi_QKV_mfma16_kernelIDF16_hLN4vllm18Fp8KVCacheDataTypeE1EhLi16ELi128ELi256ELb1ELi6EEvPKT_PKT0_S7_ifPKiS9_S9_iPKfiiiPfSC_PS2_PT2_iSB_SB_
__PRETTY_FUNCTION__._Z39paged_attention_ll4mi_QKV_mfma16_kernelIDF16_hLN4vllm18Fp8KVCacheDataTypeE1EhLi16ELi128ELi256ELb1ELi6EEvPKT_PKT0_S7_ifPKiS9_S9_iPKfiiiPfSC_PS2_PT2_iSB_SB_:
	.asciz	"void paged_attention_ll4mi_QKV_mfma16_kernel(const scalar_t *__restrict, const cache_t *__restrict, const cache_t *__restrict, const int, const float, const int *__restrict, const int *__restrict, const int *__restrict, const int, const float *__restrict, const int, const int, const int, float *__restrict, float *__restrict, scalar_t *__restrict, OUTT *__restrict, int, const float *, const float *) [scalar_t = _Float16, cache_t = unsigned char, KV_DTYPE = vllm::Fp8KVCacheDataType::kFp8E4M3, OUTT = unsigned char, BLOCK_SIZE = 16, HEAD_SIZE = 128, NUM_THREADS = 256, ALIBI_ENABLED = true, GQA_RATIO = 6]"
	.size	__PRETTY_FUNCTION__._Z39paged_attention_ll4mi_QKV_mfma16_kernelIDF16_hLN4vllm18Fp8KVCacheDataTypeE1EhLi16ELi128ELi256ELb1ELi6EEvPKT_PKT0_S7_ifPKiS9_S9_iPKfiiiPfSC_PS2_PT2_iSB_SB_, 608

	.type	__PRETTY_FUNCTION__._Z39paged_attention_ll4mi_QKV_mfma16_kernelIDF16_hLN4vllm18Fp8KVCacheDataTypeE1EhLi16ELi128ELi256ELb1ELi7EEvPKT_PKT0_S7_ifPKiS9_S9_iPKfiiiPfSC_PS2_PT2_iSB_SB_,@object ; @__PRETTY_FUNCTION__._Z39paged_attention_ll4mi_QKV_mfma16_kernelIDF16_hLN4vllm18Fp8KVCacheDataTypeE1EhLi16ELi128ELi256ELb1ELi7EEvPKT_PKT0_S7_ifPKiS9_S9_iPKfiiiPfSC_PS2_PT2_iSB_SB_
__PRETTY_FUNCTION__._Z39paged_attention_ll4mi_QKV_mfma16_kernelIDF16_hLN4vllm18Fp8KVCacheDataTypeE1EhLi16ELi128ELi256ELb1ELi7EEvPKT_PKT0_S7_ifPKiS9_S9_iPKfiiiPfSC_PS2_PT2_iSB_SB_:
	.asciz	"void paged_attention_ll4mi_QKV_mfma16_kernel(const scalar_t *__restrict, const cache_t *__restrict, const cache_t *__restrict, const int, const float, const int *__restrict, const int *__restrict, const int *__restrict, const int, const float *__restrict, const int, const int, const int, float *__restrict, float *__restrict, scalar_t *__restrict, OUTT *__restrict, int, const float *, const float *) [scalar_t = _Float16, cache_t = unsigned char, KV_DTYPE = vllm::Fp8KVCacheDataType::kFp8E4M3, OUTT = unsigned char, BLOCK_SIZE = 16, HEAD_SIZE = 128, NUM_THREADS = 256, ALIBI_ENABLED = true, GQA_RATIO = 7]"
	.size	__PRETTY_FUNCTION__._Z39paged_attention_ll4mi_QKV_mfma16_kernelIDF16_hLN4vllm18Fp8KVCacheDataTypeE1EhLi16ELi128ELi256ELb1ELi7EEvPKT_PKT0_S7_ifPKiS9_S9_iPKfiiiPfSC_PS2_PT2_iSB_SB_, 608

	.type	__PRETTY_FUNCTION__._Z39paged_attention_ll4mi_QKV_mfma16_kernelIDF16_hLN4vllm18Fp8KVCacheDataTypeE1EhLi16ELi128ELi256ELb1ELi8EEvPKT_PKT0_S7_ifPKiS9_S9_iPKfiiiPfSC_PS2_PT2_iSB_SB_,@object ; @__PRETTY_FUNCTION__._Z39paged_attention_ll4mi_QKV_mfma16_kernelIDF16_hLN4vllm18Fp8KVCacheDataTypeE1EhLi16ELi128ELi256ELb1ELi8EEvPKT_PKT0_S7_ifPKiS9_S9_iPKfiiiPfSC_PS2_PT2_iSB_SB_
__PRETTY_FUNCTION__._Z39paged_attention_ll4mi_QKV_mfma16_kernelIDF16_hLN4vllm18Fp8KVCacheDataTypeE1EhLi16ELi128ELi256ELb1ELi8EEvPKT_PKT0_S7_ifPKiS9_S9_iPKfiiiPfSC_PS2_PT2_iSB_SB_:
	.asciz	"void paged_attention_ll4mi_QKV_mfma16_kernel(const scalar_t *__restrict, const cache_t *__restrict, const cache_t *__restrict, const int, const float, const int *__restrict, const int *__restrict, const int *__restrict, const int, const float *__restrict, const int, const int, const int, float *__restrict, float *__restrict, scalar_t *__restrict, OUTT *__restrict, int, const float *, const float *) [scalar_t = _Float16, cache_t = unsigned char, KV_DTYPE = vllm::Fp8KVCacheDataType::kFp8E4M3, OUTT = unsigned char, BLOCK_SIZE = 16, HEAD_SIZE = 128, NUM_THREADS = 256, ALIBI_ENABLED = true, GQA_RATIO = 8]"
	.size	__PRETTY_FUNCTION__._Z39paged_attention_ll4mi_QKV_mfma16_kernelIDF16_hLN4vllm18Fp8KVCacheDataTypeE1EhLi16ELi128ELi256ELb1ELi8EEvPKT_PKT0_S7_ifPKiS9_S9_iPKfiiiPfSC_PS2_PT2_iSB_SB_, 608

	.type	__PRETTY_FUNCTION__._Z39paged_attention_ll4mi_QKV_mfma16_kernelIDF16_hLN4vllm18Fp8KVCacheDataTypeE1EhLi16ELi128ELi256ELb1ELi9EEvPKT_PKT0_S7_ifPKiS9_S9_iPKfiiiPfSC_PS2_PT2_iSB_SB_,@object ; @__PRETTY_FUNCTION__._Z39paged_attention_ll4mi_QKV_mfma16_kernelIDF16_hLN4vllm18Fp8KVCacheDataTypeE1EhLi16ELi128ELi256ELb1ELi9EEvPKT_PKT0_S7_ifPKiS9_S9_iPKfiiiPfSC_PS2_PT2_iSB_SB_
__PRETTY_FUNCTION__._Z39paged_attention_ll4mi_QKV_mfma16_kernelIDF16_hLN4vllm18Fp8KVCacheDataTypeE1EhLi16ELi128ELi256ELb1ELi9EEvPKT_PKT0_S7_ifPKiS9_S9_iPKfiiiPfSC_PS2_PT2_iSB_SB_:
	.asciz	"void paged_attention_ll4mi_QKV_mfma16_kernel(const scalar_t *__restrict, const cache_t *__restrict, const cache_t *__restrict, const int, const float, const int *__restrict, const int *__restrict, const int *__restrict, const int, const float *__restrict, const int, const int, const int, float *__restrict, float *__restrict, scalar_t *__restrict, OUTT *__restrict, int, const float *, const float *) [scalar_t = _Float16, cache_t = unsigned char, KV_DTYPE = vllm::Fp8KVCacheDataType::kFp8E4M3, OUTT = unsigned char, BLOCK_SIZE = 16, HEAD_SIZE = 128, NUM_THREADS = 256, ALIBI_ENABLED = true, GQA_RATIO = 9]"
	.size	__PRETTY_FUNCTION__._Z39paged_attention_ll4mi_QKV_mfma16_kernelIDF16_hLN4vllm18Fp8KVCacheDataTypeE1EhLi16ELi128ELi256ELb1ELi9EEvPKT_PKT0_S7_ifPKiS9_S9_iPKfiiiPfSC_PS2_PT2_iSB_SB_, 608

	.type	__PRETTY_FUNCTION__._Z39paged_attention_ll4mi_QKV_mfma16_kernelIDF16_hLN4vllm18Fp8KVCacheDataTypeE1EhLi16ELi128ELi256ELb1ELi10EEvPKT_PKT0_S7_ifPKiS9_S9_iPKfiiiPfSC_PS2_PT2_iSB_SB_,@object ; @__PRETTY_FUNCTION__._Z39paged_attention_ll4mi_QKV_mfma16_kernelIDF16_hLN4vllm18Fp8KVCacheDataTypeE1EhLi16ELi128ELi256ELb1ELi10EEvPKT_PKT0_S7_ifPKiS9_S9_iPKfiiiPfSC_PS2_PT2_iSB_SB_
__PRETTY_FUNCTION__._Z39paged_attention_ll4mi_QKV_mfma16_kernelIDF16_hLN4vllm18Fp8KVCacheDataTypeE1EhLi16ELi128ELi256ELb1ELi10EEvPKT_PKT0_S7_ifPKiS9_S9_iPKfiiiPfSC_PS2_PT2_iSB_SB_:
	.asciz	"void paged_attention_ll4mi_QKV_mfma16_kernel(const scalar_t *__restrict, const cache_t *__restrict, const cache_t *__restrict, const int, const float, const int *__restrict, const int *__restrict, const int *__restrict, const int, const float *__restrict, const int, const int, const int, float *__restrict, float *__restrict, scalar_t *__restrict, OUTT *__restrict, int, const float *, const float *) [scalar_t = _Float16, cache_t = unsigned char, KV_DTYPE = vllm::Fp8KVCacheDataType::kFp8E4M3, OUTT = unsigned char, BLOCK_SIZE = 16, HEAD_SIZE = 128, NUM_THREADS = 256, ALIBI_ENABLED = true, GQA_RATIO = 10]"
	.size	__PRETTY_FUNCTION__._Z39paged_attention_ll4mi_QKV_mfma16_kernelIDF16_hLN4vllm18Fp8KVCacheDataTypeE1EhLi16ELi128ELi256ELb1ELi10EEvPKT_PKT0_S7_ifPKiS9_S9_iPKfiiiPfSC_PS2_PT2_iSB_SB_, 609

	.type	__PRETTY_FUNCTION__._Z39paged_attention_ll4mi_QKV_mfma16_kernelIDF16_hLN4vllm18Fp8KVCacheDataTypeE1EhLi16ELi128ELi256ELb1ELi11EEvPKT_PKT0_S7_ifPKiS9_S9_iPKfiiiPfSC_PS2_PT2_iSB_SB_,@object ; @__PRETTY_FUNCTION__._Z39paged_attention_ll4mi_QKV_mfma16_kernelIDF16_hLN4vllm18Fp8KVCacheDataTypeE1EhLi16ELi128ELi256ELb1ELi11EEvPKT_PKT0_S7_ifPKiS9_S9_iPKfiiiPfSC_PS2_PT2_iSB_SB_
__PRETTY_FUNCTION__._Z39paged_attention_ll4mi_QKV_mfma16_kernelIDF16_hLN4vllm18Fp8KVCacheDataTypeE1EhLi16ELi128ELi256ELb1ELi11EEvPKT_PKT0_S7_ifPKiS9_S9_iPKfiiiPfSC_PS2_PT2_iSB_SB_:
	.asciz	"void paged_attention_ll4mi_QKV_mfma16_kernel(const scalar_t *__restrict, const cache_t *__restrict, const cache_t *__restrict, const int, const float, const int *__restrict, const int *__restrict, const int *__restrict, const int, const float *__restrict, const int, const int, const int, float *__restrict, float *__restrict, scalar_t *__restrict, OUTT *__restrict, int, const float *, const float *) [scalar_t = _Float16, cache_t = unsigned char, KV_DTYPE = vllm::Fp8KVCacheDataType::kFp8E4M3, OUTT = unsigned char, BLOCK_SIZE = 16, HEAD_SIZE = 128, NUM_THREADS = 256, ALIBI_ENABLED = true, GQA_RATIO = 11]"
	.size	__PRETTY_FUNCTION__._Z39paged_attention_ll4mi_QKV_mfma16_kernelIDF16_hLN4vllm18Fp8KVCacheDataTypeE1EhLi16ELi128ELi256ELb1ELi11EEvPKT_PKT0_S7_ifPKiS9_S9_iPKfiiiPfSC_PS2_PT2_iSB_SB_, 609

	.type	__PRETTY_FUNCTION__._Z39paged_attention_ll4mi_QKV_mfma16_kernelIDF16_hLN4vllm18Fp8KVCacheDataTypeE1EhLi16ELi128ELi256ELb1ELi12EEvPKT_PKT0_S7_ifPKiS9_S9_iPKfiiiPfSC_PS2_PT2_iSB_SB_,@object ; @__PRETTY_FUNCTION__._Z39paged_attention_ll4mi_QKV_mfma16_kernelIDF16_hLN4vllm18Fp8KVCacheDataTypeE1EhLi16ELi128ELi256ELb1ELi12EEvPKT_PKT0_S7_ifPKiS9_S9_iPKfiiiPfSC_PS2_PT2_iSB_SB_
__PRETTY_FUNCTION__._Z39paged_attention_ll4mi_QKV_mfma16_kernelIDF16_hLN4vllm18Fp8KVCacheDataTypeE1EhLi16ELi128ELi256ELb1ELi12EEvPKT_PKT0_S7_ifPKiS9_S9_iPKfiiiPfSC_PS2_PT2_iSB_SB_:
	.asciz	"void paged_attention_ll4mi_QKV_mfma16_kernel(const scalar_t *__restrict, const cache_t *__restrict, const cache_t *__restrict, const int, const float, const int *__restrict, const int *__restrict, const int *__restrict, const int, const float *__restrict, const int, const int, const int, float *__restrict, float *__restrict, scalar_t *__restrict, OUTT *__restrict, int, const float *, const float *) [scalar_t = _Float16, cache_t = unsigned char, KV_DTYPE = vllm::Fp8KVCacheDataType::kFp8E4M3, OUTT = unsigned char, BLOCK_SIZE = 16, HEAD_SIZE = 128, NUM_THREADS = 256, ALIBI_ENABLED = true, GQA_RATIO = 12]"
	.size	__PRETTY_FUNCTION__._Z39paged_attention_ll4mi_QKV_mfma16_kernelIDF16_hLN4vllm18Fp8KVCacheDataTypeE1EhLi16ELi128ELi256ELb1ELi12EEvPKT_PKT0_S7_ifPKiS9_S9_iPKfiiiPfSC_PS2_PT2_iSB_SB_, 609

	.type	__PRETTY_FUNCTION__._Z39paged_attention_ll4mi_QKV_mfma16_kernelIDF16_hLN4vllm18Fp8KVCacheDataTypeE1EhLi16ELi128ELi256ELb1ELi13EEvPKT_PKT0_S7_ifPKiS9_S9_iPKfiiiPfSC_PS2_PT2_iSB_SB_,@object ; @__PRETTY_FUNCTION__._Z39paged_attention_ll4mi_QKV_mfma16_kernelIDF16_hLN4vllm18Fp8KVCacheDataTypeE1EhLi16ELi128ELi256ELb1ELi13EEvPKT_PKT0_S7_ifPKiS9_S9_iPKfiiiPfSC_PS2_PT2_iSB_SB_
__PRETTY_FUNCTION__._Z39paged_attention_ll4mi_QKV_mfma16_kernelIDF16_hLN4vllm18Fp8KVCacheDataTypeE1EhLi16ELi128ELi256ELb1ELi13EEvPKT_PKT0_S7_ifPKiS9_S9_iPKfiiiPfSC_PS2_PT2_iSB_SB_:
	.asciz	"void paged_attention_ll4mi_QKV_mfma16_kernel(const scalar_t *__restrict, const cache_t *__restrict, const cache_t *__restrict, const int, const float, const int *__restrict, const int *__restrict, const int *__restrict, const int, const float *__restrict, const int, const int, const int, float *__restrict, float *__restrict, scalar_t *__restrict, OUTT *__restrict, int, const float *, const float *) [scalar_t = _Float16, cache_t = unsigned char, KV_DTYPE = vllm::Fp8KVCacheDataType::kFp8E4M3, OUTT = unsigned char, BLOCK_SIZE = 16, HEAD_SIZE = 128, NUM_THREADS = 256, ALIBI_ENABLED = true, GQA_RATIO = 13]"
	.size	__PRETTY_FUNCTION__._Z39paged_attention_ll4mi_QKV_mfma16_kernelIDF16_hLN4vllm18Fp8KVCacheDataTypeE1EhLi16ELi128ELi256ELb1ELi13EEvPKT_PKT0_S7_ifPKiS9_S9_iPKfiiiPfSC_PS2_PT2_iSB_SB_, 609

	.type	__PRETTY_FUNCTION__._Z39paged_attention_ll4mi_QKV_mfma16_kernelIDF16_hLN4vllm18Fp8KVCacheDataTypeE1EhLi16ELi128ELi256ELb1ELi14EEvPKT_PKT0_S7_ifPKiS9_S9_iPKfiiiPfSC_PS2_PT2_iSB_SB_,@object ; @__PRETTY_FUNCTION__._Z39paged_attention_ll4mi_QKV_mfma16_kernelIDF16_hLN4vllm18Fp8KVCacheDataTypeE1EhLi16ELi128ELi256ELb1ELi14EEvPKT_PKT0_S7_ifPKiS9_S9_iPKfiiiPfSC_PS2_PT2_iSB_SB_
__PRETTY_FUNCTION__._Z39paged_attention_ll4mi_QKV_mfma16_kernelIDF16_hLN4vllm18Fp8KVCacheDataTypeE1EhLi16ELi128ELi256ELb1ELi14EEvPKT_PKT0_S7_ifPKiS9_S9_iPKfiiiPfSC_PS2_PT2_iSB_SB_:
	.asciz	"void paged_attention_ll4mi_QKV_mfma16_kernel(const scalar_t *__restrict, const cache_t *__restrict, const cache_t *__restrict, const int, const float, const int *__restrict, const int *__restrict, const int *__restrict, const int, const float *__restrict, const int, const int, const int, float *__restrict, float *__restrict, scalar_t *__restrict, OUTT *__restrict, int, const float *, const float *) [scalar_t = _Float16, cache_t = unsigned char, KV_DTYPE = vllm::Fp8KVCacheDataType::kFp8E4M3, OUTT = unsigned char, BLOCK_SIZE = 16, HEAD_SIZE = 128, NUM_THREADS = 256, ALIBI_ENABLED = true, GQA_RATIO = 14]"
	.size	__PRETTY_FUNCTION__._Z39paged_attention_ll4mi_QKV_mfma16_kernelIDF16_hLN4vllm18Fp8KVCacheDataTypeE1EhLi16ELi128ELi256ELb1ELi14EEvPKT_PKT0_S7_ifPKiS9_S9_iPKfiiiPfSC_PS2_PT2_iSB_SB_, 609

	.type	__PRETTY_FUNCTION__._Z39paged_attention_ll4mi_QKV_mfma16_kernelIDF16_hLN4vllm18Fp8KVCacheDataTypeE1EhLi16ELi128ELi256ELb1ELi15EEvPKT_PKT0_S7_ifPKiS9_S9_iPKfiiiPfSC_PS2_PT2_iSB_SB_,@object ; @__PRETTY_FUNCTION__._Z39paged_attention_ll4mi_QKV_mfma16_kernelIDF16_hLN4vllm18Fp8KVCacheDataTypeE1EhLi16ELi128ELi256ELb1ELi15EEvPKT_PKT0_S7_ifPKiS9_S9_iPKfiiiPfSC_PS2_PT2_iSB_SB_
__PRETTY_FUNCTION__._Z39paged_attention_ll4mi_QKV_mfma16_kernelIDF16_hLN4vllm18Fp8KVCacheDataTypeE1EhLi16ELi128ELi256ELb1ELi15EEvPKT_PKT0_S7_ifPKiS9_S9_iPKfiiiPfSC_PS2_PT2_iSB_SB_:
	.asciz	"void paged_attention_ll4mi_QKV_mfma16_kernel(const scalar_t *__restrict, const cache_t *__restrict, const cache_t *__restrict, const int, const float, const int *__restrict, const int *__restrict, const int *__restrict, const int, const float *__restrict, const int, const int, const int, float *__restrict, float *__restrict, scalar_t *__restrict, OUTT *__restrict, int, const float *, const float *) [scalar_t = _Float16, cache_t = unsigned char, KV_DTYPE = vllm::Fp8KVCacheDataType::kFp8E4M3, OUTT = unsigned char, BLOCK_SIZE = 16, HEAD_SIZE = 128, NUM_THREADS = 256, ALIBI_ENABLED = true, GQA_RATIO = 15]"
	.size	__PRETTY_FUNCTION__._Z39paged_attention_ll4mi_QKV_mfma16_kernelIDF16_hLN4vllm18Fp8KVCacheDataTypeE1EhLi16ELi128ELi256ELb1ELi15EEvPKT_PKT0_S7_ifPKiS9_S9_iPKfiiiPfSC_PS2_PT2_iSB_SB_, 609

	.type	__PRETTY_FUNCTION__._Z39paged_attention_ll4mi_QKV_mfma16_kernelIDF16_hLN4vllm18Fp8KVCacheDataTypeE1EhLi16ELi128ELi256ELb1ELi16EEvPKT_PKT0_S7_ifPKiS9_S9_iPKfiiiPfSC_PS2_PT2_iSB_SB_,@object ; @__PRETTY_FUNCTION__._Z39paged_attention_ll4mi_QKV_mfma16_kernelIDF16_hLN4vllm18Fp8KVCacheDataTypeE1EhLi16ELi128ELi256ELb1ELi16EEvPKT_PKT0_S7_ifPKiS9_S9_iPKfiiiPfSC_PS2_PT2_iSB_SB_
__PRETTY_FUNCTION__._Z39paged_attention_ll4mi_QKV_mfma16_kernelIDF16_hLN4vllm18Fp8KVCacheDataTypeE1EhLi16ELi128ELi256ELb1ELi16EEvPKT_PKT0_S7_ifPKiS9_S9_iPKfiiiPfSC_PS2_PT2_iSB_SB_:
	.asciz	"void paged_attention_ll4mi_QKV_mfma16_kernel(const scalar_t *__restrict, const cache_t *__restrict, const cache_t *__restrict, const int, const float, const int *__restrict, const int *__restrict, const int *__restrict, const int, const float *__restrict, const int, const int, const int, float *__restrict, float *__restrict, scalar_t *__restrict, OUTT *__restrict, int, const float *, const float *) [scalar_t = _Float16, cache_t = unsigned char, KV_DTYPE = vllm::Fp8KVCacheDataType::kFp8E4M3, OUTT = unsigned char, BLOCK_SIZE = 16, HEAD_SIZE = 128, NUM_THREADS = 256, ALIBI_ENABLED = true, GQA_RATIO = 16]"
	.size	__PRETTY_FUNCTION__._Z39paged_attention_ll4mi_QKV_mfma16_kernelIDF16_hLN4vllm18Fp8KVCacheDataTypeE1EhLi16ELi128ELi256ELb1ELi16EEvPKT_PKT0_S7_ifPKiS9_S9_iPKfiiiPfSC_PS2_PT2_iSB_SB_, 609

	.type	__PRETTY_FUNCTION__._Z39paged_attention_ll4mi_QKV_mfma16_kernelIDF16_hLN4vllm18Fp8KVCacheDataTypeE1EhLi16ELi128ELi256ELb1ELi1EEvPKT_PKT0_S7_ifPKiS9_S9_iPKfiiiPfSC_PS2_PT2_iSB_SB_,@object ; @__PRETTY_FUNCTION__._Z39paged_attention_ll4mi_QKV_mfma16_kernelIDF16_hLN4vllm18Fp8KVCacheDataTypeE1EhLi16ELi128ELi256ELb1ELi1EEvPKT_PKT0_S7_ifPKiS9_S9_iPKfiiiPfSC_PS2_PT2_iSB_SB_
__PRETTY_FUNCTION__._Z39paged_attention_ll4mi_QKV_mfma16_kernelIDF16_hLN4vllm18Fp8KVCacheDataTypeE1EhLi16ELi128ELi256ELb1ELi1EEvPKT_PKT0_S7_ifPKiS9_S9_iPKfiiiPfSC_PS2_PT2_iSB_SB_:
	.asciz	"void paged_attention_ll4mi_QKV_mfma16_kernel(const scalar_t *__restrict, const cache_t *__restrict, const cache_t *__restrict, const int, const float, const int *__restrict, const int *__restrict, const int *__restrict, const int, const float *__restrict, const int, const int, const int, float *__restrict, float *__restrict, scalar_t *__restrict, OUTT *__restrict, int, const float *, const float *) [scalar_t = _Float16, cache_t = unsigned char, KV_DTYPE = vllm::Fp8KVCacheDataType::kFp8E4M3, OUTT = unsigned char, BLOCK_SIZE = 16, HEAD_SIZE = 128, NUM_THREADS = 256, ALIBI_ENABLED = true, GQA_RATIO = 1]"
	.size	__PRETTY_FUNCTION__._Z39paged_attention_ll4mi_QKV_mfma16_kernelIDF16_hLN4vllm18Fp8KVCacheDataTypeE1EhLi16ELi128ELi256ELb1ELi1EEvPKT_PKT0_S7_ifPKiS9_S9_iPKfiiiPfSC_PS2_PT2_iSB_SB_, 608

	.type	__PRETTY_FUNCTION__._Z39paged_attention_ll4mi_QKV_mfma16_kernelIDF16_hLN4vllm18Fp8KVCacheDataTypeE1EhLi16ELi128ELi256ELb1ELi2EEvPKT_PKT0_S7_ifPKiS9_S9_iPKfiiiPfSC_PS2_PT2_iSB_SB_,@object ; @__PRETTY_FUNCTION__._Z39paged_attention_ll4mi_QKV_mfma16_kernelIDF16_hLN4vllm18Fp8KVCacheDataTypeE1EhLi16ELi128ELi256ELb1ELi2EEvPKT_PKT0_S7_ifPKiS9_S9_iPKfiiiPfSC_PS2_PT2_iSB_SB_
__PRETTY_FUNCTION__._Z39paged_attention_ll4mi_QKV_mfma16_kernelIDF16_hLN4vllm18Fp8KVCacheDataTypeE1EhLi16ELi128ELi256ELb1ELi2EEvPKT_PKT0_S7_ifPKiS9_S9_iPKfiiiPfSC_PS2_PT2_iSB_SB_:
	.asciz	"void paged_attention_ll4mi_QKV_mfma16_kernel(const scalar_t *__restrict, const cache_t *__restrict, const cache_t *__restrict, const int, const float, const int *__restrict, const int *__restrict, const int *__restrict, const int, const float *__restrict, const int, const int, const int, float *__restrict, float *__restrict, scalar_t *__restrict, OUTT *__restrict, int, const float *, const float *) [scalar_t = _Float16, cache_t = unsigned char, KV_DTYPE = vllm::Fp8KVCacheDataType::kFp8E4M3, OUTT = unsigned char, BLOCK_SIZE = 16, HEAD_SIZE = 128, NUM_THREADS = 256, ALIBI_ENABLED = true, GQA_RATIO = 2]"
	.size	__PRETTY_FUNCTION__._Z39paged_attention_ll4mi_QKV_mfma16_kernelIDF16_hLN4vllm18Fp8KVCacheDataTypeE1EhLi16ELi128ELi256ELb1ELi2EEvPKT_PKT0_S7_ifPKiS9_S9_iPKfiiiPfSC_PS2_PT2_iSB_SB_, 608

	.type	__PRETTY_FUNCTION__._Z39paged_attention_ll4mi_QKV_mfma16_kernelIDF16_hLN4vllm18Fp8KVCacheDataTypeE1EhLi16ELi128ELi256ELb1ELi3EEvPKT_PKT0_S7_ifPKiS9_S9_iPKfiiiPfSC_PS2_PT2_iSB_SB_,@object ; @__PRETTY_FUNCTION__._Z39paged_attention_ll4mi_QKV_mfma16_kernelIDF16_hLN4vllm18Fp8KVCacheDataTypeE1EhLi16ELi128ELi256ELb1ELi3EEvPKT_PKT0_S7_ifPKiS9_S9_iPKfiiiPfSC_PS2_PT2_iSB_SB_
__PRETTY_FUNCTION__._Z39paged_attention_ll4mi_QKV_mfma16_kernelIDF16_hLN4vllm18Fp8KVCacheDataTypeE1EhLi16ELi128ELi256ELb1ELi3EEvPKT_PKT0_S7_ifPKiS9_S9_iPKfiiiPfSC_PS2_PT2_iSB_SB_:
	.asciz	"void paged_attention_ll4mi_QKV_mfma16_kernel(const scalar_t *__restrict, const cache_t *__restrict, const cache_t *__restrict, const int, const float, const int *__restrict, const int *__restrict, const int *__restrict, const int, const float *__restrict, const int, const int, const int, float *__restrict, float *__restrict, scalar_t *__restrict, OUTT *__restrict, int, const float *, const float *) [scalar_t = _Float16, cache_t = unsigned char, KV_DTYPE = vllm::Fp8KVCacheDataType::kFp8E4M3, OUTT = unsigned char, BLOCK_SIZE = 16, HEAD_SIZE = 128, NUM_THREADS = 256, ALIBI_ENABLED = true, GQA_RATIO = 3]"
	.size	__PRETTY_FUNCTION__._Z39paged_attention_ll4mi_QKV_mfma16_kernelIDF16_hLN4vllm18Fp8KVCacheDataTypeE1EhLi16ELi128ELi256ELb1ELi3EEvPKT_PKT0_S7_ifPKiS9_S9_iPKfiiiPfSC_PS2_PT2_iSB_SB_, 608

	.type	__PRETTY_FUNCTION__._Z39paged_attention_ll4mi_QKV_mfma16_kernelIDF16_hLN4vllm18Fp8KVCacheDataTypeE1EhLi16ELi128ELi256ELb1ELi4EEvPKT_PKT0_S7_ifPKiS9_S9_iPKfiiiPfSC_PS2_PT2_iSB_SB_,@object ; @__PRETTY_FUNCTION__._Z39paged_attention_ll4mi_QKV_mfma16_kernelIDF16_hLN4vllm18Fp8KVCacheDataTypeE1EhLi16ELi128ELi256ELb1ELi4EEvPKT_PKT0_S7_ifPKiS9_S9_iPKfiiiPfSC_PS2_PT2_iSB_SB_
__PRETTY_FUNCTION__._Z39paged_attention_ll4mi_QKV_mfma16_kernelIDF16_hLN4vllm18Fp8KVCacheDataTypeE1EhLi16ELi128ELi256ELb1ELi4EEvPKT_PKT0_S7_ifPKiS9_S9_iPKfiiiPfSC_PS2_PT2_iSB_SB_:
	.asciz	"void paged_attention_ll4mi_QKV_mfma16_kernel(const scalar_t *__restrict, const cache_t *__restrict, const cache_t *__restrict, const int, const float, const int *__restrict, const int *__restrict, const int *__restrict, const int, const float *__restrict, const int, const int, const int, float *__restrict, float *__restrict, scalar_t *__restrict, OUTT *__restrict, int, const float *, const float *) [scalar_t = _Float16, cache_t = unsigned char, KV_DTYPE = vllm::Fp8KVCacheDataType::kFp8E4M3, OUTT = unsigned char, BLOCK_SIZE = 16, HEAD_SIZE = 128, NUM_THREADS = 256, ALIBI_ENABLED = true, GQA_RATIO = 4]"
	.size	__PRETTY_FUNCTION__._Z39paged_attention_ll4mi_QKV_mfma16_kernelIDF16_hLN4vllm18Fp8KVCacheDataTypeE1EhLi16ELi128ELi256ELb1ELi4EEvPKT_PKT0_S7_ifPKiS9_S9_iPKfiiiPfSC_PS2_PT2_iSB_SB_, 608

	.type	__PRETTY_FUNCTION__._Z38paged_attention_ll4mi_QKV_mfma4_kernelIDF16_hLN4vllm18Fp8KVCacheDataTypeE1EhLi16ELi128ELi256ELb0ELi1EEvPKT_PKT0_S7_ifPKiS9_S9_iPKfiiiPfSC_PS2_PT2_iSB_SB_,@object ; @__PRETTY_FUNCTION__._Z38paged_attention_ll4mi_QKV_mfma4_kernelIDF16_hLN4vllm18Fp8KVCacheDataTypeE1EhLi16ELi128ELi256ELb0ELi1EEvPKT_PKT0_S7_ifPKiS9_S9_iPKfiiiPfSC_PS2_PT2_iSB_SB_
__PRETTY_FUNCTION__._Z38paged_attention_ll4mi_QKV_mfma4_kernelIDF16_hLN4vllm18Fp8KVCacheDataTypeE1EhLi16ELi128ELi256ELb0ELi1EEvPKT_PKT0_S7_ifPKiS9_S9_iPKfiiiPfSC_PS2_PT2_iSB_SB_:
	.asciz	"void paged_attention_ll4mi_QKV_mfma4_kernel(const scalar_t *__restrict, const cache_t *__restrict, const cache_t *__restrict, const int, const float, const int *__restrict, const int *__restrict, const int *__restrict, const int, const float *__restrict, const int, const int, const int, float *__restrict, float *__restrict, scalar_t *__restrict, OUTT *__restrict, int, const float *, const float *) [scalar_t = _Float16, cache_t = unsigned char, KV_DTYPE = vllm::Fp8KVCacheDataType::kFp8E4M3, OUTT = unsigned char, BLOCK_SIZE = 16, HEAD_SIZE = 128, NUM_THREADS = 256, ALIBI_ENABLED = false, GQA_RATIO = 1]"
	.size	__PRETTY_FUNCTION__._Z38paged_attention_ll4mi_QKV_mfma4_kernelIDF16_hLN4vllm18Fp8KVCacheDataTypeE1EhLi16ELi128ELi256ELb0ELi1EEvPKT_PKT0_S7_ifPKiS9_S9_iPKfiiiPfSC_PS2_PT2_iSB_SB_, 608

	.type	__PRETTY_FUNCTION__._Z38paged_attention_ll4mi_QKV_mfma4_kernelIDF16_hLN4vllm18Fp8KVCacheDataTypeE1EhLi16ELi128ELi256ELb0ELi2EEvPKT_PKT0_S7_ifPKiS9_S9_iPKfiiiPfSC_PS2_PT2_iSB_SB_,@object ; @__PRETTY_FUNCTION__._Z38paged_attention_ll4mi_QKV_mfma4_kernelIDF16_hLN4vllm18Fp8KVCacheDataTypeE1EhLi16ELi128ELi256ELb0ELi2EEvPKT_PKT0_S7_ifPKiS9_S9_iPKfiiiPfSC_PS2_PT2_iSB_SB_
__PRETTY_FUNCTION__._Z38paged_attention_ll4mi_QKV_mfma4_kernelIDF16_hLN4vllm18Fp8KVCacheDataTypeE1EhLi16ELi128ELi256ELb0ELi2EEvPKT_PKT0_S7_ifPKiS9_S9_iPKfiiiPfSC_PS2_PT2_iSB_SB_:
	.asciz	"void paged_attention_ll4mi_QKV_mfma4_kernel(const scalar_t *__restrict, const cache_t *__restrict, const cache_t *__restrict, const int, const float, const int *__restrict, const int *__restrict, const int *__restrict, const int, const float *__restrict, const int, const int, const int, float *__restrict, float *__restrict, scalar_t *__restrict, OUTT *__restrict, int, const float *, const float *) [scalar_t = _Float16, cache_t = unsigned char, KV_DTYPE = vllm::Fp8KVCacheDataType::kFp8E4M3, OUTT = unsigned char, BLOCK_SIZE = 16, HEAD_SIZE = 128, NUM_THREADS = 256, ALIBI_ENABLED = false, GQA_RATIO = 2]"
	.size	__PRETTY_FUNCTION__._Z38paged_attention_ll4mi_QKV_mfma4_kernelIDF16_hLN4vllm18Fp8KVCacheDataTypeE1EhLi16ELi128ELi256ELb0ELi2EEvPKT_PKT0_S7_ifPKiS9_S9_iPKfiiiPfSC_PS2_PT2_iSB_SB_, 608

	.type	__PRETTY_FUNCTION__._Z38paged_attention_ll4mi_QKV_mfma4_kernelIDF16_hLN4vllm18Fp8KVCacheDataTypeE1EhLi16ELi128ELi256ELb0ELi3EEvPKT_PKT0_S7_ifPKiS9_S9_iPKfiiiPfSC_PS2_PT2_iSB_SB_,@object ; @__PRETTY_FUNCTION__._Z38paged_attention_ll4mi_QKV_mfma4_kernelIDF16_hLN4vllm18Fp8KVCacheDataTypeE1EhLi16ELi128ELi256ELb0ELi3EEvPKT_PKT0_S7_ifPKiS9_S9_iPKfiiiPfSC_PS2_PT2_iSB_SB_
__PRETTY_FUNCTION__._Z38paged_attention_ll4mi_QKV_mfma4_kernelIDF16_hLN4vllm18Fp8KVCacheDataTypeE1EhLi16ELi128ELi256ELb0ELi3EEvPKT_PKT0_S7_ifPKiS9_S9_iPKfiiiPfSC_PS2_PT2_iSB_SB_:
	.asciz	"void paged_attention_ll4mi_QKV_mfma4_kernel(const scalar_t *__restrict, const cache_t *__restrict, const cache_t *__restrict, const int, const float, const int *__restrict, const int *__restrict, const int *__restrict, const int, const float *__restrict, const int, const int, const int, float *__restrict, float *__restrict, scalar_t *__restrict, OUTT *__restrict, int, const float *, const float *) [scalar_t = _Float16, cache_t = unsigned char, KV_DTYPE = vllm::Fp8KVCacheDataType::kFp8E4M3, OUTT = unsigned char, BLOCK_SIZE = 16, HEAD_SIZE = 128, NUM_THREADS = 256, ALIBI_ENABLED = false, GQA_RATIO = 3]"
	.size	__PRETTY_FUNCTION__._Z38paged_attention_ll4mi_QKV_mfma4_kernelIDF16_hLN4vllm18Fp8KVCacheDataTypeE1EhLi16ELi128ELi256ELb0ELi3EEvPKT_PKT0_S7_ifPKiS9_S9_iPKfiiiPfSC_PS2_PT2_iSB_SB_, 608

	.type	__PRETTY_FUNCTION__._Z38paged_attention_ll4mi_QKV_mfma4_kernelIDF16_hLN4vllm18Fp8KVCacheDataTypeE1EhLi16ELi128ELi256ELb0ELi4EEvPKT_PKT0_S7_ifPKiS9_S9_iPKfiiiPfSC_PS2_PT2_iSB_SB_,@object ; @__PRETTY_FUNCTION__._Z38paged_attention_ll4mi_QKV_mfma4_kernelIDF16_hLN4vllm18Fp8KVCacheDataTypeE1EhLi16ELi128ELi256ELb0ELi4EEvPKT_PKT0_S7_ifPKiS9_S9_iPKfiiiPfSC_PS2_PT2_iSB_SB_
__PRETTY_FUNCTION__._Z38paged_attention_ll4mi_QKV_mfma4_kernelIDF16_hLN4vllm18Fp8KVCacheDataTypeE1EhLi16ELi128ELi256ELb0ELi4EEvPKT_PKT0_S7_ifPKiS9_S9_iPKfiiiPfSC_PS2_PT2_iSB_SB_:
	.asciz	"void paged_attention_ll4mi_QKV_mfma4_kernel(const scalar_t *__restrict, const cache_t *__restrict, const cache_t *__restrict, const int, const float, const int *__restrict, const int *__restrict, const int *__restrict, const int, const float *__restrict, const int, const int, const int, float *__restrict, float *__restrict, scalar_t *__restrict, OUTT *__restrict, int, const float *, const float *) [scalar_t = _Float16, cache_t = unsigned char, KV_DTYPE = vllm::Fp8KVCacheDataType::kFp8E4M3, OUTT = unsigned char, BLOCK_SIZE = 16, HEAD_SIZE = 128, NUM_THREADS = 256, ALIBI_ENABLED = false, GQA_RATIO = 4]"
	.size	__PRETTY_FUNCTION__._Z38paged_attention_ll4mi_QKV_mfma4_kernelIDF16_hLN4vllm18Fp8KVCacheDataTypeE1EhLi16ELi128ELi256ELb0ELi4EEvPKT_PKT0_S7_ifPKiS9_S9_iPKfiiiPfSC_PS2_PT2_iSB_SB_, 608

	.type	__PRETTY_FUNCTION__._Z39paged_attention_ll4mi_QKV_mfma16_kernelIDF16_hLN4vllm18Fp8KVCacheDataTypeE1EhLi16ELi128ELi256ELb0ELi5EEvPKT_PKT0_S7_ifPKiS9_S9_iPKfiiiPfSC_PS2_PT2_iSB_SB_,@object ; @__PRETTY_FUNCTION__._Z39paged_attention_ll4mi_QKV_mfma16_kernelIDF16_hLN4vllm18Fp8KVCacheDataTypeE1EhLi16ELi128ELi256ELb0ELi5EEvPKT_PKT0_S7_ifPKiS9_S9_iPKfiiiPfSC_PS2_PT2_iSB_SB_
__PRETTY_FUNCTION__._Z39paged_attention_ll4mi_QKV_mfma16_kernelIDF16_hLN4vllm18Fp8KVCacheDataTypeE1EhLi16ELi128ELi256ELb0ELi5EEvPKT_PKT0_S7_ifPKiS9_S9_iPKfiiiPfSC_PS2_PT2_iSB_SB_:
	.asciz	"void paged_attention_ll4mi_QKV_mfma16_kernel(const scalar_t *__restrict, const cache_t *__restrict, const cache_t *__restrict, const int, const float, const int *__restrict, const int *__restrict, const int *__restrict, const int, const float *__restrict, const int, const int, const int, float *__restrict, float *__restrict, scalar_t *__restrict, OUTT *__restrict, int, const float *, const float *) [scalar_t = _Float16, cache_t = unsigned char, KV_DTYPE = vllm::Fp8KVCacheDataType::kFp8E4M3, OUTT = unsigned char, BLOCK_SIZE = 16, HEAD_SIZE = 128, NUM_THREADS = 256, ALIBI_ENABLED = false, GQA_RATIO = 5]"
	.size	__PRETTY_FUNCTION__._Z39paged_attention_ll4mi_QKV_mfma16_kernelIDF16_hLN4vllm18Fp8KVCacheDataTypeE1EhLi16ELi128ELi256ELb0ELi5EEvPKT_PKT0_S7_ifPKiS9_S9_iPKfiiiPfSC_PS2_PT2_iSB_SB_, 609

	.type	__PRETTY_FUNCTION__._Z39paged_attention_ll4mi_QKV_mfma16_kernelIDF16_hLN4vllm18Fp8KVCacheDataTypeE1EhLi16ELi128ELi256ELb0ELi6EEvPKT_PKT0_S7_ifPKiS9_S9_iPKfiiiPfSC_PS2_PT2_iSB_SB_,@object ; @__PRETTY_FUNCTION__._Z39paged_attention_ll4mi_QKV_mfma16_kernelIDF16_hLN4vllm18Fp8KVCacheDataTypeE1EhLi16ELi128ELi256ELb0ELi6EEvPKT_PKT0_S7_ifPKiS9_S9_iPKfiiiPfSC_PS2_PT2_iSB_SB_
__PRETTY_FUNCTION__._Z39paged_attention_ll4mi_QKV_mfma16_kernelIDF16_hLN4vllm18Fp8KVCacheDataTypeE1EhLi16ELi128ELi256ELb0ELi6EEvPKT_PKT0_S7_ifPKiS9_S9_iPKfiiiPfSC_PS2_PT2_iSB_SB_:
	.asciz	"void paged_attention_ll4mi_QKV_mfma16_kernel(const scalar_t *__restrict, const cache_t *__restrict, const cache_t *__restrict, const int, const float, const int *__restrict, const int *__restrict, const int *__restrict, const int, const float *__restrict, const int, const int, const int, float *__restrict, float *__restrict, scalar_t *__restrict, OUTT *__restrict, int, const float *, const float *) [scalar_t = _Float16, cache_t = unsigned char, KV_DTYPE = vllm::Fp8KVCacheDataType::kFp8E4M3, OUTT = unsigned char, BLOCK_SIZE = 16, HEAD_SIZE = 128, NUM_THREADS = 256, ALIBI_ENABLED = false, GQA_RATIO = 6]"
	.size	__PRETTY_FUNCTION__._Z39paged_attention_ll4mi_QKV_mfma16_kernelIDF16_hLN4vllm18Fp8KVCacheDataTypeE1EhLi16ELi128ELi256ELb0ELi6EEvPKT_PKT0_S7_ifPKiS9_S9_iPKfiiiPfSC_PS2_PT2_iSB_SB_, 609

	.type	__PRETTY_FUNCTION__._Z39paged_attention_ll4mi_QKV_mfma16_kernelIDF16_hLN4vllm18Fp8KVCacheDataTypeE1EhLi16ELi128ELi256ELb0ELi7EEvPKT_PKT0_S7_ifPKiS9_S9_iPKfiiiPfSC_PS2_PT2_iSB_SB_,@object ; @__PRETTY_FUNCTION__._Z39paged_attention_ll4mi_QKV_mfma16_kernelIDF16_hLN4vllm18Fp8KVCacheDataTypeE1EhLi16ELi128ELi256ELb0ELi7EEvPKT_PKT0_S7_ifPKiS9_S9_iPKfiiiPfSC_PS2_PT2_iSB_SB_
__PRETTY_FUNCTION__._Z39paged_attention_ll4mi_QKV_mfma16_kernelIDF16_hLN4vllm18Fp8KVCacheDataTypeE1EhLi16ELi128ELi256ELb0ELi7EEvPKT_PKT0_S7_ifPKiS9_S9_iPKfiiiPfSC_PS2_PT2_iSB_SB_:
	.asciz	"void paged_attention_ll4mi_QKV_mfma16_kernel(const scalar_t *__restrict, const cache_t *__restrict, const cache_t *__restrict, const int, const float, const int *__restrict, const int *__restrict, const int *__restrict, const int, const float *__restrict, const int, const int, const int, float *__restrict, float *__restrict, scalar_t *__restrict, OUTT *__restrict, int, const float *, const float *) [scalar_t = _Float16, cache_t = unsigned char, KV_DTYPE = vllm::Fp8KVCacheDataType::kFp8E4M3, OUTT = unsigned char, BLOCK_SIZE = 16, HEAD_SIZE = 128, NUM_THREADS = 256, ALIBI_ENABLED = false, GQA_RATIO = 7]"
	.size	__PRETTY_FUNCTION__._Z39paged_attention_ll4mi_QKV_mfma16_kernelIDF16_hLN4vllm18Fp8KVCacheDataTypeE1EhLi16ELi128ELi256ELb0ELi7EEvPKT_PKT0_S7_ifPKiS9_S9_iPKfiiiPfSC_PS2_PT2_iSB_SB_, 609

	.type	__PRETTY_FUNCTION__._Z39paged_attention_ll4mi_QKV_mfma16_kernelIDF16_hLN4vllm18Fp8KVCacheDataTypeE1EhLi16ELi128ELi256ELb0ELi8EEvPKT_PKT0_S7_ifPKiS9_S9_iPKfiiiPfSC_PS2_PT2_iSB_SB_,@object ; @__PRETTY_FUNCTION__._Z39paged_attention_ll4mi_QKV_mfma16_kernelIDF16_hLN4vllm18Fp8KVCacheDataTypeE1EhLi16ELi128ELi256ELb0ELi8EEvPKT_PKT0_S7_ifPKiS9_S9_iPKfiiiPfSC_PS2_PT2_iSB_SB_
__PRETTY_FUNCTION__._Z39paged_attention_ll4mi_QKV_mfma16_kernelIDF16_hLN4vllm18Fp8KVCacheDataTypeE1EhLi16ELi128ELi256ELb0ELi8EEvPKT_PKT0_S7_ifPKiS9_S9_iPKfiiiPfSC_PS2_PT2_iSB_SB_:
	.asciz	"void paged_attention_ll4mi_QKV_mfma16_kernel(const scalar_t *__restrict, const cache_t *__restrict, const cache_t *__restrict, const int, const float, const int *__restrict, const int *__restrict, const int *__restrict, const int, const float *__restrict, const int, const int, const int, float *__restrict, float *__restrict, scalar_t *__restrict, OUTT *__restrict, int, const float *, const float *) [scalar_t = _Float16, cache_t = unsigned char, KV_DTYPE = vllm::Fp8KVCacheDataType::kFp8E4M3, OUTT = unsigned char, BLOCK_SIZE = 16, HEAD_SIZE = 128, NUM_THREADS = 256, ALIBI_ENABLED = false, GQA_RATIO = 8]"
	.size	__PRETTY_FUNCTION__._Z39paged_attention_ll4mi_QKV_mfma16_kernelIDF16_hLN4vllm18Fp8KVCacheDataTypeE1EhLi16ELi128ELi256ELb0ELi8EEvPKT_PKT0_S7_ifPKiS9_S9_iPKfiiiPfSC_PS2_PT2_iSB_SB_, 609

	.type	__PRETTY_FUNCTION__._Z39paged_attention_ll4mi_QKV_mfma16_kernelIDF16_hLN4vllm18Fp8KVCacheDataTypeE1EhLi16ELi128ELi256ELb0ELi9EEvPKT_PKT0_S7_ifPKiS9_S9_iPKfiiiPfSC_PS2_PT2_iSB_SB_,@object ; @__PRETTY_FUNCTION__._Z39paged_attention_ll4mi_QKV_mfma16_kernelIDF16_hLN4vllm18Fp8KVCacheDataTypeE1EhLi16ELi128ELi256ELb0ELi9EEvPKT_PKT0_S7_ifPKiS9_S9_iPKfiiiPfSC_PS2_PT2_iSB_SB_
__PRETTY_FUNCTION__._Z39paged_attention_ll4mi_QKV_mfma16_kernelIDF16_hLN4vllm18Fp8KVCacheDataTypeE1EhLi16ELi128ELi256ELb0ELi9EEvPKT_PKT0_S7_ifPKiS9_S9_iPKfiiiPfSC_PS2_PT2_iSB_SB_:
	.asciz	"void paged_attention_ll4mi_QKV_mfma16_kernel(const scalar_t *__restrict, const cache_t *__restrict, const cache_t *__restrict, const int, const float, const int *__restrict, const int *__restrict, const int *__restrict, const int, const float *__restrict, const int, const int, const int, float *__restrict, float *__restrict, scalar_t *__restrict, OUTT *__restrict, int, const float *, const float *) [scalar_t = _Float16, cache_t = unsigned char, KV_DTYPE = vllm::Fp8KVCacheDataType::kFp8E4M3, OUTT = unsigned char, BLOCK_SIZE = 16, HEAD_SIZE = 128, NUM_THREADS = 256, ALIBI_ENABLED = false, GQA_RATIO = 9]"
	.size	__PRETTY_FUNCTION__._Z39paged_attention_ll4mi_QKV_mfma16_kernelIDF16_hLN4vllm18Fp8KVCacheDataTypeE1EhLi16ELi128ELi256ELb0ELi9EEvPKT_PKT0_S7_ifPKiS9_S9_iPKfiiiPfSC_PS2_PT2_iSB_SB_, 609

	.type	__PRETTY_FUNCTION__._Z39paged_attention_ll4mi_QKV_mfma16_kernelIDF16_hLN4vllm18Fp8KVCacheDataTypeE1EhLi16ELi128ELi256ELb0ELi10EEvPKT_PKT0_S7_ifPKiS9_S9_iPKfiiiPfSC_PS2_PT2_iSB_SB_,@object ; @__PRETTY_FUNCTION__._Z39paged_attention_ll4mi_QKV_mfma16_kernelIDF16_hLN4vllm18Fp8KVCacheDataTypeE1EhLi16ELi128ELi256ELb0ELi10EEvPKT_PKT0_S7_ifPKiS9_S9_iPKfiiiPfSC_PS2_PT2_iSB_SB_
__PRETTY_FUNCTION__._Z39paged_attention_ll4mi_QKV_mfma16_kernelIDF16_hLN4vllm18Fp8KVCacheDataTypeE1EhLi16ELi128ELi256ELb0ELi10EEvPKT_PKT0_S7_ifPKiS9_S9_iPKfiiiPfSC_PS2_PT2_iSB_SB_:
	.asciz	"void paged_attention_ll4mi_QKV_mfma16_kernel(const scalar_t *__restrict, const cache_t *__restrict, const cache_t *__restrict, const int, const float, const int *__restrict, const int *__restrict, const int *__restrict, const int, const float *__restrict, const int, const int, const int, float *__restrict, float *__restrict, scalar_t *__restrict, OUTT *__restrict, int, const float *, const float *) [scalar_t = _Float16, cache_t = unsigned char, KV_DTYPE = vllm::Fp8KVCacheDataType::kFp8E4M3, OUTT = unsigned char, BLOCK_SIZE = 16, HEAD_SIZE = 128, NUM_THREADS = 256, ALIBI_ENABLED = false, GQA_RATIO = 10]"
	.size	__PRETTY_FUNCTION__._Z39paged_attention_ll4mi_QKV_mfma16_kernelIDF16_hLN4vllm18Fp8KVCacheDataTypeE1EhLi16ELi128ELi256ELb0ELi10EEvPKT_PKT0_S7_ifPKiS9_S9_iPKfiiiPfSC_PS2_PT2_iSB_SB_, 610

	.type	__PRETTY_FUNCTION__._Z39paged_attention_ll4mi_QKV_mfma16_kernelIDF16_hLN4vllm18Fp8KVCacheDataTypeE1EhLi16ELi128ELi256ELb0ELi11EEvPKT_PKT0_S7_ifPKiS9_S9_iPKfiiiPfSC_PS2_PT2_iSB_SB_,@object ; @__PRETTY_FUNCTION__._Z39paged_attention_ll4mi_QKV_mfma16_kernelIDF16_hLN4vllm18Fp8KVCacheDataTypeE1EhLi16ELi128ELi256ELb0ELi11EEvPKT_PKT0_S7_ifPKiS9_S9_iPKfiiiPfSC_PS2_PT2_iSB_SB_
__PRETTY_FUNCTION__._Z39paged_attention_ll4mi_QKV_mfma16_kernelIDF16_hLN4vllm18Fp8KVCacheDataTypeE1EhLi16ELi128ELi256ELb0ELi11EEvPKT_PKT0_S7_ifPKiS9_S9_iPKfiiiPfSC_PS2_PT2_iSB_SB_:
	.asciz	"void paged_attention_ll4mi_QKV_mfma16_kernel(const scalar_t *__restrict, const cache_t *__restrict, const cache_t *__restrict, const int, const float, const int *__restrict, const int *__restrict, const int *__restrict, const int, const float *__restrict, const int, const int, const int, float *__restrict, float *__restrict, scalar_t *__restrict, OUTT *__restrict, int, const float *, const float *) [scalar_t = _Float16, cache_t = unsigned char, KV_DTYPE = vllm::Fp8KVCacheDataType::kFp8E4M3, OUTT = unsigned char, BLOCK_SIZE = 16, HEAD_SIZE = 128, NUM_THREADS = 256, ALIBI_ENABLED = false, GQA_RATIO = 11]"
	.size	__PRETTY_FUNCTION__._Z39paged_attention_ll4mi_QKV_mfma16_kernelIDF16_hLN4vllm18Fp8KVCacheDataTypeE1EhLi16ELi128ELi256ELb0ELi11EEvPKT_PKT0_S7_ifPKiS9_S9_iPKfiiiPfSC_PS2_PT2_iSB_SB_, 610

	.type	__PRETTY_FUNCTION__._Z39paged_attention_ll4mi_QKV_mfma16_kernelIDF16_hLN4vllm18Fp8KVCacheDataTypeE1EhLi16ELi128ELi256ELb0ELi12EEvPKT_PKT0_S7_ifPKiS9_S9_iPKfiiiPfSC_PS2_PT2_iSB_SB_,@object ; @__PRETTY_FUNCTION__._Z39paged_attention_ll4mi_QKV_mfma16_kernelIDF16_hLN4vllm18Fp8KVCacheDataTypeE1EhLi16ELi128ELi256ELb0ELi12EEvPKT_PKT0_S7_ifPKiS9_S9_iPKfiiiPfSC_PS2_PT2_iSB_SB_
__PRETTY_FUNCTION__._Z39paged_attention_ll4mi_QKV_mfma16_kernelIDF16_hLN4vllm18Fp8KVCacheDataTypeE1EhLi16ELi128ELi256ELb0ELi12EEvPKT_PKT0_S7_ifPKiS9_S9_iPKfiiiPfSC_PS2_PT2_iSB_SB_:
	.asciz	"void paged_attention_ll4mi_QKV_mfma16_kernel(const scalar_t *__restrict, const cache_t *__restrict, const cache_t *__restrict, const int, const float, const int *__restrict, const int *__restrict, const int *__restrict, const int, const float *__restrict, const int, const int, const int, float *__restrict, float *__restrict, scalar_t *__restrict, OUTT *__restrict, int, const float *, const float *) [scalar_t = _Float16, cache_t = unsigned char, KV_DTYPE = vllm::Fp8KVCacheDataType::kFp8E4M3, OUTT = unsigned char, BLOCK_SIZE = 16, HEAD_SIZE = 128, NUM_THREADS = 256, ALIBI_ENABLED = false, GQA_RATIO = 12]"
	.size	__PRETTY_FUNCTION__._Z39paged_attention_ll4mi_QKV_mfma16_kernelIDF16_hLN4vllm18Fp8KVCacheDataTypeE1EhLi16ELi128ELi256ELb0ELi12EEvPKT_PKT0_S7_ifPKiS9_S9_iPKfiiiPfSC_PS2_PT2_iSB_SB_, 610

	.type	__PRETTY_FUNCTION__._Z39paged_attention_ll4mi_QKV_mfma16_kernelIDF16_hLN4vllm18Fp8KVCacheDataTypeE1EhLi16ELi128ELi256ELb0ELi13EEvPKT_PKT0_S7_ifPKiS9_S9_iPKfiiiPfSC_PS2_PT2_iSB_SB_,@object ; @__PRETTY_FUNCTION__._Z39paged_attention_ll4mi_QKV_mfma16_kernelIDF16_hLN4vllm18Fp8KVCacheDataTypeE1EhLi16ELi128ELi256ELb0ELi13EEvPKT_PKT0_S7_ifPKiS9_S9_iPKfiiiPfSC_PS2_PT2_iSB_SB_
__PRETTY_FUNCTION__._Z39paged_attention_ll4mi_QKV_mfma16_kernelIDF16_hLN4vllm18Fp8KVCacheDataTypeE1EhLi16ELi128ELi256ELb0ELi13EEvPKT_PKT0_S7_ifPKiS9_S9_iPKfiiiPfSC_PS2_PT2_iSB_SB_:
	.asciz	"void paged_attention_ll4mi_QKV_mfma16_kernel(const scalar_t *__restrict, const cache_t *__restrict, const cache_t *__restrict, const int, const float, const int *__restrict, const int *__restrict, const int *__restrict, const int, const float *__restrict, const int, const int, const int, float *__restrict, float *__restrict, scalar_t *__restrict, OUTT *__restrict, int, const float *, const float *) [scalar_t = _Float16, cache_t = unsigned char, KV_DTYPE = vllm::Fp8KVCacheDataType::kFp8E4M3, OUTT = unsigned char, BLOCK_SIZE = 16, HEAD_SIZE = 128, NUM_THREADS = 256, ALIBI_ENABLED = false, GQA_RATIO = 13]"
	.size	__PRETTY_FUNCTION__._Z39paged_attention_ll4mi_QKV_mfma16_kernelIDF16_hLN4vllm18Fp8KVCacheDataTypeE1EhLi16ELi128ELi256ELb0ELi13EEvPKT_PKT0_S7_ifPKiS9_S9_iPKfiiiPfSC_PS2_PT2_iSB_SB_, 610

	.type	__PRETTY_FUNCTION__._Z39paged_attention_ll4mi_QKV_mfma16_kernelIDF16_hLN4vllm18Fp8KVCacheDataTypeE1EhLi16ELi128ELi256ELb0ELi14EEvPKT_PKT0_S7_ifPKiS9_S9_iPKfiiiPfSC_PS2_PT2_iSB_SB_,@object ; @__PRETTY_FUNCTION__._Z39paged_attention_ll4mi_QKV_mfma16_kernelIDF16_hLN4vllm18Fp8KVCacheDataTypeE1EhLi16ELi128ELi256ELb0ELi14EEvPKT_PKT0_S7_ifPKiS9_S9_iPKfiiiPfSC_PS2_PT2_iSB_SB_
__PRETTY_FUNCTION__._Z39paged_attention_ll4mi_QKV_mfma16_kernelIDF16_hLN4vllm18Fp8KVCacheDataTypeE1EhLi16ELi128ELi256ELb0ELi14EEvPKT_PKT0_S7_ifPKiS9_S9_iPKfiiiPfSC_PS2_PT2_iSB_SB_:
	.asciz	"void paged_attention_ll4mi_QKV_mfma16_kernel(const scalar_t *__restrict, const cache_t *__restrict, const cache_t *__restrict, const int, const float, const int *__restrict, const int *__restrict, const int *__restrict, const int, const float *__restrict, const int, const int, const int, float *__restrict, float *__restrict, scalar_t *__restrict, OUTT *__restrict, int, const float *, const float *) [scalar_t = _Float16, cache_t = unsigned char, KV_DTYPE = vllm::Fp8KVCacheDataType::kFp8E4M3, OUTT = unsigned char, BLOCK_SIZE = 16, HEAD_SIZE = 128, NUM_THREADS = 256, ALIBI_ENABLED = false, GQA_RATIO = 14]"
	.size	__PRETTY_FUNCTION__._Z39paged_attention_ll4mi_QKV_mfma16_kernelIDF16_hLN4vllm18Fp8KVCacheDataTypeE1EhLi16ELi128ELi256ELb0ELi14EEvPKT_PKT0_S7_ifPKiS9_S9_iPKfiiiPfSC_PS2_PT2_iSB_SB_, 610

	.type	__PRETTY_FUNCTION__._Z39paged_attention_ll4mi_QKV_mfma16_kernelIDF16_hLN4vllm18Fp8KVCacheDataTypeE1EhLi16ELi128ELi256ELb0ELi15EEvPKT_PKT0_S7_ifPKiS9_S9_iPKfiiiPfSC_PS2_PT2_iSB_SB_,@object ; @__PRETTY_FUNCTION__._Z39paged_attention_ll4mi_QKV_mfma16_kernelIDF16_hLN4vllm18Fp8KVCacheDataTypeE1EhLi16ELi128ELi256ELb0ELi15EEvPKT_PKT0_S7_ifPKiS9_S9_iPKfiiiPfSC_PS2_PT2_iSB_SB_
__PRETTY_FUNCTION__._Z39paged_attention_ll4mi_QKV_mfma16_kernelIDF16_hLN4vllm18Fp8KVCacheDataTypeE1EhLi16ELi128ELi256ELb0ELi15EEvPKT_PKT0_S7_ifPKiS9_S9_iPKfiiiPfSC_PS2_PT2_iSB_SB_:
	.asciz	"void paged_attention_ll4mi_QKV_mfma16_kernel(const scalar_t *__restrict, const cache_t *__restrict, const cache_t *__restrict, const int, const float, const int *__restrict, const int *__restrict, const int *__restrict, const int, const float *__restrict, const int, const int, const int, float *__restrict, float *__restrict, scalar_t *__restrict, OUTT *__restrict, int, const float *, const float *) [scalar_t = _Float16, cache_t = unsigned char, KV_DTYPE = vllm::Fp8KVCacheDataType::kFp8E4M3, OUTT = unsigned char, BLOCK_SIZE = 16, HEAD_SIZE = 128, NUM_THREADS = 256, ALIBI_ENABLED = false, GQA_RATIO = 15]"
	.size	__PRETTY_FUNCTION__._Z39paged_attention_ll4mi_QKV_mfma16_kernelIDF16_hLN4vllm18Fp8KVCacheDataTypeE1EhLi16ELi128ELi256ELb0ELi15EEvPKT_PKT0_S7_ifPKiS9_S9_iPKfiiiPfSC_PS2_PT2_iSB_SB_, 610

	.type	__PRETTY_FUNCTION__._Z39paged_attention_ll4mi_QKV_mfma16_kernelIDF16_hLN4vllm18Fp8KVCacheDataTypeE1EhLi16ELi128ELi256ELb0ELi16EEvPKT_PKT0_S7_ifPKiS9_S9_iPKfiiiPfSC_PS2_PT2_iSB_SB_,@object ; @__PRETTY_FUNCTION__._Z39paged_attention_ll4mi_QKV_mfma16_kernelIDF16_hLN4vllm18Fp8KVCacheDataTypeE1EhLi16ELi128ELi256ELb0ELi16EEvPKT_PKT0_S7_ifPKiS9_S9_iPKfiiiPfSC_PS2_PT2_iSB_SB_
__PRETTY_FUNCTION__._Z39paged_attention_ll4mi_QKV_mfma16_kernelIDF16_hLN4vllm18Fp8KVCacheDataTypeE1EhLi16ELi128ELi256ELb0ELi16EEvPKT_PKT0_S7_ifPKiS9_S9_iPKfiiiPfSC_PS2_PT2_iSB_SB_:
	.asciz	"void paged_attention_ll4mi_QKV_mfma16_kernel(const scalar_t *__restrict, const cache_t *__restrict, const cache_t *__restrict, const int, const float, const int *__restrict, const int *__restrict, const int *__restrict, const int, const float *__restrict, const int, const int, const int, float *__restrict, float *__restrict, scalar_t *__restrict, OUTT *__restrict, int, const float *, const float *) [scalar_t = _Float16, cache_t = unsigned char, KV_DTYPE = vllm::Fp8KVCacheDataType::kFp8E4M3, OUTT = unsigned char, BLOCK_SIZE = 16, HEAD_SIZE = 128, NUM_THREADS = 256, ALIBI_ENABLED = false, GQA_RATIO = 16]"
	.size	__PRETTY_FUNCTION__._Z39paged_attention_ll4mi_QKV_mfma16_kernelIDF16_hLN4vllm18Fp8KVCacheDataTypeE1EhLi16ELi128ELi256ELb0ELi16EEvPKT_PKT0_S7_ifPKiS9_S9_iPKfiiiPfSC_PS2_PT2_iSB_SB_, 610

	.type	__PRETTY_FUNCTION__._Z39paged_attention_ll4mi_QKV_mfma16_kernelIDF16_hLN4vllm18Fp8KVCacheDataTypeE1EhLi16ELi128ELi256ELb0ELi1EEvPKT_PKT0_S7_ifPKiS9_S9_iPKfiiiPfSC_PS2_PT2_iSB_SB_,@object ; @__PRETTY_FUNCTION__._Z39paged_attention_ll4mi_QKV_mfma16_kernelIDF16_hLN4vllm18Fp8KVCacheDataTypeE1EhLi16ELi128ELi256ELb0ELi1EEvPKT_PKT0_S7_ifPKiS9_S9_iPKfiiiPfSC_PS2_PT2_iSB_SB_
__PRETTY_FUNCTION__._Z39paged_attention_ll4mi_QKV_mfma16_kernelIDF16_hLN4vllm18Fp8KVCacheDataTypeE1EhLi16ELi128ELi256ELb0ELi1EEvPKT_PKT0_S7_ifPKiS9_S9_iPKfiiiPfSC_PS2_PT2_iSB_SB_:
	.asciz	"void paged_attention_ll4mi_QKV_mfma16_kernel(const scalar_t *__restrict, const cache_t *__restrict, const cache_t *__restrict, const int, const float, const int *__restrict, const int *__restrict, const int *__restrict, const int, const float *__restrict, const int, const int, const int, float *__restrict, float *__restrict, scalar_t *__restrict, OUTT *__restrict, int, const float *, const float *) [scalar_t = _Float16, cache_t = unsigned char, KV_DTYPE = vllm::Fp8KVCacheDataType::kFp8E4M3, OUTT = unsigned char, BLOCK_SIZE = 16, HEAD_SIZE = 128, NUM_THREADS = 256, ALIBI_ENABLED = false, GQA_RATIO = 1]"
	.size	__PRETTY_FUNCTION__._Z39paged_attention_ll4mi_QKV_mfma16_kernelIDF16_hLN4vllm18Fp8KVCacheDataTypeE1EhLi16ELi128ELi256ELb0ELi1EEvPKT_PKT0_S7_ifPKiS9_S9_iPKfiiiPfSC_PS2_PT2_iSB_SB_, 609

	.type	__PRETTY_FUNCTION__._Z39paged_attention_ll4mi_QKV_mfma16_kernelIDF16_hLN4vllm18Fp8KVCacheDataTypeE1EhLi16ELi128ELi256ELb0ELi2EEvPKT_PKT0_S7_ifPKiS9_S9_iPKfiiiPfSC_PS2_PT2_iSB_SB_,@object ; @__PRETTY_FUNCTION__._Z39paged_attention_ll4mi_QKV_mfma16_kernelIDF16_hLN4vllm18Fp8KVCacheDataTypeE1EhLi16ELi128ELi256ELb0ELi2EEvPKT_PKT0_S7_ifPKiS9_S9_iPKfiiiPfSC_PS2_PT2_iSB_SB_
__PRETTY_FUNCTION__._Z39paged_attention_ll4mi_QKV_mfma16_kernelIDF16_hLN4vllm18Fp8KVCacheDataTypeE1EhLi16ELi128ELi256ELb0ELi2EEvPKT_PKT0_S7_ifPKiS9_S9_iPKfiiiPfSC_PS2_PT2_iSB_SB_:
	.asciz	"void paged_attention_ll4mi_QKV_mfma16_kernel(const scalar_t *__restrict, const cache_t *__restrict, const cache_t *__restrict, const int, const float, const int *__restrict, const int *__restrict, const int *__restrict, const int, const float *__restrict, const int, const int, const int, float *__restrict, float *__restrict, scalar_t *__restrict, OUTT *__restrict, int, const float *, const float *) [scalar_t = _Float16, cache_t = unsigned char, KV_DTYPE = vllm::Fp8KVCacheDataType::kFp8E4M3, OUTT = unsigned char, BLOCK_SIZE = 16, HEAD_SIZE = 128, NUM_THREADS = 256, ALIBI_ENABLED = false, GQA_RATIO = 2]"
	.size	__PRETTY_FUNCTION__._Z39paged_attention_ll4mi_QKV_mfma16_kernelIDF16_hLN4vllm18Fp8KVCacheDataTypeE1EhLi16ELi128ELi256ELb0ELi2EEvPKT_PKT0_S7_ifPKiS9_S9_iPKfiiiPfSC_PS2_PT2_iSB_SB_, 609

	.type	__PRETTY_FUNCTION__._Z39paged_attention_ll4mi_QKV_mfma16_kernelIDF16_hLN4vllm18Fp8KVCacheDataTypeE1EhLi16ELi128ELi256ELb0ELi3EEvPKT_PKT0_S7_ifPKiS9_S9_iPKfiiiPfSC_PS2_PT2_iSB_SB_,@object ; @__PRETTY_FUNCTION__._Z39paged_attention_ll4mi_QKV_mfma16_kernelIDF16_hLN4vllm18Fp8KVCacheDataTypeE1EhLi16ELi128ELi256ELb0ELi3EEvPKT_PKT0_S7_ifPKiS9_S9_iPKfiiiPfSC_PS2_PT2_iSB_SB_
__PRETTY_FUNCTION__._Z39paged_attention_ll4mi_QKV_mfma16_kernelIDF16_hLN4vllm18Fp8KVCacheDataTypeE1EhLi16ELi128ELi256ELb0ELi3EEvPKT_PKT0_S7_ifPKiS9_S9_iPKfiiiPfSC_PS2_PT2_iSB_SB_:
	.asciz	"void paged_attention_ll4mi_QKV_mfma16_kernel(const scalar_t *__restrict, const cache_t *__restrict, const cache_t *__restrict, const int, const float, const int *__restrict, const int *__restrict, const int *__restrict, const int, const float *__restrict, const int, const int, const int, float *__restrict, float *__restrict, scalar_t *__restrict, OUTT *__restrict, int, const float *, const float *) [scalar_t = _Float16, cache_t = unsigned char, KV_DTYPE = vllm::Fp8KVCacheDataType::kFp8E4M3, OUTT = unsigned char, BLOCK_SIZE = 16, HEAD_SIZE = 128, NUM_THREADS = 256, ALIBI_ENABLED = false, GQA_RATIO = 3]"
	.size	__PRETTY_FUNCTION__._Z39paged_attention_ll4mi_QKV_mfma16_kernelIDF16_hLN4vllm18Fp8KVCacheDataTypeE1EhLi16ELi128ELi256ELb0ELi3EEvPKT_PKT0_S7_ifPKiS9_S9_iPKfiiiPfSC_PS2_PT2_iSB_SB_, 609

	.type	__PRETTY_FUNCTION__._Z39paged_attention_ll4mi_QKV_mfma16_kernelIDF16_hLN4vllm18Fp8KVCacheDataTypeE1EhLi16ELi128ELi256ELb0ELi4EEvPKT_PKT0_S7_ifPKiS9_S9_iPKfiiiPfSC_PS2_PT2_iSB_SB_,@object ; @__PRETTY_FUNCTION__._Z39paged_attention_ll4mi_QKV_mfma16_kernelIDF16_hLN4vllm18Fp8KVCacheDataTypeE1EhLi16ELi128ELi256ELb0ELi4EEvPKT_PKT0_S7_ifPKiS9_S9_iPKfiiiPfSC_PS2_PT2_iSB_SB_
__PRETTY_FUNCTION__._Z39paged_attention_ll4mi_QKV_mfma16_kernelIDF16_hLN4vllm18Fp8KVCacheDataTypeE1EhLi16ELi128ELi256ELb0ELi4EEvPKT_PKT0_S7_ifPKiS9_S9_iPKfiiiPfSC_PS2_PT2_iSB_SB_:
	.asciz	"void paged_attention_ll4mi_QKV_mfma16_kernel(const scalar_t *__restrict, const cache_t *__restrict, const cache_t *__restrict, const int, const float, const int *__restrict, const int *__restrict, const int *__restrict, const int, const float *__restrict, const int, const int, const int, float *__restrict, float *__restrict, scalar_t *__restrict, OUTT *__restrict, int, const float *, const float *) [scalar_t = _Float16, cache_t = unsigned char, KV_DTYPE = vllm::Fp8KVCacheDataType::kFp8E4M3, OUTT = unsigned char, BLOCK_SIZE = 16, HEAD_SIZE = 128, NUM_THREADS = 256, ALIBI_ENABLED = false, GQA_RATIO = 4]"
	.size	__PRETTY_FUNCTION__._Z39paged_attention_ll4mi_QKV_mfma16_kernelIDF16_hLN4vllm18Fp8KVCacheDataTypeE1EhLi16ELi128ELi256ELb0ELi4EEvPKT_PKT0_S7_ifPKiS9_S9_iPKfiiiPfSC_PS2_PT2_iSB_SB_, 609

	.type	__PRETTY_FUNCTION__._Z38paged_attention_ll4mi_QKV_mfma4_kernelIDF16_hLN4vllm18Fp8KVCacheDataTypeE1EDF16_Li16ELi128ELi256ELb1ELi1EEvPKT_PKT0_S7_ifPKiS9_S9_iPKfiiiPfSC_PS2_PT2_iSB_SB_,@object ; @__PRETTY_FUNCTION__._Z38paged_attention_ll4mi_QKV_mfma4_kernelIDF16_hLN4vllm18Fp8KVCacheDataTypeE1EDF16_Li16ELi128ELi256ELb1ELi1EEvPKT_PKT0_S7_ifPKiS9_S9_iPKfiiiPfSC_PS2_PT2_iSB_SB_
__PRETTY_FUNCTION__._Z38paged_attention_ll4mi_QKV_mfma4_kernelIDF16_hLN4vllm18Fp8KVCacheDataTypeE1EDF16_Li16ELi128ELi256ELb1ELi1EEvPKT_PKT0_S7_ifPKiS9_S9_iPKfiiiPfSC_PS2_PT2_iSB_SB_:
	.asciz	"void paged_attention_ll4mi_QKV_mfma4_kernel(const scalar_t *__restrict, const cache_t *__restrict, const cache_t *__restrict, const int, const float, const int *__restrict, const int *__restrict, const int *__restrict, const int, const float *__restrict, const int, const int, const int, float *__restrict, float *__restrict, scalar_t *__restrict, OUTT *__restrict, int, const float *, const float *) [scalar_t = _Float16, cache_t = unsigned char, KV_DTYPE = vllm::Fp8KVCacheDataType::kFp8E4M3, OUTT = _Float16, BLOCK_SIZE = 16, HEAD_SIZE = 128, NUM_THREADS = 256, ALIBI_ENABLED = true, GQA_RATIO = 1]"
	.size	__PRETTY_FUNCTION__._Z38paged_attention_ll4mi_QKV_mfma4_kernelIDF16_hLN4vllm18Fp8KVCacheDataTypeE1EDF16_Li16ELi128ELi256ELb1ELi1EEvPKT_PKT0_S7_ifPKiS9_S9_iPKfiiiPfSC_PS2_PT2_iSB_SB_, 602

	.type	__PRETTY_FUNCTION__._Z38paged_attention_ll4mi_QKV_mfma4_kernelIDF16_hLN4vllm18Fp8KVCacheDataTypeE1EDF16_Li16ELi128ELi256ELb1ELi2EEvPKT_PKT0_S7_ifPKiS9_S9_iPKfiiiPfSC_PS2_PT2_iSB_SB_,@object ; @__PRETTY_FUNCTION__._Z38paged_attention_ll4mi_QKV_mfma4_kernelIDF16_hLN4vllm18Fp8KVCacheDataTypeE1EDF16_Li16ELi128ELi256ELb1ELi2EEvPKT_PKT0_S7_ifPKiS9_S9_iPKfiiiPfSC_PS2_PT2_iSB_SB_
__PRETTY_FUNCTION__._Z38paged_attention_ll4mi_QKV_mfma4_kernelIDF16_hLN4vllm18Fp8KVCacheDataTypeE1EDF16_Li16ELi128ELi256ELb1ELi2EEvPKT_PKT0_S7_ifPKiS9_S9_iPKfiiiPfSC_PS2_PT2_iSB_SB_:
	.asciz	"void paged_attention_ll4mi_QKV_mfma4_kernel(const scalar_t *__restrict, const cache_t *__restrict, const cache_t *__restrict, const int, const float, const int *__restrict, const int *__restrict, const int *__restrict, const int, const float *__restrict, const int, const int, const int, float *__restrict, float *__restrict, scalar_t *__restrict, OUTT *__restrict, int, const float *, const float *) [scalar_t = _Float16, cache_t = unsigned char, KV_DTYPE = vllm::Fp8KVCacheDataType::kFp8E4M3, OUTT = _Float16, BLOCK_SIZE = 16, HEAD_SIZE = 128, NUM_THREADS = 256, ALIBI_ENABLED = true, GQA_RATIO = 2]"
	.size	__PRETTY_FUNCTION__._Z38paged_attention_ll4mi_QKV_mfma4_kernelIDF16_hLN4vllm18Fp8KVCacheDataTypeE1EDF16_Li16ELi128ELi256ELb1ELi2EEvPKT_PKT0_S7_ifPKiS9_S9_iPKfiiiPfSC_PS2_PT2_iSB_SB_, 602

	.type	__PRETTY_FUNCTION__._Z38paged_attention_ll4mi_QKV_mfma4_kernelIDF16_hLN4vllm18Fp8KVCacheDataTypeE1EDF16_Li16ELi128ELi256ELb1ELi3EEvPKT_PKT0_S7_ifPKiS9_S9_iPKfiiiPfSC_PS2_PT2_iSB_SB_,@object ; @__PRETTY_FUNCTION__._Z38paged_attention_ll4mi_QKV_mfma4_kernelIDF16_hLN4vllm18Fp8KVCacheDataTypeE1EDF16_Li16ELi128ELi256ELb1ELi3EEvPKT_PKT0_S7_ifPKiS9_S9_iPKfiiiPfSC_PS2_PT2_iSB_SB_
__PRETTY_FUNCTION__._Z38paged_attention_ll4mi_QKV_mfma4_kernelIDF16_hLN4vllm18Fp8KVCacheDataTypeE1EDF16_Li16ELi128ELi256ELb1ELi3EEvPKT_PKT0_S7_ifPKiS9_S9_iPKfiiiPfSC_PS2_PT2_iSB_SB_:
	.asciz	"void paged_attention_ll4mi_QKV_mfma4_kernel(const scalar_t *__restrict, const cache_t *__restrict, const cache_t *__restrict, const int, const float, const int *__restrict, const int *__restrict, const int *__restrict, const int, const float *__restrict, const int, const int, const int, float *__restrict, float *__restrict, scalar_t *__restrict, OUTT *__restrict, int, const float *, const float *) [scalar_t = _Float16, cache_t = unsigned char, KV_DTYPE = vllm::Fp8KVCacheDataType::kFp8E4M3, OUTT = _Float16, BLOCK_SIZE = 16, HEAD_SIZE = 128, NUM_THREADS = 256, ALIBI_ENABLED = true, GQA_RATIO = 3]"
	.size	__PRETTY_FUNCTION__._Z38paged_attention_ll4mi_QKV_mfma4_kernelIDF16_hLN4vllm18Fp8KVCacheDataTypeE1EDF16_Li16ELi128ELi256ELb1ELi3EEvPKT_PKT0_S7_ifPKiS9_S9_iPKfiiiPfSC_PS2_PT2_iSB_SB_, 602

	.type	__PRETTY_FUNCTION__._Z38paged_attention_ll4mi_QKV_mfma4_kernelIDF16_hLN4vllm18Fp8KVCacheDataTypeE1EDF16_Li16ELi128ELi256ELb1ELi4EEvPKT_PKT0_S7_ifPKiS9_S9_iPKfiiiPfSC_PS2_PT2_iSB_SB_,@object ; @__PRETTY_FUNCTION__._Z38paged_attention_ll4mi_QKV_mfma4_kernelIDF16_hLN4vllm18Fp8KVCacheDataTypeE1EDF16_Li16ELi128ELi256ELb1ELi4EEvPKT_PKT0_S7_ifPKiS9_S9_iPKfiiiPfSC_PS2_PT2_iSB_SB_
__PRETTY_FUNCTION__._Z38paged_attention_ll4mi_QKV_mfma4_kernelIDF16_hLN4vllm18Fp8KVCacheDataTypeE1EDF16_Li16ELi128ELi256ELb1ELi4EEvPKT_PKT0_S7_ifPKiS9_S9_iPKfiiiPfSC_PS2_PT2_iSB_SB_:
	.asciz	"void paged_attention_ll4mi_QKV_mfma4_kernel(const scalar_t *__restrict, const cache_t *__restrict, const cache_t *__restrict, const int, const float, const int *__restrict, const int *__restrict, const int *__restrict, const int, const float *__restrict, const int, const int, const int, float *__restrict, float *__restrict, scalar_t *__restrict, OUTT *__restrict, int, const float *, const float *) [scalar_t = _Float16, cache_t = unsigned char, KV_DTYPE = vllm::Fp8KVCacheDataType::kFp8E4M3, OUTT = _Float16, BLOCK_SIZE = 16, HEAD_SIZE = 128, NUM_THREADS = 256, ALIBI_ENABLED = true, GQA_RATIO = 4]"
	.size	__PRETTY_FUNCTION__._Z38paged_attention_ll4mi_QKV_mfma4_kernelIDF16_hLN4vllm18Fp8KVCacheDataTypeE1EDF16_Li16ELi128ELi256ELb1ELi4EEvPKT_PKT0_S7_ifPKiS9_S9_iPKfiiiPfSC_PS2_PT2_iSB_SB_, 602

	.type	__PRETTY_FUNCTION__._Z39paged_attention_ll4mi_QKV_mfma16_kernelIDF16_hLN4vllm18Fp8KVCacheDataTypeE1EDF16_Li16ELi128ELi256ELb1ELi5EEvPKT_PKT0_S7_ifPKiS9_S9_iPKfiiiPfSC_PS2_PT2_iSB_SB_,@object ; @__PRETTY_FUNCTION__._Z39paged_attention_ll4mi_QKV_mfma16_kernelIDF16_hLN4vllm18Fp8KVCacheDataTypeE1EDF16_Li16ELi128ELi256ELb1ELi5EEvPKT_PKT0_S7_ifPKiS9_S9_iPKfiiiPfSC_PS2_PT2_iSB_SB_
__PRETTY_FUNCTION__._Z39paged_attention_ll4mi_QKV_mfma16_kernelIDF16_hLN4vllm18Fp8KVCacheDataTypeE1EDF16_Li16ELi128ELi256ELb1ELi5EEvPKT_PKT0_S7_ifPKiS9_S9_iPKfiiiPfSC_PS2_PT2_iSB_SB_:
	.asciz	"void paged_attention_ll4mi_QKV_mfma16_kernel(const scalar_t *__restrict, const cache_t *__restrict, const cache_t *__restrict, const int, const float, const int *__restrict, const int *__restrict, const int *__restrict, const int, const float *__restrict, const int, const int, const int, float *__restrict, float *__restrict, scalar_t *__restrict, OUTT *__restrict, int, const float *, const float *) [scalar_t = _Float16, cache_t = unsigned char, KV_DTYPE = vllm::Fp8KVCacheDataType::kFp8E4M3, OUTT = _Float16, BLOCK_SIZE = 16, HEAD_SIZE = 128, NUM_THREADS = 256, ALIBI_ENABLED = true, GQA_RATIO = 5]"
	.size	__PRETTY_FUNCTION__._Z39paged_attention_ll4mi_QKV_mfma16_kernelIDF16_hLN4vllm18Fp8KVCacheDataTypeE1EDF16_Li16ELi128ELi256ELb1ELi5EEvPKT_PKT0_S7_ifPKiS9_S9_iPKfiiiPfSC_PS2_PT2_iSB_SB_, 603

	.type	__PRETTY_FUNCTION__._Z39paged_attention_ll4mi_QKV_mfma16_kernelIDF16_hLN4vllm18Fp8KVCacheDataTypeE1EDF16_Li16ELi128ELi256ELb1ELi6EEvPKT_PKT0_S7_ifPKiS9_S9_iPKfiiiPfSC_PS2_PT2_iSB_SB_,@object ; @__PRETTY_FUNCTION__._Z39paged_attention_ll4mi_QKV_mfma16_kernelIDF16_hLN4vllm18Fp8KVCacheDataTypeE1EDF16_Li16ELi128ELi256ELb1ELi6EEvPKT_PKT0_S7_ifPKiS9_S9_iPKfiiiPfSC_PS2_PT2_iSB_SB_
__PRETTY_FUNCTION__._Z39paged_attention_ll4mi_QKV_mfma16_kernelIDF16_hLN4vllm18Fp8KVCacheDataTypeE1EDF16_Li16ELi128ELi256ELb1ELi6EEvPKT_PKT0_S7_ifPKiS9_S9_iPKfiiiPfSC_PS2_PT2_iSB_SB_:
	.asciz	"void paged_attention_ll4mi_QKV_mfma16_kernel(const scalar_t *__restrict, const cache_t *__restrict, const cache_t *__restrict, const int, const float, const int *__restrict, const int *__restrict, const int *__restrict, const int, const float *__restrict, const int, const int, const int, float *__restrict, float *__restrict, scalar_t *__restrict, OUTT *__restrict, int, const float *, const float *) [scalar_t = _Float16, cache_t = unsigned char, KV_DTYPE = vllm::Fp8KVCacheDataType::kFp8E4M3, OUTT = _Float16, BLOCK_SIZE = 16, HEAD_SIZE = 128, NUM_THREADS = 256, ALIBI_ENABLED = true, GQA_RATIO = 6]"
	.size	__PRETTY_FUNCTION__._Z39paged_attention_ll4mi_QKV_mfma16_kernelIDF16_hLN4vllm18Fp8KVCacheDataTypeE1EDF16_Li16ELi128ELi256ELb1ELi6EEvPKT_PKT0_S7_ifPKiS9_S9_iPKfiiiPfSC_PS2_PT2_iSB_SB_, 603

	.type	__PRETTY_FUNCTION__._Z39paged_attention_ll4mi_QKV_mfma16_kernelIDF16_hLN4vllm18Fp8KVCacheDataTypeE1EDF16_Li16ELi128ELi256ELb1ELi7EEvPKT_PKT0_S7_ifPKiS9_S9_iPKfiiiPfSC_PS2_PT2_iSB_SB_,@object ; @__PRETTY_FUNCTION__._Z39paged_attention_ll4mi_QKV_mfma16_kernelIDF16_hLN4vllm18Fp8KVCacheDataTypeE1EDF16_Li16ELi128ELi256ELb1ELi7EEvPKT_PKT0_S7_ifPKiS9_S9_iPKfiiiPfSC_PS2_PT2_iSB_SB_
__PRETTY_FUNCTION__._Z39paged_attention_ll4mi_QKV_mfma16_kernelIDF16_hLN4vllm18Fp8KVCacheDataTypeE1EDF16_Li16ELi128ELi256ELb1ELi7EEvPKT_PKT0_S7_ifPKiS9_S9_iPKfiiiPfSC_PS2_PT2_iSB_SB_:
	.asciz	"void paged_attention_ll4mi_QKV_mfma16_kernel(const scalar_t *__restrict, const cache_t *__restrict, const cache_t *__restrict, const int, const float, const int *__restrict, const int *__restrict, const int *__restrict, const int, const float *__restrict, const int, const int, const int, float *__restrict, float *__restrict, scalar_t *__restrict, OUTT *__restrict, int, const float *, const float *) [scalar_t = _Float16, cache_t = unsigned char, KV_DTYPE = vllm::Fp8KVCacheDataType::kFp8E4M3, OUTT = _Float16, BLOCK_SIZE = 16, HEAD_SIZE = 128, NUM_THREADS = 256, ALIBI_ENABLED = true, GQA_RATIO = 7]"
	.size	__PRETTY_FUNCTION__._Z39paged_attention_ll4mi_QKV_mfma16_kernelIDF16_hLN4vllm18Fp8KVCacheDataTypeE1EDF16_Li16ELi128ELi256ELb1ELi7EEvPKT_PKT0_S7_ifPKiS9_S9_iPKfiiiPfSC_PS2_PT2_iSB_SB_, 603

	.type	__PRETTY_FUNCTION__._Z39paged_attention_ll4mi_QKV_mfma16_kernelIDF16_hLN4vllm18Fp8KVCacheDataTypeE1EDF16_Li16ELi128ELi256ELb1ELi8EEvPKT_PKT0_S7_ifPKiS9_S9_iPKfiiiPfSC_PS2_PT2_iSB_SB_,@object ; @__PRETTY_FUNCTION__._Z39paged_attention_ll4mi_QKV_mfma16_kernelIDF16_hLN4vllm18Fp8KVCacheDataTypeE1EDF16_Li16ELi128ELi256ELb1ELi8EEvPKT_PKT0_S7_ifPKiS9_S9_iPKfiiiPfSC_PS2_PT2_iSB_SB_
__PRETTY_FUNCTION__._Z39paged_attention_ll4mi_QKV_mfma16_kernelIDF16_hLN4vllm18Fp8KVCacheDataTypeE1EDF16_Li16ELi128ELi256ELb1ELi8EEvPKT_PKT0_S7_ifPKiS9_S9_iPKfiiiPfSC_PS2_PT2_iSB_SB_:
	.asciz	"void paged_attention_ll4mi_QKV_mfma16_kernel(const scalar_t *__restrict, const cache_t *__restrict, const cache_t *__restrict, const int, const float, const int *__restrict, const int *__restrict, const int *__restrict, const int, const float *__restrict, const int, const int, const int, float *__restrict, float *__restrict, scalar_t *__restrict, OUTT *__restrict, int, const float *, const float *) [scalar_t = _Float16, cache_t = unsigned char, KV_DTYPE = vllm::Fp8KVCacheDataType::kFp8E4M3, OUTT = _Float16, BLOCK_SIZE = 16, HEAD_SIZE = 128, NUM_THREADS = 256, ALIBI_ENABLED = true, GQA_RATIO = 8]"
	.size	__PRETTY_FUNCTION__._Z39paged_attention_ll4mi_QKV_mfma16_kernelIDF16_hLN4vllm18Fp8KVCacheDataTypeE1EDF16_Li16ELi128ELi256ELb1ELi8EEvPKT_PKT0_S7_ifPKiS9_S9_iPKfiiiPfSC_PS2_PT2_iSB_SB_, 603

	.type	__PRETTY_FUNCTION__._Z39paged_attention_ll4mi_QKV_mfma16_kernelIDF16_hLN4vllm18Fp8KVCacheDataTypeE1EDF16_Li16ELi128ELi256ELb1ELi9EEvPKT_PKT0_S7_ifPKiS9_S9_iPKfiiiPfSC_PS2_PT2_iSB_SB_,@object ; @__PRETTY_FUNCTION__._Z39paged_attention_ll4mi_QKV_mfma16_kernelIDF16_hLN4vllm18Fp8KVCacheDataTypeE1EDF16_Li16ELi128ELi256ELb1ELi9EEvPKT_PKT0_S7_ifPKiS9_S9_iPKfiiiPfSC_PS2_PT2_iSB_SB_
__PRETTY_FUNCTION__._Z39paged_attention_ll4mi_QKV_mfma16_kernelIDF16_hLN4vllm18Fp8KVCacheDataTypeE1EDF16_Li16ELi128ELi256ELb1ELi9EEvPKT_PKT0_S7_ifPKiS9_S9_iPKfiiiPfSC_PS2_PT2_iSB_SB_:
	.asciz	"void paged_attention_ll4mi_QKV_mfma16_kernel(const scalar_t *__restrict, const cache_t *__restrict, const cache_t *__restrict, const int, const float, const int *__restrict, const int *__restrict, const int *__restrict, const int, const float *__restrict, const int, const int, const int, float *__restrict, float *__restrict, scalar_t *__restrict, OUTT *__restrict, int, const float *, const float *) [scalar_t = _Float16, cache_t = unsigned char, KV_DTYPE = vllm::Fp8KVCacheDataType::kFp8E4M3, OUTT = _Float16, BLOCK_SIZE = 16, HEAD_SIZE = 128, NUM_THREADS = 256, ALIBI_ENABLED = true, GQA_RATIO = 9]"
	.size	__PRETTY_FUNCTION__._Z39paged_attention_ll4mi_QKV_mfma16_kernelIDF16_hLN4vllm18Fp8KVCacheDataTypeE1EDF16_Li16ELi128ELi256ELb1ELi9EEvPKT_PKT0_S7_ifPKiS9_S9_iPKfiiiPfSC_PS2_PT2_iSB_SB_, 603

	.type	__PRETTY_FUNCTION__._Z39paged_attention_ll4mi_QKV_mfma16_kernelIDF16_hLN4vllm18Fp8KVCacheDataTypeE1EDF16_Li16ELi128ELi256ELb1ELi10EEvPKT_PKT0_S7_ifPKiS9_S9_iPKfiiiPfSC_PS2_PT2_iSB_SB_,@object ; @__PRETTY_FUNCTION__._Z39paged_attention_ll4mi_QKV_mfma16_kernelIDF16_hLN4vllm18Fp8KVCacheDataTypeE1EDF16_Li16ELi128ELi256ELb1ELi10EEvPKT_PKT0_S7_ifPKiS9_S9_iPKfiiiPfSC_PS2_PT2_iSB_SB_
__PRETTY_FUNCTION__._Z39paged_attention_ll4mi_QKV_mfma16_kernelIDF16_hLN4vllm18Fp8KVCacheDataTypeE1EDF16_Li16ELi128ELi256ELb1ELi10EEvPKT_PKT0_S7_ifPKiS9_S9_iPKfiiiPfSC_PS2_PT2_iSB_SB_:
	.asciz	"void paged_attention_ll4mi_QKV_mfma16_kernel(const scalar_t *__restrict, const cache_t *__restrict, const cache_t *__restrict, const int, const float, const int *__restrict, const int *__restrict, const int *__restrict, const int, const float *__restrict, const int, const int, const int, float *__restrict, float *__restrict, scalar_t *__restrict, OUTT *__restrict, int, const float *, const float *) [scalar_t = _Float16, cache_t = unsigned char, KV_DTYPE = vllm::Fp8KVCacheDataType::kFp8E4M3, OUTT = _Float16, BLOCK_SIZE = 16, HEAD_SIZE = 128, NUM_THREADS = 256, ALIBI_ENABLED = true, GQA_RATIO = 10]"
	.size	__PRETTY_FUNCTION__._Z39paged_attention_ll4mi_QKV_mfma16_kernelIDF16_hLN4vllm18Fp8KVCacheDataTypeE1EDF16_Li16ELi128ELi256ELb1ELi10EEvPKT_PKT0_S7_ifPKiS9_S9_iPKfiiiPfSC_PS2_PT2_iSB_SB_, 604

	.type	__PRETTY_FUNCTION__._Z39paged_attention_ll4mi_QKV_mfma16_kernelIDF16_hLN4vllm18Fp8KVCacheDataTypeE1EDF16_Li16ELi128ELi256ELb1ELi11EEvPKT_PKT0_S7_ifPKiS9_S9_iPKfiiiPfSC_PS2_PT2_iSB_SB_,@object ; @__PRETTY_FUNCTION__._Z39paged_attention_ll4mi_QKV_mfma16_kernelIDF16_hLN4vllm18Fp8KVCacheDataTypeE1EDF16_Li16ELi128ELi256ELb1ELi11EEvPKT_PKT0_S7_ifPKiS9_S9_iPKfiiiPfSC_PS2_PT2_iSB_SB_
__PRETTY_FUNCTION__._Z39paged_attention_ll4mi_QKV_mfma16_kernelIDF16_hLN4vllm18Fp8KVCacheDataTypeE1EDF16_Li16ELi128ELi256ELb1ELi11EEvPKT_PKT0_S7_ifPKiS9_S9_iPKfiiiPfSC_PS2_PT2_iSB_SB_:
	.asciz	"void paged_attention_ll4mi_QKV_mfma16_kernel(const scalar_t *__restrict, const cache_t *__restrict, const cache_t *__restrict, const int, const float, const int *__restrict, const int *__restrict, const int *__restrict, const int, const float *__restrict, const int, const int, const int, float *__restrict, float *__restrict, scalar_t *__restrict, OUTT *__restrict, int, const float *, const float *) [scalar_t = _Float16, cache_t = unsigned char, KV_DTYPE = vllm::Fp8KVCacheDataType::kFp8E4M3, OUTT = _Float16, BLOCK_SIZE = 16, HEAD_SIZE = 128, NUM_THREADS = 256, ALIBI_ENABLED = true, GQA_RATIO = 11]"
	.size	__PRETTY_FUNCTION__._Z39paged_attention_ll4mi_QKV_mfma16_kernelIDF16_hLN4vllm18Fp8KVCacheDataTypeE1EDF16_Li16ELi128ELi256ELb1ELi11EEvPKT_PKT0_S7_ifPKiS9_S9_iPKfiiiPfSC_PS2_PT2_iSB_SB_, 604

	.type	__PRETTY_FUNCTION__._Z39paged_attention_ll4mi_QKV_mfma16_kernelIDF16_hLN4vllm18Fp8KVCacheDataTypeE1EDF16_Li16ELi128ELi256ELb1ELi12EEvPKT_PKT0_S7_ifPKiS9_S9_iPKfiiiPfSC_PS2_PT2_iSB_SB_,@object ; @__PRETTY_FUNCTION__._Z39paged_attention_ll4mi_QKV_mfma16_kernelIDF16_hLN4vllm18Fp8KVCacheDataTypeE1EDF16_Li16ELi128ELi256ELb1ELi12EEvPKT_PKT0_S7_ifPKiS9_S9_iPKfiiiPfSC_PS2_PT2_iSB_SB_
__PRETTY_FUNCTION__._Z39paged_attention_ll4mi_QKV_mfma16_kernelIDF16_hLN4vllm18Fp8KVCacheDataTypeE1EDF16_Li16ELi128ELi256ELb1ELi12EEvPKT_PKT0_S7_ifPKiS9_S9_iPKfiiiPfSC_PS2_PT2_iSB_SB_:
	.asciz	"void paged_attention_ll4mi_QKV_mfma16_kernel(const scalar_t *__restrict, const cache_t *__restrict, const cache_t *__restrict, const int, const float, const int *__restrict, const int *__restrict, const int *__restrict, const int, const float *__restrict, const int, const int, const int, float *__restrict, float *__restrict, scalar_t *__restrict, OUTT *__restrict, int, const float *, const float *) [scalar_t = _Float16, cache_t = unsigned char, KV_DTYPE = vllm::Fp8KVCacheDataType::kFp8E4M3, OUTT = _Float16, BLOCK_SIZE = 16, HEAD_SIZE = 128, NUM_THREADS = 256, ALIBI_ENABLED = true, GQA_RATIO = 12]"
	.size	__PRETTY_FUNCTION__._Z39paged_attention_ll4mi_QKV_mfma16_kernelIDF16_hLN4vllm18Fp8KVCacheDataTypeE1EDF16_Li16ELi128ELi256ELb1ELi12EEvPKT_PKT0_S7_ifPKiS9_S9_iPKfiiiPfSC_PS2_PT2_iSB_SB_, 604

	.type	__PRETTY_FUNCTION__._Z39paged_attention_ll4mi_QKV_mfma16_kernelIDF16_hLN4vllm18Fp8KVCacheDataTypeE1EDF16_Li16ELi128ELi256ELb1ELi13EEvPKT_PKT0_S7_ifPKiS9_S9_iPKfiiiPfSC_PS2_PT2_iSB_SB_,@object ; @__PRETTY_FUNCTION__._Z39paged_attention_ll4mi_QKV_mfma16_kernelIDF16_hLN4vllm18Fp8KVCacheDataTypeE1EDF16_Li16ELi128ELi256ELb1ELi13EEvPKT_PKT0_S7_ifPKiS9_S9_iPKfiiiPfSC_PS2_PT2_iSB_SB_
__PRETTY_FUNCTION__._Z39paged_attention_ll4mi_QKV_mfma16_kernelIDF16_hLN4vllm18Fp8KVCacheDataTypeE1EDF16_Li16ELi128ELi256ELb1ELi13EEvPKT_PKT0_S7_ifPKiS9_S9_iPKfiiiPfSC_PS2_PT2_iSB_SB_:
	.asciz	"void paged_attention_ll4mi_QKV_mfma16_kernel(const scalar_t *__restrict, const cache_t *__restrict, const cache_t *__restrict, const int, const float, const int *__restrict, const int *__restrict, const int *__restrict, const int, const float *__restrict, const int, const int, const int, float *__restrict, float *__restrict, scalar_t *__restrict, OUTT *__restrict, int, const float *, const float *) [scalar_t = _Float16, cache_t = unsigned char, KV_DTYPE = vllm::Fp8KVCacheDataType::kFp8E4M3, OUTT = _Float16, BLOCK_SIZE = 16, HEAD_SIZE = 128, NUM_THREADS = 256, ALIBI_ENABLED = true, GQA_RATIO = 13]"
	.size	__PRETTY_FUNCTION__._Z39paged_attention_ll4mi_QKV_mfma16_kernelIDF16_hLN4vllm18Fp8KVCacheDataTypeE1EDF16_Li16ELi128ELi256ELb1ELi13EEvPKT_PKT0_S7_ifPKiS9_S9_iPKfiiiPfSC_PS2_PT2_iSB_SB_, 604

	.type	__PRETTY_FUNCTION__._Z39paged_attention_ll4mi_QKV_mfma16_kernelIDF16_hLN4vllm18Fp8KVCacheDataTypeE1EDF16_Li16ELi128ELi256ELb1ELi14EEvPKT_PKT0_S7_ifPKiS9_S9_iPKfiiiPfSC_PS2_PT2_iSB_SB_,@object ; @__PRETTY_FUNCTION__._Z39paged_attention_ll4mi_QKV_mfma16_kernelIDF16_hLN4vllm18Fp8KVCacheDataTypeE1EDF16_Li16ELi128ELi256ELb1ELi14EEvPKT_PKT0_S7_ifPKiS9_S9_iPKfiiiPfSC_PS2_PT2_iSB_SB_
__PRETTY_FUNCTION__._Z39paged_attention_ll4mi_QKV_mfma16_kernelIDF16_hLN4vllm18Fp8KVCacheDataTypeE1EDF16_Li16ELi128ELi256ELb1ELi14EEvPKT_PKT0_S7_ifPKiS9_S9_iPKfiiiPfSC_PS2_PT2_iSB_SB_:
	.asciz	"void paged_attention_ll4mi_QKV_mfma16_kernel(const scalar_t *__restrict, const cache_t *__restrict, const cache_t *__restrict, const int, const float, const int *__restrict, const int *__restrict, const int *__restrict, const int, const float *__restrict, const int, const int, const int, float *__restrict, float *__restrict, scalar_t *__restrict, OUTT *__restrict, int, const float *, const float *) [scalar_t = _Float16, cache_t = unsigned char, KV_DTYPE = vllm::Fp8KVCacheDataType::kFp8E4M3, OUTT = _Float16, BLOCK_SIZE = 16, HEAD_SIZE = 128, NUM_THREADS = 256, ALIBI_ENABLED = true, GQA_RATIO = 14]"
	.size	__PRETTY_FUNCTION__._Z39paged_attention_ll4mi_QKV_mfma16_kernelIDF16_hLN4vllm18Fp8KVCacheDataTypeE1EDF16_Li16ELi128ELi256ELb1ELi14EEvPKT_PKT0_S7_ifPKiS9_S9_iPKfiiiPfSC_PS2_PT2_iSB_SB_, 604

	.type	__PRETTY_FUNCTION__._Z39paged_attention_ll4mi_QKV_mfma16_kernelIDF16_hLN4vllm18Fp8KVCacheDataTypeE1EDF16_Li16ELi128ELi256ELb1ELi15EEvPKT_PKT0_S7_ifPKiS9_S9_iPKfiiiPfSC_PS2_PT2_iSB_SB_,@object ; @__PRETTY_FUNCTION__._Z39paged_attention_ll4mi_QKV_mfma16_kernelIDF16_hLN4vllm18Fp8KVCacheDataTypeE1EDF16_Li16ELi128ELi256ELb1ELi15EEvPKT_PKT0_S7_ifPKiS9_S9_iPKfiiiPfSC_PS2_PT2_iSB_SB_
__PRETTY_FUNCTION__._Z39paged_attention_ll4mi_QKV_mfma16_kernelIDF16_hLN4vllm18Fp8KVCacheDataTypeE1EDF16_Li16ELi128ELi256ELb1ELi15EEvPKT_PKT0_S7_ifPKiS9_S9_iPKfiiiPfSC_PS2_PT2_iSB_SB_:
	.asciz	"void paged_attention_ll4mi_QKV_mfma16_kernel(const scalar_t *__restrict, const cache_t *__restrict, const cache_t *__restrict, const int, const float, const int *__restrict, const int *__restrict, const int *__restrict, const int, const float *__restrict, const int, const int, const int, float *__restrict, float *__restrict, scalar_t *__restrict, OUTT *__restrict, int, const float *, const float *) [scalar_t = _Float16, cache_t = unsigned char, KV_DTYPE = vllm::Fp8KVCacheDataType::kFp8E4M3, OUTT = _Float16, BLOCK_SIZE = 16, HEAD_SIZE = 128, NUM_THREADS = 256, ALIBI_ENABLED = true, GQA_RATIO = 15]"
	.size	__PRETTY_FUNCTION__._Z39paged_attention_ll4mi_QKV_mfma16_kernelIDF16_hLN4vllm18Fp8KVCacheDataTypeE1EDF16_Li16ELi128ELi256ELb1ELi15EEvPKT_PKT0_S7_ifPKiS9_S9_iPKfiiiPfSC_PS2_PT2_iSB_SB_, 604

	.type	__PRETTY_FUNCTION__._Z39paged_attention_ll4mi_QKV_mfma16_kernelIDF16_hLN4vllm18Fp8KVCacheDataTypeE1EDF16_Li16ELi128ELi256ELb1ELi16EEvPKT_PKT0_S7_ifPKiS9_S9_iPKfiiiPfSC_PS2_PT2_iSB_SB_,@object ; @__PRETTY_FUNCTION__._Z39paged_attention_ll4mi_QKV_mfma16_kernelIDF16_hLN4vllm18Fp8KVCacheDataTypeE1EDF16_Li16ELi128ELi256ELb1ELi16EEvPKT_PKT0_S7_ifPKiS9_S9_iPKfiiiPfSC_PS2_PT2_iSB_SB_
__PRETTY_FUNCTION__._Z39paged_attention_ll4mi_QKV_mfma16_kernelIDF16_hLN4vllm18Fp8KVCacheDataTypeE1EDF16_Li16ELi128ELi256ELb1ELi16EEvPKT_PKT0_S7_ifPKiS9_S9_iPKfiiiPfSC_PS2_PT2_iSB_SB_:
	.asciz	"void paged_attention_ll4mi_QKV_mfma16_kernel(const scalar_t *__restrict, const cache_t *__restrict, const cache_t *__restrict, const int, const float, const int *__restrict, const int *__restrict, const int *__restrict, const int, const float *__restrict, const int, const int, const int, float *__restrict, float *__restrict, scalar_t *__restrict, OUTT *__restrict, int, const float *, const float *) [scalar_t = _Float16, cache_t = unsigned char, KV_DTYPE = vllm::Fp8KVCacheDataType::kFp8E4M3, OUTT = _Float16, BLOCK_SIZE = 16, HEAD_SIZE = 128, NUM_THREADS = 256, ALIBI_ENABLED = true, GQA_RATIO = 16]"
	.size	__PRETTY_FUNCTION__._Z39paged_attention_ll4mi_QKV_mfma16_kernelIDF16_hLN4vllm18Fp8KVCacheDataTypeE1EDF16_Li16ELi128ELi256ELb1ELi16EEvPKT_PKT0_S7_ifPKiS9_S9_iPKfiiiPfSC_PS2_PT2_iSB_SB_, 604

	.type	__PRETTY_FUNCTION__._Z39paged_attention_ll4mi_QKV_mfma16_kernelIDF16_hLN4vllm18Fp8KVCacheDataTypeE1EDF16_Li16ELi128ELi256ELb1ELi1EEvPKT_PKT0_S7_ifPKiS9_S9_iPKfiiiPfSC_PS2_PT2_iSB_SB_,@object ; @__PRETTY_FUNCTION__._Z39paged_attention_ll4mi_QKV_mfma16_kernelIDF16_hLN4vllm18Fp8KVCacheDataTypeE1EDF16_Li16ELi128ELi256ELb1ELi1EEvPKT_PKT0_S7_ifPKiS9_S9_iPKfiiiPfSC_PS2_PT2_iSB_SB_
__PRETTY_FUNCTION__._Z39paged_attention_ll4mi_QKV_mfma16_kernelIDF16_hLN4vllm18Fp8KVCacheDataTypeE1EDF16_Li16ELi128ELi256ELb1ELi1EEvPKT_PKT0_S7_ifPKiS9_S9_iPKfiiiPfSC_PS2_PT2_iSB_SB_:
	.asciz	"void paged_attention_ll4mi_QKV_mfma16_kernel(const scalar_t *__restrict, const cache_t *__restrict, const cache_t *__restrict, const int, const float, const int *__restrict, const int *__restrict, const int *__restrict, const int, const float *__restrict, const int, const int, const int, float *__restrict, float *__restrict, scalar_t *__restrict, OUTT *__restrict, int, const float *, const float *) [scalar_t = _Float16, cache_t = unsigned char, KV_DTYPE = vllm::Fp8KVCacheDataType::kFp8E4M3, OUTT = _Float16, BLOCK_SIZE = 16, HEAD_SIZE = 128, NUM_THREADS = 256, ALIBI_ENABLED = true, GQA_RATIO = 1]"
	.size	__PRETTY_FUNCTION__._Z39paged_attention_ll4mi_QKV_mfma16_kernelIDF16_hLN4vllm18Fp8KVCacheDataTypeE1EDF16_Li16ELi128ELi256ELb1ELi1EEvPKT_PKT0_S7_ifPKiS9_S9_iPKfiiiPfSC_PS2_PT2_iSB_SB_, 603

	.type	__PRETTY_FUNCTION__._Z39paged_attention_ll4mi_QKV_mfma16_kernelIDF16_hLN4vllm18Fp8KVCacheDataTypeE1EDF16_Li16ELi128ELi256ELb1ELi2EEvPKT_PKT0_S7_ifPKiS9_S9_iPKfiiiPfSC_PS2_PT2_iSB_SB_,@object ; @__PRETTY_FUNCTION__._Z39paged_attention_ll4mi_QKV_mfma16_kernelIDF16_hLN4vllm18Fp8KVCacheDataTypeE1EDF16_Li16ELi128ELi256ELb1ELi2EEvPKT_PKT0_S7_ifPKiS9_S9_iPKfiiiPfSC_PS2_PT2_iSB_SB_
__PRETTY_FUNCTION__._Z39paged_attention_ll4mi_QKV_mfma16_kernelIDF16_hLN4vllm18Fp8KVCacheDataTypeE1EDF16_Li16ELi128ELi256ELb1ELi2EEvPKT_PKT0_S7_ifPKiS9_S9_iPKfiiiPfSC_PS2_PT2_iSB_SB_:
	.asciz	"void paged_attention_ll4mi_QKV_mfma16_kernel(const scalar_t *__restrict, const cache_t *__restrict, const cache_t *__restrict, const int, const float, const int *__restrict, const int *__restrict, const int *__restrict, const int, const float *__restrict, const int, const int, const int, float *__restrict, float *__restrict, scalar_t *__restrict, OUTT *__restrict, int, const float *, const float *) [scalar_t = _Float16, cache_t = unsigned char, KV_DTYPE = vllm::Fp8KVCacheDataType::kFp8E4M3, OUTT = _Float16, BLOCK_SIZE = 16, HEAD_SIZE = 128, NUM_THREADS = 256, ALIBI_ENABLED = true, GQA_RATIO = 2]"
	.size	__PRETTY_FUNCTION__._Z39paged_attention_ll4mi_QKV_mfma16_kernelIDF16_hLN4vllm18Fp8KVCacheDataTypeE1EDF16_Li16ELi128ELi256ELb1ELi2EEvPKT_PKT0_S7_ifPKiS9_S9_iPKfiiiPfSC_PS2_PT2_iSB_SB_, 603

	.type	__PRETTY_FUNCTION__._Z39paged_attention_ll4mi_QKV_mfma16_kernelIDF16_hLN4vllm18Fp8KVCacheDataTypeE1EDF16_Li16ELi128ELi256ELb1ELi3EEvPKT_PKT0_S7_ifPKiS9_S9_iPKfiiiPfSC_PS2_PT2_iSB_SB_,@object ; @__PRETTY_FUNCTION__._Z39paged_attention_ll4mi_QKV_mfma16_kernelIDF16_hLN4vllm18Fp8KVCacheDataTypeE1EDF16_Li16ELi128ELi256ELb1ELi3EEvPKT_PKT0_S7_ifPKiS9_S9_iPKfiiiPfSC_PS2_PT2_iSB_SB_
__PRETTY_FUNCTION__._Z39paged_attention_ll4mi_QKV_mfma16_kernelIDF16_hLN4vllm18Fp8KVCacheDataTypeE1EDF16_Li16ELi128ELi256ELb1ELi3EEvPKT_PKT0_S7_ifPKiS9_S9_iPKfiiiPfSC_PS2_PT2_iSB_SB_:
	.asciz	"void paged_attention_ll4mi_QKV_mfma16_kernel(const scalar_t *__restrict, const cache_t *__restrict, const cache_t *__restrict, const int, const float, const int *__restrict, const int *__restrict, const int *__restrict, const int, const float *__restrict, const int, const int, const int, float *__restrict, float *__restrict, scalar_t *__restrict, OUTT *__restrict, int, const float *, const float *) [scalar_t = _Float16, cache_t = unsigned char, KV_DTYPE = vllm::Fp8KVCacheDataType::kFp8E4M3, OUTT = _Float16, BLOCK_SIZE = 16, HEAD_SIZE = 128, NUM_THREADS = 256, ALIBI_ENABLED = true, GQA_RATIO = 3]"
	.size	__PRETTY_FUNCTION__._Z39paged_attention_ll4mi_QKV_mfma16_kernelIDF16_hLN4vllm18Fp8KVCacheDataTypeE1EDF16_Li16ELi128ELi256ELb1ELi3EEvPKT_PKT0_S7_ifPKiS9_S9_iPKfiiiPfSC_PS2_PT2_iSB_SB_, 603

	.type	__PRETTY_FUNCTION__._Z39paged_attention_ll4mi_QKV_mfma16_kernelIDF16_hLN4vllm18Fp8KVCacheDataTypeE1EDF16_Li16ELi128ELi256ELb1ELi4EEvPKT_PKT0_S7_ifPKiS9_S9_iPKfiiiPfSC_PS2_PT2_iSB_SB_,@object ; @__PRETTY_FUNCTION__._Z39paged_attention_ll4mi_QKV_mfma16_kernelIDF16_hLN4vllm18Fp8KVCacheDataTypeE1EDF16_Li16ELi128ELi256ELb1ELi4EEvPKT_PKT0_S7_ifPKiS9_S9_iPKfiiiPfSC_PS2_PT2_iSB_SB_
__PRETTY_FUNCTION__._Z39paged_attention_ll4mi_QKV_mfma16_kernelIDF16_hLN4vllm18Fp8KVCacheDataTypeE1EDF16_Li16ELi128ELi256ELb1ELi4EEvPKT_PKT0_S7_ifPKiS9_S9_iPKfiiiPfSC_PS2_PT2_iSB_SB_:
	.asciz	"void paged_attention_ll4mi_QKV_mfma16_kernel(const scalar_t *__restrict, const cache_t *__restrict, const cache_t *__restrict, const int, const float, const int *__restrict, const int *__restrict, const int *__restrict, const int, const float *__restrict, const int, const int, const int, float *__restrict, float *__restrict, scalar_t *__restrict, OUTT *__restrict, int, const float *, const float *) [scalar_t = _Float16, cache_t = unsigned char, KV_DTYPE = vllm::Fp8KVCacheDataType::kFp8E4M3, OUTT = _Float16, BLOCK_SIZE = 16, HEAD_SIZE = 128, NUM_THREADS = 256, ALIBI_ENABLED = true, GQA_RATIO = 4]"
	.size	__PRETTY_FUNCTION__._Z39paged_attention_ll4mi_QKV_mfma16_kernelIDF16_hLN4vllm18Fp8KVCacheDataTypeE1EDF16_Li16ELi128ELi256ELb1ELi4EEvPKT_PKT0_S7_ifPKiS9_S9_iPKfiiiPfSC_PS2_PT2_iSB_SB_, 603

	.type	__PRETTY_FUNCTION__._Z38paged_attention_ll4mi_QKV_mfma4_kernelIDF16_hLN4vllm18Fp8KVCacheDataTypeE1EDF16_Li16ELi128ELi256ELb0ELi1EEvPKT_PKT0_S7_ifPKiS9_S9_iPKfiiiPfSC_PS2_PT2_iSB_SB_,@object ; @__PRETTY_FUNCTION__._Z38paged_attention_ll4mi_QKV_mfma4_kernelIDF16_hLN4vllm18Fp8KVCacheDataTypeE1EDF16_Li16ELi128ELi256ELb0ELi1EEvPKT_PKT0_S7_ifPKiS9_S9_iPKfiiiPfSC_PS2_PT2_iSB_SB_
__PRETTY_FUNCTION__._Z38paged_attention_ll4mi_QKV_mfma4_kernelIDF16_hLN4vllm18Fp8KVCacheDataTypeE1EDF16_Li16ELi128ELi256ELb0ELi1EEvPKT_PKT0_S7_ifPKiS9_S9_iPKfiiiPfSC_PS2_PT2_iSB_SB_:
	.asciz	"void paged_attention_ll4mi_QKV_mfma4_kernel(const scalar_t *__restrict, const cache_t *__restrict, const cache_t *__restrict, const int, const float, const int *__restrict, const int *__restrict, const int *__restrict, const int, const float *__restrict, const int, const int, const int, float *__restrict, float *__restrict, scalar_t *__restrict, OUTT *__restrict, int, const float *, const float *) [scalar_t = _Float16, cache_t = unsigned char, KV_DTYPE = vllm::Fp8KVCacheDataType::kFp8E4M3, OUTT = _Float16, BLOCK_SIZE = 16, HEAD_SIZE = 128, NUM_THREADS = 256, ALIBI_ENABLED = false, GQA_RATIO = 1]"
	.size	__PRETTY_FUNCTION__._Z38paged_attention_ll4mi_QKV_mfma4_kernelIDF16_hLN4vllm18Fp8KVCacheDataTypeE1EDF16_Li16ELi128ELi256ELb0ELi1EEvPKT_PKT0_S7_ifPKiS9_S9_iPKfiiiPfSC_PS2_PT2_iSB_SB_, 603

	.type	__PRETTY_FUNCTION__._Z38paged_attention_ll4mi_QKV_mfma4_kernelIDF16_hLN4vllm18Fp8KVCacheDataTypeE1EDF16_Li16ELi128ELi256ELb0ELi2EEvPKT_PKT0_S7_ifPKiS9_S9_iPKfiiiPfSC_PS2_PT2_iSB_SB_,@object ; @__PRETTY_FUNCTION__._Z38paged_attention_ll4mi_QKV_mfma4_kernelIDF16_hLN4vllm18Fp8KVCacheDataTypeE1EDF16_Li16ELi128ELi256ELb0ELi2EEvPKT_PKT0_S7_ifPKiS9_S9_iPKfiiiPfSC_PS2_PT2_iSB_SB_
__PRETTY_FUNCTION__._Z38paged_attention_ll4mi_QKV_mfma4_kernelIDF16_hLN4vllm18Fp8KVCacheDataTypeE1EDF16_Li16ELi128ELi256ELb0ELi2EEvPKT_PKT0_S7_ifPKiS9_S9_iPKfiiiPfSC_PS2_PT2_iSB_SB_:
	.asciz	"void paged_attention_ll4mi_QKV_mfma4_kernel(const scalar_t *__restrict, const cache_t *__restrict, const cache_t *__restrict, const int, const float, const int *__restrict, const int *__restrict, const int *__restrict, const int, const float *__restrict, const int, const int, const int, float *__restrict, float *__restrict, scalar_t *__restrict, OUTT *__restrict, int, const float *, const float *) [scalar_t = _Float16, cache_t = unsigned char, KV_DTYPE = vllm::Fp8KVCacheDataType::kFp8E4M3, OUTT = _Float16, BLOCK_SIZE = 16, HEAD_SIZE = 128, NUM_THREADS = 256, ALIBI_ENABLED = false, GQA_RATIO = 2]"
	.size	__PRETTY_FUNCTION__._Z38paged_attention_ll4mi_QKV_mfma4_kernelIDF16_hLN4vllm18Fp8KVCacheDataTypeE1EDF16_Li16ELi128ELi256ELb0ELi2EEvPKT_PKT0_S7_ifPKiS9_S9_iPKfiiiPfSC_PS2_PT2_iSB_SB_, 603

	.type	__PRETTY_FUNCTION__._Z38paged_attention_ll4mi_QKV_mfma4_kernelIDF16_hLN4vllm18Fp8KVCacheDataTypeE1EDF16_Li16ELi128ELi256ELb0ELi3EEvPKT_PKT0_S7_ifPKiS9_S9_iPKfiiiPfSC_PS2_PT2_iSB_SB_,@object ; @__PRETTY_FUNCTION__._Z38paged_attention_ll4mi_QKV_mfma4_kernelIDF16_hLN4vllm18Fp8KVCacheDataTypeE1EDF16_Li16ELi128ELi256ELb0ELi3EEvPKT_PKT0_S7_ifPKiS9_S9_iPKfiiiPfSC_PS2_PT2_iSB_SB_
__PRETTY_FUNCTION__._Z38paged_attention_ll4mi_QKV_mfma4_kernelIDF16_hLN4vllm18Fp8KVCacheDataTypeE1EDF16_Li16ELi128ELi256ELb0ELi3EEvPKT_PKT0_S7_ifPKiS9_S9_iPKfiiiPfSC_PS2_PT2_iSB_SB_:
	.asciz	"void paged_attention_ll4mi_QKV_mfma4_kernel(const scalar_t *__restrict, const cache_t *__restrict, const cache_t *__restrict, const int, const float, const int *__restrict, const int *__restrict, const int *__restrict, const int, const float *__restrict, const int, const int, const int, float *__restrict, float *__restrict, scalar_t *__restrict, OUTT *__restrict, int, const float *, const float *) [scalar_t = _Float16, cache_t = unsigned char, KV_DTYPE = vllm::Fp8KVCacheDataType::kFp8E4M3, OUTT = _Float16, BLOCK_SIZE = 16, HEAD_SIZE = 128, NUM_THREADS = 256, ALIBI_ENABLED = false, GQA_RATIO = 3]"
	.size	__PRETTY_FUNCTION__._Z38paged_attention_ll4mi_QKV_mfma4_kernelIDF16_hLN4vllm18Fp8KVCacheDataTypeE1EDF16_Li16ELi128ELi256ELb0ELi3EEvPKT_PKT0_S7_ifPKiS9_S9_iPKfiiiPfSC_PS2_PT2_iSB_SB_, 603

	.type	__PRETTY_FUNCTION__._Z38paged_attention_ll4mi_QKV_mfma4_kernelIDF16_hLN4vllm18Fp8KVCacheDataTypeE1EDF16_Li16ELi128ELi256ELb0ELi4EEvPKT_PKT0_S7_ifPKiS9_S9_iPKfiiiPfSC_PS2_PT2_iSB_SB_,@object ; @__PRETTY_FUNCTION__._Z38paged_attention_ll4mi_QKV_mfma4_kernelIDF16_hLN4vllm18Fp8KVCacheDataTypeE1EDF16_Li16ELi128ELi256ELb0ELi4EEvPKT_PKT0_S7_ifPKiS9_S9_iPKfiiiPfSC_PS2_PT2_iSB_SB_
__PRETTY_FUNCTION__._Z38paged_attention_ll4mi_QKV_mfma4_kernelIDF16_hLN4vllm18Fp8KVCacheDataTypeE1EDF16_Li16ELi128ELi256ELb0ELi4EEvPKT_PKT0_S7_ifPKiS9_S9_iPKfiiiPfSC_PS2_PT2_iSB_SB_:
	.asciz	"void paged_attention_ll4mi_QKV_mfma4_kernel(const scalar_t *__restrict, const cache_t *__restrict, const cache_t *__restrict, const int, const float, const int *__restrict, const int *__restrict, const int *__restrict, const int, const float *__restrict, const int, const int, const int, float *__restrict, float *__restrict, scalar_t *__restrict, OUTT *__restrict, int, const float *, const float *) [scalar_t = _Float16, cache_t = unsigned char, KV_DTYPE = vllm::Fp8KVCacheDataType::kFp8E4M3, OUTT = _Float16, BLOCK_SIZE = 16, HEAD_SIZE = 128, NUM_THREADS = 256, ALIBI_ENABLED = false, GQA_RATIO = 4]"
	.size	__PRETTY_FUNCTION__._Z38paged_attention_ll4mi_QKV_mfma4_kernelIDF16_hLN4vllm18Fp8KVCacheDataTypeE1EDF16_Li16ELi128ELi256ELb0ELi4EEvPKT_PKT0_S7_ifPKiS9_S9_iPKfiiiPfSC_PS2_PT2_iSB_SB_, 603

	.type	__PRETTY_FUNCTION__._Z39paged_attention_ll4mi_QKV_mfma16_kernelIDF16_hLN4vllm18Fp8KVCacheDataTypeE1EDF16_Li16ELi128ELi256ELb0ELi5EEvPKT_PKT0_S7_ifPKiS9_S9_iPKfiiiPfSC_PS2_PT2_iSB_SB_,@object ; @__PRETTY_FUNCTION__._Z39paged_attention_ll4mi_QKV_mfma16_kernelIDF16_hLN4vllm18Fp8KVCacheDataTypeE1EDF16_Li16ELi128ELi256ELb0ELi5EEvPKT_PKT0_S7_ifPKiS9_S9_iPKfiiiPfSC_PS2_PT2_iSB_SB_
__PRETTY_FUNCTION__._Z39paged_attention_ll4mi_QKV_mfma16_kernelIDF16_hLN4vllm18Fp8KVCacheDataTypeE1EDF16_Li16ELi128ELi256ELb0ELi5EEvPKT_PKT0_S7_ifPKiS9_S9_iPKfiiiPfSC_PS2_PT2_iSB_SB_:
	.asciz	"void paged_attention_ll4mi_QKV_mfma16_kernel(const scalar_t *__restrict, const cache_t *__restrict, const cache_t *__restrict, const int, const float, const int *__restrict, const int *__restrict, const int *__restrict, const int, const float *__restrict, const int, const int, const int, float *__restrict, float *__restrict, scalar_t *__restrict, OUTT *__restrict, int, const float *, const float *) [scalar_t = _Float16, cache_t = unsigned char, KV_DTYPE = vllm::Fp8KVCacheDataType::kFp8E4M3, OUTT = _Float16, BLOCK_SIZE = 16, HEAD_SIZE = 128, NUM_THREADS = 256, ALIBI_ENABLED = false, GQA_RATIO = 5]"
	.size	__PRETTY_FUNCTION__._Z39paged_attention_ll4mi_QKV_mfma16_kernelIDF16_hLN4vllm18Fp8KVCacheDataTypeE1EDF16_Li16ELi128ELi256ELb0ELi5EEvPKT_PKT0_S7_ifPKiS9_S9_iPKfiiiPfSC_PS2_PT2_iSB_SB_, 604

	.type	__PRETTY_FUNCTION__._Z39paged_attention_ll4mi_QKV_mfma16_kernelIDF16_hLN4vllm18Fp8KVCacheDataTypeE1EDF16_Li16ELi128ELi256ELb0ELi6EEvPKT_PKT0_S7_ifPKiS9_S9_iPKfiiiPfSC_PS2_PT2_iSB_SB_,@object ; @__PRETTY_FUNCTION__._Z39paged_attention_ll4mi_QKV_mfma16_kernelIDF16_hLN4vllm18Fp8KVCacheDataTypeE1EDF16_Li16ELi128ELi256ELb0ELi6EEvPKT_PKT0_S7_ifPKiS9_S9_iPKfiiiPfSC_PS2_PT2_iSB_SB_
__PRETTY_FUNCTION__._Z39paged_attention_ll4mi_QKV_mfma16_kernelIDF16_hLN4vllm18Fp8KVCacheDataTypeE1EDF16_Li16ELi128ELi256ELb0ELi6EEvPKT_PKT0_S7_ifPKiS9_S9_iPKfiiiPfSC_PS2_PT2_iSB_SB_:
	.asciz	"void paged_attention_ll4mi_QKV_mfma16_kernel(const scalar_t *__restrict, const cache_t *__restrict, const cache_t *__restrict, const int, const float, const int *__restrict, const int *__restrict, const int *__restrict, const int, const float *__restrict, const int, const int, const int, float *__restrict, float *__restrict, scalar_t *__restrict, OUTT *__restrict, int, const float *, const float *) [scalar_t = _Float16, cache_t = unsigned char, KV_DTYPE = vllm::Fp8KVCacheDataType::kFp8E4M3, OUTT = _Float16, BLOCK_SIZE = 16, HEAD_SIZE = 128, NUM_THREADS = 256, ALIBI_ENABLED = false, GQA_RATIO = 6]"
	.size	__PRETTY_FUNCTION__._Z39paged_attention_ll4mi_QKV_mfma16_kernelIDF16_hLN4vllm18Fp8KVCacheDataTypeE1EDF16_Li16ELi128ELi256ELb0ELi6EEvPKT_PKT0_S7_ifPKiS9_S9_iPKfiiiPfSC_PS2_PT2_iSB_SB_, 604

	.type	__PRETTY_FUNCTION__._Z39paged_attention_ll4mi_QKV_mfma16_kernelIDF16_hLN4vllm18Fp8KVCacheDataTypeE1EDF16_Li16ELi128ELi256ELb0ELi7EEvPKT_PKT0_S7_ifPKiS9_S9_iPKfiiiPfSC_PS2_PT2_iSB_SB_,@object ; @__PRETTY_FUNCTION__._Z39paged_attention_ll4mi_QKV_mfma16_kernelIDF16_hLN4vllm18Fp8KVCacheDataTypeE1EDF16_Li16ELi128ELi256ELb0ELi7EEvPKT_PKT0_S7_ifPKiS9_S9_iPKfiiiPfSC_PS2_PT2_iSB_SB_
__PRETTY_FUNCTION__._Z39paged_attention_ll4mi_QKV_mfma16_kernelIDF16_hLN4vllm18Fp8KVCacheDataTypeE1EDF16_Li16ELi128ELi256ELb0ELi7EEvPKT_PKT0_S7_ifPKiS9_S9_iPKfiiiPfSC_PS2_PT2_iSB_SB_:
	.asciz	"void paged_attention_ll4mi_QKV_mfma16_kernel(const scalar_t *__restrict, const cache_t *__restrict, const cache_t *__restrict, const int, const float, const int *__restrict, const int *__restrict, const int *__restrict, const int, const float *__restrict, const int, const int, const int, float *__restrict, float *__restrict, scalar_t *__restrict, OUTT *__restrict, int, const float *, const float *) [scalar_t = _Float16, cache_t = unsigned char, KV_DTYPE = vllm::Fp8KVCacheDataType::kFp8E4M3, OUTT = _Float16, BLOCK_SIZE = 16, HEAD_SIZE = 128, NUM_THREADS = 256, ALIBI_ENABLED = false, GQA_RATIO = 7]"
	.size	__PRETTY_FUNCTION__._Z39paged_attention_ll4mi_QKV_mfma16_kernelIDF16_hLN4vllm18Fp8KVCacheDataTypeE1EDF16_Li16ELi128ELi256ELb0ELi7EEvPKT_PKT0_S7_ifPKiS9_S9_iPKfiiiPfSC_PS2_PT2_iSB_SB_, 604

	.type	__PRETTY_FUNCTION__._Z39paged_attention_ll4mi_QKV_mfma16_kernelIDF16_hLN4vllm18Fp8KVCacheDataTypeE1EDF16_Li16ELi128ELi256ELb0ELi8EEvPKT_PKT0_S7_ifPKiS9_S9_iPKfiiiPfSC_PS2_PT2_iSB_SB_,@object ; @__PRETTY_FUNCTION__._Z39paged_attention_ll4mi_QKV_mfma16_kernelIDF16_hLN4vllm18Fp8KVCacheDataTypeE1EDF16_Li16ELi128ELi256ELb0ELi8EEvPKT_PKT0_S7_ifPKiS9_S9_iPKfiiiPfSC_PS2_PT2_iSB_SB_
__PRETTY_FUNCTION__._Z39paged_attention_ll4mi_QKV_mfma16_kernelIDF16_hLN4vllm18Fp8KVCacheDataTypeE1EDF16_Li16ELi128ELi256ELb0ELi8EEvPKT_PKT0_S7_ifPKiS9_S9_iPKfiiiPfSC_PS2_PT2_iSB_SB_:
	.asciz	"void paged_attention_ll4mi_QKV_mfma16_kernel(const scalar_t *__restrict, const cache_t *__restrict, const cache_t *__restrict, const int, const float, const int *__restrict, const int *__restrict, const int *__restrict, const int, const float *__restrict, const int, const int, const int, float *__restrict, float *__restrict, scalar_t *__restrict, OUTT *__restrict, int, const float *, const float *) [scalar_t = _Float16, cache_t = unsigned char, KV_DTYPE = vllm::Fp8KVCacheDataType::kFp8E4M3, OUTT = _Float16, BLOCK_SIZE = 16, HEAD_SIZE = 128, NUM_THREADS = 256, ALIBI_ENABLED = false, GQA_RATIO = 8]"
	.size	__PRETTY_FUNCTION__._Z39paged_attention_ll4mi_QKV_mfma16_kernelIDF16_hLN4vllm18Fp8KVCacheDataTypeE1EDF16_Li16ELi128ELi256ELb0ELi8EEvPKT_PKT0_S7_ifPKiS9_S9_iPKfiiiPfSC_PS2_PT2_iSB_SB_, 604

	.type	__PRETTY_FUNCTION__._Z39paged_attention_ll4mi_QKV_mfma16_kernelIDF16_hLN4vllm18Fp8KVCacheDataTypeE1EDF16_Li16ELi128ELi256ELb0ELi9EEvPKT_PKT0_S7_ifPKiS9_S9_iPKfiiiPfSC_PS2_PT2_iSB_SB_,@object ; @__PRETTY_FUNCTION__._Z39paged_attention_ll4mi_QKV_mfma16_kernelIDF16_hLN4vllm18Fp8KVCacheDataTypeE1EDF16_Li16ELi128ELi256ELb0ELi9EEvPKT_PKT0_S7_ifPKiS9_S9_iPKfiiiPfSC_PS2_PT2_iSB_SB_
__PRETTY_FUNCTION__._Z39paged_attention_ll4mi_QKV_mfma16_kernelIDF16_hLN4vllm18Fp8KVCacheDataTypeE1EDF16_Li16ELi128ELi256ELb0ELi9EEvPKT_PKT0_S7_ifPKiS9_S9_iPKfiiiPfSC_PS2_PT2_iSB_SB_:
	.asciz	"void paged_attention_ll4mi_QKV_mfma16_kernel(const scalar_t *__restrict, const cache_t *__restrict, const cache_t *__restrict, const int, const float, const int *__restrict, const int *__restrict, const int *__restrict, const int, const float *__restrict, const int, const int, const int, float *__restrict, float *__restrict, scalar_t *__restrict, OUTT *__restrict, int, const float *, const float *) [scalar_t = _Float16, cache_t = unsigned char, KV_DTYPE = vllm::Fp8KVCacheDataType::kFp8E4M3, OUTT = _Float16, BLOCK_SIZE = 16, HEAD_SIZE = 128, NUM_THREADS = 256, ALIBI_ENABLED = false, GQA_RATIO = 9]"
	.size	__PRETTY_FUNCTION__._Z39paged_attention_ll4mi_QKV_mfma16_kernelIDF16_hLN4vllm18Fp8KVCacheDataTypeE1EDF16_Li16ELi128ELi256ELb0ELi9EEvPKT_PKT0_S7_ifPKiS9_S9_iPKfiiiPfSC_PS2_PT2_iSB_SB_, 604

	.type	__PRETTY_FUNCTION__._Z39paged_attention_ll4mi_QKV_mfma16_kernelIDF16_hLN4vllm18Fp8KVCacheDataTypeE1EDF16_Li16ELi128ELi256ELb0ELi10EEvPKT_PKT0_S7_ifPKiS9_S9_iPKfiiiPfSC_PS2_PT2_iSB_SB_,@object ; @__PRETTY_FUNCTION__._Z39paged_attention_ll4mi_QKV_mfma16_kernelIDF16_hLN4vllm18Fp8KVCacheDataTypeE1EDF16_Li16ELi128ELi256ELb0ELi10EEvPKT_PKT0_S7_ifPKiS9_S9_iPKfiiiPfSC_PS2_PT2_iSB_SB_
__PRETTY_FUNCTION__._Z39paged_attention_ll4mi_QKV_mfma16_kernelIDF16_hLN4vllm18Fp8KVCacheDataTypeE1EDF16_Li16ELi128ELi256ELb0ELi10EEvPKT_PKT0_S7_ifPKiS9_S9_iPKfiiiPfSC_PS2_PT2_iSB_SB_:
	.asciz	"void paged_attention_ll4mi_QKV_mfma16_kernel(const scalar_t *__restrict, const cache_t *__restrict, const cache_t *__restrict, const int, const float, const int *__restrict, const int *__restrict, const int *__restrict, const int, const float *__restrict, const int, const int, const int, float *__restrict, float *__restrict, scalar_t *__restrict, OUTT *__restrict, int, const float *, const float *) [scalar_t = _Float16, cache_t = unsigned char, KV_DTYPE = vllm::Fp8KVCacheDataType::kFp8E4M3, OUTT = _Float16, BLOCK_SIZE = 16, HEAD_SIZE = 128, NUM_THREADS = 256, ALIBI_ENABLED = false, GQA_RATIO = 10]"
	.size	__PRETTY_FUNCTION__._Z39paged_attention_ll4mi_QKV_mfma16_kernelIDF16_hLN4vllm18Fp8KVCacheDataTypeE1EDF16_Li16ELi128ELi256ELb0ELi10EEvPKT_PKT0_S7_ifPKiS9_S9_iPKfiiiPfSC_PS2_PT2_iSB_SB_, 605

	.type	__PRETTY_FUNCTION__._Z39paged_attention_ll4mi_QKV_mfma16_kernelIDF16_hLN4vllm18Fp8KVCacheDataTypeE1EDF16_Li16ELi128ELi256ELb0ELi11EEvPKT_PKT0_S7_ifPKiS9_S9_iPKfiiiPfSC_PS2_PT2_iSB_SB_,@object ; @__PRETTY_FUNCTION__._Z39paged_attention_ll4mi_QKV_mfma16_kernelIDF16_hLN4vllm18Fp8KVCacheDataTypeE1EDF16_Li16ELi128ELi256ELb0ELi11EEvPKT_PKT0_S7_ifPKiS9_S9_iPKfiiiPfSC_PS2_PT2_iSB_SB_
__PRETTY_FUNCTION__._Z39paged_attention_ll4mi_QKV_mfma16_kernelIDF16_hLN4vllm18Fp8KVCacheDataTypeE1EDF16_Li16ELi128ELi256ELb0ELi11EEvPKT_PKT0_S7_ifPKiS9_S9_iPKfiiiPfSC_PS2_PT2_iSB_SB_:
	.asciz	"void paged_attention_ll4mi_QKV_mfma16_kernel(const scalar_t *__restrict, const cache_t *__restrict, const cache_t *__restrict, const int, const float, const int *__restrict, const int *__restrict, const int *__restrict, const int, const float *__restrict, const int, const int, const int, float *__restrict, float *__restrict, scalar_t *__restrict, OUTT *__restrict, int, const float *, const float *) [scalar_t = _Float16, cache_t = unsigned char, KV_DTYPE = vllm::Fp8KVCacheDataType::kFp8E4M3, OUTT = _Float16, BLOCK_SIZE = 16, HEAD_SIZE = 128, NUM_THREADS = 256, ALIBI_ENABLED = false, GQA_RATIO = 11]"
	.size	__PRETTY_FUNCTION__._Z39paged_attention_ll4mi_QKV_mfma16_kernelIDF16_hLN4vllm18Fp8KVCacheDataTypeE1EDF16_Li16ELi128ELi256ELb0ELi11EEvPKT_PKT0_S7_ifPKiS9_S9_iPKfiiiPfSC_PS2_PT2_iSB_SB_, 605

	.type	__PRETTY_FUNCTION__._Z39paged_attention_ll4mi_QKV_mfma16_kernelIDF16_hLN4vllm18Fp8KVCacheDataTypeE1EDF16_Li16ELi128ELi256ELb0ELi12EEvPKT_PKT0_S7_ifPKiS9_S9_iPKfiiiPfSC_PS2_PT2_iSB_SB_,@object ; @__PRETTY_FUNCTION__._Z39paged_attention_ll4mi_QKV_mfma16_kernelIDF16_hLN4vllm18Fp8KVCacheDataTypeE1EDF16_Li16ELi128ELi256ELb0ELi12EEvPKT_PKT0_S7_ifPKiS9_S9_iPKfiiiPfSC_PS2_PT2_iSB_SB_
__PRETTY_FUNCTION__._Z39paged_attention_ll4mi_QKV_mfma16_kernelIDF16_hLN4vllm18Fp8KVCacheDataTypeE1EDF16_Li16ELi128ELi256ELb0ELi12EEvPKT_PKT0_S7_ifPKiS9_S9_iPKfiiiPfSC_PS2_PT2_iSB_SB_:
	.asciz	"void paged_attention_ll4mi_QKV_mfma16_kernel(const scalar_t *__restrict, const cache_t *__restrict, const cache_t *__restrict, const int, const float, const int *__restrict, const int *__restrict, const int *__restrict, const int, const float *__restrict, const int, const int, const int, float *__restrict, float *__restrict, scalar_t *__restrict, OUTT *__restrict, int, const float *, const float *) [scalar_t = _Float16, cache_t = unsigned char, KV_DTYPE = vllm::Fp8KVCacheDataType::kFp8E4M3, OUTT = _Float16, BLOCK_SIZE = 16, HEAD_SIZE = 128, NUM_THREADS = 256, ALIBI_ENABLED = false, GQA_RATIO = 12]"
	.size	__PRETTY_FUNCTION__._Z39paged_attention_ll4mi_QKV_mfma16_kernelIDF16_hLN4vllm18Fp8KVCacheDataTypeE1EDF16_Li16ELi128ELi256ELb0ELi12EEvPKT_PKT0_S7_ifPKiS9_S9_iPKfiiiPfSC_PS2_PT2_iSB_SB_, 605

	.type	__PRETTY_FUNCTION__._Z39paged_attention_ll4mi_QKV_mfma16_kernelIDF16_hLN4vllm18Fp8KVCacheDataTypeE1EDF16_Li16ELi128ELi256ELb0ELi13EEvPKT_PKT0_S7_ifPKiS9_S9_iPKfiiiPfSC_PS2_PT2_iSB_SB_,@object ; @__PRETTY_FUNCTION__._Z39paged_attention_ll4mi_QKV_mfma16_kernelIDF16_hLN4vllm18Fp8KVCacheDataTypeE1EDF16_Li16ELi128ELi256ELb0ELi13EEvPKT_PKT0_S7_ifPKiS9_S9_iPKfiiiPfSC_PS2_PT2_iSB_SB_
__PRETTY_FUNCTION__._Z39paged_attention_ll4mi_QKV_mfma16_kernelIDF16_hLN4vllm18Fp8KVCacheDataTypeE1EDF16_Li16ELi128ELi256ELb0ELi13EEvPKT_PKT0_S7_ifPKiS9_S9_iPKfiiiPfSC_PS2_PT2_iSB_SB_:
	.asciz	"void paged_attention_ll4mi_QKV_mfma16_kernel(const scalar_t *__restrict, const cache_t *__restrict, const cache_t *__restrict, const int, const float, const int *__restrict, const int *__restrict, const int *__restrict, const int, const float *__restrict, const int, const int, const int, float *__restrict, float *__restrict, scalar_t *__restrict, OUTT *__restrict, int, const float *, const float *) [scalar_t = _Float16, cache_t = unsigned char, KV_DTYPE = vllm::Fp8KVCacheDataType::kFp8E4M3, OUTT = _Float16, BLOCK_SIZE = 16, HEAD_SIZE = 128, NUM_THREADS = 256, ALIBI_ENABLED = false, GQA_RATIO = 13]"
	.size	__PRETTY_FUNCTION__._Z39paged_attention_ll4mi_QKV_mfma16_kernelIDF16_hLN4vllm18Fp8KVCacheDataTypeE1EDF16_Li16ELi128ELi256ELb0ELi13EEvPKT_PKT0_S7_ifPKiS9_S9_iPKfiiiPfSC_PS2_PT2_iSB_SB_, 605

	.type	__PRETTY_FUNCTION__._Z39paged_attention_ll4mi_QKV_mfma16_kernelIDF16_hLN4vllm18Fp8KVCacheDataTypeE1EDF16_Li16ELi128ELi256ELb0ELi14EEvPKT_PKT0_S7_ifPKiS9_S9_iPKfiiiPfSC_PS2_PT2_iSB_SB_,@object ; @__PRETTY_FUNCTION__._Z39paged_attention_ll4mi_QKV_mfma16_kernelIDF16_hLN4vllm18Fp8KVCacheDataTypeE1EDF16_Li16ELi128ELi256ELb0ELi14EEvPKT_PKT0_S7_ifPKiS9_S9_iPKfiiiPfSC_PS2_PT2_iSB_SB_
__PRETTY_FUNCTION__._Z39paged_attention_ll4mi_QKV_mfma16_kernelIDF16_hLN4vllm18Fp8KVCacheDataTypeE1EDF16_Li16ELi128ELi256ELb0ELi14EEvPKT_PKT0_S7_ifPKiS9_S9_iPKfiiiPfSC_PS2_PT2_iSB_SB_:
	.asciz	"void paged_attention_ll4mi_QKV_mfma16_kernel(const scalar_t *__restrict, const cache_t *__restrict, const cache_t *__restrict, const int, const float, const int *__restrict, const int *__restrict, const int *__restrict, const int, const float *__restrict, const int, const int, const int, float *__restrict, float *__restrict, scalar_t *__restrict, OUTT *__restrict, int, const float *, const float *) [scalar_t = _Float16, cache_t = unsigned char, KV_DTYPE = vllm::Fp8KVCacheDataType::kFp8E4M3, OUTT = _Float16, BLOCK_SIZE = 16, HEAD_SIZE = 128, NUM_THREADS = 256, ALIBI_ENABLED = false, GQA_RATIO = 14]"
	.size	__PRETTY_FUNCTION__._Z39paged_attention_ll4mi_QKV_mfma16_kernelIDF16_hLN4vllm18Fp8KVCacheDataTypeE1EDF16_Li16ELi128ELi256ELb0ELi14EEvPKT_PKT0_S7_ifPKiS9_S9_iPKfiiiPfSC_PS2_PT2_iSB_SB_, 605

	.type	__PRETTY_FUNCTION__._Z39paged_attention_ll4mi_QKV_mfma16_kernelIDF16_hLN4vllm18Fp8KVCacheDataTypeE1EDF16_Li16ELi128ELi256ELb0ELi15EEvPKT_PKT0_S7_ifPKiS9_S9_iPKfiiiPfSC_PS2_PT2_iSB_SB_,@object ; @__PRETTY_FUNCTION__._Z39paged_attention_ll4mi_QKV_mfma16_kernelIDF16_hLN4vllm18Fp8KVCacheDataTypeE1EDF16_Li16ELi128ELi256ELb0ELi15EEvPKT_PKT0_S7_ifPKiS9_S9_iPKfiiiPfSC_PS2_PT2_iSB_SB_
__PRETTY_FUNCTION__._Z39paged_attention_ll4mi_QKV_mfma16_kernelIDF16_hLN4vllm18Fp8KVCacheDataTypeE1EDF16_Li16ELi128ELi256ELb0ELi15EEvPKT_PKT0_S7_ifPKiS9_S9_iPKfiiiPfSC_PS2_PT2_iSB_SB_:
	.asciz	"void paged_attention_ll4mi_QKV_mfma16_kernel(const scalar_t *__restrict, const cache_t *__restrict, const cache_t *__restrict, const int, const float, const int *__restrict, const int *__restrict, const int *__restrict, const int, const float *__restrict, const int, const int, const int, float *__restrict, float *__restrict, scalar_t *__restrict, OUTT *__restrict, int, const float *, const float *) [scalar_t = _Float16, cache_t = unsigned char, KV_DTYPE = vllm::Fp8KVCacheDataType::kFp8E4M3, OUTT = _Float16, BLOCK_SIZE = 16, HEAD_SIZE = 128, NUM_THREADS = 256, ALIBI_ENABLED = false, GQA_RATIO = 15]"
	.size	__PRETTY_FUNCTION__._Z39paged_attention_ll4mi_QKV_mfma16_kernelIDF16_hLN4vllm18Fp8KVCacheDataTypeE1EDF16_Li16ELi128ELi256ELb0ELi15EEvPKT_PKT0_S7_ifPKiS9_S9_iPKfiiiPfSC_PS2_PT2_iSB_SB_, 605

	.type	__PRETTY_FUNCTION__._Z39paged_attention_ll4mi_QKV_mfma16_kernelIDF16_hLN4vllm18Fp8KVCacheDataTypeE1EDF16_Li16ELi128ELi256ELb0ELi16EEvPKT_PKT0_S7_ifPKiS9_S9_iPKfiiiPfSC_PS2_PT2_iSB_SB_,@object ; @__PRETTY_FUNCTION__._Z39paged_attention_ll4mi_QKV_mfma16_kernelIDF16_hLN4vllm18Fp8KVCacheDataTypeE1EDF16_Li16ELi128ELi256ELb0ELi16EEvPKT_PKT0_S7_ifPKiS9_S9_iPKfiiiPfSC_PS2_PT2_iSB_SB_
__PRETTY_FUNCTION__._Z39paged_attention_ll4mi_QKV_mfma16_kernelIDF16_hLN4vllm18Fp8KVCacheDataTypeE1EDF16_Li16ELi128ELi256ELb0ELi16EEvPKT_PKT0_S7_ifPKiS9_S9_iPKfiiiPfSC_PS2_PT2_iSB_SB_:
	.asciz	"void paged_attention_ll4mi_QKV_mfma16_kernel(const scalar_t *__restrict, const cache_t *__restrict, const cache_t *__restrict, const int, const float, const int *__restrict, const int *__restrict, const int *__restrict, const int, const float *__restrict, const int, const int, const int, float *__restrict, float *__restrict, scalar_t *__restrict, OUTT *__restrict, int, const float *, const float *) [scalar_t = _Float16, cache_t = unsigned char, KV_DTYPE = vllm::Fp8KVCacheDataType::kFp8E4M3, OUTT = _Float16, BLOCK_SIZE = 16, HEAD_SIZE = 128, NUM_THREADS = 256, ALIBI_ENABLED = false, GQA_RATIO = 16]"
	.size	__PRETTY_FUNCTION__._Z39paged_attention_ll4mi_QKV_mfma16_kernelIDF16_hLN4vllm18Fp8KVCacheDataTypeE1EDF16_Li16ELi128ELi256ELb0ELi16EEvPKT_PKT0_S7_ifPKiS9_S9_iPKfiiiPfSC_PS2_PT2_iSB_SB_, 605

	.type	__PRETTY_FUNCTION__._Z39paged_attention_ll4mi_QKV_mfma16_kernelIDF16_hLN4vllm18Fp8KVCacheDataTypeE1EDF16_Li16ELi128ELi256ELb0ELi1EEvPKT_PKT0_S7_ifPKiS9_S9_iPKfiiiPfSC_PS2_PT2_iSB_SB_,@object ; @__PRETTY_FUNCTION__._Z39paged_attention_ll4mi_QKV_mfma16_kernelIDF16_hLN4vllm18Fp8KVCacheDataTypeE1EDF16_Li16ELi128ELi256ELb0ELi1EEvPKT_PKT0_S7_ifPKiS9_S9_iPKfiiiPfSC_PS2_PT2_iSB_SB_
__PRETTY_FUNCTION__._Z39paged_attention_ll4mi_QKV_mfma16_kernelIDF16_hLN4vllm18Fp8KVCacheDataTypeE1EDF16_Li16ELi128ELi256ELb0ELi1EEvPKT_PKT0_S7_ifPKiS9_S9_iPKfiiiPfSC_PS2_PT2_iSB_SB_:
	.asciz	"void paged_attention_ll4mi_QKV_mfma16_kernel(const scalar_t *__restrict, const cache_t *__restrict, const cache_t *__restrict, const int, const float, const int *__restrict, const int *__restrict, const int *__restrict, const int, const float *__restrict, const int, const int, const int, float *__restrict, float *__restrict, scalar_t *__restrict, OUTT *__restrict, int, const float *, const float *) [scalar_t = _Float16, cache_t = unsigned char, KV_DTYPE = vllm::Fp8KVCacheDataType::kFp8E4M3, OUTT = _Float16, BLOCK_SIZE = 16, HEAD_SIZE = 128, NUM_THREADS = 256, ALIBI_ENABLED = false, GQA_RATIO = 1]"
	.size	__PRETTY_FUNCTION__._Z39paged_attention_ll4mi_QKV_mfma16_kernelIDF16_hLN4vllm18Fp8KVCacheDataTypeE1EDF16_Li16ELi128ELi256ELb0ELi1EEvPKT_PKT0_S7_ifPKiS9_S9_iPKfiiiPfSC_PS2_PT2_iSB_SB_, 604

	.type	__PRETTY_FUNCTION__._Z39paged_attention_ll4mi_QKV_mfma16_kernelIDF16_hLN4vllm18Fp8KVCacheDataTypeE1EDF16_Li16ELi128ELi256ELb0ELi2EEvPKT_PKT0_S7_ifPKiS9_S9_iPKfiiiPfSC_PS2_PT2_iSB_SB_,@object ; @__PRETTY_FUNCTION__._Z39paged_attention_ll4mi_QKV_mfma16_kernelIDF16_hLN4vllm18Fp8KVCacheDataTypeE1EDF16_Li16ELi128ELi256ELb0ELi2EEvPKT_PKT0_S7_ifPKiS9_S9_iPKfiiiPfSC_PS2_PT2_iSB_SB_
__PRETTY_FUNCTION__._Z39paged_attention_ll4mi_QKV_mfma16_kernelIDF16_hLN4vllm18Fp8KVCacheDataTypeE1EDF16_Li16ELi128ELi256ELb0ELi2EEvPKT_PKT0_S7_ifPKiS9_S9_iPKfiiiPfSC_PS2_PT2_iSB_SB_:
	.asciz	"void paged_attention_ll4mi_QKV_mfma16_kernel(const scalar_t *__restrict, const cache_t *__restrict, const cache_t *__restrict, const int, const float, const int *__restrict, const int *__restrict, const int *__restrict, const int, const float *__restrict, const int, const int, const int, float *__restrict, float *__restrict, scalar_t *__restrict, OUTT *__restrict, int, const float *, const float *) [scalar_t = _Float16, cache_t = unsigned char, KV_DTYPE = vllm::Fp8KVCacheDataType::kFp8E4M3, OUTT = _Float16, BLOCK_SIZE = 16, HEAD_SIZE = 128, NUM_THREADS = 256, ALIBI_ENABLED = false, GQA_RATIO = 2]"
	.size	__PRETTY_FUNCTION__._Z39paged_attention_ll4mi_QKV_mfma16_kernelIDF16_hLN4vllm18Fp8KVCacheDataTypeE1EDF16_Li16ELi128ELi256ELb0ELi2EEvPKT_PKT0_S7_ifPKiS9_S9_iPKfiiiPfSC_PS2_PT2_iSB_SB_, 604

	.type	__PRETTY_FUNCTION__._Z39paged_attention_ll4mi_QKV_mfma16_kernelIDF16_hLN4vllm18Fp8KVCacheDataTypeE1EDF16_Li16ELi128ELi256ELb0ELi3EEvPKT_PKT0_S7_ifPKiS9_S9_iPKfiiiPfSC_PS2_PT2_iSB_SB_,@object ; @__PRETTY_FUNCTION__._Z39paged_attention_ll4mi_QKV_mfma16_kernelIDF16_hLN4vllm18Fp8KVCacheDataTypeE1EDF16_Li16ELi128ELi256ELb0ELi3EEvPKT_PKT0_S7_ifPKiS9_S9_iPKfiiiPfSC_PS2_PT2_iSB_SB_
__PRETTY_FUNCTION__._Z39paged_attention_ll4mi_QKV_mfma16_kernelIDF16_hLN4vllm18Fp8KVCacheDataTypeE1EDF16_Li16ELi128ELi256ELb0ELi3EEvPKT_PKT0_S7_ifPKiS9_S9_iPKfiiiPfSC_PS2_PT2_iSB_SB_:
	.asciz	"void paged_attention_ll4mi_QKV_mfma16_kernel(const scalar_t *__restrict, const cache_t *__restrict, const cache_t *__restrict, const int, const float, const int *__restrict, const int *__restrict, const int *__restrict, const int, const float *__restrict, const int, const int, const int, float *__restrict, float *__restrict, scalar_t *__restrict, OUTT *__restrict, int, const float *, const float *) [scalar_t = _Float16, cache_t = unsigned char, KV_DTYPE = vllm::Fp8KVCacheDataType::kFp8E4M3, OUTT = _Float16, BLOCK_SIZE = 16, HEAD_SIZE = 128, NUM_THREADS = 256, ALIBI_ENABLED = false, GQA_RATIO = 3]"
	.size	__PRETTY_FUNCTION__._Z39paged_attention_ll4mi_QKV_mfma16_kernelIDF16_hLN4vllm18Fp8KVCacheDataTypeE1EDF16_Li16ELi128ELi256ELb0ELi3EEvPKT_PKT0_S7_ifPKiS9_S9_iPKfiiiPfSC_PS2_PT2_iSB_SB_, 604

	.type	__PRETTY_FUNCTION__._Z39paged_attention_ll4mi_QKV_mfma16_kernelIDF16_hLN4vllm18Fp8KVCacheDataTypeE1EDF16_Li16ELi128ELi256ELb0ELi4EEvPKT_PKT0_S7_ifPKiS9_S9_iPKfiiiPfSC_PS2_PT2_iSB_SB_,@object ; @__PRETTY_FUNCTION__._Z39paged_attention_ll4mi_QKV_mfma16_kernelIDF16_hLN4vllm18Fp8KVCacheDataTypeE1EDF16_Li16ELi128ELi256ELb0ELi4EEvPKT_PKT0_S7_ifPKiS9_S9_iPKfiiiPfSC_PS2_PT2_iSB_SB_
__PRETTY_FUNCTION__._Z39paged_attention_ll4mi_QKV_mfma16_kernelIDF16_hLN4vllm18Fp8KVCacheDataTypeE1EDF16_Li16ELi128ELi256ELb0ELi4EEvPKT_PKT0_S7_ifPKiS9_S9_iPKfiiiPfSC_PS2_PT2_iSB_SB_:
	.asciz	"void paged_attention_ll4mi_QKV_mfma16_kernel(const scalar_t *__restrict, const cache_t *__restrict, const cache_t *__restrict, const int, const float, const int *__restrict, const int *__restrict, const int *__restrict, const int, const float *__restrict, const int, const int, const int, float *__restrict, float *__restrict, scalar_t *__restrict, OUTT *__restrict, int, const float *, const float *) [scalar_t = _Float16, cache_t = unsigned char, KV_DTYPE = vllm::Fp8KVCacheDataType::kFp8E4M3, OUTT = _Float16, BLOCK_SIZE = 16, HEAD_SIZE = 128, NUM_THREADS = 256, ALIBI_ENABLED = false, GQA_RATIO = 4]"
	.size	__PRETTY_FUNCTION__._Z39paged_attention_ll4mi_QKV_mfma16_kernelIDF16_hLN4vllm18Fp8KVCacheDataTypeE1EDF16_Li16ELi128ELi256ELb0ELi4EEvPKT_PKT0_S7_ifPKiS9_S9_iPKfiiiPfSC_PS2_PT2_iSB_SB_, 604

	.type	__PRETTY_FUNCTION__._Z38paged_attention_ll4mi_QKV_mfma4_kernelIDF16_hLN4vllm18Fp8KVCacheDataTypeE1EhLi32ELi128ELi256ELb1ELi1EEvPKT_PKT0_S7_ifPKiS9_S9_iPKfiiiPfSC_PS2_PT2_iSB_SB_,@object ; @__PRETTY_FUNCTION__._Z38paged_attention_ll4mi_QKV_mfma4_kernelIDF16_hLN4vllm18Fp8KVCacheDataTypeE1EhLi32ELi128ELi256ELb1ELi1EEvPKT_PKT0_S7_ifPKiS9_S9_iPKfiiiPfSC_PS2_PT2_iSB_SB_
__PRETTY_FUNCTION__._Z38paged_attention_ll4mi_QKV_mfma4_kernelIDF16_hLN4vllm18Fp8KVCacheDataTypeE1EhLi32ELi128ELi256ELb1ELi1EEvPKT_PKT0_S7_ifPKiS9_S9_iPKfiiiPfSC_PS2_PT2_iSB_SB_:
	.asciz	"void paged_attention_ll4mi_QKV_mfma4_kernel(const scalar_t *__restrict, const cache_t *__restrict, const cache_t *__restrict, const int, const float, const int *__restrict, const int *__restrict, const int *__restrict, const int, const float *__restrict, const int, const int, const int, float *__restrict, float *__restrict, scalar_t *__restrict, OUTT *__restrict, int, const float *, const float *) [scalar_t = _Float16, cache_t = unsigned char, KV_DTYPE = vllm::Fp8KVCacheDataType::kFp8E4M3, OUTT = unsigned char, BLOCK_SIZE = 32, HEAD_SIZE = 128, NUM_THREADS = 256, ALIBI_ENABLED = true, GQA_RATIO = 1]"
	.size	__PRETTY_FUNCTION__._Z38paged_attention_ll4mi_QKV_mfma4_kernelIDF16_hLN4vllm18Fp8KVCacheDataTypeE1EhLi32ELi128ELi256ELb1ELi1EEvPKT_PKT0_S7_ifPKiS9_S9_iPKfiiiPfSC_PS2_PT2_iSB_SB_, 607

	.type	__PRETTY_FUNCTION__._Z38paged_attention_ll4mi_QKV_mfma4_kernelIDF16_hLN4vllm18Fp8KVCacheDataTypeE1EhLi32ELi128ELi256ELb1ELi2EEvPKT_PKT0_S7_ifPKiS9_S9_iPKfiiiPfSC_PS2_PT2_iSB_SB_,@object ; @__PRETTY_FUNCTION__._Z38paged_attention_ll4mi_QKV_mfma4_kernelIDF16_hLN4vllm18Fp8KVCacheDataTypeE1EhLi32ELi128ELi256ELb1ELi2EEvPKT_PKT0_S7_ifPKiS9_S9_iPKfiiiPfSC_PS2_PT2_iSB_SB_
__PRETTY_FUNCTION__._Z38paged_attention_ll4mi_QKV_mfma4_kernelIDF16_hLN4vllm18Fp8KVCacheDataTypeE1EhLi32ELi128ELi256ELb1ELi2EEvPKT_PKT0_S7_ifPKiS9_S9_iPKfiiiPfSC_PS2_PT2_iSB_SB_:
	.asciz	"void paged_attention_ll4mi_QKV_mfma4_kernel(const scalar_t *__restrict, const cache_t *__restrict, const cache_t *__restrict, const int, const float, const int *__restrict, const int *__restrict, const int *__restrict, const int, const float *__restrict, const int, const int, const int, float *__restrict, float *__restrict, scalar_t *__restrict, OUTT *__restrict, int, const float *, const float *) [scalar_t = _Float16, cache_t = unsigned char, KV_DTYPE = vllm::Fp8KVCacheDataType::kFp8E4M3, OUTT = unsigned char, BLOCK_SIZE = 32, HEAD_SIZE = 128, NUM_THREADS = 256, ALIBI_ENABLED = true, GQA_RATIO = 2]"
	.size	__PRETTY_FUNCTION__._Z38paged_attention_ll4mi_QKV_mfma4_kernelIDF16_hLN4vllm18Fp8KVCacheDataTypeE1EhLi32ELi128ELi256ELb1ELi2EEvPKT_PKT0_S7_ifPKiS9_S9_iPKfiiiPfSC_PS2_PT2_iSB_SB_, 607

	.type	__PRETTY_FUNCTION__._Z38paged_attention_ll4mi_QKV_mfma4_kernelIDF16_hLN4vllm18Fp8KVCacheDataTypeE1EhLi32ELi128ELi256ELb1ELi3EEvPKT_PKT0_S7_ifPKiS9_S9_iPKfiiiPfSC_PS2_PT2_iSB_SB_,@object ; @__PRETTY_FUNCTION__._Z38paged_attention_ll4mi_QKV_mfma4_kernelIDF16_hLN4vllm18Fp8KVCacheDataTypeE1EhLi32ELi128ELi256ELb1ELi3EEvPKT_PKT0_S7_ifPKiS9_S9_iPKfiiiPfSC_PS2_PT2_iSB_SB_
__PRETTY_FUNCTION__._Z38paged_attention_ll4mi_QKV_mfma4_kernelIDF16_hLN4vllm18Fp8KVCacheDataTypeE1EhLi32ELi128ELi256ELb1ELi3EEvPKT_PKT0_S7_ifPKiS9_S9_iPKfiiiPfSC_PS2_PT2_iSB_SB_:
	.asciz	"void paged_attention_ll4mi_QKV_mfma4_kernel(const scalar_t *__restrict, const cache_t *__restrict, const cache_t *__restrict, const int, const float, const int *__restrict, const int *__restrict, const int *__restrict, const int, const float *__restrict, const int, const int, const int, float *__restrict, float *__restrict, scalar_t *__restrict, OUTT *__restrict, int, const float *, const float *) [scalar_t = _Float16, cache_t = unsigned char, KV_DTYPE = vllm::Fp8KVCacheDataType::kFp8E4M3, OUTT = unsigned char, BLOCK_SIZE = 32, HEAD_SIZE = 128, NUM_THREADS = 256, ALIBI_ENABLED = true, GQA_RATIO = 3]"
	.size	__PRETTY_FUNCTION__._Z38paged_attention_ll4mi_QKV_mfma4_kernelIDF16_hLN4vllm18Fp8KVCacheDataTypeE1EhLi32ELi128ELi256ELb1ELi3EEvPKT_PKT0_S7_ifPKiS9_S9_iPKfiiiPfSC_PS2_PT2_iSB_SB_, 607

	.type	__PRETTY_FUNCTION__._Z38paged_attention_ll4mi_QKV_mfma4_kernelIDF16_hLN4vllm18Fp8KVCacheDataTypeE1EhLi32ELi128ELi256ELb1ELi4EEvPKT_PKT0_S7_ifPKiS9_S9_iPKfiiiPfSC_PS2_PT2_iSB_SB_,@object ; @__PRETTY_FUNCTION__._Z38paged_attention_ll4mi_QKV_mfma4_kernelIDF16_hLN4vllm18Fp8KVCacheDataTypeE1EhLi32ELi128ELi256ELb1ELi4EEvPKT_PKT0_S7_ifPKiS9_S9_iPKfiiiPfSC_PS2_PT2_iSB_SB_
__PRETTY_FUNCTION__._Z38paged_attention_ll4mi_QKV_mfma4_kernelIDF16_hLN4vllm18Fp8KVCacheDataTypeE1EhLi32ELi128ELi256ELb1ELi4EEvPKT_PKT0_S7_ifPKiS9_S9_iPKfiiiPfSC_PS2_PT2_iSB_SB_:
	.asciz	"void paged_attention_ll4mi_QKV_mfma4_kernel(const scalar_t *__restrict, const cache_t *__restrict, const cache_t *__restrict, const int, const float, const int *__restrict, const int *__restrict, const int *__restrict, const int, const float *__restrict, const int, const int, const int, float *__restrict, float *__restrict, scalar_t *__restrict, OUTT *__restrict, int, const float *, const float *) [scalar_t = _Float16, cache_t = unsigned char, KV_DTYPE = vllm::Fp8KVCacheDataType::kFp8E4M3, OUTT = unsigned char, BLOCK_SIZE = 32, HEAD_SIZE = 128, NUM_THREADS = 256, ALIBI_ENABLED = true, GQA_RATIO = 4]"
	.size	__PRETTY_FUNCTION__._Z38paged_attention_ll4mi_QKV_mfma4_kernelIDF16_hLN4vllm18Fp8KVCacheDataTypeE1EhLi32ELi128ELi256ELb1ELi4EEvPKT_PKT0_S7_ifPKiS9_S9_iPKfiiiPfSC_PS2_PT2_iSB_SB_, 607

	.type	__PRETTY_FUNCTION__._Z39paged_attention_ll4mi_QKV_mfma16_kernelIDF16_hLN4vllm18Fp8KVCacheDataTypeE1EhLi32ELi128ELi256ELb1ELi5EEvPKT_PKT0_S7_ifPKiS9_S9_iPKfiiiPfSC_PS2_PT2_iSB_SB_,@object ; @__PRETTY_FUNCTION__._Z39paged_attention_ll4mi_QKV_mfma16_kernelIDF16_hLN4vllm18Fp8KVCacheDataTypeE1EhLi32ELi128ELi256ELb1ELi5EEvPKT_PKT0_S7_ifPKiS9_S9_iPKfiiiPfSC_PS2_PT2_iSB_SB_
__PRETTY_FUNCTION__._Z39paged_attention_ll4mi_QKV_mfma16_kernelIDF16_hLN4vllm18Fp8KVCacheDataTypeE1EhLi32ELi128ELi256ELb1ELi5EEvPKT_PKT0_S7_ifPKiS9_S9_iPKfiiiPfSC_PS2_PT2_iSB_SB_:
	.asciz	"void paged_attention_ll4mi_QKV_mfma16_kernel(const scalar_t *__restrict, const cache_t *__restrict, const cache_t *__restrict, const int, const float, const int *__restrict, const int *__restrict, const int *__restrict, const int, const float *__restrict, const int, const int, const int, float *__restrict, float *__restrict, scalar_t *__restrict, OUTT *__restrict, int, const float *, const float *) [scalar_t = _Float16, cache_t = unsigned char, KV_DTYPE = vllm::Fp8KVCacheDataType::kFp8E4M3, OUTT = unsigned char, BLOCK_SIZE = 32, HEAD_SIZE = 128, NUM_THREADS = 256, ALIBI_ENABLED = true, GQA_RATIO = 5]"
	.size	__PRETTY_FUNCTION__._Z39paged_attention_ll4mi_QKV_mfma16_kernelIDF16_hLN4vllm18Fp8KVCacheDataTypeE1EhLi32ELi128ELi256ELb1ELi5EEvPKT_PKT0_S7_ifPKiS9_S9_iPKfiiiPfSC_PS2_PT2_iSB_SB_, 608

	.type	__PRETTY_FUNCTION__._Z39paged_attention_ll4mi_QKV_mfma16_kernelIDF16_hLN4vllm18Fp8KVCacheDataTypeE1EhLi32ELi128ELi256ELb1ELi6EEvPKT_PKT0_S7_ifPKiS9_S9_iPKfiiiPfSC_PS2_PT2_iSB_SB_,@object ; @__PRETTY_FUNCTION__._Z39paged_attention_ll4mi_QKV_mfma16_kernelIDF16_hLN4vllm18Fp8KVCacheDataTypeE1EhLi32ELi128ELi256ELb1ELi6EEvPKT_PKT0_S7_ifPKiS9_S9_iPKfiiiPfSC_PS2_PT2_iSB_SB_
__PRETTY_FUNCTION__._Z39paged_attention_ll4mi_QKV_mfma16_kernelIDF16_hLN4vllm18Fp8KVCacheDataTypeE1EhLi32ELi128ELi256ELb1ELi6EEvPKT_PKT0_S7_ifPKiS9_S9_iPKfiiiPfSC_PS2_PT2_iSB_SB_:
	.asciz	"void paged_attention_ll4mi_QKV_mfma16_kernel(const scalar_t *__restrict, const cache_t *__restrict, const cache_t *__restrict, const int, const float, const int *__restrict, const int *__restrict, const int *__restrict, const int, const float *__restrict, const int, const int, const int, float *__restrict, float *__restrict, scalar_t *__restrict, OUTT *__restrict, int, const float *, const float *) [scalar_t = _Float16, cache_t = unsigned char, KV_DTYPE = vllm::Fp8KVCacheDataType::kFp8E4M3, OUTT = unsigned char, BLOCK_SIZE = 32, HEAD_SIZE = 128, NUM_THREADS = 256, ALIBI_ENABLED = true, GQA_RATIO = 6]"
	.size	__PRETTY_FUNCTION__._Z39paged_attention_ll4mi_QKV_mfma16_kernelIDF16_hLN4vllm18Fp8KVCacheDataTypeE1EhLi32ELi128ELi256ELb1ELi6EEvPKT_PKT0_S7_ifPKiS9_S9_iPKfiiiPfSC_PS2_PT2_iSB_SB_, 608

	.type	__PRETTY_FUNCTION__._Z39paged_attention_ll4mi_QKV_mfma16_kernelIDF16_hLN4vllm18Fp8KVCacheDataTypeE1EhLi32ELi128ELi256ELb1ELi7EEvPKT_PKT0_S7_ifPKiS9_S9_iPKfiiiPfSC_PS2_PT2_iSB_SB_,@object ; @__PRETTY_FUNCTION__._Z39paged_attention_ll4mi_QKV_mfma16_kernelIDF16_hLN4vllm18Fp8KVCacheDataTypeE1EhLi32ELi128ELi256ELb1ELi7EEvPKT_PKT0_S7_ifPKiS9_S9_iPKfiiiPfSC_PS2_PT2_iSB_SB_
__PRETTY_FUNCTION__._Z39paged_attention_ll4mi_QKV_mfma16_kernelIDF16_hLN4vllm18Fp8KVCacheDataTypeE1EhLi32ELi128ELi256ELb1ELi7EEvPKT_PKT0_S7_ifPKiS9_S9_iPKfiiiPfSC_PS2_PT2_iSB_SB_:
	.asciz	"void paged_attention_ll4mi_QKV_mfma16_kernel(const scalar_t *__restrict, const cache_t *__restrict, const cache_t *__restrict, const int, const float, const int *__restrict, const int *__restrict, const int *__restrict, const int, const float *__restrict, const int, const int, const int, float *__restrict, float *__restrict, scalar_t *__restrict, OUTT *__restrict, int, const float *, const float *) [scalar_t = _Float16, cache_t = unsigned char, KV_DTYPE = vllm::Fp8KVCacheDataType::kFp8E4M3, OUTT = unsigned char, BLOCK_SIZE = 32, HEAD_SIZE = 128, NUM_THREADS = 256, ALIBI_ENABLED = true, GQA_RATIO = 7]"
	.size	__PRETTY_FUNCTION__._Z39paged_attention_ll4mi_QKV_mfma16_kernelIDF16_hLN4vllm18Fp8KVCacheDataTypeE1EhLi32ELi128ELi256ELb1ELi7EEvPKT_PKT0_S7_ifPKiS9_S9_iPKfiiiPfSC_PS2_PT2_iSB_SB_, 608

	.type	__PRETTY_FUNCTION__._Z39paged_attention_ll4mi_QKV_mfma16_kernelIDF16_hLN4vllm18Fp8KVCacheDataTypeE1EhLi32ELi128ELi256ELb1ELi8EEvPKT_PKT0_S7_ifPKiS9_S9_iPKfiiiPfSC_PS2_PT2_iSB_SB_,@object ; @__PRETTY_FUNCTION__._Z39paged_attention_ll4mi_QKV_mfma16_kernelIDF16_hLN4vllm18Fp8KVCacheDataTypeE1EhLi32ELi128ELi256ELb1ELi8EEvPKT_PKT0_S7_ifPKiS9_S9_iPKfiiiPfSC_PS2_PT2_iSB_SB_
__PRETTY_FUNCTION__._Z39paged_attention_ll4mi_QKV_mfma16_kernelIDF16_hLN4vllm18Fp8KVCacheDataTypeE1EhLi32ELi128ELi256ELb1ELi8EEvPKT_PKT0_S7_ifPKiS9_S9_iPKfiiiPfSC_PS2_PT2_iSB_SB_:
	.asciz	"void paged_attention_ll4mi_QKV_mfma16_kernel(const scalar_t *__restrict, const cache_t *__restrict, const cache_t *__restrict, const int, const float, const int *__restrict, const int *__restrict, const int *__restrict, const int, const float *__restrict, const int, const int, const int, float *__restrict, float *__restrict, scalar_t *__restrict, OUTT *__restrict, int, const float *, const float *) [scalar_t = _Float16, cache_t = unsigned char, KV_DTYPE = vllm::Fp8KVCacheDataType::kFp8E4M3, OUTT = unsigned char, BLOCK_SIZE = 32, HEAD_SIZE = 128, NUM_THREADS = 256, ALIBI_ENABLED = true, GQA_RATIO = 8]"
	.size	__PRETTY_FUNCTION__._Z39paged_attention_ll4mi_QKV_mfma16_kernelIDF16_hLN4vllm18Fp8KVCacheDataTypeE1EhLi32ELi128ELi256ELb1ELi8EEvPKT_PKT0_S7_ifPKiS9_S9_iPKfiiiPfSC_PS2_PT2_iSB_SB_, 608

	.type	__PRETTY_FUNCTION__._Z39paged_attention_ll4mi_QKV_mfma16_kernelIDF16_hLN4vllm18Fp8KVCacheDataTypeE1EhLi32ELi128ELi256ELb1ELi9EEvPKT_PKT0_S7_ifPKiS9_S9_iPKfiiiPfSC_PS2_PT2_iSB_SB_,@object ; @__PRETTY_FUNCTION__._Z39paged_attention_ll4mi_QKV_mfma16_kernelIDF16_hLN4vllm18Fp8KVCacheDataTypeE1EhLi32ELi128ELi256ELb1ELi9EEvPKT_PKT0_S7_ifPKiS9_S9_iPKfiiiPfSC_PS2_PT2_iSB_SB_
__PRETTY_FUNCTION__._Z39paged_attention_ll4mi_QKV_mfma16_kernelIDF16_hLN4vllm18Fp8KVCacheDataTypeE1EhLi32ELi128ELi256ELb1ELi9EEvPKT_PKT0_S7_ifPKiS9_S9_iPKfiiiPfSC_PS2_PT2_iSB_SB_:
	.asciz	"void paged_attention_ll4mi_QKV_mfma16_kernel(const scalar_t *__restrict, const cache_t *__restrict, const cache_t *__restrict, const int, const float, const int *__restrict, const int *__restrict, const int *__restrict, const int, const float *__restrict, const int, const int, const int, float *__restrict, float *__restrict, scalar_t *__restrict, OUTT *__restrict, int, const float *, const float *) [scalar_t = _Float16, cache_t = unsigned char, KV_DTYPE = vllm::Fp8KVCacheDataType::kFp8E4M3, OUTT = unsigned char, BLOCK_SIZE = 32, HEAD_SIZE = 128, NUM_THREADS = 256, ALIBI_ENABLED = true, GQA_RATIO = 9]"
	.size	__PRETTY_FUNCTION__._Z39paged_attention_ll4mi_QKV_mfma16_kernelIDF16_hLN4vllm18Fp8KVCacheDataTypeE1EhLi32ELi128ELi256ELb1ELi9EEvPKT_PKT0_S7_ifPKiS9_S9_iPKfiiiPfSC_PS2_PT2_iSB_SB_, 608

	.type	__PRETTY_FUNCTION__._Z39paged_attention_ll4mi_QKV_mfma16_kernelIDF16_hLN4vllm18Fp8KVCacheDataTypeE1EhLi32ELi128ELi256ELb1ELi10EEvPKT_PKT0_S7_ifPKiS9_S9_iPKfiiiPfSC_PS2_PT2_iSB_SB_,@object ; @__PRETTY_FUNCTION__._Z39paged_attention_ll4mi_QKV_mfma16_kernelIDF16_hLN4vllm18Fp8KVCacheDataTypeE1EhLi32ELi128ELi256ELb1ELi10EEvPKT_PKT0_S7_ifPKiS9_S9_iPKfiiiPfSC_PS2_PT2_iSB_SB_
__PRETTY_FUNCTION__._Z39paged_attention_ll4mi_QKV_mfma16_kernelIDF16_hLN4vllm18Fp8KVCacheDataTypeE1EhLi32ELi128ELi256ELb1ELi10EEvPKT_PKT0_S7_ifPKiS9_S9_iPKfiiiPfSC_PS2_PT2_iSB_SB_:
	.asciz	"void paged_attention_ll4mi_QKV_mfma16_kernel(const scalar_t *__restrict, const cache_t *__restrict, const cache_t *__restrict, const int, const float, const int *__restrict, const int *__restrict, const int *__restrict, const int, const float *__restrict, const int, const int, const int, float *__restrict, float *__restrict, scalar_t *__restrict, OUTT *__restrict, int, const float *, const float *) [scalar_t = _Float16, cache_t = unsigned char, KV_DTYPE = vllm::Fp8KVCacheDataType::kFp8E4M3, OUTT = unsigned char, BLOCK_SIZE = 32, HEAD_SIZE = 128, NUM_THREADS = 256, ALIBI_ENABLED = true, GQA_RATIO = 10]"
	.size	__PRETTY_FUNCTION__._Z39paged_attention_ll4mi_QKV_mfma16_kernelIDF16_hLN4vllm18Fp8KVCacheDataTypeE1EhLi32ELi128ELi256ELb1ELi10EEvPKT_PKT0_S7_ifPKiS9_S9_iPKfiiiPfSC_PS2_PT2_iSB_SB_, 609

	.type	__PRETTY_FUNCTION__._Z39paged_attention_ll4mi_QKV_mfma16_kernelIDF16_hLN4vllm18Fp8KVCacheDataTypeE1EhLi32ELi128ELi256ELb1ELi11EEvPKT_PKT0_S7_ifPKiS9_S9_iPKfiiiPfSC_PS2_PT2_iSB_SB_,@object ; @__PRETTY_FUNCTION__._Z39paged_attention_ll4mi_QKV_mfma16_kernelIDF16_hLN4vllm18Fp8KVCacheDataTypeE1EhLi32ELi128ELi256ELb1ELi11EEvPKT_PKT0_S7_ifPKiS9_S9_iPKfiiiPfSC_PS2_PT2_iSB_SB_
__PRETTY_FUNCTION__._Z39paged_attention_ll4mi_QKV_mfma16_kernelIDF16_hLN4vllm18Fp8KVCacheDataTypeE1EhLi32ELi128ELi256ELb1ELi11EEvPKT_PKT0_S7_ifPKiS9_S9_iPKfiiiPfSC_PS2_PT2_iSB_SB_:
	.asciz	"void paged_attention_ll4mi_QKV_mfma16_kernel(const scalar_t *__restrict, const cache_t *__restrict, const cache_t *__restrict, const int, const float, const int *__restrict, const int *__restrict, const int *__restrict, const int, const float *__restrict, const int, const int, const int, float *__restrict, float *__restrict, scalar_t *__restrict, OUTT *__restrict, int, const float *, const float *) [scalar_t = _Float16, cache_t = unsigned char, KV_DTYPE = vllm::Fp8KVCacheDataType::kFp8E4M3, OUTT = unsigned char, BLOCK_SIZE = 32, HEAD_SIZE = 128, NUM_THREADS = 256, ALIBI_ENABLED = true, GQA_RATIO = 11]"
	.size	__PRETTY_FUNCTION__._Z39paged_attention_ll4mi_QKV_mfma16_kernelIDF16_hLN4vllm18Fp8KVCacheDataTypeE1EhLi32ELi128ELi256ELb1ELi11EEvPKT_PKT0_S7_ifPKiS9_S9_iPKfiiiPfSC_PS2_PT2_iSB_SB_, 609

	.type	__PRETTY_FUNCTION__._Z39paged_attention_ll4mi_QKV_mfma16_kernelIDF16_hLN4vllm18Fp8KVCacheDataTypeE1EhLi32ELi128ELi256ELb1ELi12EEvPKT_PKT0_S7_ifPKiS9_S9_iPKfiiiPfSC_PS2_PT2_iSB_SB_,@object ; @__PRETTY_FUNCTION__._Z39paged_attention_ll4mi_QKV_mfma16_kernelIDF16_hLN4vllm18Fp8KVCacheDataTypeE1EhLi32ELi128ELi256ELb1ELi12EEvPKT_PKT0_S7_ifPKiS9_S9_iPKfiiiPfSC_PS2_PT2_iSB_SB_
__PRETTY_FUNCTION__._Z39paged_attention_ll4mi_QKV_mfma16_kernelIDF16_hLN4vllm18Fp8KVCacheDataTypeE1EhLi32ELi128ELi256ELb1ELi12EEvPKT_PKT0_S7_ifPKiS9_S9_iPKfiiiPfSC_PS2_PT2_iSB_SB_:
	.asciz	"void paged_attention_ll4mi_QKV_mfma16_kernel(const scalar_t *__restrict, const cache_t *__restrict, const cache_t *__restrict, const int, const float, const int *__restrict, const int *__restrict, const int *__restrict, const int, const float *__restrict, const int, const int, const int, float *__restrict, float *__restrict, scalar_t *__restrict, OUTT *__restrict, int, const float *, const float *) [scalar_t = _Float16, cache_t = unsigned char, KV_DTYPE = vllm::Fp8KVCacheDataType::kFp8E4M3, OUTT = unsigned char, BLOCK_SIZE = 32, HEAD_SIZE = 128, NUM_THREADS = 256, ALIBI_ENABLED = true, GQA_RATIO = 12]"
	.size	__PRETTY_FUNCTION__._Z39paged_attention_ll4mi_QKV_mfma16_kernelIDF16_hLN4vllm18Fp8KVCacheDataTypeE1EhLi32ELi128ELi256ELb1ELi12EEvPKT_PKT0_S7_ifPKiS9_S9_iPKfiiiPfSC_PS2_PT2_iSB_SB_, 609

	.type	__PRETTY_FUNCTION__._Z39paged_attention_ll4mi_QKV_mfma16_kernelIDF16_hLN4vllm18Fp8KVCacheDataTypeE1EhLi32ELi128ELi256ELb1ELi13EEvPKT_PKT0_S7_ifPKiS9_S9_iPKfiiiPfSC_PS2_PT2_iSB_SB_,@object ; @__PRETTY_FUNCTION__._Z39paged_attention_ll4mi_QKV_mfma16_kernelIDF16_hLN4vllm18Fp8KVCacheDataTypeE1EhLi32ELi128ELi256ELb1ELi13EEvPKT_PKT0_S7_ifPKiS9_S9_iPKfiiiPfSC_PS2_PT2_iSB_SB_
__PRETTY_FUNCTION__._Z39paged_attention_ll4mi_QKV_mfma16_kernelIDF16_hLN4vllm18Fp8KVCacheDataTypeE1EhLi32ELi128ELi256ELb1ELi13EEvPKT_PKT0_S7_ifPKiS9_S9_iPKfiiiPfSC_PS2_PT2_iSB_SB_:
	.asciz	"void paged_attention_ll4mi_QKV_mfma16_kernel(const scalar_t *__restrict, const cache_t *__restrict, const cache_t *__restrict, const int, const float, const int *__restrict, const int *__restrict, const int *__restrict, const int, const float *__restrict, const int, const int, const int, float *__restrict, float *__restrict, scalar_t *__restrict, OUTT *__restrict, int, const float *, const float *) [scalar_t = _Float16, cache_t = unsigned char, KV_DTYPE = vllm::Fp8KVCacheDataType::kFp8E4M3, OUTT = unsigned char, BLOCK_SIZE = 32, HEAD_SIZE = 128, NUM_THREADS = 256, ALIBI_ENABLED = true, GQA_RATIO = 13]"
	.size	__PRETTY_FUNCTION__._Z39paged_attention_ll4mi_QKV_mfma16_kernelIDF16_hLN4vllm18Fp8KVCacheDataTypeE1EhLi32ELi128ELi256ELb1ELi13EEvPKT_PKT0_S7_ifPKiS9_S9_iPKfiiiPfSC_PS2_PT2_iSB_SB_, 609

	.type	__PRETTY_FUNCTION__._Z39paged_attention_ll4mi_QKV_mfma16_kernelIDF16_hLN4vllm18Fp8KVCacheDataTypeE1EhLi32ELi128ELi256ELb1ELi14EEvPKT_PKT0_S7_ifPKiS9_S9_iPKfiiiPfSC_PS2_PT2_iSB_SB_,@object ; @__PRETTY_FUNCTION__._Z39paged_attention_ll4mi_QKV_mfma16_kernelIDF16_hLN4vllm18Fp8KVCacheDataTypeE1EhLi32ELi128ELi256ELb1ELi14EEvPKT_PKT0_S7_ifPKiS9_S9_iPKfiiiPfSC_PS2_PT2_iSB_SB_
__PRETTY_FUNCTION__._Z39paged_attention_ll4mi_QKV_mfma16_kernelIDF16_hLN4vllm18Fp8KVCacheDataTypeE1EhLi32ELi128ELi256ELb1ELi14EEvPKT_PKT0_S7_ifPKiS9_S9_iPKfiiiPfSC_PS2_PT2_iSB_SB_:
	.asciz	"void paged_attention_ll4mi_QKV_mfma16_kernel(const scalar_t *__restrict, const cache_t *__restrict, const cache_t *__restrict, const int, const float, const int *__restrict, const int *__restrict, const int *__restrict, const int, const float *__restrict, const int, const int, const int, float *__restrict, float *__restrict, scalar_t *__restrict, OUTT *__restrict, int, const float *, const float *) [scalar_t = _Float16, cache_t = unsigned char, KV_DTYPE = vllm::Fp8KVCacheDataType::kFp8E4M3, OUTT = unsigned char, BLOCK_SIZE = 32, HEAD_SIZE = 128, NUM_THREADS = 256, ALIBI_ENABLED = true, GQA_RATIO = 14]"
	.size	__PRETTY_FUNCTION__._Z39paged_attention_ll4mi_QKV_mfma16_kernelIDF16_hLN4vllm18Fp8KVCacheDataTypeE1EhLi32ELi128ELi256ELb1ELi14EEvPKT_PKT0_S7_ifPKiS9_S9_iPKfiiiPfSC_PS2_PT2_iSB_SB_, 609

	.type	__PRETTY_FUNCTION__._Z39paged_attention_ll4mi_QKV_mfma16_kernelIDF16_hLN4vllm18Fp8KVCacheDataTypeE1EhLi32ELi128ELi256ELb1ELi15EEvPKT_PKT0_S7_ifPKiS9_S9_iPKfiiiPfSC_PS2_PT2_iSB_SB_,@object ; @__PRETTY_FUNCTION__._Z39paged_attention_ll4mi_QKV_mfma16_kernelIDF16_hLN4vllm18Fp8KVCacheDataTypeE1EhLi32ELi128ELi256ELb1ELi15EEvPKT_PKT0_S7_ifPKiS9_S9_iPKfiiiPfSC_PS2_PT2_iSB_SB_
__PRETTY_FUNCTION__._Z39paged_attention_ll4mi_QKV_mfma16_kernelIDF16_hLN4vllm18Fp8KVCacheDataTypeE1EhLi32ELi128ELi256ELb1ELi15EEvPKT_PKT0_S7_ifPKiS9_S9_iPKfiiiPfSC_PS2_PT2_iSB_SB_:
	.asciz	"void paged_attention_ll4mi_QKV_mfma16_kernel(const scalar_t *__restrict, const cache_t *__restrict, const cache_t *__restrict, const int, const float, const int *__restrict, const int *__restrict, const int *__restrict, const int, const float *__restrict, const int, const int, const int, float *__restrict, float *__restrict, scalar_t *__restrict, OUTT *__restrict, int, const float *, const float *) [scalar_t = _Float16, cache_t = unsigned char, KV_DTYPE = vllm::Fp8KVCacheDataType::kFp8E4M3, OUTT = unsigned char, BLOCK_SIZE = 32, HEAD_SIZE = 128, NUM_THREADS = 256, ALIBI_ENABLED = true, GQA_RATIO = 15]"
	.size	__PRETTY_FUNCTION__._Z39paged_attention_ll4mi_QKV_mfma16_kernelIDF16_hLN4vllm18Fp8KVCacheDataTypeE1EhLi32ELi128ELi256ELb1ELi15EEvPKT_PKT0_S7_ifPKiS9_S9_iPKfiiiPfSC_PS2_PT2_iSB_SB_, 609

	.type	__PRETTY_FUNCTION__._Z39paged_attention_ll4mi_QKV_mfma16_kernelIDF16_hLN4vllm18Fp8KVCacheDataTypeE1EhLi32ELi128ELi256ELb1ELi16EEvPKT_PKT0_S7_ifPKiS9_S9_iPKfiiiPfSC_PS2_PT2_iSB_SB_,@object ; @__PRETTY_FUNCTION__._Z39paged_attention_ll4mi_QKV_mfma16_kernelIDF16_hLN4vllm18Fp8KVCacheDataTypeE1EhLi32ELi128ELi256ELb1ELi16EEvPKT_PKT0_S7_ifPKiS9_S9_iPKfiiiPfSC_PS2_PT2_iSB_SB_
__PRETTY_FUNCTION__._Z39paged_attention_ll4mi_QKV_mfma16_kernelIDF16_hLN4vllm18Fp8KVCacheDataTypeE1EhLi32ELi128ELi256ELb1ELi16EEvPKT_PKT0_S7_ifPKiS9_S9_iPKfiiiPfSC_PS2_PT2_iSB_SB_:
	.asciz	"void paged_attention_ll4mi_QKV_mfma16_kernel(const scalar_t *__restrict, const cache_t *__restrict, const cache_t *__restrict, const int, const float, const int *__restrict, const int *__restrict, const int *__restrict, const int, const float *__restrict, const int, const int, const int, float *__restrict, float *__restrict, scalar_t *__restrict, OUTT *__restrict, int, const float *, const float *) [scalar_t = _Float16, cache_t = unsigned char, KV_DTYPE = vllm::Fp8KVCacheDataType::kFp8E4M3, OUTT = unsigned char, BLOCK_SIZE = 32, HEAD_SIZE = 128, NUM_THREADS = 256, ALIBI_ENABLED = true, GQA_RATIO = 16]"
	.size	__PRETTY_FUNCTION__._Z39paged_attention_ll4mi_QKV_mfma16_kernelIDF16_hLN4vllm18Fp8KVCacheDataTypeE1EhLi32ELi128ELi256ELb1ELi16EEvPKT_PKT0_S7_ifPKiS9_S9_iPKfiiiPfSC_PS2_PT2_iSB_SB_, 609

	.type	__PRETTY_FUNCTION__._Z39paged_attention_ll4mi_QKV_mfma16_kernelIDF16_hLN4vllm18Fp8KVCacheDataTypeE1EhLi32ELi128ELi256ELb1ELi1EEvPKT_PKT0_S7_ifPKiS9_S9_iPKfiiiPfSC_PS2_PT2_iSB_SB_,@object ; @__PRETTY_FUNCTION__._Z39paged_attention_ll4mi_QKV_mfma16_kernelIDF16_hLN4vllm18Fp8KVCacheDataTypeE1EhLi32ELi128ELi256ELb1ELi1EEvPKT_PKT0_S7_ifPKiS9_S9_iPKfiiiPfSC_PS2_PT2_iSB_SB_
__PRETTY_FUNCTION__._Z39paged_attention_ll4mi_QKV_mfma16_kernelIDF16_hLN4vllm18Fp8KVCacheDataTypeE1EhLi32ELi128ELi256ELb1ELi1EEvPKT_PKT0_S7_ifPKiS9_S9_iPKfiiiPfSC_PS2_PT2_iSB_SB_:
	.asciz	"void paged_attention_ll4mi_QKV_mfma16_kernel(const scalar_t *__restrict, const cache_t *__restrict, const cache_t *__restrict, const int, const float, const int *__restrict, const int *__restrict, const int *__restrict, const int, const float *__restrict, const int, const int, const int, float *__restrict, float *__restrict, scalar_t *__restrict, OUTT *__restrict, int, const float *, const float *) [scalar_t = _Float16, cache_t = unsigned char, KV_DTYPE = vllm::Fp8KVCacheDataType::kFp8E4M3, OUTT = unsigned char, BLOCK_SIZE = 32, HEAD_SIZE = 128, NUM_THREADS = 256, ALIBI_ENABLED = true, GQA_RATIO = 1]"
	.size	__PRETTY_FUNCTION__._Z39paged_attention_ll4mi_QKV_mfma16_kernelIDF16_hLN4vllm18Fp8KVCacheDataTypeE1EhLi32ELi128ELi256ELb1ELi1EEvPKT_PKT0_S7_ifPKiS9_S9_iPKfiiiPfSC_PS2_PT2_iSB_SB_, 608

	.type	__PRETTY_FUNCTION__._Z39paged_attention_ll4mi_QKV_mfma16_kernelIDF16_hLN4vllm18Fp8KVCacheDataTypeE1EhLi32ELi128ELi256ELb1ELi2EEvPKT_PKT0_S7_ifPKiS9_S9_iPKfiiiPfSC_PS2_PT2_iSB_SB_,@object ; @__PRETTY_FUNCTION__._Z39paged_attention_ll4mi_QKV_mfma16_kernelIDF16_hLN4vllm18Fp8KVCacheDataTypeE1EhLi32ELi128ELi256ELb1ELi2EEvPKT_PKT0_S7_ifPKiS9_S9_iPKfiiiPfSC_PS2_PT2_iSB_SB_
__PRETTY_FUNCTION__._Z39paged_attention_ll4mi_QKV_mfma16_kernelIDF16_hLN4vllm18Fp8KVCacheDataTypeE1EhLi32ELi128ELi256ELb1ELi2EEvPKT_PKT0_S7_ifPKiS9_S9_iPKfiiiPfSC_PS2_PT2_iSB_SB_:
	.asciz	"void paged_attention_ll4mi_QKV_mfma16_kernel(const scalar_t *__restrict, const cache_t *__restrict, const cache_t *__restrict, const int, const float, const int *__restrict, const int *__restrict, const int *__restrict, const int, const float *__restrict, const int, const int, const int, float *__restrict, float *__restrict, scalar_t *__restrict, OUTT *__restrict, int, const float *, const float *) [scalar_t = _Float16, cache_t = unsigned char, KV_DTYPE = vllm::Fp8KVCacheDataType::kFp8E4M3, OUTT = unsigned char, BLOCK_SIZE = 32, HEAD_SIZE = 128, NUM_THREADS = 256, ALIBI_ENABLED = true, GQA_RATIO = 2]"
	.size	__PRETTY_FUNCTION__._Z39paged_attention_ll4mi_QKV_mfma16_kernelIDF16_hLN4vllm18Fp8KVCacheDataTypeE1EhLi32ELi128ELi256ELb1ELi2EEvPKT_PKT0_S7_ifPKiS9_S9_iPKfiiiPfSC_PS2_PT2_iSB_SB_, 608

	.type	__PRETTY_FUNCTION__._Z39paged_attention_ll4mi_QKV_mfma16_kernelIDF16_hLN4vllm18Fp8KVCacheDataTypeE1EhLi32ELi128ELi256ELb1ELi3EEvPKT_PKT0_S7_ifPKiS9_S9_iPKfiiiPfSC_PS2_PT2_iSB_SB_,@object ; @__PRETTY_FUNCTION__._Z39paged_attention_ll4mi_QKV_mfma16_kernelIDF16_hLN4vllm18Fp8KVCacheDataTypeE1EhLi32ELi128ELi256ELb1ELi3EEvPKT_PKT0_S7_ifPKiS9_S9_iPKfiiiPfSC_PS2_PT2_iSB_SB_
__PRETTY_FUNCTION__._Z39paged_attention_ll4mi_QKV_mfma16_kernelIDF16_hLN4vllm18Fp8KVCacheDataTypeE1EhLi32ELi128ELi256ELb1ELi3EEvPKT_PKT0_S7_ifPKiS9_S9_iPKfiiiPfSC_PS2_PT2_iSB_SB_:
	.asciz	"void paged_attention_ll4mi_QKV_mfma16_kernel(const scalar_t *__restrict, const cache_t *__restrict, const cache_t *__restrict, const int, const float, const int *__restrict, const int *__restrict, const int *__restrict, const int, const float *__restrict, const int, const int, const int, float *__restrict, float *__restrict, scalar_t *__restrict, OUTT *__restrict, int, const float *, const float *) [scalar_t = _Float16, cache_t = unsigned char, KV_DTYPE = vllm::Fp8KVCacheDataType::kFp8E4M3, OUTT = unsigned char, BLOCK_SIZE = 32, HEAD_SIZE = 128, NUM_THREADS = 256, ALIBI_ENABLED = true, GQA_RATIO = 3]"
	.size	__PRETTY_FUNCTION__._Z39paged_attention_ll4mi_QKV_mfma16_kernelIDF16_hLN4vllm18Fp8KVCacheDataTypeE1EhLi32ELi128ELi256ELb1ELi3EEvPKT_PKT0_S7_ifPKiS9_S9_iPKfiiiPfSC_PS2_PT2_iSB_SB_, 608

	.type	__PRETTY_FUNCTION__._Z39paged_attention_ll4mi_QKV_mfma16_kernelIDF16_hLN4vllm18Fp8KVCacheDataTypeE1EhLi32ELi128ELi256ELb1ELi4EEvPKT_PKT0_S7_ifPKiS9_S9_iPKfiiiPfSC_PS2_PT2_iSB_SB_,@object ; @__PRETTY_FUNCTION__._Z39paged_attention_ll4mi_QKV_mfma16_kernelIDF16_hLN4vllm18Fp8KVCacheDataTypeE1EhLi32ELi128ELi256ELb1ELi4EEvPKT_PKT0_S7_ifPKiS9_S9_iPKfiiiPfSC_PS2_PT2_iSB_SB_
__PRETTY_FUNCTION__._Z39paged_attention_ll4mi_QKV_mfma16_kernelIDF16_hLN4vllm18Fp8KVCacheDataTypeE1EhLi32ELi128ELi256ELb1ELi4EEvPKT_PKT0_S7_ifPKiS9_S9_iPKfiiiPfSC_PS2_PT2_iSB_SB_:
	.asciz	"void paged_attention_ll4mi_QKV_mfma16_kernel(const scalar_t *__restrict, const cache_t *__restrict, const cache_t *__restrict, const int, const float, const int *__restrict, const int *__restrict, const int *__restrict, const int, const float *__restrict, const int, const int, const int, float *__restrict, float *__restrict, scalar_t *__restrict, OUTT *__restrict, int, const float *, const float *) [scalar_t = _Float16, cache_t = unsigned char, KV_DTYPE = vllm::Fp8KVCacheDataType::kFp8E4M3, OUTT = unsigned char, BLOCK_SIZE = 32, HEAD_SIZE = 128, NUM_THREADS = 256, ALIBI_ENABLED = true, GQA_RATIO = 4]"
	.size	__PRETTY_FUNCTION__._Z39paged_attention_ll4mi_QKV_mfma16_kernelIDF16_hLN4vllm18Fp8KVCacheDataTypeE1EhLi32ELi128ELi256ELb1ELi4EEvPKT_PKT0_S7_ifPKiS9_S9_iPKfiiiPfSC_PS2_PT2_iSB_SB_, 608

	.type	__PRETTY_FUNCTION__._Z38paged_attention_ll4mi_QKV_mfma4_kernelIDF16_hLN4vllm18Fp8KVCacheDataTypeE1EhLi32ELi128ELi256ELb0ELi1EEvPKT_PKT0_S7_ifPKiS9_S9_iPKfiiiPfSC_PS2_PT2_iSB_SB_,@object ; @__PRETTY_FUNCTION__._Z38paged_attention_ll4mi_QKV_mfma4_kernelIDF16_hLN4vllm18Fp8KVCacheDataTypeE1EhLi32ELi128ELi256ELb0ELi1EEvPKT_PKT0_S7_ifPKiS9_S9_iPKfiiiPfSC_PS2_PT2_iSB_SB_
__PRETTY_FUNCTION__._Z38paged_attention_ll4mi_QKV_mfma4_kernelIDF16_hLN4vllm18Fp8KVCacheDataTypeE1EhLi32ELi128ELi256ELb0ELi1EEvPKT_PKT0_S7_ifPKiS9_S9_iPKfiiiPfSC_PS2_PT2_iSB_SB_:
	.asciz	"void paged_attention_ll4mi_QKV_mfma4_kernel(const scalar_t *__restrict, const cache_t *__restrict, const cache_t *__restrict, const int, const float, const int *__restrict, const int *__restrict, const int *__restrict, const int, const float *__restrict, const int, const int, const int, float *__restrict, float *__restrict, scalar_t *__restrict, OUTT *__restrict, int, const float *, const float *) [scalar_t = _Float16, cache_t = unsigned char, KV_DTYPE = vllm::Fp8KVCacheDataType::kFp8E4M3, OUTT = unsigned char, BLOCK_SIZE = 32, HEAD_SIZE = 128, NUM_THREADS = 256, ALIBI_ENABLED = false, GQA_RATIO = 1]"
	.size	__PRETTY_FUNCTION__._Z38paged_attention_ll4mi_QKV_mfma4_kernelIDF16_hLN4vllm18Fp8KVCacheDataTypeE1EhLi32ELi128ELi256ELb0ELi1EEvPKT_PKT0_S7_ifPKiS9_S9_iPKfiiiPfSC_PS2_PT2_iSB_SB_, 608

	.type	__PRETTY_FUNCTION__._Z38paged_attention_ll4mi_QKV_mfma4_kernelIDF16_hLN4vllm18Fp8KVCacheDataTypeE1EhLi32ELi128ELi256ELb0ELi2EEvPKT_PKT0_S7_ifPKiS9_S9_iPKfiiiPfSC_PS2_PT2_iSB_SB_,@object ; @__PRETTY_FUNCTION__._Z38paged_attention_ll4mi_QKV_mfma4_kernelIDF16_hLN4vllm18Fp8KVCacheDataTypeE1EhLi32ELi128ELi256ELb0ELi2EEvPKT_PKT0_S7_ifPKiS9_S9_iPKfiiiPfSC_PS2_PT2_iSB_SB_
__PRETTY_FUNCTION__._Z38paged_attention_ll4mi_QKV_mfma4_kernelIDF16_hLN4vllm18Fp8KVCacheDataTypeE1EhLi32ELi128ELi256ELb0ELi2EEvPKT_PKT0_S7_ifPKiS9_S9_iPKfiiiPfSC_PS2_PT2_iSB_SB_:
	.asciz	"void paged_attention_ll4mi_QKV_mfma4_kernel(const scalar_t *__restrict, const cache_t *__restrict, const cache_t *__restrict, const int, const float, const int *__restrict, const int *__restrict, const int *__restrict, const int, const float *__restrict, const int, const int, const int, float *__restrict, float *__restrict, scalar_t *__restrict, OUTT *__restrict, int, const float *, const float *) [scalar_t = _Float16, cache_t = unsigned char, KV_DTYPE = vllm::Fp8KVCacheDataType::kFp8E4M3, OUTT = unsigned char, BLOCK_SIZE = 32, HEAD_SIZE = 128, NUM_THREADS = 256, ALIBI_ENABLED = false, GQA_RATIO = 2]"
	.size	__PRETTY_FUNCTION__._Z38paged_attention_ll4mi_QKV_mfma4_kernelIDF16_hLN4vllm18Fp8KVCacheDataTypeE1EhLi32ELi128ELi256ELb0ELi2EEvPKT_PKT0_S7_ifPKiS9_S9_iPKfiiiPfSC_PS2_PT2_iSB_SB_, 608

	.type	__PRETTY_FUNCTION__._Z38paged_attention_ll4mi_QKV_mfma4_kernelIDF16_hLN4vllm18Fp8KVCacheDataTypeE1EhLi32ELi128ELi256ELb0ELi3EEvPKT_PKT0_S7_ifPKiS9_S9_iPKfiiiPfSC_PS2_PT2_iSB_SB_,@object ; @__PRETTY_FUNCTION__._Z38paged_attention_ll4mi_QKV_mfma4_kernelIDF16_hLN4vllm18Fp8KVCacheDataTypeE1EhLi32ELi128ELi256ELb0ELi3EEvPKT_PKT0_S7_ifPKiS9_S9_iPKfiiiPfSC_PS2_PT2_iSB_SB_
__PRETTY_FUNCTION__._Z38paged_attention_ll4mi_QKV_mfma4_kernelIDF16_hLN4vllm18Fp8KVCacheDataTypeE1EhLi32ELi128ELi256ELb0ELi3EEvPKT_PKT0_S7_ifPKiS9_S9_iPKfiiiPfSC_PS2_PT2_iSB_SB_:
	.asciz	"void paged_attention_ll4mi_QKV_mfma4_kernel(const scalar_t *__restrict, const cache_t *__restrict, const cache_t *__restrict, const int, const float, const int *__restrict, const int *__restrict, const int *__restrict, const int, const float *__restrict, const int, const int, const int, float *__restrict, float *__restrict, scalar_t *__restrict, OUTT *__restrict, int, const float *, const float *) [scalar_t = _Float16, cache_t = unsigned char, KV_DTYPE = vllm::Fp8KVCacheDataType::kFp8E4M3, OUTT = unsigned char, BLOCK_SIZE = 32, HEAD_SIZE = 128, NUM_THREADS = 256, ALIBI_ENABLED = false, GQA_RATIO = 3]"
	.size	__PRETTY_FUNCTION__._Z38paged_attention_ll4mi_QKV_mfma4_kernelIDF16_hLN4vllm18Fp8KVCacheDataTypeE1EhLi32ELi128ELi256ELb0ELi3EEvPKT_PKT0_S7_ifPKiS9_S9_iPKfiiiPfSC_PS2_PT2_iSB_SB_, 608

	.type	__PRETTY_FUNCTION__._Z38paged_attention_ll4mi_QKV_mfma4_kernelIDF16_hLN4vllm18Fp8KVCacheDataTypeE1EhLi32ELi128ELi256ELb0ELi4EEvPKT_PKT0_S7_ifPKiS9_S9_iPKfiiiPfSC_PS2_PT2_iSB_SB_,@object ; @__PRETTY_FUNCTION__._Z38paged_attention_ll4mi_QKV_mfma4_kernelIDF16_hLN4vllm18Fp8KVCacheDataTypeE1EhLi32ELi128ELi256ELb0ELi4EEvPKT_PKT0_S7_ifPKiS9_S9_iPKfiiiPfSC_PS2_PT2_iSB_SB_
__PRETTY_FUNCTION__._Z38paged_attention_ll4mi_QKV_mfma4_kernelIDF16_hLN4vllm18Fp8KVCacheDataTypeE1EhLi32ELi128ELi256ELb0ELi4EEvPKT_PKT0_S7_ifPKiS9_S9_iPKfiiiPfSC_PS2_PT2_iSB_SB_:
	.asciz	"void paged_attention_ll4mi_QKV_mfma4_kernel(const scalar_t *__restrict, const cache_t *__restrict, const cache_t *__restrict, const int, const float, const int *__restrict, const int *__restrict, const int *__restrict, const int, const float *__restrict, const int, const int, const int, float *__restrict, float *__restrict, scalar_t *__restrict, OUTT *__restrict, int, const float *, const float *) [scalar_t = _Float16, cache_t = unsigned char, KV_DTYPE = vllm::Fp8KVCacheDataType::kFp8E4M3, OUTT = unsigned char, BLOCK_SIZE = 32, HEAD_SIZE = 128, NUM_THREADS = 256, ALIBI_ENABLED = false, GQA_RATIO = 4]"
	.size	__PRETTY_FUNCTION__._Z38paged_attention_ll4mi_QKV_mfma4_kernelIDF16_hLN4vllm18Fp8KVCacheDataTypeE1EhLi32ELi128ELi256ELb0ELi4EEvPKT_PKT0_S7_ifPKiS9_S9_iPKfiiiPfSC_PS2_PT2_iSB_SB_, 608

	.type	__PRETTY_FUNCTION__._Z39paged_attention_ll4mi_QKV_mfma16_kernelIDF16_hLN4vllm18Fp8KVCacheDataTypeE1EhLi32ELi128ELi256ELb0ELi5EEvPKT_PKT0_S7_ifPKiS9_S9_iPKfiiiPfSC_PS2_PT2_iSB_SB_,@object ; @__PRETTY_FUNCTION__._Z39paged_attention_ll4mi_QKV_mfma16_kernelIDF16_hLN4vllm18Fp8KVCacheDataTypeE1EhLi32ELi128ELi256ELb0ELi5EEvPKT_PKT0_S7_ifPKiS9_S9_iPKfiiiPfSC_PS2_PT2_iSB_SB_
__PRETTY_FUNCTION__._Z39paged_attention_ll4mi_QKV_mfma16_kernelIDF16_hLN4vllm18Fp8KVCacheDataTypeE1EhLi32ELi128ELi256ELb0ELi5EEvPKT_PKT0_S7_ifPKiS9_S9_iPKfiiiPfSC_PS2_PT2_iSB_SB_:
	.asciz	"void paged_attention_ll4mi_QKV_mfma16_kernel(const scalar_t *__restrict, const cache_t *__restrict, const cache_t *__restrict, const int, const float, const int *__restrict, const int *__restrict, const int *__restrict, const int, const float *__restrict, const int, const int, const int, float *__restrict, float *__restrict, scalar_t *__restrict, OUTT *__restrict, int, const float *, const float *) [scalar_t = _Float16, cache_t = unsigned char, KV_DTYPE = vllm::Fp8KVCacheDataType::kFp8E4M3, OUTT = unsigned char, BLOCK_SIZE = 32, HEAD_SIZE = 128, NUM_THREADS = 256, ALIBI_ENABLED = false, GQA_RATIO = 5]"
	.size	__PRETTY_FUNCTION__._Z39paged_attention_ll4mi_QKV_mfma16_kernelIDF16_hLN4vllm18Fp8KVCacheDataTypeE1EhLi32ELi128ELi256ELb0ELi5EEvPKT_PKT0_S7_ifPKiS9_S9_iPKfiiiPfSC_PS2_PT2_iSB_SB_, 609

	.type	__PRETTY_FUNCTION__._Z39paged_attention_ll4mi_QKV_mfma16_kernelIDF16_hLN4vllm18Fp8KVCacheDataTypeE1EhLi32ELi128ELi256ELb0ELi6EEvPKT_PKT0_S7_ifPKiS9_S9_iPKfiiiPfSC_PS2_PT2_iSB_SB_,@object ; @__PRETTY_FUNCTION__._Z39paged_attention_ll4mi_QKV_mfma16_kernelIDF16_hLN4vllm18Fp8KVCacheDataTypeE1EhLi32ELi128ELi256ELb0ELi6EEvPKT_PKT0_S7_ifPKiS9_S9_iPKfiiiPfSC_PS2_PT2_iSB_SB_
__PRETTY_FUNCTION__._Z39paged_attention_ll4mi_QKV_mfma16_kernelIDF16_hLN4vllm18Fp8KVCacheDataTypeE1EhLi32ELi128ELi256ELb0ELi6EEvPKT_PKT0_S7_ifPKiS9_S9_iPKfiiiPfSC_PS2_PT2_iSB_SB_:
	.asciz	"void paged_attention_ll4mi_QKV_mfma16_kernel(const scalar_t *__restrict, const cache_t *__restrict, const cache_t *__restrict, const int, const float, const int *__restrict, const int *__restrict, const int *__restrict, const int, const float *__restrict, const int, const int, const int, float *__restrict, float *__restrict, scalar_t *__restrict, OUTT *__restrict, int, const float *, const float *) [scalar_t = _Float16, cache_t = unsigned char, KV_DTYPE = vllm::Fp8KVCacheDataType::kFp8E4M3, OUTT = unsigned char, BLOCK_SIZE = 32, HEAD_SIZE = 128, NUM_THREADS = 256, ALIBI_ENABLED = false, GQA_RATIO = 6]"
	.size	__PRETTY_FUNCTION__._Z39paged_attention_ll4mi_QKV_mfma16_kernelIDF16_hLN4vllm18Fp8KVCacheDataTypeE1EhLi32ELi128ELi256ELb0ELi6EEvPKT_PKT0_S7_ifPKiS9_S9_iPKfiiiPfSC_PS2_PT2_iSB_SB_, 609

	.type	__PRETTY_FUNCTION__._Z39paged_attention_ll4mi_QKV_mfma16_kernelIDF16_hLN4vllm18Fp8KVCacheDataTypeE1EhLi32ELi128ELi256ELb0ELi7EEvPKT_PKT0_S7_ifPKiS9_S9_iPKfiiiPfSC_PS2_PT2_iSB_SB_,@object ; @__PRETTY_FUNCTION__._Z39paged_attention_ll4mi_QKV_mfma16_kernelIDF16_hLN4vllm18Fp8KVCacheDataTypeE1EhLi32ELi128ELi256ELb0ELi7EEvPKT_PKT0_S7_ifPKiS9_S9_iPKfiiiPfSC_PS2_PT2_iSB_SB_
__PRETTY_FUNCTION__._Z39paged_attention_ll4mi_QKV_mfma16_kernelIDF16_hLN4vllm18Fp8KVCacheDataTypeE1EhLi32ELi128ELi256ELb0ELi7EEvPKT_PKT0_S7_ifPKiS9_S9_iPKfiiiPfSC_PS2_PT2_iSB_SB_:
	.asciz	"void paged_attention_ll4mi_QKV_mfma16_kernel(const scalar_t *__restrict, const cache_t *__restrict, const cache_t *__restrict, const int, const float, const int *__restrict, const int *__restrict, const int *__restrict, const int, const float *__restrict, const int, const int, const int, float *__restrict, float *__restrict, scalar_t *__restrict, OUTT *__restrict, int, const float *, const float *) [scalar_t = _Float16, cache_t = unsigned char, KV_DTYPE = vllm::Fp8KVCacheDataType::kFp8E4M3, OUTT = unsigned char, BLOCK_SIZE = 32, HEAD_SIZE = 128, NUM_THREADS = 256, ALIBI_ENABLED = false, GQA_RATIO = 7]"
	.size	__PRETTY_FUNCTION__._Z39paged_attention_ll4mi_QKV_mfma16_kernelIDF16_hLN4vllm18Fp8KVCacheDataTypeE1EhLi32ELi128ELi256ELb0ELi7EEvPKT_PKT0_S7_ifPKiS9_S9_iPKfiiiPfSC_PS2_PT2_iSB_SB_, 609

	.type	__PRETTY_FUNCTION__._Z39paged_attention_ll4mi_QKV_mfma16_kernelIDF16_hLN4vllm18Fp8KVCacheDataTypeE1EhLi32ELi128ELi256ELb0ELi8EEvPKT_PKT0_S7_ifPKiS9_S9_iPKfiiiPfSC_PS2_PT2_iSB_SB_,@object ; @__PRETTY_FUNCTION__._Z39paged_attention_ll4mi_QKV_mfma16_kernelIDF16_hLN4vllm18Fp8KVCacheDataTypeE1EhLi32ELi128ELi256ELb0ELi8EEvPKT_PKT0_S7_ifPKiS9_S9_iPKfiiiPfSC_PS2_PT2_iSB_SB_
__PRETTY_FUNCTION__._Z39paged_attention_ll4mi_QKV_mfma16_kernelIDF16_hLN4vllm18Fp8KVCacheDataTypeE1EhLi32ELi128ELi256ELb0ELi8EEvPKT_PKT0_S7_ifPKiS9_S9_iPKfiiiPfSC_PS2_PT2_iSB_SB_:
	.asciz	"void paged_attention_ll4mi_QKV_mfma16_kernel(const scalar_t *__restrict, const cache_t *__restrict, const cache_t *__restrict, const int, const float, const int *__restrict, const int *__restrict, const int *__restrict, const int, const float *__restrict, const int, const int, const int, float *__restrict, float *__restrict, scalar_t *__restrict, OUTT *__restrict, int, const float *, const float *) [scalar_t = _Float16, cache_t = unsigned char, KV_DTYPE = vllm::Fp8KVCacheDataType::kFp8E4M3, OUTT = unsigned char, BLOCK_SIZE = 32, HEAD_SIZE = 128, NUM_THREADS = 256, ALIBI_ENABLED = false, GQA_RATIO = 8]"
	.size	__PRETTY_FUNCTION__._Z39paged_attention_ll4mi_QKV_mfma16_kernelIDF16_hLN4vllm18Fp8KVCacheDataTypeE1EhLi32ELi128ELi256ELb0ELi8EEvPKT_PKT0_S7_ifPKiS9_S9_iPKfiiiPfSC_PS2_PT2_iSB_SB_, 609

	.type	__PRETTY_FUNCTION__._Z39paged_attention_ll4mi_QKV_mfma16_kernelIDF16_hLN4vllm18Fp8KVCacheDataTypeE1EhLi32ELi128ELi256ELb0ELi9EEvPKT_PKT0_S7_ifPKiS9_S9_iPKfiiiPfSC_PS2_PT2_iSB_SB_,@object ; @__PRETTY_FUNCTION__._Z39paged_attention_ll4mi_QKV_mfma16_kernelIDF16_hLN4vllm18Fp8KVCacheDataTypeE1EhLi32ELi128ELi256ELb0ELi9EEvPKT_PKT0_S7_ifPKiS9_S9_iPKfiiiPfSC_PS2_PT2_iSB_SB_
__PRETTY_FUNCTION__._Z39paged_attention_ll4mi_QKV_mfma16_kernelIDF16_hLN4vllm18Fp8KVCacheDataTypeE1EhLi32ELi128ELi256ELb0ELi9EEvPKT_PKT0_S7_ifPKiS9_S9_iPKfiiiPfSC_PS2_PT2_iSB_SB_:
	.asciz	"void paged_attention_ll4mi_QKV_mfma16_kernel(const scalar_t *__restrict, const cache_t *__restrict, const cache_t *__restrict, const int, const float, const int *__restrict, const int *__restrict, const int *__restrict, const int, const float *__restrict, const int, const int, const int, float *__restrict, float *__restrict, scalar_t *__restrict, OUTT *__restrict, int, const float *, const float *) [scalar_t = _Float16, cache_t = unsigned char, KV_DTYPE = vllm::Fp8KVCacheDataType::kFp8E4M3, OUTT = unsigned char, BLOCK_SIZE = 32, HEAD_SIZE = 128, NUM_THREADS = 256, ALIBI_ENABLED = false, GQA_RATIO = 9]"
	.size	__PRETTY_FUNCTION__._Z39paged_attention_ll4mi_QKV_mfma16_kernelIDF16_hLN4vllm18Fp8KVCacheDataTypeE1EhLi32ELi128ELi256ELb0ELi9EEvPKT_PKT0_S7_ifPKiS9_S9_iPKfiiiPfSC_PS2_PT2_iSB_SB_, 609

	.type	__PRETTY_FUNCTION__._Z39paged_attention_ll4mi_QKV_mfma16_kernelIDF16_hLN4vllm18Fp8KVCacheDataTypeE1EhLi32ELi128ELi256ELb0ELi10EEvPKT_PKT0_S7_ifPKiS9_S9_iPKfiiiPfSC_PS2_PT2_iSB_SB_,@object ; @__PRETTY_FUNCTION__._Z39paged_attention_ll4mi_QKV_mfma16_kernelIDF16_hLN4vllm18Fp8KVCacheDataTypeE1EhLi32ELi128ELi256ELb0ELi10EEvPKT_PKT0_S7_ifPKiS9_S9_iPKfiiiPfSC_PS2_PT2_iSB_SB_
__PRETTY_FUNCTION__._Z39paged_attention_ll4mi_QKV_mfma16_kernelIDF16_hLN4vllm18Fp8KVCacheDataTypeE1EhLi32ELi128ELi256ELb0ELi10EEvPKT_PKT0_S7_ifPKiS9_S9_iPKfiiiPfSC_PS2_PT2_iSB_SB_:
	.asciz	"void paged_attention_ll4mi_QKV_mfma16_kernel(const scalar_t *__restrict, const cache_t *__restrict, const cache_t *__restrict, const int, const float, const int *__restrict, const int *__restrict, const int *__restrict, const int, const float *__restrict, const int, const int, const int, float *__restrict, float *__restrict, scalar_t *__restrict, OUTT *__restrict, int, const float *, const float *) [scalar_t = _Float16, cache_t = unsigned char, KV_DTYPE = vllm::Fp8KVCacheDataType::kFp8E4M3, OUTT = unsigned char, BLOCK_SIZE = 32, HEAD_SIZE = 128, NUM_THREADS = 256, ALIBI_ENABLED = false, GQA_RATIO = 10]"
	.size	__PRETTY_FUNCTION__._Z39paged_attention_ll4mi_QKV_mfma16_kernelIDF16_hLN4vllm18Fp8KVCacheDataTypeE1EhLi32ELi128ELi256ELb0ELi10EEvPKT_PKT0_S7_ifPKiS9_S9_iPKfiiiPfSC_PS2_PT2_iSB_SB_, 610

	.type	__PRETTY_FUNCTION__._Z39paged_attention_ll4mi_QKV_mfma16_kernelIDF16_hLN4vllm18Fp8KVCacheDataTypeE1EhLi32ELi128ELi256ELb0ELi11EEvPKT_PKT0_S7_ifPKiS9_S9_iPKfiiiPfSC_PS2_PT2_iSB_SB_,@object ; @__PRETTY_FUNCTION__._Z39paged_attention_ll4mi_QKV_mfma16_kernelIDF16_hLN4vllm18Fp8KVCacheDataTypeE1EhLi32ELi128ELi256ELb0ELi11EEvPKT_PKT0_S7_ifPKiS9_S9_iPKfiiiPfSC_PS2_PT2_iSB_SB_
__PRETTY_FUNCTION__._Z39paged_attention_ll4mi_QKV_mfma16_kernelIDF16_hLN4vllm18Fp8KVCacheDataTypeE1EhLi32ELi128ELi256ELb0ELi11EEvPKT_PKT0_S7_ifPKiS9_S9_iPKfiiiPfSC_PS2_PT2_iSB_SB_:
	.asciz	"void paged_attention_ll4mi_QKV_mfma16_kernel(const scalar_t *__restrict, const cache_t *__restrict, const cache_t *__restrict, const int, const float, const int *__restrict, const int *__restrict, const int *__restrict, const int, const float *__restrict, const int, const int, const int, float *__restrict, float *__restrict, scalar_t *__restrict, OUTT *__restrict, int, const float *, const float *) [scalar_t = _Float16, cache_t = unsigned char, KV_DTYPE = vllm::Fp8KVCacheDataType::kFp8E4M3, OUTT = unsigned char, BLOCK_SIZE = 32, HEAD_SIZE = 128, NUM_THREADS = 256, ALIBI_ENABLED = false, GQA_RATIO = 11]"
	.size	__PRETTY_FUNCTION__._Z39paged_attention_ll4mi_QKV_mfma16_kernelIDF16_hLN4vllm18Fp8KVCacheDataTypeE1EhLi32ELi128ELi256ELb0ELi11EEvPKT_PKT0_S7_ifPKiS9_S9_iPKfiiiPfSC_PS2_PT2_iSB_SB_, 610

	.type	__PRETTY_FUNCTION__._Z39paged_attention_ll4mi_QKV_mfma16_kernelIDF16_hLN4vllm18Fp8KVCacheDataTypeE1EhLi32ELi128ELi256ELb0ELi12EEvPKT_PKT0_S7_ifPKiS9_S9_iPKfiiiPfSC_PS2_PT2_iSB_SB_,@object ; @__PRETTY_FUNCTION__._Z39paged_attention_ll4mi_QKV_mfma16_kernelIDF16_hLN4vllm18Fp8KVCacheDataTypeE1EhLi32ELi128ELi256ELb0ELi12EEvPKT_PKT0_S7_ifPKiS9_S9_iPKfiiiPfSC_PS2_PT2_iSB_SB_
__PRETTY_FUNCTION__._Z39paged_attention_ll4mi_QKV_mfma16_kernelIDF16_hLN4vllm18Fp8KVCacheDataTypeE1EhLi32ELi128ELi256ELb0ELi12EEvPKT_PKT0_S7_ifPKiS9_S9_iPKfiiiPfSC_PS2_PT2_iSB_SB_:
	.asciz	"void paged_attention_ll4mi_QKV_mfma16_kernel(const scalar_t *__restrict, const cache_t *__restrict, const cache_t *__restrict, const int, const float, const int *__restrict, const int *__restrict, const int *__restrict, const int, const float *__restrict, const int, const int, const int, float *__restrict, float *__restrict, scalar_t *__restrict, OUTT *__restrict, int, const float *, const float *) [scalar_t = _Float16, cache_t = unsigned char, KV_DTYPE = vllm::Fp8KVCacheDataType::kFp8E4M3, OUTT = unsigned char, BLOCK_SIZE = 32, HEAD_SIZE = 128, NUM_THREADS = 256, ALIBI_ENABLED = false, GQA_RATIO = 12]"
	.size	__PRETTY_FUNCTION__._Z39paged_attention_ll4mi_QKV_mfma16_kernelIDF16_hLN4vllm18Fp8KVCacheDataTypeE1EhLi32ELi128ELi256ELb0ELi12EEvPKT_PKT0_S7_ifPKiS9_S9_iPKfiiiPfSC_PS2_PT2_iSB_SB_, 610

	.type	__PRETTY_FUNCTION__._Z39paged_attention_ll4mi_QKV_mfma16_kernelIDF16_hLN4vllm18Fp8KVCacheDataTypeE1EhLi32ELi128ELi256ELb0ELi13EEvPKT_PKT0_S7_ifPKiS9_S9_iPKfiiiPfSC_PS2_PT2_iSB_SB_,@object ; @__PRETTY_FUNCTION__._Z39paged_attention_ll4mi_QKV_mfma16_kernelIDF16_hLN4vllm18Fp8KVCacheDataTypeE1EhLi32ELi128ELi256ELb0ELi13EEvPKT_PKT0_S7_ifPKiS9_S9_iPKfiiiPfSC_PS2_PT2_iSB_SB_
__PRETTY_FUNCTION__._Z39paged_attention_ll4mi_QKV_mfma16_kernelIDF16_hLN4vllm18Fp8KVCacheDataTypeE1EhLi32ELi128ELi256ELb0ELi13EEvPKT_PKT0_S7_ifPKiS9_S9_iPKfiiiPfSC_PS2_PT2_iSB_SB_:
	.asciz	"void paged_attention_ll4mi_QKV_mfma16_kernel(const scalar_t *__restrict, const cache_t *__restrict, const cache_t *__restrict, const int, const float, const int *__restrict, const int *__restrict, const int *__restrict, const int, const float *__restrict, const int, const int, const int, float *__restrict, float *__restrict, scalar_t *__restrict, OUTT *__restrict, int, const float *, const float *) [scalar_t = _Float16, cache_t = unsigned char, KV_DTYPE = vllm::Fp8KVCacheDataType::kFp8E4M3, OUTT = unsigned char, BLOCK_SIZE = 32, HEAD_SIZE = 128, NUM_THREADS = 256, ALIBI_ENABLED = false, GQA_RATIO = 13]"
	.size	__PRETTY_FUNCTION__._Z39paged_attention_ll4mi_QKV_mfma16_kernelIDF16_hLN4vllm18Fp8KVCacheDataTypeE1EhLi32ELi128ELi256ELb0ELi13EEvPKT_PKT0_S7_ifPKiS9_S9_iPKfiiiPfSC_PS2_PT2_iSB_SB_, 610

	.type	__PRETTY_FUNCTION__._Z39paged_attention_ll4mi_QKV_mfma16_kernelIDF16_hLN4vllm18Fp8KVCacheDataTypeE1EhLi32ELi128ELi256ELb0ELi14EEvPKT_PKT0_S7_ifPKiS9_S9_iPKfiiiPfSC_PS2_PT2_iSB_SB_,@object ; @__PRETTY_FUNCTION__._Z39paged_attention_ll4mi_QKV_mfma16_kernelIDF16_hLN4vllm18Fp8KVCacheDataTypeE1EhLi32ELi128ELi256ELb0ELi14EEvPKT_PKT0_S7_ifPKiS9_S9_iPKfiiiPfSC_PS2_PT2_iSB_SB_
__PRETTY_FUNCTION__._Z39paged_attention_ll4mi_QKV_mfma16_kernelIDF16_hLN4vllm18Fp8KVCacheDataTypeE1EhLi32ELi128ELi256ELb0ELi14EEvPKT_PKT0_S7_ifPKiS9_S9_iPKfiiiPfSC_PS2_PT2_iSB_SB_:
	.asciz	"void paged_attention_ll4mi_QKV_mfma16_kernel(const scalar_t *__restrict, const cache_t *__restrict, const cache_t *__restrict, const int, const float, const int *__restrict, const int *__restrict, const int *__restrict, const int, const float *__restrict, const int, const int, const int, float *__restrict, float *__restrict, scalar_t *__restrict, OUTT *__restrict, int, const float *, const float *) [scalar_t = _Float16, cache_t = unsigned char, KV_DTYPE = vllm::Fp8KVCacheDataType::kFp8E4M3, OUTT = unsigned char, BLOCK_SIZE = 32, HEAD_SIZE = 128, NUM_THREADS = 256, ALIBI_ENABLED = false, GQA_RATIO = 14]"
	.size	__PRETTY_FUNCTION__._Z39paged_attention_ll4mi_QKV_mfma16_kernelIDF16_hLN4vllm18Fp8KVCacheDataTypeE1EhLi32ELi128ELi256ELb0ELi14EEvPKT_PKT0_S7_ifPKiS9_S9_iPKfiiiPfSC_PS2_PT2_iSB_SB_, 610

	.type	__PRETTY_FUNCTION__._Z39paged_attention_ll4mi_QKV_mfma16_kernelIDF16_hLN4vllm18Fp8KVCacheDataTypeE1EhLi32ELi128ELi256ELb0ELi15EEvPKT_PKT0_S7_ifPKiS9_S9_iPKfiiiPfSC_PS2_PT2_iSB_SB_,@object ; @__PRETTY_FUNCTION__._Z39paged_attention_ll4mi_QKV_mfma16_kernelIDF16_hLN4vllm18Fp8KVCacheDataTypeE1EhLi32ELi128ELi256ELb0ELi15EEvPKT_PKT0_S7_ifPKiS9_S9_iPKfiiiPfSC_PS2_PT2_iSB_SB_
__PRETTY_FUNCTION__._Z39paged_attention_ll4mi_QKV_mfma16_kernelIDF16_hLN4vllm18Fp8KVCacheDataTypeE1EhLi32ELi128ELi256ELb0ELi15EEvPKT_PKT0_S7_ifPKiS9_S9_iPKfiiiPfSC_PS2_PT2_iSB_SB_:
	.asciz	"void paged_attention_ll4mi_QKV_mfma16_kernel(const scalar_t *__restrict, const cache_t *__restrict, const cache_t *__restrict, const int, const float, const int *__restrict, const int *__restrict, const int *__restrict, const int, const float *__restrict, const int, const int, const int, float *__restrict, float *__restrict, scalar_t *__restrict, OUTT *__restrict, int, const float *, const float *) [scalar_t = _Float16, cache_t = unsigned char, KV_DTYPE = vllm::Fp8KVCacheDataType::kFp8E4M3, OUTT = unsigned char, BLOCK_SIZE = 32, HEAD_SIZE = 128, NUM_THREADS = 256, ALIBI_ENABLED = false, GQA_RATIO = 15]"
	.size	__PRETTY_FUNCTION__._Z39paged_attention_ll4mi_QKV_mfma16_kernelIDF16_hLN4vllm18Fp8KVCacheDataTypeE1EhLi32ELi128ELi256ELb0ELi15EEvPKT_PKT0_S7_ifPKiS9_S9_iPKfiiiPfSC_PS2_PT2_iSB_SB_, 610

	.type	__PRETTY_FUNCTION__._Z39paged_attention_ll4mi_QKV_mfma16_kernelIDF16_hLN4vllm18Fp8KVCacheDataTypeE1EhLi32ELi128ELi256ELb0ELi16EEvPKT_PKT0_S7_ifPKiS9_S9_iPKfiiiPfSC_PS2_PT2_iSB_SB_,@object ; @__PRETTY_FUNCTION__._Z39paged_attention_ll4mi_QKV_mfma16_kernelIDF16_hLN4vllm18Fp8KVCacheDataTypeE1EhLi32ELi128ELi256ELb0ELi16EEvPKT_PKT0_S7_ifPKiS9_S9_iPKfiiiPfSC_PS2_PT2_iSB_SB_
__PRETTY_FUNCTION__._Z39paged_attention_ll4mi_QKV_mfma16_kernelIDF16_hLN4vllm18Fp8KVCacheDataTypeE1EhLi32ELi128ELi256ELb0ELi16EEvPKT_PKT0_S7_ifPKiS9_S9_iPKfiiiPfSC_PS2_PT2_iSB_SB_:
	.asciz	"void paged_attention_ll4mi_QKV_mfma16_kernel(const scalar_t *__restrict, const cache_t *__restrict, const cache_t *__restrict, const int, const float, const int *__restrict, const int *__restrict, const int *__restrict, const int, const float *__restrict, const int, const int, const int, float *__restrict, float *__restrict, scalar_t *__restrict, OUTT *__restrict, int, const float *, const float *) [scalar_t = _Float16, cache_t = unsigned char, KV_DTYPE = vllm::Fp8KVCacheDataType::kFp8E4M3, OUTT = unsigned char, BLOCK_SIZE = 32, HEAD_SIZE = 128, NUM_THREADS = 256, ALIBI_ENABLED = false, GQA_RATIO = 16]"
	.size	__PRETTY_FUNCTION__._Z39paged_attention_ll4mi_QKV_mfma16_kernelIDF16_hLN4vllm18Fp8KVCacheDataTypeE1EhLi32ELi128ELi256ELb0ELi16EEvPKT_PKT0_S7_ifPKiS9_S9_iPKfiiiPfSC_PS2_PT2_iSB_SB_, 610

	.type	__PRETTY_FUNCTION__._Z39paged_attention_ll4mi_QKV_mfma16_kernelIDF16_hLN4vllm18Fp8KVCacheDataTypeE1EhLi32ELi128ELi256ELb0ELi1EEvPKT_PKT0_S7_ifPKiS9_S9_iPKfiiiPfSC_PS2_PT2_iSB_SB_,@object ; @__PRETTY_FUNCTION__._Z39paged_attention_ll4mi_QKV_mfma16_kernelIDF16_hLN4vllm18Fp8KVCacheDataTypeE1EhLi32ELi128ELi256ELb0ELi1EEvPKT_PKT0_S7_ifPKiS9_S9_iPKfiiiPfSC_PS2_PT2_iSB_SB_
__PRETTY_FUNCTION__._Z39paged_attention_ll4mi_QKV_mfma16_kernelIDF16_hLN4vllm18Fp8KVCacheDataTypeE1EhLi32ELi128ELi256ELb0ELi1EEvPKT_PKT0_S7_ifPKiS9_S9_iPKfiiiPfSC_PS2_PT2_iSB_SB_:
	.asciz	"void paged_attention_ll4mi_QKV_mfma16_kernel(const scalar_t *__restrict, const cache_t *__restrict, const cache_t *__restrict, const int, const float, const int *__restrict, const int *__restrict, const int *__restrict, const int, const float *__restrict, const int, const int, const int, float *__restrict, float *__restrict, scalar_t *__restrict, OUTT *__restrict, int, const float *, const float *) [scalar_t = _Float16, cache_t = unsigned char, KV_DTYPE = vllm::Fp8KVCacheDataType::kFp8E4M3, OUTT = unsigned char, BLOCK_SIZE = 32, HEAD_SIZE = 128, NUM_THREADS = 256, ALIBI_ENABLED = false, GQA_RATIO = 1]"
	.size	__PRETTY_FUNCTION__._Z39paged_attention_ll4mi_QKV_mfma16_kernelIDF16_hLN4vllm18Fp8KVCacheDataTypeE1EhLi32ELi128ELi256ELb0ELi1EEvPKT_PKT0_S7_ifPKiS9_S9_iPKfiiiPfSC_PS2_PT2_iSB_SB_, 609

	.type	__PRETTY_FUNCTION__._Z39paged_attention_ll4mi_QKV_mfma16_kernelIDF16_hLN4vllm18Fp8KVCacheDataTypeE1EhLi32ELi128ELi256ELb0ELi2EEvPKT_PKT0_S7_ifPKiS9_S9_iPKfiiiPfSC_PS2_PT2_iSB_SB_,@object ; @__PRETTY_FUNCTION__._Z39paged_attention_ll4mi_QKV_mfma16_kernelIDF16_hLN4vllm18Fp8KVCacheDataTypeE1EhLi32ELi128ELi256ELb0ELi2EEvPKT_PKT0_S7_ifPKiS9_S9_iPKfiiiPfSC_PS2_PT2_iSB_SB_
__PRETTY_FUNCTION__._Z39paged_attention_ll4mi_QKV_mfma16_kernelIDF16_hLN4vllm18Fp8KVCacheDataTypeE1EhLi32ELi128ELi256ELb0ELi2EEvPKT_PKT0_S7_ifPKiS9_S9_iPKfiiiPfSC_PS2_PT2_iSB_SB_:
	.asciz	"void paged_attention_ll4mi_QKV_mfma16_kernel(const scalar_t *__restrict, const cache_t *__restrict, const cache_t *__restrict, const int, const float, const int *__restrict, const int *__restrict, const int *__restrict, const int, const float *__restrict, const int, const int, const int, float *__restrict, float *__restrict, scalar_t *__restrict, OUTT *__restrict, int, const float *, const float *) [scalar_t = _Float16, cache_t = unsigned char, KV_DTYPE = vllm::Fp8KVCacheDataType::kFp8E4M3, OUTT = unsigned char, BLOCK_SIZE = 32, HEAD_SIZE = 128, NUM_THREADS = 256, ALIBI_ENABLED = false, GQA_RATIO = 2]"
	.size	__PRETTY_FUNCTION__._Z39paged_attention_ll4mi_QKV_mfma16_kernelIDF16_hLN4vllm18Fp8KVCacheDataTypeE1EhLi32ELi128ELi256ELb0ELi2EEvPKT_PKT0_S7_ifPKiS9_S9_iPKfiiiPfSC_PS2_PT2_iSB_SB_, 609

	.type	__PRETTY_FUNCTION__._Z39paged_attention_ll4mi_QKV_mfma16_kernelIDF16_hLN4vllm18Fp8KVCacheDataTypeE1EhLi32ELi128ELi256ELb0ELi3EEvPKT_PKT0_S7_ifPKiS9_S9_iPKfiiiPfSC_PS2_PT2_iSB_SB_,@object ; @__PRETTY_FUNCTION__._Z39paged_attention_ll4mi_QKV_mfma16_kernelIDF16_hLN4vllm18Fp8KVCacheDataTypeE1EhLi32ELi128ELi256ELb0ELi3EEvPKT_PKT0_S7_ifPKiS9_S9_iPKfiiiPfSC_PS2_PT2_iSB_SB_
__PRETTY_FUNCTION__._Z39paged_attention_ll4mi_QKV_mfma16_kernelIDF16_hLN4vllm18Fp8KVCacheDataTypeE1EhLi32ELi128ELi256ELb0ELi3EEvPKT_PKT0_S7_ifPKiS9_S9_iPKfiiiPfSC_PS2_PT2_iSB_SB_:
	.asciz	"void paged_attention_ll4mi_QKV_mfma16_kernel(const scalar_t *__restrict, const cache_t *__restrict, const cache_t *__restrict, const int, const float, const int *__restrict, const int *__restrict, const int *__restrict, const int, const float *__restrict, const int, const int, const int, float *__restrict, float *__restrict, scalar_t *__restrict, OUTT *__restrict, int, const float *, const float *) [scalar_t = _Float16, cache_t = unsigned char, KV_DTYPE = vllm::Fp8KVCacheDataType::kFp8E4M3, OUTT = unsigned char, BLOCK_SIZE = 32, HEAD_SIZE = 128, NUM_THREADS = 256, ALIBI_ENABLED = false, GQA_RATIO = 3]"
	.size	__PRETTY_FUNCTION__._Z39paged_attention_ll4mi_QKV_mfma16_kernelIDF16_hLN4vllm18Fp8KVCacheDataTypeE1EhLi32ELi128ELi256ELb0ELi3EEvPKT_PKT0_S7_ifPKiS9_S9_iPKfiiiPfSC_PS2_PT2_iSB_SB_, 609

	.type	__PRETTY_FUNCTION__._Z39paged_attention_ll4mi_QKV_mfma16_kernelIDF16_hLN4vllm18Fp8KVCacheDataTypeE1EhLi32ELi128ELi256ELb0ELi4EEvPKT_PKT0_S7_ifPKiS9_S9_iPKfiiiPfSC_PS2_PT2_iSB_SB_,@object ; @__PRETTY_FUNCTION__._Z39paged_attention_ll4mi_QKV_mfma16_kernelIDF16_hLN4vllm18Fp8KVCacheDataTypeE1EhLi32ELi128ELi256ELb0ELi4EEvPKT_PKT0_S7_ifPKiS9_S9_iPKfiiiPfSC_PS2_PT2_iSB_SB_
__PRETTY_FUNCTION__._Z39paged_attention_ll4mi_QKV_mfma16_kernelIDF16_hLN4vllm18Fp8KVCacheDataTypeE1EhLi32ELi128ELi256ELb0ELi4EEvPKT_PKT0_S7_ifPKiS9_S9_iPKfiiiPfSC_PS2_PT2_iSB_SB_:
	.asciz	"void paged_attention_ll4mi_QKV_mfma16_kernel(const scalar_t *__restrict, const cache_t *__restrict, const cache_t *__restrict, const int, const float, const int *__restrict, const int *__restrict, const int *__restrict, const int, const float *__restrict, const int, const int, const int, float *__restrict, float *__restrict, scalar_t *__restrict, OUTT *__restrict, int, const float *, const float *) [scalar_t = _Float16, cache_t = unsigned char, KV_DTYPE = vllm::Fp8KVCacheDataType::kFp8E4M3, OUTT = unsigned char, BLOCK_SIZE = 32, HEAD_SIZE = 128, NUM_THREADS = 256, ALIBI_ENABLED = false, GQA_RATIO = 4]"
	.size	__PRETTY_FUNCTION__._Z39paged_attention_ll4mi_QKV_mfma16_kernelIDF16_hLN4vllm18Fp8KVCacheDataTypeE1EhLi32ELi128ELi256ELb0ELi4EEvPKT_PKT0_S7_ifPKiS9_S9_iPKfiiiPfSC_PS2_PT2_iSB_SB_, 609

	.type	__PRETTY_FUNCTION__._Z38paged_attention_ll4mi_QKV_mfma4_kernelIDF16_hLN4vllm18Fp8KVCacheDataTypeE1EDF16_Li32ELi128ELi256ELb1ELi1EEvPKT_PKT0_S7_ifPKiS9_S9_iPKfiiiPfSC_PS2_PT2_iSB_SB_,@object ; @__PRETTY_FUNCTION__._Z38paged_attention_ll4mi_QKV_mfma4_kernelIDF16_hLN4vllm18Fp8KVCacheDataTypeE1EDF16_Li32ELi128ELi256ELb1ELi1EEvPKT_PKT0_S7_ifPKiS9_S9_iPKfiiiPfSC_PS2_PT2_iSB_SB_
__PRETTY_FUNCTION__._Z38paged_attention_ll4mi_QKV_mfma4_kernelIDF16_hLN4vllm18Fp8KVCacheDataTypeE1EDF16_Li32ELi128ELi256ELb1ELi1EEvPKT_PKT0_S7_ifPKiS9_S9_iPKfiiiPfSC_PS2_PT2_iSB_SB_:
	.asciz	"void paged_attention_ll4mi_QKV_mfma4_kernel(const scalar_t *__restrict, const cache_t *__restrict, const cache_t *__restrict, const int, const float, const int *__restrict, const int *__restrict, const int *__restrict, const int, const float *__restrict, const int, const int, const int, float *__restrict, float *__restrict, scalar_t *__restrict, OUTT *__restrict, int, const float *, const float *) [scalar_t = _Float16, cache_t = unsigned char, KV_DTYPE = vllm::Fp8KVCacheDataType::kFp8E4M3, OUTT = _Float16, BLOCK_SIZE = 32, HEAD_SIZE = 128, NUM_THREADS = 256, ALIBI_ENABLED = true, GQA_RATIO = 1]"
	.size	__PRETTY_FUNCTION__._Z38paged_attention_ll4mi_QKV_mfma4_kernelIDF16_hLN4vllm18Fp8KVCacheDataTypeE1EDF16_Li32ELi128ELi256ELb1ELi1EEvPKT_PKT0_S7_ifPKiS9_S9_iPKfiiiPfSC_PS2_PT2_iSB_SB_, 602

	.type	__PRETTY_FUNCTION__._Z38paged_attention_ll4mi_QKV_mfma4_kernelIDF16_hLN4vllm18Fp8KVCacheDataTypeE1EDF16_Li32ELi128ELi256ELb1ELi2EEvPKT_PKT0_S7_ifPKiS9_S9_iPKfiiiPfSC_PS2_PT2_iSB_SB_,@object ; @__PRETTY_FUNCTION__._Z38paged_attention_ll4mi_QKV_mfma4_kernelIDF16_hLN4vllm18Fp8KVCacheDataTypeE1EDF16_Li32ELi128ELi256ELb1ELi2EEvPKT_PKT0_S7_ifPKiS9_S9_iPKfiiiPfSC_PS2_PT2_iSB_SB_
__PRETTY_FUNCTION__._Z38paged_attention_ll4mi_QKV_mfma4_kernelIDF16_hLN4vllm18Fp8KVCacheDataTypeE1EDF16_Li32ELi128ELi256ELb1ELi2EEvPKT_PKT0_S7_ifPKiS9_S9_iPKfiiiPfSC_PS2_PT2_iSB_SB_:
	.asciz	"void paged_attention_ll4mi_QKV_mfma4_kernel(const scalar_t *__restrict, const cache_t *__restrict, const cache_t *__restrict, const int, const float, const int *__restrict, const int *__restrict, const int *__restrict, const int, const float *__restrict, const int, const int, const int, float *__restrict, float *__restrict, scalar_t *__restrict, OUTT *__restrict, int, const float *, const float *) [scalar_t = _Float16, cache_t = unsigned char, KV_DTYPE = vllm::Fp8KVCacheDataType::kFp8E4M3, OUTT = _Float16, BLOCK_SIZE = 32, HEAD_SIZE = 128, NUM_THREADS = 256, ALIBI_ENABLED = true, GQA_RATIO = 2]"
	.size	__PRETTY_FUNCTION__._Z38paged_attention_ll4mi_QKV_mfma4_kernelIDF16_hLN4vllm18Fp8KVCacheDataTypeE1EDF16_Li32ELi128ELi256ELb1ELi2EEvPKT_PKT0_S7_ifPKiS9_S9_iPKfiiiPfSC_PS2_PT2_iSB_SB_, 602

	.type	__PRETTY_FUNCTION__._Z38paged_attention_ll4mi_QKV_mfma4_kernelIDF16_hLN4vllm18Fp8KVCacheDataTypeE1EDF16_Li32ELi128ELi256ELb1ELi3EEvPKT_PKT0_S7_ifPKiS9_S9_iPKfiiiPfSC_PS2_PT2_iSB_SB_,@object ; @__PRETTY_FUNCTION__._Z38paged_attention_ll4mi_QKV_mfma4_kernelIDF16_hLN4vllm18Fp8KVCacheDataTypeE1EDF16_Li32ELi128ELi256ELb1ELi3EEvPKT_PKT0_S7_ifPKiS9_S9_iPKfiiiPfSC_PS2_PT2_iSB_SB_
__PRETTY_FUNCTION__._Z38paged_attention_ll4mi_QKV_mfma4_kernelIDF16_hLN4vllm18Fp8KVCacheDataTypeE1EDF16_Li32ELi128ELi256ELb1ELi3EEvPKT_PKT0_S7_ifPKiS9_S9_iPKfiiiPfSC_PS2_PT2_iSB_SB_:
	.asciz	"void paged_attention_ll4mi_QKV_mfma4_kernel(const scalar_t *__restrict, const cache_t *__restrict, const cache_t *__restrict, const int, const float, const int *__restrict, const int *__restrict, const int *__restrict, const int, const float *__restrict, const int, const int, const int, float *__restrict, float *__restrict, scalar_t *__restrict, OUTT *__restrict, int, const float *, const float *) [scalar_t = _Float16, cache_t = unsigned char, KV_DTYPE = vllm::Fp8KVCacheDataType::kFp8E4M3, OUTT = _Float16, BLOCK_SIZE = 32, HEAD_SIZE = 128, NUM_THREADS = 256, ALIBI_ENABLED = true, GQA_RATIO = 3]"
	.size	__PRETTY_FUNCTION__._Z38paged_attention_ll4mi_QKV_mfma4_kernelIDF16_hLN4vllm18Fp8KVCacheDataTypeE1EDF16_Li32ELi128ELi256ELb1ELi3EEvPKT_PKT0_S7_ifPKiS9_S9_iPKfiiiPfSC_PS2_PT2_iSB_SB_, 602

	.type	__PRETTY_FUNCTION__._Z38paged_attention_ll4mi_QKV_mfma4_kernelIDF16_hLN4vllm18Fp8KVCacheDataTypeE1EDF16_Li32ELi128ELi256ELb1ELi4EEvPKT_PKT0_S7_ifPKiS9_S9_iPKfiiiPfSC_PS2_PT2_iSB_SB_,@object ; @__PRETTY_FUNCTION__._Z38paged_attention_ll4mi_QKV_mfma4_kernelIDF16_hLN4vllm18Fp8KVCacheDataTypeE1EDF16_Li32ELi128ELi256ELb1ELi4EEvPKT_PKT0_S7_ifPKiS9_S9_iPKfiiiPfSC_PS2_PT2_iSB_SB_
__PRETTY_FUNCTION__._Z38paged_attention_ll4mi_QKV_mfma4_kernelIDF16_hLN4vllm18Fp8KVCacheDataTypeE1EDF16_Li32ELi128ELi256ELb1ELi4EEvPKT_PKT0_S7_ifPKiS9_S9_iPKfiiiPfSC_PS2_PT2_iSB_SB_:
	.asciz	"void paged_attention_ll4mi_QKV_mfma4_kernel(const scalar_t *__restrict, const cache_t *__restrict, const cache_t *__restrict, const int, const float, const int *__restrict, const int *__restrict, const int *__restrict, const int, const float *__restrict, const int, const int, const int, float *__restrict, float *__restrict, scalar_t *__restrict, OUTT *__restrict, int, const float *, const float *) [scalar_t = _Float16, cache_t = unsigned char, KV_DTYPE = vllm::Fp8KVCacheDataType::kFp8E4M3, OUTT = _Float16, BLOCK_SIZE = 32, HEAD_SIZE = 128, NUM_THREADS = 256, ALIBI_ENABLED = true, GQA_RATIO = 4]"
	.size	__PRETTY_FUNCTION__._Z38paged_attention_ll4mi_QKV_mfma4_kernelIDF16_hLN4vllm18Fp8KVCacheDataTypeE1EDF16_Li32ELi128ELi256ELb1ELi4EEvPKT_PKT0_S7_ifPKiS9_S9_iPKfiiiPfSC_PS2_PT2_iSB_SB_, 602

	.type	__PRETTY_FUNCTION__._Z39paged_attention_ll4mi_QKV_mfma16_kernelIDF16_hLN4vllm18Fp8KVCacheDataTypeE1EDF16_Li32ELi128ELi256ELb1ELi5EEvPKT_PKT0_S7_ifPKiS9_S9_iPKfiiiPfSC_PS2_PT2_iSB_SB_,@object ; @__PRETTY_FUNCTION__._Z39paged_attention_ll4mi_QKV_mfma16_kernelIDF16_hLN4vllm18Fp8KVCacheDataTypeE1EDF16_Li32ELi128ELi256ELb1ELi5EEvPKT_PKT0_S7_ifPKiS9_S9_iPKfiiiPfSC_PS2_PT2_iSB_SB_
__PRETTY_FUNCTION__._Z39paged_attention_ll4mi_QKV_mfma16_kernelIDF16_hLN4vllm18Fp8KVCacheDataTypeE1EDF16_Li32ELi128ELi256ELb1ELi5EEvPKT_PKT0_S7_ifPKiS9_S9_iPKfiiiPfSC_PS2_PT2_iSB_SB_:
	.asciz	"void paged_attention_ll4mi_QKV_mfma16_kernel(const scalar_t *__restrict, const cache_t *__restrict, const cache_t *__restrict, const int, const float, const int *__restrict, const int *__restrict, const int *__restrict, const int, const float *__restrict, const int, const int, const int, float *__restrict, float *__restrict, scalar_t *__restrict, OUTT *__restrict, int, const float *, const float *) [scalar_t = _Float16, cache_t = unsigned char, KV_DTYPE = vllm::Fp8KVCacheDataType::kFp8E4M3, OUTT = _Float16, BLOCK_SIZE = 32, HEAD_SIZE = 128, NUM_THREADS = 256, ALIBI_ENABLED = true, GQA_RATIO = 5]"
	.size	__PRETTY_FUNCTION__._Z39paged_attention_ll4mi_QKV_mfma16_kernelIDF16_hLN4vllm18Fp8KVCacheDataTypeE1EDF16_Li32ELi128ELi256ELb1ELi5EEvPKT_PKT0_S7_ifPKiS9_S9_iPKfiiiPfSC_PS2_PT2_iSB_SB_, 603

	.type	__PRETTY_FUNCTION__._Z39paged_attention_ll4mi_QKV_mfma16_kernelIDF16_hLN4vllm18Fp8KVCacheDataTypeE1EDF16_Li32ELi128ELi256ELb1ELi6EEvPKT_PKT0_S7_ifPKiS9_S9_iPKfiiiPfSC_PS2_PT2_iSB_SB_,@object ; @__PRETTY_FUNCTION__._Z39paged_attention_ll4mi_QKV_mfma16_kernelIDF16_hLN4vllm18Fp8KVCacheDataTypeE1EDF16_Li32ELi128ELi256ELb1ELi6EEvPKT_PKT0_S7_ifPKiS9_S9_iPKfiiiPfSC_PS2_PT2_iSB_SB_
__PRETTY_FUNCTION__._Z39paged_attention_ll4mi_QKV_mfma16_kernelIDF16_hLN4vllm18Fp8KVCacheDataTypeE1EDF16_Li32ELi128ELi256ELb1ELi6EEvPKT_PKT0_S7_ifPKiS9_S9_iPKfiiiPfSC_PS2_PT2_iSB_SB_:
	.asciz	"void paged_attention_ll4mi_QKV_mfma16_kernel(const scalar_t *__restrict, const cache_t *__restrict, const cache_t *__restrict, const int, const float, const int *__restrict, const int *__restrict, const int *__restrict, const int, const float *__restrict, const int, const int, const int, float *__restrict, float *__restrict, scalar_t *__restrict, OUTT *__restrict, int, const float *, const float *) [scalar_t = _Float16, cache_t = unsigned char, KV_DTYPE = vllm::Fp8KVCacheDataType::kFp8E4M3, OUTT = _Float16, BLOCK_SIZE = 32, HEAD_SIZE = 128, NUM_THREADS = 256, ALIBI_ENABLED = true, GQA_RATIO = 6]"
	.size	__PRETTY_FUNCTION__._Z39paged_attention_ll4mi_QKV_mfma16_kernelIDF16_hLN4vllm18Fp8KVCacheDataTypeE1EDF16_Li32ELi128ELi256ELb1ELi6EEvPKT_PKT0_S7_ifPKiS9_S9_iPKfiiiPfSC_PS2_PT2_iSB_SB_, 603

	.type	__PRETTY_FUNCTION__._Z39paged_attention_ll4mi_QKV_mfma16_kernelIDF16_hLN4vllm18Fp8KVCacheDataTypeE1EDF16_Li32ELi128ELi256ELb1ELi7EEvPKT_PKT0_S7_ifPKiS9_S9_iPKfiiiPfSC_PS2_PT2_iSB_SB_,@object ; @__PRETTY_FUNCTION__._Z39paged_attention_ll4mi_QKV_mfma16_kernelIDF16_hLN4vllm18Fp8KVCacheDataTypeE1EDF16_Li32ELi128ELi256ELb1ELi7EEvPKT_PKT0_S7_ifPKiS9_S9_iPKfiiiPfSC_PS2_PT2_iSB_SB_
__PRETTY_FUNCTION__._Z39paged_attention_ll4mi_QKV_mfma16_kernelIDF16_hLN4vllm18Fp8KVCacheDataTypeE1EDF16_Li32ELi128ELi256ELb1ELi7EEvPKT_PKT0_S7_ifPKiS9_S9_iPKfiiiPfSC_PS2_PT2_iSB_SB_:
	.asciz	"void paged_attention_ll4mi_QKV_mfma16_kernel(const scalar_t *__restrict, const cache_t *__restrict, const cache_t *__restrict, const int, const float, const int *__restrict, const int *__restrict, const int *__restrict, const int, const float *__restrict, const int, const int, const int, float *__restrict, float *__restrict, scalar_t *__restrict, OUTT *__restrict, int, const float *, const float *) [scalar_t = _Float16, cache_t = unsigned char, KV_DTYPE = vllm::Fp8KVCacheDataType::kFp8E4M3, OUTT = _Float16, BLOCK_SIZE = 32, HEAD_SIZE = 128, NUM_THREADS = 256, ALIBI_ENABLED = true, GQA_RATIO = 7]"
	.size	__PRETTY_FUNCTION__._Z39paged_attention_ll4mi_QKV_mfma16_kernelIDF16_hLN4vllm18Fp8KVCacheDataTypeE1EDF16_Li32ELi128ELi256ELb1ELi7EEvPKT_PKT0_S7_ifPKiS9_S9_iPKfiiiPfSC_PS2_PT2_iSB_SB_, 603

	.type	__PRETTY_FUNCTION__._Z39paged_attention_ll4mi_QKV_mfma16_kernelIDF16_hLN4vllm18Fp8KVCacheDataTypeE1EDF16_Li32ELi128ELi256ELb1ELi8EEvPKT_PKT0_S7_ifPKiS9_S9_iPKfiiiPfSC_PS2_PT2_iSB_SB_,@object ; @__PRETTY_FUNCTION__._Z39paged_attention_ll4mi_QKV_mfma16_kernelIDF16_hLN4vllm18Fp8KVCacheDataTypeE1EDF16_Li32ELi128ELi256ELb1ELi8EEvPKT_PKT0_S7_ifPKiS9_S9_iPKfiiiPfSC_PS2_PT2_iSB_SB_
__PRETTY_FUNCTION__._Z39paged_attention_ll4mi_QKV_mfma16_kernelIDF16_hLN4vllm18Fp8KVCacheDataTypeE1EDF16_Li32ELi128ELi256ELb1ELi8EEvPKT_PKT0_S7_ifPKiS9_S9_iPKfiiiPfSC_PS2_PT2_iSB_SB_:
	.asciz	"void paged_attention_ll4mi_QKV_mfma16_kernel(const scalar_t *__restrict, const cache_t *__restrict, const cache_t *__restrict, const int, const float, const int *__restrict, const int *__restrict, const int *__restrict, const int, const float *__restrict, const int, const int, const int, float *__restrict, float *__restrict, scalar_t *__restrict, OUTT *__restrict, int, const float *, const float *) [scalar_t = _Float16, cache_t = unsigned char, KV_DTYPE = vllm::Fp8KVCacheDataType::kFp8E4M3, OUTT = _Float16, BLOCK_SIZE = 32, HEAD_SIZE = 128, NUM_THREADS = 256, ALIBI_ENABLED = true, GQA_RATIO = 8]"
	.size	__PRETTY_FUNCTION__._Z39paged_attention_ll4mi_QKV_mfma16_kernelIDF16_hLN4vllm18Fp8KVCacheDataTypeE1EDF16_Li32ELi128ELi256ELb1ELi8EEvPKT_PKT0_S7_ifPKiS9_S9_iPKfiiiPfSC_PS2_PT2_iSB_SB_, 603

	.type	__PRETTY_FUNCTION__._Z39paged_attention_ll4mi_QKV_mfma16_kernelIDF16_hLN4vllm18Fp8KVCacheDataTypeE1EDF16_Li32ELi128ELi256ELb1ELi9EEvPKT_PKT0_S7_ifPKiS9_S9_iPKfiiiPfSC_PS2_PT2_iSB_SB_,@object ; @__PRETTY_FUNCTION__._Z39paged_attention_ll4mi_QKV_mfma16_kernelIDF16_hLN4vllm18Fp8KVCacheDataTypeE1EDF16_Li32ELi128ELi256ELb1ELi9EEvPKT_PKT0_S7_ifPKiS9_S9_iPKfiiiPfSC_PS2_PT2_iSB_SB_
__PRETTY_FUNCTION__._Z39paged_attention_ll4mi_QKV_mfma16_kernelIDF16_hLN4vllm18Fp8KVCacheDataTypeE1EDF16_Li32ELi128ELi256ELb1ELi9EEvPKT_PKT0_S7_ifPKiS9_S9_iPKfiiiPfSC_PS2_PT2_iSB_SB_:
	.asciz	"void paged_attention_ll4mi_QKV_mfma16_kernel(const scalar_t *__restrict, const cache_t *__restrict, const cache_t *__restrict, const int, const float, const int *__restrict, const int *__restrict, const int *__restrict, const int, const float *__restrict, const int, const int, const int, float *__restrict, float *__restrict, scalar_t *__restrict, OUTT *__restrict, int, const float *, const float *) [scalar_t = _Float16, cache_t = unsigned char, KV_DTYPE = vllm::Fp8KVCacheDataType::kFp8E4M3, OUTT = _Float16, BLOCK_SIZE = 32, HEAD_SIZE = 128, NUM_THREADS = 256, ALIBI_ENABLED = true, GQA_RATIO = 9]"
	.size	__PRETTY_FUNCTION__._Z39paged_attention_ll4mi_QKV_mfma16_kernelIDF16_hLN4vllm18Fp8KVCacheDataTypeE1EDF16_Li32ELi128ELi256ELb1ELi9EEvPKT_PKT0_S7_ifPKiS9_S9_iPKfiiiPfSC_PS2_PT2_iSB_SB_, 603

	.type	__PRETTY_FUNCTION__._Z39paged_attention_ll4mi_QKV_mfma16_kernelIDF16_hLN4vllm18Fp8KVCacheDataTypeE1EDF16_Li32ELi128ELi256ELb1ELi10EEvPKT_PKT0_S7_ifPKiS9_S9_iPKfiiiPfSC_PS2_PT2_iSB_SB_,@object ; @__PRETTY_FUNCTION__._Z39paged_attention_ll4mi_QKV_mfma16_kernelIDF16_hLN4vllm18Fp8KVCacheDataTypeE1EDF16_Li32ELi128ELi256ELb1ELi10EEvPKT_PKT0_S7_ifPKiS9_S9_iPKfiiiPfSC_PS2_PT2_iSB_SB_
__PRETTY_FUNCTION__._Z39paged_attention_ll4mi_QKV_mfma16_kernelIDF16_hLN4vllm18Fp8KVCacheDataTypeE1EDF16_Li32ELi128ELi256ELb1ELi10EEvPKT_PKT0_S7_ifPKiS9_S9_iPKfiiiPfSC_PS2_PT2_iSB_SB_:
	.asciz	"void paged_attention_ll4mi_QKV_mfma16_kernel(const scalar_t *__restrict, const cache_t *__restrict, const cache_t *__restrict, const int, const float, const int *__restrict, const int *__restrict, const int *__restrict, const int, const float *__restrict, const int, const int, const int, float *__restrict, float *__restrict, scalar_t *__restrict, OUTT *__restrict, int, const float *, const float *) [scalar_t = _Float16, cache_t = unsigned char, KV_DTYPE = vllm::Fp8KVCacheDataType::kFp8E4M3, OUTT = _Float16, BLOCK_SIZE = 32, HEAD_SIZE = 128, NUM_THREADS = 256, ALIBI_ENABLED = true, GQA_RATIO = 10]"
	.size	__PRETTY_FUNCTION__._Z39paged_attention_ll4mi_QKV_mfma16_kernelIDF16_hLN4vllm18Fp8KVCacheDataTypeE1EDF16_Li32ELi128ELi256ELb1ELi10EEvPKT_PKT0_S7_ifPKiS9_S9_iPKfiiiPfSC_PS2_PT2_iSB_SB_, 604

	.type	__PRETTY_FUNCTION__._Z39paged_attention_ll4mi_QKV_mfma16_kernelIDF16_hLN4vllm18Fp8KVCacheDataTypeE1EDF16_Li32ELi128ELi256ELb1ELi11EEvPKT_PKT0_S7_ifPKiS9_S9_iPKfiiiPfSC_PS2_PT2_iSB_SB_,@object ; @__PRETTY_FUNCTION__._Z39paged_attention_ll4mi_QKV_mfma16_kernelIDF16_hLN4vllm18Fp8KVCacheDataTypeE1EDF16_Li32ELi128ELi256ELb1ELi11EEvPKT_PKT0_S7_ifPKiS9_S9_iPKfiiiPfSC_PS2_PT2_iSB_SB_
__PRETTY_FUNCTION__._Z39paged_attention_ll4mi_QKV_mfma16_kernelIDF16_hLN4vllm18Fp8KVCacheDataTypeE1EDF16_Li32ELi128ELi256ELb1ELi11EEvPKT_PKT0_S7_ifPKiS9_S9_iPKfiiiPfSC_PS2_PT2_iSB_SB_:
	.asciz	"void paged_attention_ll4mi_QKV_mfma16_kernel(const scalar_t *__restrict, const cache_t *__restrict, const cache_t *__restrict, const int, const float, const int *__restrict, const int *__restrict, const int *__restrict, const int, const float *__restrict, const int, const int, const int, float *__restrict, float *__restrict, scalar_t *__restrict, OUTT *__restrict, int, const float *, const float *) [scalar_t = _Float16, cache_t = unsigned char, KV_DTYPE = vllm::Fp8KVCacheDataType::kFp8E4M3, OUTT = _Float16, BLOCK_SIZE = 32, HEAD_SIZE = 128, NUM_THREADS = 256, ALIBI_ENABLED = true, GQA_RATIO = 11]"
	.size	__PRETTY_FUNCTION__._Z39paged_attention_ll4mi_QKV_mfma16_kernelIDF16_hLN4vllm18Fp8KVCacheDataTypeE1EDF16_Li32ELi128ELi256ELb1ELi11EEvPKT_PKT0_S7_ifPKiS9_S9_iPKfiiiPfSC_PS2_PT2_iSB_SB_, 604

	.type	__PRETTY_FUNCTION__._Z39paged_attention_ll4mi_QKV_mfma16_kernelIDF16_hLN4vllm18Fp8KVCacheDataTypeE1EDF16_Li32ELi128ELi256ELb1ELi12EEvPKT_PKT0_S7_ifPKiS9_S9_iPKfiiiPfSC_PS2_PT2_iSB_SB_,@object ; @__PRETTY_FUNCTION__._Z39paged_attention_ll4mi_QKV_mfma16_kernelIDF16_hLN4vllm18Fp8KVCacheDataTypeE1EDF16_Li32ELi128ELi256ELb1ELi12EEvPKT_PKT0_S7_ifPKiS9_S9_iPKfiiiPfSC_PS2_PT2_iSB_SB_
__PRETTY_FUNCTION__._Z39paged_attention_ll4mi_QKV_mfma16_kernelIDF16_hLN4vllm18Fp8KVCacheDataTypeE1EDF16_Li32ELi128ELi256ELb1ELi12EEvPKT_PKT0_S7_ifPKiS9_S9_iPKfiiiPfSC_PS2_PT2_iSB_SB_:
	.asciz	"void paged_attention_ll4mi_QKV_mfma16_kernel(const scalar_t *__restrict, const cache_t *__restrict, const cache_t *__restrict, const int, const float, const int *__restrict, const int *__restrict, const int *__restrict, const int, const float *__restrict, const int, const int, const int, float *__restrict, float *__restrict, scalar_t *__restrict, OUTT *__restrict, int, const float *, const float *) [scalar_t = _Float16, cache_t = unsigned char, KV_DTYPE = vllm::Fp8KVCacheDataType::kFp8E4M3, OUTT = _Float16, BLOCK_SIZE = 32, HEAD_SIZE = 128, NUM_THREADS = 256, ALIBI_ENABLED = true, GQA_RATIO = 12]"
	.size	__PRETTY_FUNCTION__._Z39paged_attention_ll4mi_QKV_mfma16_kernelIDF16_hLN4vllm18Fp8KVCacheDataTypeE1EDF16_Li32ELi128ELi256ELb1ELi12EEvPKT_PKT0_S7_ifPKiS9_S9_iPKfiiiPfSC_PS2_PT2_iSB_SB_, 604

	.type	__PRETTY_FUNCTION__._Z39paged_attention_ll4mi_QKV_mfma16_kernelIDF16_hLN4vllm18Fp8KVCacheDataTypeE1EDF16_Li32ELi128ELi256ELb1ELi13EEvPKT_PKT0_S7_ifPKiS9_S9_iPKfiiiPfSC_PS2_PT2_iSB_SB_,@object ; @__PRETTY_FUNCTION__._Z39paged_attention_ll4mi_QKV_mfma16_kernelIDF16_hLN4vllm18Fp8KVCacheDataTypeE1EDF16_Li32ELi128ELi256ELb1ELi13EEvPKT_PKT0_S7_ifPKiS9_S9_iPKfiiiPfSC_PS2_PT2_iSB_SB_
__PRETTY_FUNCTION__._Z39paged_attention_ll4mi_QKV_mfma16_kernelIDF16_hLN4vllm18Fp8KVCacheDataTypeE1EDF16_Li32ELi128ELi256ELb1ELi13EEvPKT_PKT0_S7_ifPKiS9_S9_iPKfiiiPfSC_PS2_PT2_iSB_SB_:
	.asciz	"void paged_attention_ll4mi_QKV_mfma16_kernel(const scalar_t *__restrict, const cache_t *__restrict, const cache_t *__restrict, const int, const float, const int *__restrict, const int *__restrict, const int *__restrict, const int, const float *__restrict, const int, const int, const int, float *__restrict, float *__restrict, scalar_t *__restrict, OUTT *__restrict, int, const float *, const float *) [scalar_t = _Float16, cache_t = unsigned char, KV_DTYPE = vllm::Fp8KVCacheDataType::kFp8E4M3, OUTT = _Float16, BLOCK_SIZE = 32, HEAD_SIZE = 128, NUM_THREADS = 256, ALIBI_ENABLED = true, GQA_RATIO = 13]"
	.size	__PRETTY_FUNCTION__._Z39paged_attention_ll4mi_QKV_mfma16_kernelIDF16_hLN4vllm18Fp8KVCacheDataTypeE1EDF16_Li32ELi128ELi256ELb1ELi13EEvPKT_PKT0_S7_ifPKiS9_S9_iPKfiiiPfSC_PS2_PT2_iSB_SB_, 604

	.type	__PRETTY_FUNCTION__._Z39paged_attention_ll4mi_QKV_mfma16_kernelIDF16_hLN4vllm18Fp8KVCacheDataTypeE1EDF16_Li32ELi128ELi256ELb1ELi14EEvPKT_PKT0_S7_ifPKiS9_S9_iPKfiiiPfSC_PS2_PT2_iSB_SB_,@object ; @__PRETTY_FUNCTION__._Z39paged_attention_ll4mi_QKV_mfma16_kernelIDF16_hLN4vllm18Fp8KVCacheDataTypeE1EDF16_Li32ELi128ELi256ELb1ELi14EEvPKT_PKT0_S7_ifPKiS9_S9_iPKfiiiPfSC_PS2_PT2_iSB_SB_
__PRETTY_FUNCTION__._Z39paged_attention_ll4mi_QKV_mfma16_kernelIDF16_hLN4vllm18Fp8KVCacheDataTypeE1EDF16_Li32ELi128ELi256ELb1ELi14EEvPKT_PKT0_S7_ifPKiS9_S9_iPKfiiiPfSC_PS2_PT2_iSB_SB_:
	.asciz	"void paged_attention_ll4mi_QKV_mfma16_kernel(const scalar_t *__restrict, const cache_t *__restrict, const cache_t *__restrict, const int, const float, const int *__restrict, const int *__restrict, const int *__restrict, const int, const float *__restrict, const int, const int, const int, float *__restrict, float *__restrict, scalar_t *__restrict, OUTT *__restrict, int, const float *, const float *) [scalar_t = _Float16, cache_t = unsigned char, KV_DTYPE = vllm::Fp8KVCacheDataType::kFp8E4M3, OUTT = _Float16, BLOCK_SIZE = 32, HEAD_SIZE = 128, NUM_THREADS = 256, ALIBI_ENABLED = true, GQA_RATIO = 14]"
	.size	__PRETTY_FUNCTION__._Z39paged_attention_ll4mi_QKV_mfma16_kernelIDF16_hLN4vllm18Fp8KVCacheDataTypeE1EDF16_Li32ELi128ELi256ELb1ELi14EEvPKT_PKT0_S7_ifPKiS9_S9_iPKfiiiPfSC_PS2_PT2_iSB_SB_, 604

	.type	__PRETTY_FUNCTION__._Z39paged_attention_ll4mi_QKV_mfma16_kernelIDF16_hLN4vllm18Fp8KVCacheDataTypeE1EDF16_Li32ELi128ELi256ELb1ELi15EEvPKT_PKT0_S7_ifPKiS9_S9_iPKfiiiPfSC_PS2_PT2_iSB_SB_,@object ; @__PRETTY_FUNCTION__._Z39paged_attention_ll4mi_QKV_mfma16_kernelIDF16_hLN4vllm18Fp8KVCacheDataTypeE1EDF16_Li32ELi128ELi256ELb1ELi15EEvPKT_PKT0_S7_ifPKiS9_S9_iPKfiiiPfSC_PS2_PT2_iSB_SB_
__PRETTY_FUNCTION__._Z39paged_attention_ll4mi_QKV_mfma16_kernelIDF16_hLN4vllm18Fp8KVCacheDataTypeE1EDF16_Li32ELi128ELi256ELb1ELi15EEvPKT_PKT0_S7_ifPKiS9_S9_iPKfiiiPfSC_PS2_PT2_iSB_SB_:
	.asciz	"void paged_attention_ll4mi_QKV_mfma16_kernel(const scalar_t *__restrict, const cache_t *__restrict, const cache_t *__restrict, const int, const float, const int *__restrict, const int *__restrict, const int *__restrict, const int, const float *__restrict, const int, const int, const int, float *__restrict, float *__restrict, scalar_t *__restrict, OUTT *__restrict, int, const float *, const float *) [scalar_t = _Float16, cache_t = unsigned char, KV_DTYPE = vllm::Fp8KVCacheDataType::kFp8E4M3, OUTT = _Float16, BLOCK_SIZE = 32, HEAD_SIZE = 128, NUM_THREADS = 256, ALIBI_ENABLED = true, GQA_RATIO = 15]"
	.size	__PRETTY_FUNCTION__._Z39paged_attention_ll4mi_QKV_mfma16_kernelIDF16_hLN4vllm18Fp8KVCacheDataTypeE1EDF16_Li32ELi128ELi256ELb1ELi15EEvPKT_PKT0_S7_ifPKiS9_S9_iPKfiiiPfSC_PS2_PT2_iSB_SB_, 604

	.type	__PRETTY_FUNCTION__._Z39paged_attention_ll4mi_QKV_mfma16_kernelIDF16_hLN4vllm18Fp8KVCacheDataTypeE1EDF16_Li32ELi128ELi256ELb1ELi16EEvPKT_PKT0_S7_ifPKiS9_S9_iPKfiiiPfSC_PS2_PT2_iSB_SB_,@object ; @__PRETTY_FUNCTION__._Z39paged_attention_ll4mi_QKV_mfma16_kernelIDF16_hLN4vllm18Fp8KVCacheDataTypeE1EDF16_Li32ELi128ELi256ELb1ELi16EEvPKT_PKT0_S7_ifPKiS9_S9_iPKfiiiPfSC_PS2_PT2_iSB_SB_
__PRETTY_FUNCTION__._Z39paged_attention_ll4mi_QKV_mfma16_kernelIDF16_hLN4vllm18Fp8KVCacheDataTypeE1EDF16_Li32ELi128ELi256ELb1ELi16EEvPKT_PKT0_S7_ifPKiS9_S9_iPKfiiiPfSC_PS2_PT2_iSB_SB_:
	.asciz	"void paged_attention_ll4mi_QKV_mfma16_kernel(const scalar_t *__restrict, const cache_t *__restrict, const cache_t *__restrict, const int, const float, const int *__restrict, const int *__restrict, const int *__restrict, const int, const float *__restrict, const int, const int, const int, float *__restrict, float *__restrict, scalar_t *__restrict, OUTT *__restrict, int, const float *, const float *) [scalar_t = _Float16, cache_t = unsigned char, KV_DTYPE = vllm::Fp8KVCacheDataType::kFp8E4M3, OUTT = _Float16, BLOCK_SIZE = 32, HEAD_SIZE = 128, NUM_THREADS = 256, ALIBI_ENABLED = true, GQA_RATIO = 16]"
	.size	__PRETTY_FUNCTION__._Z39paged_attention_ll4mi_QKV_mfma16_kernelIDF16_hLN4vllm18Fp8KVCacheDataTypeE1EDF16_Li32ELi128ELi256ELb1ELi16EEvPKT_PKT0_S7_ifPKiS9_S9_iPKfiiiPfSC_PS2_PT2_iSB_SB_, 604

	.type	__PRETTY_FUNCTION__._Z39paged_attention_ll4mi_QKV_mfma16_kernelIDF16_hLN4vllm18Fp8KVCacheDataTypeE1EDF16_Li32ELi128ELi256ELb1ELi1EEvPKT_PKT0_S7_ifPKiS9_S9_iPKfiiiPfSC_PS2_PT2_iSB_SB_,@object ; @__PRETTY_FUNCTION__._Z39paged_attention_ll4mi_QKV_mfma16_kernelIDF16_hLN4vllm18Fp8KVCacheDataTypeE1EDF16_Li32ELi128ELi256ELb1ELi1EEvPKT_PKT0_S7_ifPKiS9_S9_iPKfiiiPfSC_PS2_PT2_iSB_SB_
__PRETTY_FUNCTION__._Z39paged_attention_ll4mi_QKV_mfma16_kernelIDF16_hLN4vllm18Fp8KVCacheDataTypeE1EDF16_Li32ELi128ELi256ELb1ELi1EEvPKT_PKT0_S7_ifPKiS9_S9_iPKfiiiPfSC_PS2_PT2_iSB_SB_:
	.asciz	"void paged_attention_ll4mi_QKV_mfma16_kernel(const scalar_t *__restrict, const cache_t *__restrict, const cache_t *__restrict, const int, const float, const int *__restrict, const int *__restrict, const int *__restrict, const int, const float *__restrict, const int, const int, const int, float *__restrict, float *__restrict, scalar_t *__restrict, OUTT *__restrict, int, const float *, const float *) [scalar_t = _Float16, cache_t = unsigned char, KV_DTYPE = vllm::Fp8KVCacheDataType::kFp8E4M3, OUTT = _Float16, BLOCK_SIZE = 32, HEAD_SIZE = 128, NUM_THREADS = 256, ALIBI_ENABLED = true, GQA_RATIO = 1]"
	.size	__PRETTY_FUNCTION__._Z39paged_attention_ll4mi_QKV_mfma16_kernelIDF16_hLN4vllm18Fp8KVCacheDataTypeE1EDF16_Li32ELi128ELi256ELb1ELi1EEvPKT_PKT0_S7_ifPKiS9_S9_iPKfiiiPfSC_PS2_PT2_iSB_SB_, 603

	.type	__PRETTY_FUNCTION__._Z39paged_attention_ll4mi_QKV_mfma16_kernelIDF16_hLN4vllm18Fp8KVCacheDataTypeE1EDF16_Li32ELi128ELi256ELb1ELi2EEvPKT_PKT0_S7_ifPKiS9_S9_iPKfiiiPfSC_PS2_PT2_iSB_SB_,@object ; @__PRETTY_FUNCTION__._Z39paged_attention_ll4mi_QKV_mfma16_kernelIDF16_hLN4vllm18Fp8KVCacheDataTypeE1EDF16_Li32ELi128ELi256ELb1ELi2EEvPKT_PKT0_S7_ifPKiS9_S9_iPKfiiiPfSC_PS2_PT2_iSB_SB_
__PRETTY_FUNCTION__._Z39paged_attention_ll4mi_QKV_mfma16_kernelIDF16_hLN4vllm18Fp8KVCacheDataTypeE1EDF16_Li32ELi128ELi256ELb1ELi2EEvPKT_PKT0_S7_ifPKiS9_S9_iPKfiiiPfSC_PS2_PT2_iSB_SB_:
	.asciz	"void paged_attention_ll4mi_QKV_mfma16_kernel(const scalar_t *__restrict, const cache_t *__restrict, const cache_t *__restrict, const int, const float, const int *__restrict, const int *__restrict, const int *__restrict, const int, const float *__restrict, const int, const int, const int, float *__restrict, float *__restrict, scalar_t *__restrict, OUTT *__restrict, int, const float *, const float *) [scalar_t = _Float16, cache_t = unsigned char, KV_DTYPE = vllm::Fp8KVCacheDataType::kFp8E4M3, OUTT = _Float16, BLOCK_SIZE = 32, HEAD_SIZE = 128, NUM_THREADS = 256, ALIBI_ENABLED = true, GQA_RATIO = 2]"
	.size	__PRETTY_FUNCTION__._Z39paged_attention_ll4mi_QKV_mfma16_kernelIDF16_hLN4vllm18Fp8KVCacheDataTypeE1EDF16_Li32ELi128ELi256ELb1ELi2EEvPKT_PKT0_S7_ifPKiS9_S9_iPKfiiiPfSC_PS2_PT2_iSB_SB_, 603

	.type	__PRETTY_FUNCTION__._Z39paged_attention_ll4mi_QKV_mfma16_kernelIDF16_hLN4vllm18Fp8KVCacheDataTypeE1EDF16_Li32ELi128ELi256ELb1ELi3EEvPKT_PKT0_S7_ifPKiS9_S9_iPKfiiiPfSC_PS2_PT2_iSB_SB_,@object ; @__PRETTY_FUNCTION__._Z39paged_attention_ll4mi_QKV_mfma16_kernelIDF16_hLN4vllm18Fp8KVCacheDataTypeE1EDF16_Li32ELi128ELi256ELb1ELi3EEvPKT_PKT0_S7_ifPKiS9_S9_iPKfiiiPfSC_PS2_PT2_iSB_SB_
__PRETTY_FUNCTION__._Z39paged_attention_ll4mi_QKV_mfma16_kernelIDF16_hLN4vllm18Fp8KVCacheDataTypeE1EDF16_Li32ELi128ELi256ELb1ELi3EEvPKT_PKT0_S7_ifPKiS9_S9_iPKfiiiPfSC_PS2_PT2_iSB_SB_:
	.asciz	"void paged_attention_ll4mi_QKV_mfma16_kernel(const scalar_t *__restrict, const cache_t *__restrict, const cache_t *__restrict, const int, const float, const int *__restrict, const int *__restrict, const int *__restrict, const int, const float *__restrict, const int, const int, const int, float *__restrict, float *__restrict, scalar_t *__restrict, OUTT *__restrict, int, const float *, const float *) [scalar_t = _Float16, cache_t = unsigned char, KV_DTYPE = vllm::Fp8KVCacheDataType::kFp8E4M3, OUTT = _Float16, BLOCK_SIZE = 32, HEAD_SIZE = 128, NUM_THREADS = 256, ALIBI_ENABLED = true, GQA_RATIO = 3]"
	.size	__PRETTY_FUNCTION__._Z39paged_attention_ll4mi_QKV_mfma16_kernelIDF16_hLN4vllm18Fp8KVCacheDataTypeE1EDF16_Li32ELi128ELi256ELb1ELi3EEvPKT_PKT0_S7_ifPKiS9_S9_iPKfiiiPfSC_PS2_PT2_iSB_SB_, 603

	.type	__PRETTY_FUNCTION__._Z39paged_attention_ll4mi_QKV_mfma16_kernelIDF16_hLN4vllm18Fp8KVCacheDataTypeE1EDF16_Li32ELi128ELi256ELb1ELi4EEvPKT_PKT0_S7_ifPKiS9_S9_iPKfiiiPfSC_PS2_PT2_iSB_SB_,@object ; @__PRETTY_FUNCTION__._Z39paged_attention_ll4mi_QKV_mfma16_kernelIDF16_hLN4vllm18Fp8KVCacheDataTypeE1EDF16_Li32ELi128ELi256ELb1ELi4EEvPKT_PKT0_S7_ifPKiS9_S9_iPKfiiiPfSC_PS2_PT2_iSB_SB_
__PRETTY_FUNCTION__._Z39paged_attention_ll4mi_QKV_mfma16_kernelIDF16_hLN4vllm18Fp8KVCacheDataTypeE1EDF16_Li32ELi128ELi256ELb1ELi4EEvPKT_PKT0_S7_ifPKiS9_S9_iPKfiiiPfSC_PS2_PT2_iSB_SB_:
	.asciz	"void paged_attention_ll4mi_QKV_mfma16_kernel(const scalar_t *__restrict, const cache_t *__restrict, const cache_t *__restrict, const int, const float, const int *__restrict, const int *__restrict, const int *__restrict, const int, const float *__restrict, const int, const int, const int, float *__restrict, float *__restrict, scalar_t *__restrict, OUTT *__restrict, int, const float *, const float *) [scalar_t = _Float16, cache_t = unsigned char, KV_DTYPE = vllm::Fp8KVCacheDataType::kFp8E4M3, OUTT = _Float16, BLOCK_SIZE = 32, HEAD_SIZE = 128, NUM_THREADS = 256, ALIBI_ENABLED = true, GQA_RATIO = 4]"
	.size	__PRETTY_FUNCTION__._Z39paged_attention_ll4mi_QKV_mfma16_kernelIDF16_hLN4vllm18Fp8KVCacheDataTypeE1EDF16_Li32ELi128ELi256ELb1ELi4EEvPKT_PKT0_S7_ifPKiS9_S9_iPKfiiiPfSC_PS2_PT2_iSB_SB_, 603

	.type	__PRETTY_FUNCTION__._Z38paged_attention_ll4mi_QKV_mfma4_kernelIDF16_hLN4vllm18Fp8KVCacheDataTypeE1EDF16_Li32ELi128ELi256ELb0ELi1EEvPKT_PKT0_S7_ifPKiS9_S9_iPKfiiiPfSC_PS2_PT2_iSB_SB_,@object ; @__PRETTY_FUNCTION__._Z38paged_attention_ll4mi_QKV_mfma4_kernelIDF16_hLN4vllm18Fp8KVCacheDataTypeE1EDF16_Li32ELi128ELi256ELb0ELi1EEvPKT_PKT0_S7_ifPKiS9_S9_iPKfiiiPfSC_PS2_PT2_iSB_SB_
__PRETTY_FUNCTION__._Z38paged_attention_ll4mi_QKV_mfma4_kernelIDF16_hLN4vllm18Fp8KVCacheDataTypeE1EDF16_Li32ELi128ELi256ELb0ELi1EEvPKT_PKT0_S7_ifPKiS9_S9_iPKfiiiPfSC_PS2_PT2_iSB_SB_:
	.asciz	"void paged_attention_ll4mi_QKV_mfma4_kernel(const scalar_t *__restrict, const cache_t *__restrict, const cache_t *__restrict, const int, const float, const int *__restrict, const int *__restrict, const int *__restrict, const int, const float *__restrict, const int, const int, const int, float *__restrict, float *__restrict, scalar_t *__restrict, OUTT *__restrict, int, const float *, const float *) [scalar_t = _Float16, cache_t = unsigned char, KV_DTYPE = vllm::Fp8KVCacheDataType::kFp8E4M3, OUTT = _Float16, BLOCK_SIZE = 32, HEAD_SIZE = 128, NUM_THREADS = 256, ALIBI_ENABLED = false, GQA_RATIO = 1]"
	.size	__PRETTY_FUNCTION__._Z38paged_attention_ll4mi_QKV_mfma4_kernelIDF16_hLN4vllm18Fp8KVCacheDataTypeE1EDF16_Li32ELi128ELi256ELb0ELi1EEvPKT_PKT0_S7_ifPKiS9_S9_iPKfiiiPfSC_PS2_PT2_iSB_SB_, 603

	.type	__PRETTY_FUNCTION__._Z38paged_attention_ll4mi_QKV_mfma4_kernelIDF16_hLN4vllm18Fp8KVCacheDataTypeE1EDF16_Li32ELi128ELi256ELb0ELi2EEvPKT_PKT0_S7_ifPKiS9_S9_iPKfiiiPfSC_PS2_PT2_iSB_SB_,@object ; @__PRETTY_FUNCTION__._Z38paged_attention_ll4mi_QKV_mfma4_kernelIDF16_hLN4vllm18Fp8KVCacheDataTypeE1EDF16_Li32ELi128ELi256ELb0ELi2EEvPKT_PKT0_S7_ifPKiS9_S9_iPKfiiiPfSC_PS2_PT2_iSB_SB_
__PRETTY_FUNCTION__._Z38paged_attention_ll4mi_QKV_mfma4_kernelIDF16_hLN4vllm18Fp8KVCacheDataTypeE1EDF16_Li32ELi128ELi256ELb0ELi2EEvPKT_PKT0_S7_ifPKiS9_S9_iPKfiiiPfSC_PS2_PT2_iSB_SB_:
	.asciz	"void paged_attention_ll4mi_QKV_mfma4_kernel(const scalar_t *__restrict, const cache_t *__restrict, const cache_t *__restrict, const int, const float, const int *__restrict, const int *__restrict, const int *__restrict, const int, const float *__restrict, const int, const int, const int, float *__restrict, float *__restrict, scalar_t *__restrict, OUTT *__restrict, int, const float *, const float *) [scalar_t = _Float16, cache_t = unsigned char, KV_DTYPE = vllm::Fp8KVCacheDataType::kFp8E4M3, OUTT = _Float16, BLOCK_SIZE = 32, HEAD_SIZE = 128, NUM_THREADS = 256, ALIBI_ENABLED = false, GQA_RATIO = 2]"
	.size	__PRETTY_FUNCTION__._Z38paged_attention_ll4mi_QKV_mfma4_kernelIDF16_hLN4vllm18Fp8KVCacheDataTypeE1EDF16_Li32ELi128ELi256ELb0ELi2EEvPKT_PKT0_S7_ifPKiS9_S9_iPKfiiiPfSC_PS2_PT2_iSB_SB_, 603

	.type	__PRETTY_FUNCTION__._Z38paged_attention_ll4mi_QKV_mfma4_kernelIDF16_hLN4vllm18Fp8KVCacheDataTypeE1EDF16_Li32ELi128ELi256ELb0ELi3EEvPKT_PKT0_S7_ifPKiS9_S9_iPKfiiiPfSC_PS2_PT2_iSB_SB_,@object ; @__PRETTY_FUNCTION__._Z38paged_attention_ll4mi_QKV_mfma4_kernelIDF16_hLN4vllm18Fp8KVCacheDataTypeE1EDF16_Li32ELi128ELi256ELb0ELi3EEvPKT_PKT0_S7_ifPKiS9_S9_iPKfiiiPfSC_PS2_PT2_iSB_SB_
__PRETTY_FUNCTION__._Z38paged_attention_ll4mi_QKV_mfma4_kernelIDF16_hLN4vllm18Fp8KVCacheDataTypeE1EDF16_Li32ELi128ELi256ELb0ELi3EEvPKT_PKT0_S7_ifPKiS9_S9_iPKfiiiPfSC_PS2_PT2_iSB_SB_:
	.asciz	"void paged_attention_ll4mi_QKV_mfma4_kernel(const scalar_t *__restrict, const cache_t *__restrict, const cache_t *__restrict, const int, const float, const int *__restrict, const int *__restrict, const int *__restrict, const int, const float *__restrict, const int, const int, const int, float *__restrict, float *__restrict, scalar_t *__restrict, OUTT *__restrict, int, const float *, const float *) [scalar_t = _Float16, cache_t = unsigned char, KV_DTYPE = vllm::Fp8KVCacheDataType::kFp8E4M3, OUTT = _Float16, BLOCK_SIZE = 32, HEAD_SIZE = 128, NUM_THREADS = 256, ALIBI_ENABLED = false, GQA_RATIO = 3]"
	.size	__PRETTY_FUNCTION__._Z38paged_attention_ll4mi_QKV_mfma4_kernelIDF16_hLN4vllm18Fp8KVCacheDataTypeE1EDF16_Li32ELi128ELi256ELb0ELi3EEvPKT_PKT0_S7_ifPKiS9_S9_iPKfiiiPfSC_PS2_PT2_iSB_SB_, 603

	.type	__PRETTY_FUNCTION__._Z38paged_attention_ll4mi_QKV_mfma4_kernelIDF16_hLN4vllm18Fp8KVCacheDataTypeE1EDF16_Li32ELi128ELi256ELb0ELi4EEvPKT_PKT0_S7_ifPKiS9_S9_iPKfiiiPfSC_PS2_PT2_iSB_SB_,@object ; @__PRETTY_FUNCTION__._Z38paged_attention_ll4mi_QKV_mfma4_kernelIDF16_hLN4vllm18Fp8KVCacheDataTypeE1EDF16_Li32ELi128ELi256ELb0ELi4EEvPKT_PKT0_S7_ifPKiS9_S9_iPKfiiiPfSC_PS2_PT2_iSB_SB_
__PRETTY_FUNCTION__._Z38paged_attention_ll4mi_QKV_mfma4_kernelIDF16_hLN4vllm18Fp8KVCacheDataTypeE1EDF16_Li32ELi128ELi256ELb0ELi4EEvPKT_PKT0_S7_ifPKiS9_S9_iPKfiiiPfSC_PS2_PT2_iSB_SB_:
	.asciz	"void paged_attention_ll4mi_QKV_mfma4_kernel(const scalar_t *__restrict, const cache_t *__restrict, const cache_t *__restrict, const int, const float, const int *__restrict, const int *__restrict, const int *__restrict, const int, const float *__restrict, const int, const int, const int, float *__restrict, float *__restrict, scalar_t *__restrict, OUTT *__restrict, int, const float *, const float *) [scalar_t = _Float16, cache_t = unsigned char, KV_DTYPE = vllm::Fp8KVCacheDataType::kFp8E4M3, OUTT = _Float16, BLOCK_SIZE = 32, HEAD_SIZE = 128, NUM_THREADS = 256, ALIBI_ENABLED = false, GQA_RATIO = 4]"
	.size	__PRETTY_FUNCTION__._Z38paged_attention_ll4mi_QKV_mfma4_kernelIDF16_hLN4vllm18Fp8KVCacheDataTypeE1EDF16_Li32ELi128ELi256ELb0ELi4EEvPKT_PKT0_S7_ifPKiS9_S9_iPKfiiiPfSC_PS2_PT2_iSB_SB_, 603

	.type	__PRETTY_FUNCTION__._Z39paged_attention_ll4mi_QKV_mfma16_kernelIDF16_hLN4vllm18Fp8KVCacheDataTypeE1EDF16_Li32ELi128ELi256ELb0ELi5EEvPKT_PKT0_S7_ifPKiS9_S9_iPKfiiiPfSC_PS2_PT2_iSB_SB_,@object ; @__PRETTY_FUNCTION__._Z39paged_attention_ll4mi_QKV_mfma16_kernelIDF16_hLN4vllm18Fp8KVCacheDataTypeE1EDF16_Li32ELi128ELi256ELb0ELi5EEvPKT_PKT0_S7_ifPKiS9_S9_iPKfiiiPfSC_PS2_PT2_iSB_SB_
__PRETTY_FUNCTION__._Z39paged_attention_ll4mi_QKV_mfma16_kernelIDF16_hLN4vllm18Fp8KVCacheDataTypeE1EDF16_Li32ELi128ELi256ELb0ELi5EEvPKT_PKT0_S7_ifPKiS9_S9_iPKfiiiPfSC_PS2_PT2_iSB_SB_:
	.asciz	"void paged_attention_ll4mi_QKV_mfma16_kernel(const scalar_t *__restrict, const cache_t *__restrict, const cache_t *__restrict, const int, const float, const int *__restrict, const int *__restrict, const int *__restrict, const int, const float *__restrict, const int, const int, const int, float *__restrict, float *__restrict, scalar_t *__restrict, OUTT *__restrict, int, const float *, const float *) [scalar_t = _Float16, cache_t = unsigned char, KV_DTYPE = vllm::Fp8KVCacheDataType::kFp8E4M3, OUTT = _Float16, BLOCK_SIZE = 32, HEAD_SIZE = 128, NUM_THREADS = 256, ALIBI_ENABLED = false, GQA_RATIO = 5]"
	.size	__PRETTY_FUNCTION__._Z39paged_attention_ll4mi_QKV_mfma16_kernelIDF16_hLN4vllm18Fp8KVCacheDataTypeE1EDF16_Li32ELi128ELi256ELb0ELi5EEvPKT_PKT0_S7_ifPKiS9_S9_iPKfiiiPfSC_PS2_PT2_iSB_SB_, 604

	.type	__PRETTY_FUNCTION__._Z39paged_attention_ll4mi_QKV_mfma16_kernelIDF16_hLN4vllm18Fp8KVCacheDataTypeE1EDF16_Li32ELi128ELi256ELb0ELi6EEvPKT_PKT0_S7_ifPKiS9_S9_iPKfiiiPfSC_PS2_PT2_iSB_SB_,@object ; @__PRETTY_FUNCTION__._Z39paged_attention_ll4mi_QKV_mfma16_kernelIDF16_hLN4vllm18Fp8KVCacheDataTypeE1EDF16_Li32ELi128ELi256ELb0ELi6EEvPKT_PKT0_S7_ifPKiS9_S9_iPKfiiiPfSC_PS2_PT2_iSB_SB_
__PRETTY_FUNCTION__._Z39paged_attention_ll4mi_QKV_mfma16_kernelIDF16_hLN4vllm18Fp8KVCacheDataTypeE1EDF16_Li32ELi128ELi256ELb0ELi6EEvPKT_PKT0_S7_ifPKiS9_S9_iPKfiiiPfSC_PS2_PT2_iSB_SB_:
	.asciz	"void paged_attention_ll4mi_QKV_mfma16_kernel(const scalar_t *__restrict, const cache_t *__restrict, const cache_t *__restrict, const int, const float, const int *__restrict, const int *__restrict, const int *__restrict, const int, const float *__restrict, const int, const int, const int, float *__restrict, float *__restrict, scalar_t *__restrict, OUTT *__restrict, int, const float *, const float *) [scalar_t = _Float16, cache_t = unsigned char, KV_DTYPE = vllm::Fp8KVCacheDataType::kFp8E4M3, OUTT = _Float16, BLOCK_SIZE = 32, HEAD_SIZE = 128, NUM_THREADS = 256, ALIBI_ENABLED = false, GQA_RATIO = 6]"
	.size	__PRETTY_FUNCTION__._Z39paged_attention_ll4mi_QKV_mfma16_kernelIDF16_hLN4vllm18Fp8KVCacheDataTypeE1EDF16_Li32ELi128ELi256ELb0ELi6EEvPKT_PKT0_S7_ifPKiS9_S9_iPKfiiiPfSC_PS2_PT2_iSB_SB_, 604

	.type	__PRETTY_FUNCTION__._Z39paged_attention_ll4mi_QKV_mfma16_kernelIDF16_hLN4vllm18Fp8KVCacheDataTypeE1EDF16_Li32ELi128ELi256ELb0ELi7EEvPKT_PKT0_S7_ifPKiS9_S9_iPKfiiiPfSC_PS2_PT2_iSB_SB_,@object ; @__PRETTY_FUNCTION__._Z39paged_attention_ll4mi_QKV_mfma16_kernelIDF16_hLN4vllm18Fp8KVCacheDataTypeE1EDF16_Li32ELi128ELi256ELb0ELi7EEvPKT_PKT0_S7_ifPKiS9_S9_iPKfiiiPfSC_PS2_PT2_iSB_SB_
__PRETTY_FUNCTION__._Z39paged_attention_ll4mi_QKV_mfma16_kernelIDF16_hLN4vllm18Fp8KVCacheDataTypeE1EDF16_Li32ELi128ELi256ELb0ELi7EEvPKT_PKT0_S7_ifPKiS9_S9_iPKfiiiPfSC_PS2_PT2_iSB_SB_:
	.asciz	"void paged_attention_ll4mi_QKV_mfma16_kernel(const scalar_t *__restrict, const cache_t *__restrict, const cache_t *__restrict, const int, const float, const int *__restrict, const int *__restrict, const int *__restrict, const int, const float *__restrict, const int, const int, const int, float *__restrict, float *__restrict, scalar_t *__restrict, OUTT *__restrict, int, const float *, const float *) [scalar_t = _Float16, cache_t = unsigned char, KV_DTYPE = vllm::Fp8KVCacheDataType::kFp8E4M3, OUTT = _Float16, BLOCK_SIZE = 32, HEAD_SIZE = 128, NUM_THREADS = 256, ALIBI_ENABLED = false, GQA_RATIO = 7]"
	.size	__PRETTY_FUNCTION__._Z39paged_attention_ll4mi_QKV_mfma16_kernelIDF16_hLN4vllm18Fp8KVCacheDataTypeE1EDF16_Li32ELi128ELi256ELb0ELi7EEvPKT_PKT0_S7_ifPKiS9_S9_iPKfiiiPfSC_PS2_PT2_iSB_SB_, 604

	.type	__PRETTY_FUNCTION__._Z39paged_attention_ll4mi_QKV_mfma16_kernelIDF16_hLN4vllm18Fp8KVCacheDataTypeE1EDF16_Li32ELi128ELi256ELb0ELi8EEvPKT_PKT0_S7_ifPKiS9_S9_iPKfiiiPfSC_PS2_PT2_iSB_SB_,@object ; @__PRETTY_FUNCTION__._Z39paged_attention_ll4mi_QKV_mfma16_kernelIDF16_hLN4vllm18Fp8KVCacheDataTypeE1EDF16_Li32ELi128ELi256ELb0ELi8EEvPKT_PKT0_S7_ifPKiS9_S9_iPKfiiiPfSC_PS2_PT2_iSB_SB_
__PRETTY_FUNCTION__._Z39paged_attention_ll4mi_QKV_mfma16_kernelIDF16_hLN4vllm18Fp8KVCacheDataTypeE1EDF16_Li32ELi128ELi256ELb0ELi8EEvPKT_PKT0_S7_ifPKiS9_S9_iPKfiiiPfSC_PS2_PT2_iSB_SB_:
	.asciz	"void paged_attention_ll4mi_QKV_mfma16_kernel(const scalar_t *__restrict, const cache_t *__restrict, const cache_t *__restrict, const int, const float, const int *__restrict, const int *__restrict, const int *__restrict, const int, const float *__restrict, const int, const int, const int, float *__restrict, float *__restrict, scalar_t *__restrict, OUTT *__restrict, int, const float *, const float *) [scalar_t = _Float16, cache_t = unsigned char, KV_DTYPE = vllm::Fp8KVCacheDataType::kFp8E4M3, OUTT = _Float16, BLOCK_SIZE = 32, HEAD_SIZE = 128, NUM_THREADS = 256, ALIBI_ENABLED = false, GQA_RATIO = 8]"
	.size	__PRETTY_FUNCTION__._Z39paged_attention_ll4mi_QKV_mfma16_kernelIDF16_hLN4vllm18Fp8KVCacheDataTypeE1EDF16_Li32ELi128ELi256ELb0ELi8EEvPKT_PKT0_S7_ifPKiS9_S9_iPKfiiiPfSC_PS2_PT2_iSB_SB_, 604

	.type	__PRETTY_FUNCTION__._Z39paged_attention_ll4mi_QKV_mfma16_kernelIDF16_hLN4vllm18Fp8KVCacheDataTypeE1EDF16_Li32ELi128ELi256ELb0ELi9EEvPKT_PKT0_S7_ifPKiS9_S9_iPKfiiiPfSC_PS2_PT2_iSB_SB_,@object ; @__PRETTY_FUNCTION__._Z39paged_attention_ll4mi_QKV_mfma16_kernelIDF16_hLN4vllm18Fp8KVCacheDataTypeE1EDF16_Li32ELi128ELi256ELb0ELi9EEvPKT_PKT0_S7_ifPKiS9_S9_iPKfiiiPfSC_PS2_PT2_iSB_SB_
__PRETTY_FUNCTION__._Z39paged_attention_ll4mi_QKV_mfma16_kernelIDF16_hLN4vllm18Fp8KVCacheDataTypeE1EDF16_Li32ELi128ELi256ELb0ELi9EEvPKT_PKT0_S7_ifPKiS9_S9_iPKfiiiPfSC_PS2_PT2_iSB_SB_:
	.asciz	"void paged_attention_ll4mi_QKV_mfma16_kernel(const scalar_t *__restrict, const cache_t *__restrict, const cache_t *__restrict, const int, const float, const int *__restrict, const int *__restrict, const int *__restrict, const int, const float *__restrict, const int, const int, const int, float *__restrict, float *__restrict, scalar_t *__restrict, OUTT *__restrict, int, const float *, const float *) [scalar_t = _Float16, cache_t = unsigned char, KV_DTYPE = vllm::Fp8KVCacheDataType::kFp8E4M3, OUTT = _Float16, BLOCK_SIZE = 32, HEAD_SIZE = 128, NUM_THREADS = 256, ALIBI_ENABLED = false, GQA_RATIO = 9]"
	.size	__PRETTY_FUNCTION__._Z39paged_attention_ll4mi_QKV_mfma16_kernelIDF16_hLN4vllm18Fp8KVCacheDataTypeE1EDF16_Li32ELi128ELi256ELb0ELi9EEvPKT_PKT0_S7_ifPKiS9_S9_iPKfiiiPfSC_PS2_PT2_iSB_SB_, 604

	.type	__PRETTY_FUNCTION__._Z39paged_attention_ll4mi_QKV_mfma16_kernelIDF16_hLN4vllm18Fp8KVCacheDataTypeE1EDF16_Li32ELi128ELi256ELb0ELi10EEvPKT_PKT0_S7_ifPKiS9_S9_iPKfiiiPfSC_PS2_PT2_iSB_SB_,@object ; @__PRETTY_FUNCTION__._Z39paged_attention_ll4mi_QKV_mfma16_kernelIDF16_hLN4vllm18Fp8KVCacheDataTypeE1EDF16_Li32ELi128ELi256ELb0ELi10EEvPKT_PKT0_S7_ifPKiS9_S9_iPKfiiiPfSC_PS2_PT2_iSB_SB_
__PRETTY_FUNCTION__._Z39paged_attention_ll4mi_QKV_mfma16_kernelIDF16_hLN4vllm18Fp8KVCacheDataTypeE1EDF16_Li32ELi128ELi256ELb0ELi10EEvPKT_PKT0_S7_ifPKiS9_S9_iPKfiiiPfSC_PS2_PT2_iSB_SB_:
	.asciz	"void paged_attention_ll4mi_QKV_mfma16_kernel(const scalar_t *__restrict, const cache_t *__restrict, const cache_t *__restrict, const int, const float, const int *__restrict, const int *__restrict, const int *__restrict, const int, const float *__restrict, const int, const int, const int, float *__restrict, float *__restrict, scalar_t *__restrict, OUTT *__restrict, int, const float *, const float *) [scalar_t = _Float16, cache_t = unsigned char, KV_DTYPE = vllm::Fp8KVCacheDataType::kFp8E4M3, OUTT = _Float16, BLOCK_SIZE = 32, HEAD_SIZE = 128, NUM_THREADS = 256, ALIBI_ENABLED = false, GQA_RATIO = 10]"
	.size	__PRETTY_FUNCTION__._Z39paged_attention_ll4mi_QKV_mfma16_kernelIDF16_hLN4vllm18Fp8KVCacheDataTypeE1EDF16_Li32ELi128ELi256ELb0ELi10EEvPKT_PKT0_S7_ifPKiS9_S9_iPKfiiiPfSC_PS2_PT2_iSB_SB_, 605

	.type	__PRETTY_FUNCTION__._Z39paged_attention_ll4mi_QKV_mfma16_kernelIDF16_hLN4vllm18Fp8KVCacheDataTypeE1EDF16_Li32ELi128ELi256ELb0ELi11EEvPKT_PKT0_S7_ifPKiS9_S9_iPKfiiiPfSC_PS2_PT2_iSB_SB_,@object ; @__PRETTY_FUNCTION__._Z39paged_attention_ll4mi_QKV_mfma16_kernelIDF16_hLN4vllm18Fp8KVCacheDataTypeE1EDF16_Li32ELi128ELi256ELb0ELi11EEvPKT_PKT0_S7_ifPKiS9_S9_iPKfiiiPfSC_PS2_PT2_iSB_SB_
__PRETTY_FUNCTION__._Z39paged_attention_ll4mi_QKV_mfma16_kernelIDF16_hLN4vllm18Fp8KVCacheDataTypeE1EDF16_Li32ELi128ELi256ELb0ELi11EEvPKT_PKT0_S7_ifPKiS9_S9_iPKfiiiPfSC_PS2_PT2_iSB_SB_:
	.asciz	"void paged_attention_ll4mi_QKV_mfma16_kernel(const scalar_t *__restrict, const cache_t *__restrict, const cache_t *__restrict, const int, const float, const int *__restrict, const int *__restrict, const int *__restrict, const int, const float *__restrict, const int, const int, const int, float *__restrict, float *__restrict, scalar_t *__restrict, OUTT *__restrict, int, const float *, const float *) [scalar_t = _Float16, cache_t = unsigned char, KV_DTYPE = vllm::Fp8KVCacheDataType::kFp8E4M3, OUTT = _Float16, BLOCK_SIZE = 32, HEAD_SIZE = 128, NUM_THREADS = 256, ALIBI_ENABLED = false, GQA_RATIO = 11]"
	.size	__PRETTY_FUNCTION__._Z39paged_attention_ll4mi_QKV_mfma16_kernelIDF16_hLN4vllm18Fp8KVCacheDataTypeE1EDF16_Li32ELi128ELi256ELb0ELi11EEvPKT_PKT0_S7_ifPKiS9_S9_iPKfiiiPfSC_PS2_PT2_iSB_SB_, 605

	.type	__PRETTY_FUNCTION__._Z39paged_attention_ll4mi_QKV_mfma16_kernelIDF16_hLN4vllm18Fp8KVCacheDataTypeE1EDF16_Li32ELi128ELi256ELb0ELi12EEvPKT_PKT0_S7_ifPKiS9_S9_iPKfiiiPfSC_PS2_PT2_iSB_SB_,@object ; @__PRETTY_FUNCTION__._Z39paged_attention_ll4mi_QKV_mfma16_kernelIDF16_hLN4vllm18Fp8KVCacheDataTypeE1EDF16_Li32ELi128ELi256ELb0ELi12EEvPKT_PKT0_S7_ifPKiS9_S9_iPKfiiiPfSC_PS2_PT2_iSB_SB_
__PRETTY_FUNCTION__._Z39paged_attention_ll4mi_QKV_mfma16_kernelIDF16_hLN4vllm18Fp8KVCacheDataTypeE1EDF16_Li32ELi128ELi256ELb0ELi12EEvPKT_PKT0_S7_ifPKiS9_S9_iPKfiiiPfSC_PS2_PT2_iSB_SB_:
	.asciz	"void paged_attention_ll4mi_QKV_mfma16_kernel(const scalar_t *__restrict, const cache_t *__restrict, const cache_t *__restrict, const int, const float, const int *__restrict, const int *__restrict, const int *__restrict, const int, const float *__restrict, const int, const int, const int, float *__restrict, float *__restrict, scalar_t *__restrict, OUTT *__restrict, int, const float *, const float *) [scalar_t = _Float16, cache_t = unsigned char, KV_DTYPE = vllm::Fp8KVCacheDataType::kFp8E4M3, OUTT = _Float16, BLOCK_SIZE = 32, HEAD_SIZE = 128, NUM_THREADS = 256, ALIBI_ENABLED = false, GQA_RATIO = 12]"
	.size	__PRETTY_FUNCTION__._Z39paged_attention_ll4mi_QKV_mfma16_kernelIDF16_hLN4vllm18Fp8KVCacheDataTypeE1EDF16_Li32ELi128ELi256ELb0ELi12EEvPKT_PKT0_S7_ifPKiS9_S9_iPKfiiiPfSC_PS2_PT2_iSB_SB_, 605

	.type	__PRETTY_FUNCTION__._Z39paged_attention_ll4mi_QKV_mfma16_kernelIDF16_hLN4vllm18Fp8KVCacheDataTypeE1EDF16_Li32ELi128ELi256ELb0ELi13EEvPKT_PKT0_S7_ifPKiS9_S9_iPKfiiiPfSC_PS2_PT2_iSB_SB_,@object ; @__PRETTY_FUNCTION__._Z39paged_attention_ll4mi_QKV_mfma16_kernelIDF16_hLN4vllm18Fp8KVCacheDataTypeE1EDF16_Li32ELi128ELi256ELb0ELi13EEvPKT_PKT0_S7_ifPKiS9_S9_iPKfiiiPfSC_PS2_PT2_iSB_SB_
__PRETTY_FUNCTION__._Z39paged_attention_ll4mi_QKV_mfma16_kernelIDF16_hLN4vllm18Fp8KVCacheDataTypeE1EDF16_Li32ELi128ELi256ELb0ELi13EEvPKT_PKT0_S7_ifPKiS9_S9_iPKfiiiPfSC_PS2_PT2_iSB_SB_:
	.asciz	"void paged_attention_ll4mi_QKV_mfma16_kernel(const scalar_t *__restrict, const cache_t *__restrict, const cache_t *__restrict, const int, const float, const int *__restrict, const int *__restrict, const int *__restrict, const int, const float *__restrict, const int, const int, const int, float *__restrict, float *__restrict, scalar_t *__restrict, OUTT *__restrict, int, const float *, const float *) [scalar_t = _Float16, cache_t = unsigned char, KV_DTYPE = vllm::Fp8KVCacheDataType::kFp8E4M3, OUTT = _Float16, BLOCK_SIZE = 32, HEAD_SIZE = 128, NUM_THREADS = 256, ALIBI_ENABLED = false, GQA_RATIO = 13]"
	.size	__PRETTY_FUNCTION__._Z39paged_attention_ll4mi_QKV_mfma16_kernelIDF16_hLN4vllm18Fp8KVCacheDataTypeE1EDF16_Li32ELi128ELi256ELb0ELi13EEvPKT_PKT0_S7_ifPKiS9_S9_iPKfiiiPfSC_PS2_PT2_iSB_SB_, 605

	.type	__PRETTY_FUNCTION__._Z39paged_attention_ll4mi_QKV_mfma16_kernelIDF16_hLN4vllm18Fp8KVCacheDataTypeE1EDF16_Li32ELi128ELi256ELb0ELi14EEvPKT_PKT0_S7_ifPKiS9_S9_iPKfiiiPfSC_PS2_PT2_iSB_SB_,@object ; @__PRETTY_FUNCTION__._Z39paged_attention_ll4mi_QKV_mfma16_kernelIDF16_hLN4vllm18Fp8KVCacheDataTypeE1EDF16_Li32ELi128ELi256ELb0ELi14EEvPKT_PKT0_S7_ifPKiS9_S9_iPKfiiiPfSC_PS2_PT2_iSB_SB_
__PRETTY_FUNCTION__._Z39paged_attention_ll4mi_QKV_mfma16_kernelIDF16_hLN4vllm18Fp8KVCacheDataTypeE1EDF16_Li32ELi128ELi256ELb0ELi14EEvPKT_PKT0_S7_ifPKiS9_S9_iPKfiiiPfSC_PS2_PT2_iSB_SB_:
	.asciz	"void paged_attention_ll4mi_QKV_mfma16_kernel(const scalar_t *__restrict, const cache_t *__restrict, const cache_t *__restrict, const int, const float, const int *__restrict, const int *__restrict, const int *__restrict, const int, const float *__restrict, const int, const int, const int, float *__restrict, float *__restrict, scalar_t *__restrict, OUTT *__restrict, int, const float *, const float *) [scalar_t = _Float16, cache_t = unsigned char, KV_DTYPE = vllm::Fp8KVCacheDataType::kFp8E4M3, OUTT = _Float16, BLOCK_SIZE = 32, HEAD_SIZE = 128, NUM_THREADS = 256, ALIBI_ENABLED = false, GQA_RATIO = 14]"
	.size	__PRETTY_FUNCTION__._Z39paged_attention_ll4mi_QKV_mfma16_kernelIDF16_hLN4vllm18Fp8KVCacheDataTypeE1EDF16_Li32ELi128ELi256ELb0ELi14EEvPKT_PKT0_S7_ifPKiS9_S9_iPKfiiiPfSC_PS2_PT2_iSB_SB_, 605

	.type	__PRETTY_FUNCTION__._Z39paged_attention_ll4mi_QKV_mfma16_kernelIDF16_hLN4vllm18Fp8KVCacheDataTypeE1EDF16_Li32ELi128ELi256ELb0ELi15EEvPKT_PKT0_S7_ifPKiS9_S9_iPKfiiiPfSC_PS2_PT2_iSB_SB_,@object ; @__PRETTY_FUNCTION__._Z39paged_attention_ll4mi_QKV_mfma16_kernelIDF16_hLN4vllm18Fp8KVCacheDataTypeE1EDF16_Li32ELi128ELi256ELb0ELi15EEvPKT_PKT0_S7_ifPKiS9_S9_iPKfiiiPfSC_PS2_PT2_iSB_SB_
__PRETTY_FUNCTION__._Z39paged_attention_ll4mi_QKV_mfma16_kernelIDF16_hLN4vllm18Fp8KVCacheDataTypeE1EDF16_Li32ELi128ELi256ELb0ELi15EEvPKT_PKT0_S7_ifPKiS9_S9_iPKfiiiPfSC_PS2_PT2_iSB_SB_:
	.asciz	"void paged_attention_ll4mi_QKV_mfma16_kernel(const scalar_t *__restrict, const cache_t *__restrict, const cache_t *__restrict, const int, const float, const int *__restrict, const int *__restrict, const int *__restrict, const int, const float *__restrict, const int, const int, const int, float *__restrict, float *__restrict, scalar_t *__restrict, OUTT *__restrict, int, const float *, const float *) [scalar_t = _Float16, cache_t = unsigned char, KV_DTYPE = vllm::Fp8KVCacheDataType::kFp8E4M3, OUTT = _Float16, BLOCK_SIZE = 32, HEAD_SIZE = 128, NUM_THREADS = 256, ALIBI_ENABLED = false, GQA_RATIO = 15]"
	.size	__PRETTY_FUNCTION__._Z39paged_attention_ll4mi_QKV_mfma16_kernelIDF16_hLN4vllm18Fp8KVCacheDataTypeE1EDF16_Li32ELi128ELi256ELb0ELi15EEvPKT_PKT0_S7_ifPKiS9_S9_iPKfiiiPfSC_PS2_PT2_iSB_SB_, 605

	.type	__PRETTY_FUNCTION__._Z39paged_attention_ll4mi_QKV_mfma16_kernelIDF16_hLN4vllm18Fp8KVCacheDataTypeE1EDF16_Li32ELi128ELi256ELb0ELi16EEvPKT_PKT0_S7_ifPKiS9_S9_iPKfiiiPfSC_PS2_PT2_iSB_SB_,@object ; @__PRETTY_FUNCTION__._Z39paged_attention_ll4mi_QKV_mfma16_kernelIDF16_hLN4vllm18Fp8KVCacheDataTypeE1EDF16_Li32ELi128ELi256ELb0ELi16EEvPKT_PKT0_S7_ifPKiS9_S9_iPKfiiiPfSC_PS2_PT2_iSB_SB_
__PRETTY_FUNCTION__._Z39paged_attention_ll4mi_QKV_mfma16_kernelIDF16_hLN4vllm18Fp8KVCacheDataTypeE1EDF16_Li32ELi128ELi256ELb0ELi16EEvPKT_PKT0_S7_ifPKiS9_S9_iPKfiiiPfSC_PS2_PT2_iSB_SB_:
	.asciz	"void paged_attention_ll4mi_QKV_mfma16_kernel(const scalar_t *__restrict, const cache_t *__restrict, const cache_t *__restrict, const int, const float, const int *__restrict, const int *__restrict, const int *__restrict, const int, const float *__restrict, const int, const int, const int, float *__restrict, float *__restrict, scalar_t *__restrict, OUTT *__restrict, int, const float *, const float *) [scalar_t = _Float16, cache_t = unsigned char, KV_DTYPE = vllm::Fp8KVCacheDataType::kFp8E4M3, OUTT = _Float16, BLOCK_SIZE = 32, HEAD_SIZE = 128, NUM_THREADS = 256, ALIBI_ENABLED = false, GQA_RATIO = 16]"
	.size	__PRETTY_FUNCTION__._Z39paged_attention_ll4mi_QKV_mfma16_kernelIDF16_hLN4vllm18Fp8KVCacheDataTypeE1EDF16_Li32ELi128ELi256ELb0ELi16EEvPKT_PKT0_S7_ifPKiS9_S9_iPKfiiiPfSC_PS2_PT2_iSB_SB_, 605

	.type	__PRETTY_FUNCTION__._Z39paged_attention_ll4mi_QKV_mfma16_kernelIDF16_hLN4vllm18Fp8KVCacheDataTypeE1EDF16_Li32ELi128ELi256ELb0ELi1EEvPKT_PKT0_S7_ifPKiS9_S9_iPKfiiiPfSC_PS2_PT2_iSB_SB_,@object ; @__PRETTY_FUNCTION__._Z39paged_attention_ll4mi_QKV_mfma16_kernelIDF16_hLN4vllm18Fp8KVCacheDataTypeE1EDF16_Li32ELi128ELi256ELb0ELi1EEvPKT_PKT0_S7_ifPKiS9_S9_iPKfiiiPfSC_PS2_PT2_iSB_SB_
__PRETTY_FUNCTION__._Z39paged_attention_ll4mi_QKV_mfma16_kernelIDF16_hLN4vllm18Fp8KVCacheDataTypeE1EDF16_Li32ELi128ELi256ELb0ELi1EEvPKT_PKT0_S7_ifPKiS9_S9_iPKfiiiPfSC_PS2_PT2_iSB_SB_:
	.asciz	"void paged_attention_ll4mi_QKV_mfma16_kernel(const scalar_t *__restrict, const cache_t *__restrict, const cache_t *__restrict, const int, const float, const int *__restrict, const int *__restrict, const int *__restrict, const int, const float *__restrict, const int, const int, const int, float *__restrict, float *__restrict, scalar_t *__restrict, OUTT *__restrict, int, const float *, const float *) [scalar_t = _Float16, cache_t = unsigned char, KV_DTYPE = vllm::Fp8KVCacheDataType::kFp8E4M3, OUTT = _Float16, BLOCK_SIZE = 32, HEAD_SIZE = 128, NUM_THREADS = 256, ALIBI_ENABLED = false, GQA_RATIO = 1]"
	.size	__PRETTY_FUNCTION__._Z39paged_attention_ll4mi_QKV_mfma16_kernelIDF16_hLN4vllm18Fp8KVCacheDataTypeE1EDF16_Li32ELi128ELi256ELb0ELi1EEvPKT_PKT0_S7_ifPKiS9_S9_iPKfiiiPfSC_PS2_PT2_iSB_SB_, 604

	.type	__PRETTY_FUNCTION__._Z39paged_attention_ll4mi_QKV_mfma16_kernelIDF16_hLN4vllm18Fp8KVCacheDataTypeE1EDF16_Li32ELi128ELi256ELb0ELi2EEvPKT_PKT0_S7_ifPKiS9_S9_iPKfiiiPfSC_PS2_PT2_iSB_SB_,@object ; @__PRETTY_FUNCTION__._Z39paged_attention_ll4mi_QKV_mfma16_kernelIDF16_hLN4vllm18Fp8KVCacheDataTypeE1EDF16_Li32ELi128ELi256ELb0ELi2EEvPKT_PKT0_S7_ifPKiS9_S9_iPKfiiiPfSC_PS2_PT2_iSB_SB_
__PRETTY_FUNCTION__._Z39paged_attention_ll4mi_QKV_mfma16_kernelIDF16_hLN4vllm18Fp8KVCacheDataTypeE1EDF16_Li32ELi128ELi256ELb0ELi2EEvPKT_PKT0_S7_ifPKiS9_S9_iPKfiiiPfSC_PS2_PT2_iSB_SB_:
	.asciz	"void paged_attention_ll4mi_QKV_mfma16_kernel(const scalar_t *__restrict, const cache_t *__restrict, const cache_t *__restrict, const int, const float, const int *__restrict, const int *__restrict, const int *__restrict, const int, const float *__restrict, const int, const int, const int, float *__restrict, float *__restrict, scalar_t *__restrict, OUTT *__restrict, int, const float *, const float *) [scalar_t = _Float16, cache_t = unsigned char, KV_DTYPE = vllm::Fp8KVCacheDataType::kFp8E4M3, OUTT = _Float16, BLOCK_SIZE = 32, HEAD_SIZE = 128, NUM_THREADS = 256, ALIBI_ENABLED = false, GQA_RATIO = 2]"
	.size	__PRETTY_FUNCTION__._Z39paged_attention_ll4mi_QKV_mfma16_kernelIDF16_hLN4vllm18Fp8KVCacheDataTypeE1EDF16_Li32ELi128ELi256ELb0ELi2EEvPKT_PKT0_S7_ifPKiS9_S9_iPKfiiiPfSC_PS2_PT2_iSB_SB_, 604

	.type	__PRETTY_FUNCTION__._Z39paged_attention_ll4mi_QKV_mfma16_kernelIDF16_hLN4vllm18Fp8KVCacheDataTypeE1EDF16_Li32ELi128ELi256ELb0ELi3EEvPKT_PKT0_S7_ifPKiS9_S9_iPKfiiiPfSC_PS2_PT2_iSB_SB_,@object ; @__PRETTY_FUNCTION__._Z39paged_attention_ll4mi_QKV_mfma16_kernelIDF16_hLN4vllm18Fp8KVCacheDataTypeE1EDF16_Li32ELi128ELi256ELb0ELi3EEvPKT_PKT0_S7_ifPKiS9_S9_iPKfiiiPfSC_PS2_PT2_iSB_SB_
__PRETTY_FUNCTION__._Z39paged_attention_ll4mi_QKV_mfma16_kernelIDF16_hLN4vllm18Fp8KVCacheDataTypeE1EDF16_Li32ELi128ELi256ELb0ELi3EEvPKT_PKT0_S7_ifPKiS9_S9_iPKfiiiPfSC_PS2_PT2_iSB_SB_:
	.asciz	"void paged_attention_ll4mi_QKV_mfma16_kernel(const scalar_t *__restrict, const cache_t *__restrict, const cache_t *__restrict, const int, const float, const int *__restrict, const int *__restrict, const int *__restrict, const int, const float *__restrict, const int, const int, const int, float *__restrict, float *__restrict, scalar_t *__restrict, OUTT *__restrict, int, const float *, const float *) [scalar_t = _Float16, cache_t = unsigned char, KV_DTYPE = vllm::Fp8KVCacheDataType::kFp8E4M3, OUTT = _Float16, BLOCK_SIZE = 32, HEAD_SIZE = 128, NUM_THREADS = 256, ALIBI_ENABLED = false, GQA_RATIO = 3]"
	.size	__PRETTY_FUNCTION__._Z39paged_attention_ll4mi_QKV_mfma16_kernelIDF16_hLN4vllm18Fp8KVCacheDataTypeE1EDF16_Li32ELi128ELi256ELb0ELi3EEvPKT_PKT0_S7_ifPKiS9_S9_iPKfiiiPfSC_PS2_PT2_iSB_SB_, 604

	.type	__PRETTY_FUNCTION__._Z39paged_attention_ll4mi_QKV_mfma16_kernelIDF16_hLN4vllm18Fp8KVCacheDataTypeE1EDF16_Li32ELi128ELi256ELb0ELi4EEvPKT_PKT0_S7_ifPKiS9_S9_iPKfiiiPfSC_PS2_PT2_iSB_SB_,@object ; @__PRETTY_FUNCTION__._Z39paged_attention_ll4mi_QKV_mfma16_kernelIDF16_hLN4vllm18Fp8KVCacheDataTypeE1EDF16_Li32ELi128ELi256ELb0ELi4EEvPKT_PKT0_S7_ifPKiS9_S9_iPKfiiiPfSC_PS2_PT2_iSB_SB_
__PRETTY_FUNCTION__._Z39paged_attention_ll4mi_QKV_mfma16_kernelIDF16_hLN4vllm18Fp8KVCacheDataTypeE1EDF16_Li32ELi128ELi256ELb0ELi4EEvPKT_PKT0_S7_ifPKiS9_S9_iPKfiiiPfSC_PS2_PT2_iSB_SB_:
	.asciz	"void paged_attention_ll4mi_QKV_mfma16_kernel(const scalar_t *__restrict, const cache_t *__restrict, const cache_t *__restrict, const int, const float, const int *__restrict, const int *__restrict, const int *__restrict, const int, const float *__restrict, const int, const int, const int, float *__restrict, float *__restrict, scalar_t *__restrict, OUTT *__restrict, int, const float *, const float *) [scalar_t = _Float16, cache_t = unsigned char, KV_DTYPE = vllm::Fp8KVCacheDataType::kFp8E4M3, OUTT = _Float16, BLOCK_SIZE = 32, HEAD_SIZE = 128, NUM_THREADS = 256, ALIBI_ENABLED = false, GQA_RATIO = 4]"
	.size	__PRETTY_FUNCTION__._Z39paged_attention_ll4mi_QKV_mfma16_kernelIDF16_hLN4vllm18Fp8KVCacheDataTypeE1EDF16_Li32ELi128ELi256ELb0ELi4EEvPKT_PKT0_S7_ifPKiS9_S9_iPKfiiiPfSC_PS2_PT2_iSB_SB_, 604

	.type	__PRETTY_FUNCTION__._Z38paged_attention_ll4mi_QKV_mfma4_kernelI14__hip_bfloat16hLN4vllm18Fp8KVCacheDataTypeE1EhLi16ELi64ELi256ELb1ELi1EEvPKT_PKT0_S8_ifPKiSA_SA_iPKfiiiPfSD_PS3_PT2_iSC_SC_,@object ; @__PRETTY_FUNCTION__._Z38paged_attention_ll4mi_QKV_mfma4_kernelI14__hip_bfloat16hLN4vllm18Fp8KVCacheDataTypeE1EhLi16ELi64ELi256ELb1ELi1EEvPKT_PKT0_S8_ifPKiSA_SA_iPKfiiiPfSD_PS3_PT2_iSC_SC_
__PRETTY_FUNCTION__._Z38paged_attention_ll4mi_QKV_mfma4_kernelI14__hip_bfloat16hLN4vllm18Fp8KVCacheDataTypeE1EhLi16ELi64ELi256ELb1ELi1EEvPKT_PKT0_S8_ifPKiSA_SA_iPKfiiiPfSD_PS3_PT2_iSC_SC_:
	.asciz	"void paged_attention_ll4mi_QKV_mfma4_kernel(const scalar_t *__restrict, const cache_t *__restrict, const cache_t *__restrict, const int, const float, const int *__restrict, const int *__restrict, const int *__restrict, const int, const float *__restrict, const int, const int, const int, float *__restrict, float *__restrict, scalar_t *__restrict, OUTT *__restrict, int, const float *, const float *) [scalar_t = __hip_bfloat16, cache_t = unsigned char, KV_DTYPE = vllm::Fp8KVCacheDataType::kFp8E4M3, OUTT = unsigned char, BLOCK_SIZE = 16, HEAD_SIZE = 64, NUM_THREADS = 256, ALIBI_ENABLED = true, GQA_RATIO = 1]"
	.size	__PRETTY_FUNCTION__._Z38paged_attention_ll4mi_QKV_mfma4_kernelI14__hip_bfloat16hLN4vllm18Fp8KVCacheDataTypeE1EhLi16ELi64ELi256ELb1ELi1EEvPKT_PKT0_S8_ifPKiSA_SA_iPKfiiiPfSD_PS3_PT2_iSC_SC_, 612

	.type	__PRETTY_FUNCTION__._Z38paged_attention_ll4mi_QKV_mfma4_kernelI14__hip_bfloat16hLN4vllm18Fp8KVCacheDataTypeE1EhLi16ELi64ELi256ELb1ELi2EEvPKT_PKT0_S8_ifPKiSA_SA_iPKfiiiPfSD_PS3_PT2_iSC_SC_,@object ; @__PRETTY_FUNCTION__._Z38paged_attention_ll4mi_QKV_mfma4_kernelI14__hip_bfloat16hLN4vllm18Fp8KVCacheDataTypeE1EhLi16ELi64ELi256ELb1ELi2EEvPKT_PKT0_S8_ifPKiSA_SA_iPKfiiiPfSD_PS3_PT2_iSC_SC_
__PRETTY_FUNCTION__._Z38paged_attention_ll4mi_QKV_mfma4_kernelI14__hip_bfloat16hLN4vllm18Fp8KVCacheDataTypeE1EhLi16ELi64ELi256ELb1ELi2EEvPKT_PKT0_S8_ifPKiSA_SA_iPKfiiiPfSD_PS3_PT2_iSC_SC_:
	.asciz	"void paged_attention_ll4mi_QKV_mfma4_kernel(const scalar_t *__restrict, const cache_t *__restrict, const cache_t *__restrict, const int, const float, const int *__restrict, const int *__restrict, const int *__restrict, const int, const float *__restrict, const int, const int, const int, float *__restrict, float *__restrict, scalar_t *__restrict, OUTT *__restrict, int, const float *, const float *) [scalar_t = __hip_bfloat16, cache_t = unsigned char, KV_DTYPE = vllm::Fp8KVCacheDataType::kFp8E4M3, OUTT = unsigned char, BLOCK_SIZE = 16, HEAD_SIZE = 64, NUM_THREADS = 256, ALIBI_ENABLED = true, GQA_RATIO = 2]"
	.size	__PRETTY_FUNCTION__._Z38paged_attention_ll4mi_QKV_mfma4_kernelI14__hip_bfloat16hLN4vllm18Fp8KVCacheDataTypeE1EhLi16ELi64ELi256ELb1ELi2EEvPKT_PKT0_S8_ifPKiSA_SA_iPKfiiiPfSD_PS3_PT2_iSC_SC_, 612

	.type	__PRETTY_FUNCTION__._Z38paged_attention_ll4mi_QKV_mfma4_kernelI14__hip_bfloat16hLN4vllm18Fp8KVCacheDataTypeE1EhLi16ELi64ELi256ELb1ELi3EEvPKT_PKT0_S8_ifPKiSA_SA_iPKfiiiPfSD_PS3_PT2_iSC_SC_,@object ; @__PRETTY_FUNCTION__._Z38paged_attention_ll4mi_QKV_mfma4_kernelI14__hip_bfloat16hLN4vllm18Fp8KVCacheDataTypeE1EhLi16ELi64ELi256ELb1ELi3EEvPKT_PKT0_S8_ifPKiSA_SA_iPKfiiiPfSD_PS3_PT2_iSC_SC_
__PRETTY_FUNCTION__._Z38paged_attention_ll4mi_QKV_mfma4_kernelI14__hip_bfloat16hLN4vllm18Fp8KVCacheDataTypeE1EhLi16ELi64ELi256ELb1ELi3EEvPKT_PKT0_S8_ifPKiSA_SA_iPKfiiiPfSD_PS3_PT2_iSC_SC_:
	.asciz	"void paged_attention_ll4mi_QKV_mfma4_kernel(const scalar_t *__restrict, const cache_t *__restrict, const cache_t *__restrict, const int, const float, const int *__restrict, const int *__restrict, const int *__restrict, const int, const float *__restrict, const int, const int, const int, float *__restrict, float *__restrict, scalar_t *__restrict, OUTT *__restrict, int, const float *, const float *) [scalar_t = __hip_bfloat16, cache_t = unsigned char, KV_DTYPE = vllm::Fp8KVCacheDataType::kFp8E4M3, OUTT = unsigned char, BLOCK_SIZE = 16, HEAD_SIZE = 64, NUM_THREADS = 256, ALIBI_ENABLED = true, GQA_RATIO = 3]"
	.size	__PRETTY_FUNCTION__._Z38paged_attention_ll4mi_QKV_mfma4_kernelI14__hip_bfloat16hLN4vllm18Fp8KVCacheDataTypeE1EhLi16ELi64ELi256ELb1ELi3EEvPKT_PKT0_S8_ifPKiSA_SA_iPKfiiiPfSD_PS3_PT2_iSC_SC_, 612

	.type	__PRETTY_FUNCTION__._Z38paged_attention_ll4mi_QKV_mfma4_kernelI14__hip_bfloat16hLN4vllm18Fp8KVCacheDataTypeE1EhLi16ELi64ELi256ELb1ELi4EEvPKT_PKT0_S8_ifPKiSA_SA_iPKfiiiPfSD_PS3_PT2_iSC_SC_,@object ; @__PRETTY_FUNCTION__._Z38paged_attention_ll4mi_QKV_mfma4_kernelI14__hip_bfloat16hLN4vllm18Fp8KVCacheDataTypeE1EhLi16ELi64ELi256ELb1ELi4EEvPKT_PKT0_S8_ifPKiSA_SA_iPKfiiiPfSD_PS3_PT2_iSC_SC_
__PRETTY_FUNCTION__._Z38paged_attention_ll4mi_QKV_mfma4_kernelI14__hip_bfloat16hLN4vllm18Fp8KVCacheDataTypeE1EhLi16ELi64ELi256ELb1ELi4EEvPKT_PKT0_S8_ifPKiSA_SA_iPKfiiiPfSD_PS3_PT2_iSC_SC_:
	.asciz	"void paged_attention_ll4mi_QKV_mfma4_kernel(const scalar_t *__restrict, const cache_t *__restrict, const cache_t *__restrict, const int, const float, const int *__restrict, const int *__restrict, const int *__restrict, const int, const float *__restrict, const int, const int, const int, float *__restrict, float *__restrict, scalar_t *__restrict, OUTT *__restrict, int, const float *, const float *) [scalar_t = __hip_bfloat16, cache_t = unsigned char, KV_DTYPE = vllm::Fp8KVCacheDataType::kFp8E4M3, OUTT = unsigned char, BLOCK_SIZE = 16, HEAD_SIZE = 64, NUM_THREADS = 256, ALIBI_ENABLED = true, GQA_RATIO = 4]"
	.size	__PRETTY_FUNCTION__._Z38paged_attention_ll4mi_QKV_mfma4_kernelI14__hip_bfloat16hLN4vllm18Fp8KVCacheDataTypeE1EhLi16ELi64ELi256ELb1ELi4EEvPKT_PKT0_S8_ifPKiSA_SA_iPKfiiiPfSD_PS3_PT2_iSC_SC_, 612

	.type	__PRETTY_FUNCTION__._Z39paged_attention_ll4mi_QKV_mfma16_kernelI14__hip_bfloat16hLN4vllm18Fp8KVCacheDataTypeE1EhLi16ELi64ELi256ELb1ELi5EEvPKT_PKT0_S8_ifPKiSA_SA_iPKfiiiPfSD_PS3_PT2_iSC_SC_,@object ; @__PRETTY_FUNCTION__._Z39paged_attention_ll4mi_QKV_mfma16_kernelI14__hip_bfloat16hLN4vllm18Fp8KVCacheDataTypeE1EhLi16ELi64ELi256ELb1ELi5EEvPKT_PKT0_S8_ifPKiSA_SA_iPKfiiiPfSD_PS3_PT2_iSC_SC_
__PRETTY_FUNCTION__._Z39paged_attention_ll4mi_QKV_mfma16_kernelI14__hip_bfloat16hLN4vllm18Fp8KVCacheDataTypeE1EhLi16ELi64ELi256ELb1ELi5EEvPKT_PKT0_S8_ifPKiSA_SA_iPKfiiiPfSD_PS3_PT2_iSC_SC_:
	.asciz	"void paged_attention_ll4mi_QKV_mfma16_kernel(const scalar_t *__restrict, const cache_t *__restrict, const cache_t *__restrict, const int, const float, const int *__restrict, const int *__restrict, const int *__restrict, const int, const float *__restrict, const int, const int, const int, float *__restrict, float *__restrict, scalar_t *__restrict, OUTT *__restrict, int, const float *, const float *) [scalar_t = __hip_bfloat16, cache_t = unsigned char, KV_DTYPE = vllm::Fp8KVCacheDataType::kFp8E4M3, OUTT = unsigned char, BLOCK_SIZE = 16, HEAD_SIZE = 64, NUM_THREADS = 256, ALIBI_ENABLED = true, GQA_RATIO = 5]"
	.size	__PRETTY_FUNCTION__._Z39paged_attention_ll4mi_QKV_mfma16_kernelI14__hip_bfloat16hLN4vllm18Fp8KVCacheDataTypeE1EhLi16ELi64ELi256ELb1ELi5EEvPKT_PKT0_S8_ifPKiSA_SA_iPKfiiiPfSD_PS3_PT2_iSC_SC_, 613

	.type	__PRETTY_FUNCTION__._Z39paged_attention_ll4mi_QKV_mfma16_kernelI14__hip_bfloat16hLN4vllm18Fp8KVCacheDataTypeE1EhLi16ELi64ELi256ELb1ELi6EEvPKT_PKT0_S8_ifPKiSA_SA_iPKfiiiPfSD_PS3_PT2_iSC_SC_,@object ; @__PRETTY_FUNCTION__._Z39paged_attention_ll4mi_QKV_mfma16_kernelI14__hip_bfloat16hLN4vllm18Fp8KVCacheDataTypeE1EhLi16ELi64ELi256ELb1ELi6EEvPKT_PKT0_S8_ifPKiSA_SA_iPKfiiiPfSD_PS3_PT2_iSC_SC_
__PRETTY_FUNCTION__._Z39paged_attention_ll4mi_QKV_mfma16_kernelI14__hip_bfloat16hLN4vllm18Fp8KVCacheDataTypeE1EhLi16ELi64ELi256ELb1ELi6EEvPKT_PKT0_S8_ifPKiSA_SA_iPKfiiiPfSD_PS3_PT2_iSC_SC_:
	.asciz	"void paged_attention_ll4mi_QKV_mfma16_kernel(const scalar_t *__restrict, const cache_t *__restrict, const cache_t *__restrict, const int, const float, const int *__restrict, const int *__restrict, const int *__restrict, const int, const float *__restrict, const int, const int, const int, float *__restrict, float *__restrict, scalar_t *__restrict, OUTT *__restrict, int, const float *, const float *) [scalar_t = __hip_bfloat16, cache_t = unsigned char, KV_DTYPE = vllm::Fp8KVCacheDataType::kFp8E4M3, OUTT = unsigned char, BLOCK_SIZE = 16, HEAD_SIZE = 64, NUM_THREADS = 256, ALIBI_ENABLED = true, GQA_RATIO = 6]"
	.size	__PRETTY_FUNCTION__._Z39paged_attention_ll4mi_QKV_mfma16_kernelI14__hip_bfloat16hLN4vllm18Fp8KVCacheDataTypeE1EhLi16ELi64ELi256ELb1ELi6EEvPKT_PKT0_S8_ifPKiSA_SA_iPKfiiiPfSD_PS3_PT2_iSC_SC_, 613

	.type	__PRETTY_FUNCTION__._Z39paged_attention_ll4mi_QKV_mfma16_kernelI14__hip_bfloat16hLN4vllm18Fp8KVCacheDataTypeE1EhLi16ELi64ELi256ELb1ELi7EEvPKT_PKT0_S8_ifPKiSA_SA_iPKfiiiPfSD_PS3_PT2_iSC_SC_,@object ; @__PRETTY_FUNCTION__._Z39paged_attention_ll4mi_QKV_mfma16_kernelI14__hip_bfloat16hLN4vllm18Fp8KVCacheDataTypeE1EhLi16ELi64ELi256ELb1ELi7EEvPKT_PKT0_S8_ifPKiSA_SA_iPKfiiiPfSD_PS3_PT2_iSC_SC_
__PRETTY_FUNCTION__._Z39paged_attention_ll4mi_QKV_mfma16_kernelI14__hip_bfloat16hLN4vllm18Fp8KVCacheDataTypeE1EhLi16ELi64ELi256ELb1ELi7EEvPKT_PKT0_S8_ifPKiSA_SA_iPKfiiiPfSD_PS3_PT2_iSC_SC_:
	.asciz	"void paged_attention_ll4mi_QKV_mfma16_kernel(const scalar_t *__restrict, const cache_t *__restrict, const cache_t *__restrict, const int, const float, const int *__restrict, const int *__restrict, const int *__restrict, const int, const float *__restrict, const int, const int, const int, float *__restrict, float *__restrict, scalar_t *__restrict, OUTT *__restrict, int, const float *, const float *) [scalar_t = __hip_bfloat16, cache_t = unsigned char, KV_DTYPE = vllm::Fp8KVCacheDataType::kFp8E4M3, OUTT = unsigned char, BLOCK_SIZE = 16, HEAD_SIZE = 64, NUM_THREADS = 256, ALIBI_ENABLED = true, GQA_RATIO = 7]"
	.size	__PRETTY_FUNCTION__._Z39paged_attention_ll4mi_QKV_mfma16_kernelI14__hip_bfloat16hLN4vllm18Fp8KVCacheDataTypeE1EhLi16ELi64ELi256ELb1ELi7EEvPKT_PKT0_S8_ifPKiSA_SA_iPKfiiiPfSD_PS3_PT2_iSC_SC_, 613

	.type	__PRETTY_FUNCTION__._Z39paged_attention_ll4mi_QKV_mfma16_kernelI14__hip_bfloat16hLN4vllm18Fp8KVCacheDataTypeE1EhLi16ELi64ELi256ELb1ELi8EEvPKT_PKT0_S8_ifPKiSA_SA_iPKfiiiPfSD_PS3_PT2_iSC_SC_,@object ; @__PRETTY_FUNCTION__._Z39paged_attention_ll4mi_QKV_mfma16_kernelI14__hip_bfloat16hLN4vllm18Fp8KVCacheDataTypeE1EhLi16ELi64ELi256ELb1ELi8EEvPKT_PKT0_S8_ifPKiSA_SA_iPKfiiiPfSD_PS3_PT2_iSC_SC_
__PRETTY_FUNCTION__._Z39paged_attention_ll4mi_QKV_mfma16_kernelI14__hip_bfloat16hLN4vllm18Fp8KVCacheDataTypeE1EhLi16ELi64ELi256ELb1ELi8EEvPKT_PKT0_S8_ifPKiSA_SA_iPKfiiiPfSD_PS3_PT2_iSC_SC_:
	.asciz	"void paged_attention_ll4mi_QKV_mfma16_kernel(const scalar_t *__restrict, const cache_t *__restrict, const cache_t *__restrict, const int, const float, const int *__restrict, const int *__restrict, const int *__restrict, const int, const float *__restrict, const int, const int, const int, float *__restrict, float *__restrict, scalar_t *__restrict, OUTT *__restrict, int, const float *, const float *) [scalar_t = __hip_bfloat16, cache_t = unsigned char, KV_DTYPE = vllm::Fp8KVCacheDataType::kFp8E4M3, OUTT = unsigned char, BLOCK_SIZE = 16, HEAD_SIZE = 64, NUM_THREADS = 256, ALIBI_ENABLED = true, GQA_RATIO = 8]"
	.size	__PRETTY_FUNCTION__._Z39paged_attention_ll4mi_QKV_mfma16_kernelI14__hip_bfloat16hLN4vllm18Fp8KVCacheDataTypeE1EhLi16ELi64ELi256ELb1ELi8EEvPKT_PKT0_S8_ifPKiSA_SA_iPKfiiiPfSD_PS3_PT2_iSC_SC_, 613

	.type	__PRETTY_FUNCTION__._Z39paged_attention_ll4mi_QKV_mfma16_kernelI14__hip_bfloat16hLN4vllm18Fp8KVCacheDataTypeE1EhLi16ELi64ELi256ELb1ELi9EEvPKT_PKT0_S8_ifPKiSA_SA_iPKfiiiPfSD_PS3_PT2_iSC_SC_,@object ; @__PRETTY_FUNCTION__._Z39paged_attention_ll4mi_QKV_mfma16_kernelI14__hip_bfloat16hLN4vllm18Fp8KVCacheDataTypeE1EhLi16ELi64ELi256ELb1ELi9EEvPKT_PKT0_S8_ifPKiSA_SA_iPKfiiiPfSD_PS3_PT2_iSC_SC_
__PRETTY_FUNCTION__._Z39paged_attention_ll4mi_QKV_mfma16_kernelI14__hip_bfloat16hLN4vllm18Fp8KVCacheDataTypeE1EhLi16ELi64ELi256ELb1ELi9EEvPKT_PKT0_S8_ifPKiSA_SA_iPKfiiiPfSD_PS3_PT2_iSC_SC_:
	.asciz	"void paged_attention_ll4mi_QKV_mfma16_kernel(const scalar_t *__restrict, const cache_t *__restrict, const cache_t *__restrict, const int, const float, const int *__restrict, const int *__restrict, const int *__restrict, const int, const float *__restrict, const int, const int, const int, float *__restrict, float *__restrict, scalar_t *__restrict, OUTT *__restrict, int, const float *, const float *) [scalar_t = __hip_bfloat16, cache_t = unsigned char, KV_DTYPE = vllm::Fp8KVCacheDataType::kFp8E4M3, OUTT = unsigned char, BLOCK_SIZE = 16, HEAD_SIZE = 64, NUM_THREADS = 256, ALIBI_ENABLED = true, GQA_RATIO = 9]"
	.size	__PRETTY_FUNCTION__._Z39paged_attention_ll4mi_QKV_mfma16_kernelI14__hip_bfloat16hLN4vllm18Fp8KVCacheDataTypeE1EhLi16ELi64ELi256ELb1ELi9EEvPKT_PKT0_S8_ifPKiSA_SA_iPKfiiiPfSD_PS3_PT2_iSC_SC_, 613

	.type	__PRETTY_FUNCTION__._Z39paged_attention_ll4mi_QKV_mfma16_kernelI14__hip_bfloat16hLN4vllm18Fp8KVCacheDataTypeE1EhLi16ELi64ELi256ELb1ELi10EEvPKT_PKT0_S8_ifPKiSA_SA_iPKfiiiPfSD_PS3_PT2_iSC_SC_,@object ; @__PRETTY_FUNCTION__._Z39paged_attention_ll4mi_QKV_mfma16_kernelI14__hip_bfloat16hLN4vllm18Fp8KVCacheDataTypeE1EhLi16ELi64ELi256ELb1ELi10EEvPKT_PKT0_S8_ifPKiSA_SA_iPKfiiiPfSD_PS3_PT2_iSC_SC_
__PRETTY_FUNCTION__._Z39paged_attention_ll4mi_QKV_mfma16_kernelI14__hip_bfloat16hLN4vllm18Fp8KVCacheDataTypeE1EhLi16ELi64ELi256ELb1ELi10EEvPKT_PKT0_S8_ifPKiSA_SA_iPKfiiiPfSD_PS3_PT2_iSC_SC_:
	.asciz	"void paged_attention_ll4mi_QKV_mfma16_kernel(const scalar_t *__restrict, const cache_t *__restrict, const cache_t *__restrict, const int, const float, const int *__restrict, const int *__restrict, const int *__restrict, const int, const float *__restrict, const int, const int, const int, float *__restrict, float *__restrict, scalar_t *__restrict, OUTT *__restrict, int, const float *, const float *) [scalar_t = __hip_bfloat16, cache_t = unsigned char, KV_DTYPE = vllm::Fp8KVCacheDataType::kFp8E4M3, OUTT = unsigned char, BLOCK_SIZE = 16, HEAD_SIZE = 64, NUM_THREADS = 256, ALIBI_ENABLED = true, GQA_RATIO = 10]"
	.size	__PRETTY_FUNCTION__._Z39paged_attention_ll4mi_QKV_mfma16_kernelI14__hip_bfloat16hLN4vllm18Fp8KVCacheDataTypeE1EhLi16ELi64ELi256ELb1ELi10EEvPKT_PKT0_S8_ifPKiSA_SA_iPKfiiiPfSD_PS3_PT2_iSC_SC_, 614

	.type	__PRETTY_FUNCTION__._Z39paged_attention_ll4mi_QKV_mfma16_kernelI14__hip_bfloat16hLN4vllm18Fp8KVCacheDataTypeE1EhLi16ELi64ELi256ELb1ELi11EEvPKT_PKT0_S8_ifPKiSA_SA_iPKfiiiPfSD_PS3_PT2_iSC_SC_,@object ; @__PRETTY_FUNCTION__._Z39paged_attention_ll4mi_QKV_mfma16_kernelI14__hip_bfloat16hLN4vllm18Fp8KVCacheDataTypeE1EhLi16ELi64ELi256ELb1ELi11EEvPKT_PKT0_S8_ifPKiSA_SA_iPKfiiiPfSD_PS3_PT2_iSC_SC_
__PRETTY_FUNCTION__._Z39paged_attention_ll4mi_QKV_mfma16_kernelI14__hip_bfloat16hLN4vllm18Fp8KVCacheDataTypeE1EhLi16ELi64ELi256ELb1ELi11EEvPKT_PKT0_S8_ifPKiSA_SA_iPKfiiiPfSD_PS3_PT2_iSC_SC_:
	.asciz	"void paged_attention_ll4mi_QKV_mfma16_kernel(const scalar_t *__restrict, const cache_t *__restrict, const cache_t *__restrict, const int, const float, const int *__restrict, const int *__restrict, const int *__restrict, const int, const float *__restrict, const int, const int, const int, float *__restrict, float *__restrict, scalar_t *__restrict, OUTT *__restrict, int, const float *, const float *) [scalar_t = __hip_bfloat16, cache_t = unsigned char, KV_DTYPE = vllm::Fp8KVCacheDataType::kFp8E4M3, OUTT = unsigned char, BLOCK_SIZE = 16, HEAD_SIZE = 64, NUM_THREADS = 256, ALIBI_ENABLED = true, GQA_RATIO = 11]"
	.size	__PRETTY_FUNCTION__._Z39paged_attention_ll4mi_QKV_mfma16_kernelI14__hip_bfloat16hLN4vllm18Fp8KVCacheDataTypeE1EhLi16ELi64ELi256ELb1ELi11EEvPKT_PKT0_S8_ifPKiSA_SA_iPKfiiiPfSD_PS3_PT2_iSC_SC_, 614

	.type	__PRETTY_FUNCTION__._Z39paged_attention_ll4mi_QKV_mfma16_kernelI14__hip_bfloat16hLN4vllm18Fp8KVCacheDataTypeE1EhLi16ELi64ELi256ELb1ELi12EEvPKT_PKT0_S8_ifPKiSA_SA_iPKfiiiPfSD_PS3_PT2_iSC_SC_,@object ; @__PRETTY_FUNCTION__._Z39paged_attention_ll4mi_QKV_mfma16_kernelI14__hip_bfloat16hLN4vllm18Fp8KVCacheDataTypeE1EhLi16ELi64ELi256ELb1ELi12EEvPKT_PKT0_S8_ifPKiSA_SA_iPKfiiiPfSD_PS3_PT2_iSC_SC_
__PRETTY_FUNCTION__._Z39paged_attention_ll4mi_QKV_mfma16_kernelI14__hip_bfloat16hLN4vllm18Fp8KVCacheDataTypeE1EhLi16ELi64ELi256ELb1ELi12EEvPKT_PKT0_S8_ifPKiSA_SA_iPKfiiiPfSD_PS3_PT2_iSC_SC_:
	.asciz	"void paged_attention_ll4mi_QKV_mfma16_kernel(const scalar_t *__restrict, const cache_t *__restrict, const cache_t *__restrict, const int, const float, const int *__restrict, const int *__restrict, const int *__restrict, const int, const float *__restrict, const int, const int, const int, float *__restrict, float *__restrict, scalar_t *__restrict, OUTT *__restrict, int, const float *, const float *) [scalar_t = __hip_bfloat16, cache_t = unsigned char, KV_DTYPE = vllm::Fp8KVCacheDataType::kFp8E4M3, OUTT = unsigned char, BLOCK_SIZE = 16, HEAD_SIZE = 64, NUM_THREADS = 256, ALIBI_ENABLED = true, GQA_RATIO = 12]"
	.size	__PRETTY_FUNCTION__._Z39paged_attention_ll4mi_QKV_mfma16_kernelI14__hip_bfloat16hLN4vllm18Fp8KVCacheDataTypeE1EhLi16ELi64ELi256ELb1ELi12EEvPKT_PKT0_S8_ifPKiSA_SA_iPKfiiiPfSD_PS3_PT2_iSC_SC_, 614

	.type	__PRETTY_FUNCTION__._Z39paged_attention_ll4mi_QKV_mfma16_kernelI14__hip_bfloat16hLN4vllm18Fp8KVCacheDataTypeE1EhLi16ELi64ELi256ELb1ELi13EEvPKT_PKT0_S8_ifPKiSA_SA_iPKfiiiPfSD_PS3_PT2_iSC_SC_,@object ; @__PRETTY_FUNCTION__._Z39paged_attention_ll4mi_QKV_mfma16_kernelI14__hip_bfloat16hLN4vllm18Fp8KVCacheDataTypeE1EhLi16ELi64ELi256ELb1ELi13EEvPKT_PKT0_S8_ifPKiSA_SA_iPKfiiiPfSD_PS3_PT2_iSC_SC_
__PRETTY_FUNCTION__._Z39paged_attention_ll4mi_QKV_mfma16_kernelI14__hip_bfloat16hLN4vllm18Fp8KVCacheDataTypeE1EhLi16ELi64ELi256ELb1ELi13EEvPKT_PKT0_S8_ifPKiSA_SA_iPKfiiiPfSD_PS3_PT2_iSC_SC_:
	.asciz	"void paged_attention_ll4mi_QKV_mfma16_kernel(const scalar_t *__restrict, const cache_t *__restrict, const cache_t *__restrict, const int, const float, const int *__restrict, const int *__restrict, const int *__restrict, const int, const float *__restrict, const int, const int, const int, float *__restrict, float *__restrict, scalar_t *__restrict, OUTT *__restrict, int, const float *, const float *) [scalar_t = __hip_bfloat16, cache_t = unsigned char, KV_DTYPE = vllm::Fp8KVCacheDataType::kFp8E4M3, OUTT = unsigned char, BLOCK_SIZE = 16, HEAD_SIZE = 64, NUM_THREADS = 256, ALIBI_ENABLED = true, GQA_RATIO = 13]"
	.size	__PRETTY_FUNCTION__._Z39paged_attention_ll4mi_QKV_mfma16_kernelI14__hip_bfloat16hLN4vllm18Fp8KVCacheDataTypeE1EhLi16ELi64ELi256ELb1ELi13EEvPKT_PKT0_S8_ifPKiSA_SA_iPKfiiiPfSD_PS3_PT2_iSC_SC_, 614

	.type	__PRETTY_FUNCTION__._Z39paged_attention_ll4mi_QKV_mfma16_kernelI14__hip_bfloat16hLN4vllm18Fp8KVCacheDataTypeE1EhLi16ELi64ELi256ELb1ELi14EEvPKT_PKT0_S8_ifPKiSA_SA_iPKfiiiPfSD_PS3_PT2_iSC_SC_,@object ; @__PRETTY_FUNCTION__._Z39paged_attention_ll4mi_QKV_mfma16_kernelI14__hip_bfloat16hLN4vllm18Fp8KVCacheDataTypeE1EhLi16ELi64ELi256ELb1ELi14EEvPKT_PKT0_S8_ifPKiSA_SA_iPKfiiiPfSD_PS3_PT2_iSC_SC_
__PRETTY_FUNCTION__._Z39paged_attention_ll4mi_QKV_mfma16_kernelI14__hip_bfloat16hLN4vllm18Fp8KVCacheDataTypeE1EhLi16ELi64ELi256ELb1ELi14EEvPKT_PKT0_S8_ifPKiSA_SA_iPKfiiiPfSD_PS3_PT2_iSC_SC_:
	.asciz	"void paged_attention_ll4mi_QKV_mfma16_kernel(const scalar_t *__restrict, const cache_t *__restrict, const cache_t *__restrict, const int, const float, const int *__restrict, const int *__restrict, const int *__restrict, const int, const float *__restrict, const int, const int, const int, float *__restrict, float *__restrict, scalar_t *__restrict, OUTT *__restrict, int, const float *, const float *) [scalar_t = __hip_bfloat16, cache_t = unsigned char, KV_DTYPE = vllm::Fp8KVCacheDataType::kFp8E4M3, OUTT = unsigned char, BLOCK_SIZE = 16, HEAD_SIZE = 64, NUM_THREADS = 256, ALIBI_ENABLED = true, GQA_RATIO = 14]"
	.size	__PRETTY_FUNCTION__._Z39paged_attention_ll4mi_QKV_mfma16_kernelI14__hip_bfloat16hLN4vllm18Fp8KVCacheDataTypeE1EhLi16ELi64ELi256ELb1ELi14EEvPKT_PKT0_S8_ifPKiSA_SA_iPKfiiiPfSD_PS3_PT2_iSC_SC_, 614

	.type	__PRETTY_FUNCTION__._Z39paged_attention_ll4mi_QKV_mfma16_kernelI14__hip_bfloat16hLN4vllm18Fp8KVCacheDataTypeE1EhLi16ELi64ELi256ELb1ELi15EEvPKT_PKT0_S8_ifPKiSA_SA_iPKfiiiPfSD_PS3_PT2_iSC_SC_,@object ; @__PRETTY_FUNCTION__._Z39paged_attention_ll4mi_QKV_mfma16_kernelI14__hip_bfloat16hLN4vllm18Fp8KVCacheDataTypeE1EhLi16ELi64ELi256ELb1ELi15EEvPKT_PKT0_S8_ifPKiSA_SA_iPKfiiiPfSD_PS3_PT2_iSC_SC_
__PRETTY_FUNCTION__._Z39paged_attention_ll4mi_QKV_mfma16_kernelI14__hip_bfloat16hLN4vllm18Fp8KVCacheDataTypeE1EhLi16ELi64ELi256ELb1ELi15EEvPKT_PKT0_S8_ifPKiSA_SA_iPKfiiiPfSD_PS3_PT2_iSC_SC_:
	.asciz	"void paged_attention_ll4mi_QKV_mfma16_kernel(const scalar_t *__restrict, const cache_t *__restrict, const cache_t *__restrict, const int, const float, const int *__restrict, const int *__restrict, const int *__restrict, const int, const float *__restrict, const int, const int, const int, float *__restrict, float *__restrict, scalar_t *__restrict, OUTT *__restrict, int, const float *, const float *) [scalar_t = __hip_bfloat16, cache_t = unsigned char, KV_DTYPE = vllm::Fp8KVCacheDataType::kFp8E4M3, OUTT = unsigned char, BLOCK_SIZE = 16, HEAD_SIZE = 64, NUM_THREADS = 256, ALIBI_ENABLED = true, GQA_RATIO = 15]"
	.size	__PRETTY_FUNCTION__._Z39paged_attention_ll4mi_QKV_mfma16_kernelI14__hip_bfloat16hLN4vllm18Fp8KVCacheDataTypeE1EhLi16ELi64ELi256ELb1ELi15EEvPKT_PKT0_S8_ifPKiSA_SA_iPKfiiiPfSD_PS3_PT2_iSC_SC_, 614

	.type	__PRETTY_FUNCTION__._Z39paged_attention_ll4mi_QKV_mfma16_kernelI14__hip_bfloat16hLN4vllm18Fp8KVCacheDataTypeE1EhLi16ELi64ELi256ELb1ELi16EEvPKT_PKT0_S8_ifPKiSA_SA_iPKfiiiPfSD_PS3_PT2_iSC_SC_,@object ; @__PRETTY_FUNCTION__._Z39paged_attention_ll4mi_QKV_mfma16_kernelI14__hip_bfloat16hLN4vllm18Fp8KVCacheDataTypeE1EhLi16ELi64ELi256ELb1ELi16EEvPKT_PKT0_S8_ifPKiSA_SA_iPKfiiiPfSD_PS3_PT2_iSC_SC_
__PRETTY_FUNCTION__._Z39paged_attention_ll4mi_QKV_mfma16_kernelI14__hip_bfloat16hLN4vllm18Fp8KVCacheDataTypeE1EhLi16ELi64ELi256ELb1ELi16EEvPKT_PKT0_S8_ifPKiSA_SA_iPKfiiiPfSD_PS3_PT2_iSC_SC_:
	.asciz	"void paged_attention_ll4mi_QKV_mfma16_kernel(const scalar_t *__restrict, const cache_t *__restrict, const cache_t *__restrict, const int, const float, const int *__restrict, const int *__restrict, const int *__restrict, const int, const float *__restrict, const int, const int, const int, float *__restrict, float *__restrict, scalar_t *__restrict, OUTT *__restrict, int, const float *, const float *) [scalar_t = __hip_bfloat16, cache_t = unsigned char, KV_DTYPE = vllm::Fp8KVCacheDataType::kFp8E4M3, OUTT = unsigned char, BLOCK_SIZE = 16, HEAD_SIZE = 64, NUM_THREADS = 256, ALIBI_ENABLED = true, GQA_RATIO = 16]"
	.size	__PRETTY_FUNCTION__._Z39paged_attention_ll4mi_QKV_mfma16_kernelI14__hip_bfloat16hLN4vllm18Fp8KVCacheDataTypeE1EhLi16ELi64ELi256ELb1ELi16EEvPKT_PKT0_S8_ifPKiSA_SA_iPKfiiiPfSD_PS3_PT2_iSC_SC_, 614

	.type	__PRETTY_FUNCTION__._Z39paged_attention_ll4mi_QKV_mfma16_kernelI14__hip_bfloat16hLN4vllm18Fp8KVCacheDataTypeE1EhLi16ELi64ELi256ELb1ELi1EEvPKT_PKT0_S8_ifPKiSA_SA_iPKfiiiPfSD_PS3_PT2_iSC_SC_,@object ; @__PRETTY_FUNCTION__._Z39paged_attention_ll4mi_QKV_mfma16_kernelI14__hip_bfloat16hLN4vllm18Fp8KVCacheDataTypeE1EhLi16ELi64ELi256ELb1ELi1EEvPKT_PKT0_S8_ifPKiSA_SA_iPKfiiiPfSD_PS3_PT2_iSC_SC_
__PRETTY_FUNCTION__._Z39paged_attention_ll4mi_QKV_mfma16_kernelI14__hip_bfloat16hLN4vllm18Fp8KVCacheDataTypeE1EhLi16ELi64ELi256ELb1ELi1EEvPKT_PKT0_S8_ifPKiSA_SA_iPKfiiiPfSD_PS3_PT2_iSC_SC_:
	.asciz	"void paged_attention_ll4mi_QKV_mfma16_kernel(const scalar_t *__restrict, const cache_t *__restrict, const cache_t *__restrict, const int, const float, const int *__restrict, const int *__restrict, const int *__restrict, const int, const float *__restrict, const int, const int, const int, float *__restrict, float *__restrict, scalar_t *__restrict, OUTT *__restrict, int, const float *, const float *) [scalar_t = __hip_bfloat16, cache_t = unsigned char, KV_DTYPE = vllm::Fp8KVCacheDataType::kFp8E4M3, OUTT = unsigned char, BLOCK_SIZE = 16, HEAD_SIZE = 64, NUM_THREADS = 256, ALIBI_ENABLED = true, GQA_RATIO = 1]"
	.size	__PRETTY_FUNCTION__._Z39paged_attention_ll4mi_QKV_mfma16_kernelI14__hip_bfloat16hLN4vllm18Fp8KVCacheDataTypeE1EhLi16ELi64ELi256ELb1ELi1EEvPKT_PKT0_S8_ifPKiSA_SA_iPKfiiiPfSD_PS3_PT2_iSC_SC_, 613

	.type	__PRETTY_FUNCTION__._Z39paged_attention_ll4mi_QKV_mfma16_kernelI14__hip_bfloat16hLN4vllm18Fp8KVCacheDataTypeE1EhLi16ELi64ELi256ELb1ELi2EEvPKT_PKT0_S8_ifPKiSA_SA_iPKfiiiPfSD_PS3_PT2_iSC_SC_,@object ; @__PRETTY_FUNCTION__._Z39paged_attention_ll4mi_QKV_mfma16_kernelI14__hip_bfloat16hLN4vllm18Fp8KVCacheDataTypeE1EhLi16ELi64ELi256ELb1ELi2EEvPKT_PKT0_S8_ifPKiSA_SA_iPKfiiiPfSD_PS3_PT2_iSC_SC_
__PRETTY_FUNCTION__._Z39paged_attention_ll4mi_QKV_mfma16_kernelI14__hip_bfloat16hLN4vllm18Fp8KVCacheDataTypeE1EhLi16ELi64ELi256ELb1ELi2EEvPKT_PKT0_S8_ifPKiSA_SA_iPKfiiiPfSD_PS3_PT2_iSC_SC_:
	.asciz	"void paged_attention_ll4mi_QKV_mfma16_kernel(const scalar_t *__restrict, const cache_t *__restrict, const cache_t *__restrict, const int, const float, const int *__restrict, const int *__restrict, const int *__restrict, const int, const float *__restrict, const int, const int, const int, float *__restrict, float *__restrict, scalar_t *__restrict, OUTT *__restrict, int, const float *, const float *) [scalar_t = __hip_bfloat16, cache_t = unsigned char, KV_DTYPE = vllm::Fp8KVCacheDataType::kFp8E4M3, OUTT = unsigned char, BLOCK_SIZE = 16, HEAD_SIZE = 64, NUM_THREADS = 256, ALIBI_ENABLED = true, GQA_RATIO = 2]"
	.size	__PRETTY_FUNCTION__._Z39paged_attention_ll4mi_QKV_mfma16_kernelI14__hip_bfloat16hLN4vllm18Fp8KVCacheDataTypeE1EhLi16ELi64ELi256ELb1ELi2EEvPKT_PKT0_S8_ifPKiSA_SA_iPKfiiiPfSD_PS3_PT2_iSC_SC_, 613

	.type	__PRETTY_FUNCTION__._Z39paged_attention_ll4mi_QKV_mfma16_kernelI14__hip_bfloat16hLN4vllm18Fp8KVCacheDataTypeE1EhLi16ELi64ELi256ELb1ELi3EEvPKT_PKT0_S8_ifPKiSA_SA_iPKfiiiPfSD_PS3_PT2_iSC_SC_,@object ; @__PRETTY_FUNCTION__._Z39paged_attention_ll4mi_QKV_mfma16_kernelI14__hip_bfloat16hLN4vllm18Fp8KVCacheDataTypeE1EhLi16ELi64ELi256ELb1ELi3EEvPKT_PKT0_S8_ifPKiSA_SA_iPKfiiiPfSD_PS3_PT2_iSC_SC_
__PRETTY_FUNCTION__._Z39paged_attention_ll4mi_QKV_mfma16_kernelI14__hip_bfloat16hLN4vllm18Fp8KVCacheDataTypeE1EhLi16ELi64ELi256ELb1ELi3EEvPKT_PKT0_S8_ifPKiSA_SA_iPKfiiiPfSD_PS3_PT2_iSC_SC_:
	.asciz	"void paged_attention_ll4mi_QKV_mfma16_kernel(const scalar_t *__restrict, const cache_t *__restrict, const cache_t *__restrict, const int, const float, const int *__restrict, const int *__restrict, const int *__restrict, const int, const float *__restrict, const int, const int, const int, float *__restrict, float *__restrict, scalar_t *__restrict, OUTT *__restrict, int, const float *, const float *) [scalar_t = __hip_bfloat16, cache_t = unsigned char, KV_DTYPE = vllm::Fp8KVCacheDataType::kFp8E4M3, OUTT = unsigned char, BLOCK_SIZE = 16, HEAD_SIZE = 64, NUM_THREADS = 256, ALIBI_ENABLED = true, GQA_RATIO = 3]"
	.size	__PRETTY_FUNCTION__._Z39paged_attention_ll4mi_QKV_mfma16_kernelI14__hip_bfloat16hLN4vllm18Fp8KVCacheDataTypeE1EhLi16ELi64ELi256ELb1ELi3EEvPKT_PKT0_S8_ifPKiSA_SA_iPKfiiiPfSD_PS3_PT2_iSC_SC_, 613

	.type	__PRETTY_FUNCTION__._Z39paged_attention_ll4mi_QKV_mfma16_kernelI14__hip_bfloat16hLN4vllm18Fp8KVCacheDataTypeE1EhLi16ELi64ELi256ELb1ELi4EEvPKT_PKT0_S8_ifPKiSA_SA_iPKfiiiPfSD_PS3_PT2_iSC_SC_,@object ; @__PRETTY_FUNCTION__._Z39paged_attention_ll4mi_QKV_mfma16_kernelI14__hip_bfloat16hLN4vllm18Fp8KVCacheDataTypeE1EhLi16ELi64ELi256ELb1ELi4EEvPKT_PKT0_S8_ifPKiSA_SA_iPKfiiiPfSD_PS3_PT2_iSC_SC_
__PRETTY_FUNCTION__._Z39paged_attention_ll4mi_QKV_mfma16_kernelI14__hip_bfloat16hLN4vllm18Fp8KVCacheDataTypeE1EhLi16ELi64ELi256ELb1ELi4EEvPKT_PKT0_S8_ifPKiSA_SA_iPKfiiiPfSD_PS3_PT2_iSC_SC_:
	.asciz	"void paged_attention_ll4mi_QKV_mfma16_kernel(const scalar_t *__restrict, const cache_t *__restrict, const cache_t *__restrict, const int, const float, const int *__restrict, const int *__restrict, const int *__restrict, const int, const float *__restrict, const int, const int, const int, float *__restrict, float *__restrict, scalar_t *__restrict, OUTT *__restrict, int, const float *, const float *) [scalar_t = __hip_bfloat16, cache_t = unsigned char, KV_DTYPE = vllm::Fp8KVCacheDataType::kFp8E4M3, OUTT = unsigned char, BLOCK_SIZE = 16, HEAD_SIZE = 64, NUM_THREADS = 256, ALIBI_ENABLED = true, GQA_RATIO = 4]"
	.size	__PRETTY_FUNCTION__._Z39paged_attention_ll4mi_QKV_mfma16_kernelI14__hip_bfloat16hLN4vllm18Fp8KVCacheDataTypeE1EhLi16ELi64ELi256ELb1ELi4EEvPKT_PKT0_S8_ifPKiSA_SA_iPKfiiiPfSD_PS3_PT2_iSC_SC_, 613

	.type	__PRETTY_FUNCTION__._Z38paged_attention_ll4mi_QKV_mfma4_kernelI14__hip_bfloat16hLN4vllm18Fp8KVCacheDataTypeE1EhLi16ELi64ELi256ELb0ELi1EEvPKT_PKT0_S8_ifPKiSA_SA_iPKfiiiPfSD_PS3_PT2_iSC_SC_,@object ; @__PRETTY_FUNCTION__._Z38paged_attention_ll4mi_QKV_mfma4_kernelI14__hip_bfloat16hLN4vllm18Fp8KVCacheDataTypeE1EhLi16ELi64ELi256ELb0ELi1EEvPKT_PKT0_S8_ifPKiSA_SA_iPKfiiiPfSD_PS3_PT2_iSC_SC_
__PRETTY_FUNCTION__._Z38paged_attention_ll4mi_QKV_mfma4_kernelI14__hip_bfloat16hLN4vllm18Fp8KVCacheDataTypeE1EhLi16ELi64ELi256ELb0ELi1EEvPKT_PKT0_S8_ifPKiSA_SA_iPKfiiiPfSD_PS3_PT2_iSC_SC_:
	.asciz	"void paged_attention_ll4mi_QKV_mfma4_kernel(const scalar_t *__restrict, const cache_t *__restrict, const cache_t *__restrict, const int, const float, const int *__restrict, const int *__restrict, const int *__restrict, const int, const float *__restrict, const int, const int, const int, float *__restrict, float *__restrict, scalar_t *__restrict, OUTT *__restrict, int, const float *, const float *) [scalar_t = __hip_bfloat16, cache_t = unsigned char, KV_DTYPE = vllm::Fp8KVCacheDataType::kFp8E4M3, OUTT = unsigned char, BLOCK_SIZE = 16, HEAD_SIZE = 64, NUM_THREADS = 256, ALIBI_ENABLED = false, GQA_RATIO = 1]"
	.size	__PRETTY_FUNCTION__._Z38paged_attention_ll4mi_QKV_mfma4_kernelI14__hip_bfloat16hLN4vllm18Fp8KVCacheDataTypeE1EhLi16ELi64ELi256ELb0ELi1EEvPKT_PKT0_S8_ifPKiSA_SA_iPKfiiiPfSD_PS3_PT2_iSC_SC_, 613

	.type	__PRETTY_FUNCTION__._Z38paged_attention_ll4mi_QKV_mfma4_kernelI14__hip_bfloat16hLN4vllm18Fp8KVCacheDataTypeE1EhLi16ELi64ELi256ELb0ELi2EEvPKT_PKT0_S8_ifPKiSA_SA_iPKfiiiPfSD_PS3_PT2_iSC_SC_,@object ; @__PRETTY_FUNCTION__._Z38paged_attention_ll4mi_QKV_mfma4_kernelI14__hip_bfloat16hLN4vllm18Fp8KVCacheDataTypeE1EhLi16ELi64ELi256ELb0ELi2EEvPKT_PKT0_S8_ifPKiSA_SA_iPKfiiiPfSD_PS3_PT2_iSC_SC_
__PRETTY_FUNCTION__._Z38paged_attention_ll4mi_QKV_mfma4_kernelI14__hip_bfloat16hLN4vllm18Fp8KVCacheDataTypeE1EhLi16ELi64ELi256ELb0ELi2EEvPKT_PKT0_S8_ifPKiSA_SA_iPKfiiiPfSD_PS3_PT2_iSC_SC_:
	.asciz	"void paged_attention_ll4mi_QKV_mfma4_kernel(const scalar_t *__restrict, const cache_t *__restrict, const cache_t *__restrict, const int, const float, const int *__restrict, const int *__restrict, const int *__restrict, const int, const float *__restrict, const int, const int, const int, float *__restrict, float *__restrict, scalar_t *__restrict, OUTT *__restrict, int, const float *, const float *) [scalar_t = __hip_bfloat16, cache_t = unsigned char, KV_DTYPE = vllm::Fp8KVCacheDataType::kFp8E4M3, OUTT = unsigned char, BLOCK_SIZE = 16, HEAD_SIZE = 64, NUM_THREADS = 256, ALIBI_ENABLED = false, GQA_RATIO = 2]"
	.size	__PRETTY_FUNCTION__._Z38paged_attention_ll4mi_QKV_mfma4_kernelI14__hip_bfloat16hLN4vllm18Fp8KVCacheDataTypeE1EhLi16ELi64ELi256ELb0ELi2EEvPKT_PKT0_S8_ifPKiSA_SA_iPKfiiiPfSD_PS3_PT2_iSC_SC_, 613

	.type	__PRETTY_FUNCTION__._Z38paged_attention_ll4mi_QKV_mfma4_kernelI14__hip_bfloat16hLN4vllm18Fp8KVCacheDataTypeE1EhLi16ELi64ELi256ELb0ELi3EEvPKT_PKT0_S8_ifPKiSA_SA_iPKfiiiPfSD_PS3_PT2_iSC_SC_,@object ; @__PRETTY_FUNCTION__._Z38paged_attention_ll4mi_QKV_mfma4_kernelI14__hip_bfloat16hLN4vllm18Fp8KVCacheDataTypeE1EhLi16ELi64ELi256ELb0ELi3EEvPKT_PKT0_S8_ifPKiSA_SA_iPKfiiiPfSD_PS3_PT2_iSC_SC_
__PRETTY_FUNCTION__._Z38paged_attention_ll4mi_QKV_mfma4_kernelI14__hip_bfloat16hLN4vllm18Fp8KVCacheDataTypeE1EhLi16ELi64ELi256ELb0ELi3EEvPKT_PKT0_S8_ifPKiSA_SA_iPKfiiiPfSD_PS3_PT2_iSC_SC_:
	.asciz	"void paged_attention_ll4mi_QKV_mfma4_kernel(const scalar_t *__restrict, const cache_t *__restrict, const cache_t *__restrict, const int, const float, const int *__restrict, const int *__restrict, const int *__restrict, const int, const float *__restrict, const int, const int, const int, float *__restrict, float *__restrict, scalar_t *__restrict, OUTT *__restrict, int, const float *, const float *) [scalar_t = __hip_bfloat16, cache_t = unsigned char, KV_DTYPE = vllm::Fp8KVCacheDataType::kFp8E4M3, OUTT = unsigned char, BLOCK_SIZE = 16, HEAD_SIZE = 64, NUM_THREADS = 256, ALIBI_ENABLED = false, GQA_RATIO = 3]"
	.size	__PRETTY_FUNCTION__._Z38paged_attention_ll4mi_QKV_mfma4_kernelI14__hip_bfloat16hLN4vllm18Fp8KVCacheDataTypeE1EhLi16ELi64ELi256ELb0ELi3EEvPKT_PKT0_S8_ifPKiSA_SA_iPKfiiiPfSD_PS3_PT2_iSC_SC_, 613

	.type	__PRETTY_FUNCTION__._Z38paged_attention_ll4mi_QKV_mfma4_kernelI14__hip_bfloat16hLN4vllm18Fp8KVCacheDataTypeE1EhLi16ELi64ELi256ELb0ELi4EEvPKT_PKT0_S8_ifPKiSA_SA_iPKfiiiPfSD_PS3_PT2_iSC_SC_,@object ; @__PRETTY_FUNCTION__._Z38paged_attention_ll4mi_QKV_mfma4_kernelI14__hip_bfloat16hLN4vllm18Fp8KVCacheDataTypeE1EhLi16ELi64ELi256ELb0ELi4EEvPKT_PKT0_S8_ifPKiSA_SA_iPKfiiiPfSD_PS3_PT2_iSC_SC_
__PRETTY_FUNCTION__._Z38paged_attention_ll4mi_QKV_mfma4_kernelI14__hip_bfloat16hLN4vllm18Fp8KVCacheDataTypeE1EhLi16ELi64ELi256ELb0ELi4EEvPKT_PKT0_S8_ifPKiSA_SA_iPKfiiiPfSD_PS3_PT2_iSC_SC_:
	.asciz	"void paged_attention_ll4mi_QKV_mfma4_kernel(const scalar_t *__restrict, const cache_t *__restrict, const cache_t *__restrict, const int, const float, const int *__restrict, const int *__restrict, const int *__restrict, const int, const float *__restrict, const int, const int, const int, float *__restrict, float *__restrict, scalar_t *__restrict, OUTT *__restrict, int, const float *, const float *) [scalar_t = __hip_bfloat16, cache_t = unsigned char, KV_DTYPE = vllm::Fp8KVCacheDataType::kFp8E4M3, OUTT = unsigned char, BLOCK_SIZE = 16, HEAD_SIZE = 64, NUM_THREADS = 256, ALIBI_ENABLED = false, GQA_RATIO = 4]"
	.size	__PRETTY_FUNCTION__._Z38paged_attention_ll4mi_QKV_mfma4_kernelI14__hip_bfloat16hLN4vllm18Fp8KVCacheDataTypeE1EhLi16ELi64ELi256ELb0ELi4EEvPKT_PKT0_S8_ifPKiSA_SA_iPKfiiiPfSD_PS3_PT2_iSC_SC_, 613

	.type	__PRETTY_FUNCTION__._Z39paged_attention_ll4mi_QKV_mfma16_kernelI14__hip_bfloat16hLN4vllm18Fp8KVCacheDataTypeE1EhLi16ELi64ELi256ELb0ELi5EEvPKT_PKT0_S8_ifPKiSA_SA_iPKfiiiPfSD_PS3_PT2_iSC_SC_,@object ; @__PRETTY_FUNCTION__._Z39paged_attention_ll4mi_QKV_mfma16_kernelI14__hip_bfloat16hLN4vllm18Fp8KVCacheDataTypeE1EhLi16ELi64ELi256ELb0ELi5EEvPKT_PKT0_S8_ifPKiSA_SA_iPKfiiiPfSD_PS3_PT2_iSC_SC_
__PRETTY_FUNCTION__._Z39paged_attention_ll4mi_QKV_mfma16_kernelI14__hip_bfloat16hLN4vllm18Fp8KVCacheDataTypeE1EhLi16ELi64ELi256ELb0ELi5EEvPKT_PKT0_S8_ifPKiSA_SA_iPKfiiiPfSD_PS3_PT2_iSC_SC_:
	.asciz	"void paged_attention_ll4mi_QKV_mfma16_kernel(const scalar_t *__restrict, const cache_t *__restrict, const cache_t *__restrict, const int, const float, const int *__restrict, const int *__restrict, const int *__restrict, const int, const float *__restrict, const int, const int, const int, float *__restrict, float *__restrict, scalar_t *__restrict, OUTT *__restrict, int, const float *, const float *) [scalar_t = __hip_bfloat16, cache_t = unsigned char, KV_DTYPE = vllm::Fp8KVCacheDataType::kFp8E4M3, OUTT = unsigned char, BLOCK_SIZE = 16, HEAD_SIZE = 64, NUM_THREADS = 256, ALIBI_ENABLED = false, GQA_RATIO = 5]"
	.size	__PRETTY_FUNCTION__._Z39paged_attention_ll4mi_QKV_mfma16_kernelI14__hip_bfloat16hLN4vllm18Fp8KVCacheDataTypeE1EhLi16ELi64ELi256ELb0ELi5EEvPKT_PKT0_S8_ifPKiSA_SA_iPKfiiiPfSD_PS3_PT2_iSC_SC_, 614

	.type	__PRETTY_FUNCTION__._Z39paged_attention_ll4mi_QKV_mfma16_kernelI14__hip_bfloat16hLN4vllm18Fp8KVCacheDataTypeE1EhLi16ELi64ELi256ELb0ELi6EEvPKT_PKT0_S8_ifPKiSA_SA_iPKfiiiPfSD_PS3_PT2_iSC_SC_,@object ; @__PRETTY_FUNCTION__._Z39paged_attention_ll4mi_QKV_mfma16_kernelI14__hip_bfloat16hLN4vllm18Fp8KVCacheDataTypeE1EhLi16ELi64ELi256ELb0ELi6EEvPKT_PKT0_S8_ifPKiSA_SA_iPKfiiiPfSD_PS3_PT2_iSC_SC_
__PRETTY_FUNCTION__._Z39paged_attention_ll4mi_QKV_mfma16_kernelI14__hip_bfloat16hLN4vllm18Fp8KVCacheDataTypeE1EhLi16ELi64ELi256ELb0ELi6EEvPKT_PKT0_S8_ifPKiSA_SA_iPKfiiiPfSD_PS3_PT2_iSC_SC_:
	.asciz	"void paged_attention_ll4mi_QKV_mfma16_kernel(const scalar_t *__restrict, const cache_t *__restrict, const cache_t *__restrict, const int, const float, const int *__restrict, const int *__restrict, const int *__restrict, const int, const float *__restrict, const int, const int, const int, float *__restrict, float *__restrict, scalar_t *__restrict, OUTT *__restrict, int, const float *, const float *) [scalar_t = __hip_bfloat16, cache_t = unsigned char, KV_DTYPE = vllm::Fp8KVCacheDataType::kFp8E4M3, OUTT = unsigned char, BLOCK_SIZE = 16, HEAD_SIZE = 64, NUM_THREADS = 256, ALIBI_ENABLED = false, GQA_RATIO = 6]"
	.size	__PRETTY_FUNCTION__._Z39paged_attention_ll4mi_QKV_mfma16_kernelI14__hip_bfloat16hLN4vllm18Fp8KVCacheDataTypeE1EhLi16ELi64ELi256ELb0ELi6EEvPKT_PKT0_S8_ifPKiSA_SA_iPKfiiiPfSD_PS3_PT2_iSC_SC_, 614

	.type	__PRETTY_FUNCTION__._Z39paged_attention_ll4mi_QKV_mfma16_kernelI14__hip_bfloat16hLN4vllm18Fp8KVCacheDataTypeE1EhLi16ELi64ELi256ELb0ELi7EEvPKT_PKT0_S8_ifPKiSA_SA_iPKfiiiPfSD_PS3_PT2_iSC_SC_,@object ; @__PRETTY_FUNCTION__._Z39paged_attention_ll4mi_QKV_mfma16_kernelI14__hip_bfloat16hLN4vllm18Fp8KVCacheDataTypeE1EhLi16ELi64ELi256ELb0ELi7EEvPKT_PKT0_S8_ifPKiSA_SA_iPKfiiiPfSD_PS3_PT2_iSC_SC_
__PRETTY_FUNCTION__._Z39paged_attention_ll4mi_QKV_mfma16_kernelI14__hip_bfloat16hLN4vllm18Fp8KVCacheDataTypeE1EhLi16ELi64ELi256ELb0ELi7EEvPKT_PKT0_S8_ifPKiSA_SA_iPKfiiiPfSD_PS3_PT2_iSC_SC_:
	.asciz	"void paged_attention_ll4mi_QKV_mfma16_kernel(const scalar_t *__restrict, const cache_t *__restrict, const cache_t *__restrict, const int, const float, const int *__restrict, const int *__restrict, const int *__restrict, const int, const float *__restrict, const int, const int, const int, float *__restrict, float *__restrict, scalar_t *__restrict, OUTT *__restrict, int, const float *, const float *) [scalar_t = __hip_bfloat16, cache_t = unsigned char, KV_DTYPE = vllm::Fp8KVCacheDataType::kFp8E4M3, OUTT = unsigned char, BLOCK_SIZE = 16, HEAD_SIZE = 64, NUM_THREADS = 256, ALIBI_ENABLED = false, GQA_RATIO = 7]"
	.size	__PRETTY_FUNCTION__._Z39paged_attention_ll4mi_QKV_mfma16_kernelI14__hip_bfloat16hLN4vllm18Fp8KVCacheDataTypeE1EhLi16ELi64ELi256ELb0ELi7EEvPKT_PKT0_S8_ifPKiSA_SA_iPKfiiiPfSD_PS3_PT2_iSC_SC_, 614

	.type	__PRETTY_FUNCTION__._Z39paged_attention_ll4mi_QKV_mfma16_kernelI14__hip_bfloat16hLN4vllm18Fp8KVCacheDataTypeE1EhLi16ELi64ELi256ELb0ELi8EEvPKT_PKT0_S8_ifPKiSA_SA_iPKfiiiPfSD_PS3_PT2_iSC_SC_,@object ; @__PRETTY_FUNCTION__._Z39paged_attention_ll4mi_QKV_mfma16_kernelI14__hip_bfloat16hLN4vllm18Fp8KVCacheDataTypeE1EhLi16ELi64ELi256ELb0ELi8EEvPKT_PKT0_S8_ifPKiSA_SA_iPKfiiiPfSD_PS3_PT2_iSC_SC_
__PRETTY_FUNCTION__._Z39paged_attention_ll4mi_QKV_mfma16_kernelI14__hip_bfloat16hLN4vllm18Fp8KVCacheDataTypeE1EhLi16ELi64ELi256ELb0ELi8EEvPKT_PKT0_S8_ifPKiSA_SA_iPKfiiiPfSD_PS3_PT2_iSC_SC_:
	.asciz	"void paged_attention_ll4mi_QKV_mfma16_kernel(const scalar_t *__restrict, const cache_t *__restrict, const cache_t *__restrict, const int, const float, const int *__restrict, const int *__restrict, const int *__restrict, const int, const float *__restrict, const int, const int, const int, float *__restrict, float *__restrict, scalar_t *__restrict, OUTT *__restrict, int, const float *, const float *) [scalar_t = __hip_bfloat16, cache_t = unsigned char, KV_DTYPE = vllm::Fp8KVCacheDataType::kFp8E4M3, OUTT = unsigned char, BLOCK_SIZE = 16, HEAD_SIZE = 64, NUM_THREADS = 256, ALIBI_ENABLED = false, GQA_RATIO = 8]"
	.size	__PRETTY_FUNCTION__._Z39paged_attention_ll4mi_QKV_mfma16_kernelI14__hip_bfloat16hLN4vllm18Fp8KVCacheDataTypeE1EhLi16ELi64ELi256ELb0ELi8EEvPKT_PKT0_S8_ifPKiSA_SA_iPKfiiiPfSD_PS3_PT2_iSC_SC_, 614

	.type	__PRETTY_FUNCTION__._Z39paged_attention_ll4mi_QKV_mfma16_kernelI14__hip_bfloat16hLN4vllm18Fp8KVCacheDataTypeE1EhLi16ELi64ELi256ELb0ELi9EEvPKT_PKT0_S8_ifPKiSA_SA_iPKfiiiPfSD_PS3_PT2_iSC_SC_,@object ; @__PRETTY_FUNCTION__._Z39paged_attention_ll4mi_QKV_mfma16_kernelI14__hip_bfloat16hLN4vllm18Fp8KVCacheDataTypeE1EhLi16ELi64ELi256ELb0ELi9EEvPKT_PKT0_S8_ifPKiSA_SA_iPKfiiiPfSD_PS3_PT2_iSC_SC_
__PRETTY_FUNCTION__._Z39paged_attention_ll4mi_QKV_mfma16_kernelI14__hip_bfloat16hLN4vllm18Fp8KVCacheDataTypeE1EhLi16ELi64ELi256ELb0ELi9EEvPKT_PKT0_S8_ifPKiSA_SA_iPKfiiiPfSD_PS3_PT2_iSC_SC_:
	.asciz	"void paged_attention_ll4mi_QKV_mfma16_kernel(const scalar_t *__restrict, const cache_t *__restrict, const cache_t *__restrict, const int, const float, const int *__restrict, const int *__restrict, const int *__restrict, const int, const float *__restrict, const int, const int, const int, float *__restrict, float *__restrict, scalar_t *__restrict, OUTT *__restrict, int, const float *, const float *) [scalar_t = __hip_bfloat16, cache_t = unsigned char, KV_DTYPE = vllm::Fp8KVCacheDataType::kFp8E4M3, OUTT = unsigned char, BLOCK_SIZE = 16, HEAD_SIZE = 64, NUM_THREADS = 256, ALIBI_ENABLED = false, GQA_RATIO = 9]"
	.size	__PRETTY_FUNCTION__._Z39paged_attention_ll4mi_QKV_mfma16_kernelI14__hip_bfloat16hLN4vllm18Fp8KVCacheDataTypeE1EhLi16ELi64ELi256ELb0ELi9EEvPKT_PKT0_S8_ifPKiSA_SA_iPKfiiiPfSD_PS3_PT2_iSC_SC_, 614

	.type	__PRETTY_FUNCTION__._Z39paged_attention_ll4mi_QKV_mfma16_kernelI14__hip_bfloat16hLN4vllm18Fp8KVCacheDataTypeE1EhLi16ELi64ELi256ELb0ELi10EEvPKT_PKT0_S8_ifPKiSA_SA_iPKfiiiPfSD_PS3_PT2_iSC_SC_,@object ; @__PRETTY_FUNCTION__._Z39paged_attention_ll4mi_QKV_mfma16_kernelI14__hip_bfloat16hLN4vllm18Fp8KVCacheDataTypeE1EhLi16ELi64ELi256ELb0ELi10EEvPKT_PKT0_S8_ifPKiSA_SA_iPKfiiiPfSD_PS3_PT2_iSC_SC_
__PRETTY_FUNCTION__._Z39paged_attention_ll4mi_QKV_mfma16_kernelI14__hip_bfloat16hLN4vllm18Fp8KVCacheDataTypeE1EhLi16ELi64ELi256ELb0ELi10EEvPKT_PKT0_S8_ifPKiSA_SA_iPKfiiiPfSD_PS3_PT2_iSC_SC_:
	.asciz	"void paged_attention_ll4mi_QKV_mfma16_kernel(const scalar_t *__restrict, const cache_t *__restrict, const cache_t *__restrict, const int, const float, const int *__restrict, const int *__restrict, const int *__restrict, const int, const float *__restrict, const int, const int, const int, float *__restrict, float *__restrict, scalar_t *__restrict, OUTT *__restrict, int, const float *, const float *) [scalar_t = __hip_bfloat16, cache_t = unsigned char, KV_DTYPE = vllm::Fp8KVCacheDataType::kFp8E4M3, OUTT = unsigned char, BLOCK_SIZE = 16, HEAD_SIZE = 64, NUM_THREADS = 256, ALIBI_ENABLED = false, GQA_RATIO = 10]"
	.size	__PRETTY_FUNCTION__._Z39paged_attention_ll4mi_QKV_mfma16_kernelI14__hip_bfloat16hLN4vllm18Fp8KVCacheDataTypeE1EhLi16ELi64ELi256ELb0ELi10EEvPKT_PKT0_S8_ifPKiSA_SA_iPKfiiiPfSD_PS3_PT2_iSC_SC_, 615

	.type	__PRETTY_FUNCTION__._Z39paged_attention_ll4mi_QKV_mfma16_kernelI14__hip_bfloat16hLN4vllm18Fp8KVCacheDataTypeE1EhLi16ELi64ELi256ELb0ELi11EEvPKT_PKT0_S8_ifPKiSA_SA_iPKfiiiPfSD_PS3_PT2_iSC_SC_,@object ; @__PRETTY_FUNCTION__._Z39paged_attention_ll4mi_QKV_mfma16_kernelI14__hip_bfloat16hLN4vllm18Fp8KVCacheDataTypeE1EhLi16ELi64ELi256ELb0ELi11EEvPKT_PKT0_S8_ifPKiSA_SA_iPKfiiiPfSD_PS3_PT2_iSC_SC_
__PRETTY_FUNCTION__._Z39paged_attention_ll4mi_QKV_mfma16_kernelI14__hip_bfloat16hLN4vllm18Fp8KVCacheDataTypeE1EhLi16ELi64ELi256ELb0ELi11EEvPKT_PKT0_S8_ifPKiSA_SA_iPKfiiiPfSD_PS3_PT2_iSC_SC_:
	.asciz	"void paged_attention_ll4mi_QKV_mfma16_kernel(const scalar_t *__restrict, const cache_t *__restrict, const cache_t *__restrict, const int, const float, const int *__restrict, const int *__restrict, const int *__restrict, const int, const float *__restrict, const int, const int, const int, float *__restrict, float *__restrict, scalar_t *__restrict, OUTT *__restrict, int, const float *, const float *) [scalar_t = __hip_bfloat16, cache_t = unsigned char, KV_DTYPE = vllm::Fp8KVCacheDataType::kFp8E4M3, OUTT = unsigned char, BLOCK_SIZE = 16, HEAD_SIZE = 64, NUM_THREADS = 256, ALIBI_ENABLED = false, GQA_RATIO = 11]"
	.size	__PRETTY_FUNCTION__._Z39paged_attention_ll4mi_QKV_mfma16_kernelI14__hip_bfloat16hLN4vllm18Fp8KVCacheDataTypeE1EhLi16ELi64ELi256ELb0ELi11EEvPKT_PKT0_S8_ifPKiSA_SA_iPKfiiiPfSD_PS3_PT2_iSC_SC_, 615

	.type	__PRETTY_FUNCTION__._Z39paged_attention_ll4mi_QKV_mfma16_kernelI14__hip_bfloat16hLN4vllm18Fp8KVCacheDataTypeE1EhLi16ELi64ELi256ELb0ELi12EEvPKT_PKT0_S8_ifPKiSA_SA_iPKfiiiPfSD_PS3_PT2_iSC_SC_,@object ; @__PRETTY_FUNCTION__._Z39paged_attention_ll4mi_QKV_mfma16_kernelI14__hip_bfloat16hLN4vllm18Fp8KVCacheDataTypeE1EhLi16ELi64ELi256ELb0ELi12EEvPKT_PKT0_S8_ifPKiSA_SA_iPKfiiiPfSD_PS3_PT2_iSC_SC_
__PRETTY_FUNCTION__._Z39paged_attention_ll4mi_QKV_mfma16_kernelI14__hip_bfloat16hLN4vllm18Fp8KVCacheDataTypeE1EhLi16ELi64ELi256ELb0ELi12EEvPKT_PKT0_S8_ifPKiSA_SA_iPKfiiiPfSD_PS3_PT2_iSC_SC_:
	.asciz	"void paged_attention_ll4mi_QKV_mfma16_kernel(const scalar_t *__restrict, const cache_t *__restrict, const cache_t *__restrict, const int, const float, const int *__restrict, const int *__restrict, const int *__restrict, const int, const float *__restrict, const int, const int, const int, float *__restrict, float *__restrict, scalar_t *__restrict, OUTT *__restrict, int, const float *, const float *) [scalar_t = __hip_bfloat16, cache_t = unsigned char, KV_DTYPE = vllm::Fp8KVCacheDataType::kFp8E4M3, OUTT = unsigned char, BLOCK_SIZE = 16, HEAD_SIZE = 64, NUM_THREADS = 256, ALIBI_ENABLED = false, GQA_RATIO = 12]"
	.size	__PRETTY_FUNCTION__._Z39paged_attention_ll4mi_QKV_mfma16_kernelI14__hip_bfloat16hLN4vllm18Fp8KVCacheDataTypeE1EhLi16ELi64ELi256ELb0ELi12EEvPKT_PKT0_S8_ifPKiSA_SA_iPKfiiiPfSD_PS3_PT2_iSC_SC_, 615

	.type	__PRETTY_FUNCTION__._Z39paged_attention_ll4mi_QKV_mfma16_kernelI14__hip_bfloat16hLN4vllm18Fp8KVCacheDataTypeE1EhLi16ELi64ELi256ELb0ELi13EEvPKT_PKT0_S8_ifPKiSA_SA_iPKfiiiPfSD_PS3_PT2_iSC_SC_,@object ; @__PRETTY_FUNCTION__._Z39paged_attention_ll4mi_QKV_mfma16_kernelI14__hip_bfloat16hLN4vllm18Fp8KVCacheDataTypeE1EhLi16ELi64ELi256ELb0ELi13EEvPKT_PKT0_S8_ifPKiSA_SA_iPKfiiiPfSD_PS3_PT2_iSC_SC_
__PRETTY_FUNCTION__._Z39paged_attention_ll4mi_QKV_mfma16_kernelI14__hip_bfloat16hLN4vllm18Fp8KVCacheDataTypeE1EhLi16ELi64ELi256ELb0ELi13EEvPKT_PKT0_S8_ifPKiSA_SA_iPKfiiiPfSD_PS3_PT2_iSC_SC_:
	.asciz	"void paged_attention_ll4mi_QKV_mfma16_kernel(const scalar_t *__restrict, const cache_t *__restrict, const cache_t *__restrict, const int, const float, const int *__restrict, const int *__restrict, const int *__restrict, const int, const float *__restrict, const int, const int, const int, float *__restrict, float *__restrict, scalar_t *__restrict, OUTT *__restrict, int, const float *, const float *) [scalar_t = __hip_bfloat16, cache_t = unsigned char, KV_DTYPE = vllm::Fp8KVCacheDataType::kFp8E4M3, OUTT = unsigned char, BLOCK_SIZE = 16, HEAD_SIZE = 64, NUM_THREADS = 256, ALIBI_ENABLED = false, GQA_RATIO = 13]"
	.size	__PRETTY_FUNCTION__._Z39paged_attention_ll4mi_QKV_mfma16_kernelI14__hip_bfloat16hLN4vllm18Fp8KVCacheDataTypeE1EhLi16ELi64ELi256ELb0ELi13EEvPKT_PKT0_S8_ifPKiSA_SA_iPKfiiiPfSD_PS3_PT2_iSC_SC_, 615

	.type	__PRETTY_FUNCTION__._Z39paged_attention_ll4mi_QKV_mfma16_kernelI14__hip_bfloat16hLN4vllm18Fp8KVCacheDataTypeE1EhLi16ELi64ELi256ELb0ELi14EEvPKT_PKT0_S8_ifPKiSA_SA_iPKfiiiPfSD_PS3_PT2_iSC_SC_,@object ; @__PRETTY_FUNCTION__._Z39paged_attention_ll4mi_QKV_mfma16_kernelI14__hip_bfloat16hLN4vllm18Fp8KVCacheDataTypeE1EhLi16ELi64ELi256ELb0ELi14EEvPKT_PKT0_S8_ifPKiSA_SA_iPKfiiiPfSD_PS3_PT2_iSC_SC_
__PRETTY_FUNCTION__._Z39paged_attention_ll4mi_QKV_mfma16_kernelI14__hip_bfloat16hLN4vllm18Fp8KVCacheDataTypeE1EhLi16ELi64ELi256ELb0ELi14EEvPKT_PKT0_S8_ifPKiSA_SA_iPKfiiiPfSD_PS3_PT2_iSC_SC_:
	.asciz	"void paged_attention_ll4mi_QKV_mfma16_kernel(const scalar_t *__restrict, const cache_t *__restrict, const cache_t *__restrict, const int, const float, const int *__restrict, const int *__restrict, const int *__restrict, const int, const float *__restrict, const int, const int, const int, float *__restrict, float *__restrict, scalar_t *__restrict, OUTT *__restrict, int, const float *, const float *) [scalar_t = __hip_bfloat16, cache_t = unsigned char, KV_DTYPE = vllm::Fp8KVCacheDataType::kFp8E4M3, OUTT = unsigned char, BLOCK_SIZE = 16, HEAD_SIZE = 64, NUM_THREADS = 256, ALIBI_ENABLED = false, GQA_RATIO = 14]"
	.size	__PRETTY_FUNCTION__._Z39paged_attention_ll4mi_QKV_mfma16_kernelI14__hip_bfloat16hLN4vllm18Fp8KVCacheDataTypeE1EhLi16ELi64ELi256ELb0ELi14EEvPKT_PKT0_S8_ifPKiSA_SA_iPKfiiiPfSD_PS3_PT2_iSC_SC_, 615

	.type	__PRETTY_FUNCTION__._Z39paged_attention_ll4mi_QKV_mfma16_kernelI14__hip_bfloat16hLN4vllm18Fp8KVCacheDataTypeE1EhLi16ELi64ELi256ELb0ELi15EEvPKT_PKT0_S8_ifPKiSA_SA_iPKfiiiPfSD_PS3_PT2_iSC_SC_,@object ; @__PRETTY_FUNCTION__._Z39paged_attention_ll4mi_QKV_mfma16_kernelI14__hip_bfloat16hLN4vllm18Fp8KVCacheDataTypeE1EhLi16ELi64ELi256ELb0ELi15EEvPKT_PKT0_S8_ifPKiSA_SA_iPKfiiiPfSD_PS3_PT2_iSC_SC_
__PRETTY_FUNCTION__._Z39paged_attention_ll4mi_QKV_mfma16_kernelI14__hip_bfloat16hLN4vllm18Fp8KVCacheDataTypeE1EhLi16ELi64ELi256ELb0ELi15EEvPKT_PKT0_S8_ifPKiSA_SA_iPKfiiiPfSD_PS3_PT2_iSC_SC_:
	.asciz	"void paged_attention_ll4mi_QKV_mfma16_kernel(const scalar_t *__restrict, const cache_t *__restrict, const cache_t *__restrict, const int, const float, const int *__restrict, const int *__restrict, const int *__restrict, const int, const float *__restrict, const int, const int, const int, float *__restrict, float *__restrict, scalar_t *__restrict, OUTT *__restrict, int, const float *, const float *) [scalar_t = __hip_bfloat16, cache_t = unsigned char, KV_DTYPE = vllm::Fp8KVCacheDataType::kFp8E4M3, OUTT = unsigned char, BLOCK_SIZE = 16, HEAD_SIZE = 64, NUM_THREADS = 256, ALIBI_ENABLED = false, GQA_RATIO = 15]"
	.size	__PRETTY_FUNCTION__._Z39paged_attention_ll4mi_QKV_mfma16_kernelI14__hip_bfloat16hLN4vllm18Fp8KVCacheDataTypeE1EhLi16ELi64ELi256ELb0ELi15EEvPKT_PKT0_S8_ifPKiSA_SA_iPKfiiiPfSD_PS3_PT2_iSC_SC_, 615

	.type	__PRETTY_FUNCTION__._Z39paged_attention_ll4mi_QKV_mfma16_kernelI14__hip_bfloat16hLN4vllm18Fp8KVCacheDataTypeE1EhLi16ELi64ELi256ELb0ELi16EEvPKT_PKT0_S8_ifPKiSA_SA_iPKfiiiPfSD_PS3_PT2_iSC_SC_,@object ; @__PRETTY_FUNCTION__._Z39paged_attention_ll4mi_QKV_mfma16_kernelI14__hip_bfloat16hLN4vllm18Fp8KVCacheDataTypeE1EhLi16ELi64ELi256ELb0ELi16EEvPKT_PKT0_S8_ifPKiSA_SA_iPKfiiiPfSD_PS3_PT2_iSC_SC_
__PRETTY_FUNCTION__._Z39paged_attention_ll4mi_QKV_mfma16_kernelI14__hip_bfloat16hLN4vllm18Fp8KVCacheDataTypeE1EhLi16ELi64ELi256ELb0ELi16EEvPKT_PKT0_S8_ifPKiSA_SA_iPKfiiiPfSD_PS3_PT2_iSC_SC_:
	.asciz	"void paged_attention_ll4mi_QKV_mfma16_kernel(const scalar_t *__restrict, const cache_t *__restrict, const cache_t *__restrict, const int, const float, const int *__restrict, const int *__restrict, const int *__restrict, const int, const float *__restrict, const int, const int, const int, float *__restrict, float *__restrict, scalar_t *__restrict, OUTT *__restrict, int, const float *, const float *) [scalar_t = __hip_bfloat16, cache_t = unsigned char, KV_DTYPE = vllm::Fp8KVCacheDataType::kFp8E4M3, OUTT = unsigned char, BLOCK_SIZE = 16, HEAD_SIZE = 64, NUM_THREADS = 256, ALIBI_ENABLED = false, GQA_RATIO = 16]"
	.size	__PRETTY_FUNCTION__._Z39paged_attention_ll4mi_QKV_mfma16_kernelI14__hip_bfloat16hLN4vllm18Fp8KVCacheDataTypeE1EhLi16ELi64ELi256ELb0ELi16EEvPKT_PKT0_S8_ifPKiSA_SA_iPKfiiiPfSD_PS3_PT2_iSC_SC_, 615

	.type	__PRETTY_FUNCTION__._Z39paged_attention_ll4mi_QKV_mfma16_kernelI14__hip_bfloat16hLN4vllm18Fp8KVCacheDataTypeE1EhLi16ELi64ELi256ELb0ELi1EEvPKT_PKT0_S8_ifPKiSA_SA_iPKfiiiPfSD_PS3_PT2_iSC_SC_,@object ; @__PRETTY_FUNCTION__._Z39paged_attention_ll4mi_QKV_mfma16_kernelI14__hip_bfloat16hLN4vllm18Fp8KVCacheDataTypeE1EhLi16ELi64ELi256ELb0ELi1EEvPKT_PKT0_S8_ifPKiSA_SA_iPKfiiiPfSD_PS3_PT2_iSC_SC_
__PRETTY_FUNCTION__._Z39paged_attention_ll4mi_QKV_mfma16_kernelI14__hip_bfloat16hLN4vllm18Fp8KVCacheDataTypeE1EhLi16ELi64ELi256ELb0ELi1EEvPKT_PKT0_S8_ifPKiSA_SA_iPKfiiiPfSD_PS3_PT2_iSC_SC_:
	.asciz	"void paged_attention_ll4mi_QKV_mfma16_kernel(const scalar_t *__restrict, const cache_t *__restrict, const cache_t *__restrict, const int, const float, const int *__restrict, const int *__restrict, const int *__restrict, const int, const float *__restrict, const int, const int, const int, float *__restrict, float *__restrict, scalar_t *__restrict, OUTT *__restrict, int, const float *, const float *) [scalar_t = __hip_bfloat16, cache_t = unsigned char, KV_DTYPE = vllm::Fp8KVCacheDataType::kFp8E4M3, OUTT = unsigned char, BLOCK_SIZE = 16, HEAD_SIZE = 64, NUM_THREADS = 256, ALIBI_ENABLED = false, GQA_RATIO = 1]"
	.size	__PRETTY_FUNCTION__._Z39paged_attention_ll4mi_QKV_mfma16_kernelI14__hip_bfloat16hLN4vllm18Fp8KVCacheDataTypeE1EhLi16ELi64ELi256ELb0ELi1EEvPKT_PKT0_S8_ifPKiSA_SA_iPKfiiiPfSD_PS3_PT2_iSC_SC_, 614

	.type	__PRETTY_FUNCTION__._Z39paged_attention_ll4mi_QKV_mfma16_kernelI14__hip_bfloat16hLN4vllm18Fp8KVCacheDataTypeE1EhLi16ELi64ELi256ELb0ELi2EEvPKT_PKT0_S8_ifPKiSA_SA_iPKfiiiPfSD_PS3_PT2_iSC_SC_,@object ; @__PRETTY_FUNCTION__._Z39paged_attention_ll4mi_QKV_mfma16_kernelI14__hip_bfloat16hLN4vllm18Fp8KVCacheDataTypeE1EhLi16ELi64ELi256ELb0ELi2EEvPKT_PKT0_S8_ifPKiSA_SA_iPKfiiiPfSD_PS3_PT2_iSC_SC_
__PRETTY_FUNCTION__._Z39paged_attention_ll4mi_QKV_mfma16_kernelI14__hip_bfloat16hLN4vllm18Fp8KVCacheDataTypeE1EhLi16ELi64ELi256ELb0ELi2EEvPKT_PKT0_S8_ifPKiSA_SA_iPKfiiiPfSD_PS3_PT2_iSC_SC_:
	.asciz	"void paged_attention_ll4mi_QKV_mfma16_kernel(const scalar_t *__restrict, const cache_t *__restrict, const cache_t *__restrict, const int, const float, const int *__restrict, const int *__restrict, const int *__restrict, const int, const float *__restrict, const int, const int, const int, float *__restrict, float *__restrict, scalar_t *__restrict, OUTT *__restrict, int, const float *, const float *) [scalar_t = __hip_bfloat16, cache_t = unsigned char, KV_DTYPE = vllm::Fp8KVCacheDataType::kFp8E4M3, OUTT = unsigned char, BLOCK_SIZE = 16, HEAD_SIZE = 64, NUM_THREADS = 256, ALIBI_ENABLED = false, GQA_RATIO = 2]"
	.size	__PRETTY_FUNCTION__._Z39paged_attention_ll4mi_QKV_mfma16_kernelI14__hip_bfloat16hLN4vllm18Fp8KVCacheDataTypeE1EhLi16ELi64ELi256ELb0ELi2EEvPKT_PKT0_S8_ifPKiSA_SA_iPKfiiiPfSD_PS3_PT2_iSC_SC_, 614

	.type	__PRETTY_FUNCTION__._Z39paged_attention_ll4mi_QKV_mfma16_kernelI14__hip_bfloat16hLN4vllm18Fp8KVCacheDataTypeE1EhLi16ELi64ELi256ELb0ELi3EEvPKT_PKT0_S8_ifPKiSA_SA_iPKfiiiPfSD_PS3_PT2_iSC_SC_,@object ; @__PRETTY_FUNCTION__._Z39paged_attention_ll4mi_QKV_mfma16_kernelI14__hip_bfloat16hLN4vllm18Fp8KVCacheDataTypeE1EhLi16ELi64ELi256ELb0ELi3EEvPKT_PKT0_S8_ifPKiSA_SA_iPKfiiiPfSD_PS3_PT2_iSC_SC_
__PRETTY_FUNCTION__._Z39paged_attention_ll4mi_QKV_mfma16_kernelI14__hip_bfloat16hLN4vllm18Fp8KVCacheDataTypeE1EhLi16ELi64ELi256ELb0ELi3EEvPKT_PKT0_S8_ifPKiSA_SA_iPKfiiiPfSD_PS3_PT2_iSC_SC_:
	.asciz	"void paged_attention_ll4mi_QKV_mfma16_kernel(const scalar_t *__restrict, const cache_t *__restrict, const cache_t *__restrict, const int, const float, const int *__restrict, const int *__restrict, const int *__restrict, const int, const float *__restrict, const int, const int, const int, float *__restrict, float *__restrict, scalar_t *__restrict, OUTT *__restrict, int, const float *, const float *) [scalar_t = __hip_bfloat16, cache_t = unsigned char, KV_DTYPE = vllm::Fp8KVCacheDataType::kFp8E4M3, OUTT = unsigned char, BLOCK_SIZE = 16, HEAD_SIZE = 64, NUM_THREADS = 256, ALIBI_ENABLED = false, GQA_RATIO = 3]"
	.size	__PRETTY_FUNCTION__._Z39paged_attention_ll4mi_QKV_mfma16_kernelI14__hip_bfloat16hLN4vllm18Fp8KVCacheDataTypeE1EhLi16ELi64ELi256ELb0ELi3EEvPKT_PKT0_S8_ifPKiSA_SA_iPKfiiiPfSD_PS3_PT2_iSC_SC_, 614

	.type	__PRETTY_FUNCTION__._Z39paged_attention_ll4mi_QKV_mfma16_kernelI14__hip_bfloat16hLN4vllm18Fp8KVCacheDataTypeE1EhLi16ELi64ELi256ELb0ELi4EEvPKT_PKT0_S8_ifPKiSA_SA_iPKfiiiPfSD_PS3_PT2_iSC_SC_,@object ; @__PRETTY_FUNCTION__._Z39paged_attention_ll4mi_QKV_mfma16_kernelI14__hip_bfloat16hLN4vllm18Fp8KVCacheDataTypeE1EhLi16ELi64ELi256ELb0ELi4EEvPKT_PKT0_S8_ifPKiSA_SA_iPKfiiiPfSD_PS3_PT2_iSC_SC_
__PRETTY_FUNCTION__._Z39paged_attention_ll4mi_QKV_mfma16_kernelI14__hip_bfloat16hLN4vllm18Fp8KVCacheDataTypeE1EhLi16ELi64ELi256ELb0ELi4EEvPKT_PKT0_S8_ifPKiSA_SA_iPKfiiiPfSD_PS3_PT2_iSC_SC_:
	.asciz	"void paged_attention_ll4mi_QKV_mfma16_kernel(const scalar_t *__restrict, const cache_t *__restrict, const cache_t *__restrict, const int, const float, const int *__restrict, const int *__restrict, const int *__restrict, const int, const float *__restrict, const int, const int, const int, float *__restrict, float *__restrict, scalar_t *__restrict, OUTT *__restrict, int, const float *, const float *) [scalar_t = __hip_bfloat16, cache_t = unsigned char, KV_DTYPE = vllm::Fp8KVCacheDataType::kFp8E4M3, OUTT = unsigned char, BLOCK_SIZE = 16, HEAD_SIZE = 64, NUM_THREADS = 256, ALIBI_ENABLED = false, GQA_RATIO = 4]"
	.size	__PRETTY_FUNCTION__._Z39paged_attention_ll4mi_QKV_mfma16_kernelI14__hip_bfloat16hLN4vllm18Fp8KVCacheDataTypeE1EhLi16ELi64ELi256ELb0ELi4EEvPKT_PKT0_S8_ifPKiSA_SA_iPKfiiiPfSD_PS3_PT2_iSC_SC_, 614

	.type	__PRETTY_FUNCTION__._Z38paged_attention_ll4mi_QKV_mfma4_kernelI14__hip_bfloat16hLN4vllm18Fp8KVCacheDataTypeE1ES0_Li16ELi64ELi256ELb1ELi1EEvPKT_PKT0_S8_ifPKiSA_SA_iPKfiiiPfSD_PS3_PT2_iSC_SC_,@object ; @__PRETTY_FUNCTION__._Z38paged_attention_ll4mi_QKV_mfma4_kernelI14__hip_bfloat16hLN4vllm18Fp8KVCacheDataTypeE1ES0_Li16ELi64ELi256ELb1ELi1EEvPKT_PKT0_S8_ifPKiSA_SA_iPKfiiiPfSD_PS3_PT2_iSC_SC_
__PRETTY_FUNCTION__._Z38paged_attention_ll4mi_QKV_mfma4_kernelI14__hip_bfloat16hLN4vllm18Fp8KVCacheDataTypeE1ES0_Li16ELi64ELi256ELb1ELi1EEvPKT_PKT0_S8_ifPKiSA_SA_iPKfiiiPfSD_PS3_PT2_iSC_SC_:
	.asciz	"void paged_attention_ll4mi_QKV_mfma4_kernel(const scalar_t *__restrict, const cache_t *__restrict, const cache_t *__restrict, const int, const float, const int *__restrict, const int *__restrict, const int *__restrict, const int, const float *__restrict, const int, const int, const int, float *__restrict, float *__restrict, scalar_t *__restrict, OUTT *__restrict, int, const float *, const float *) [scalar_t = __hip_bfloat16, cache_t = unsigned char, KV_DTYPE = vllm::Fp8KVCacheDataType::kFp8E4M3, OUTT = __hip_bfloat16, BLOCK_SIZE = 16, HEAD_SIZE = 64, NUM_THREADS = 256, ALIBI_ENABLED = true, GQA_RATIO = 1]"
	.size	__PRETTY_FUNCTION__._Z38paged_attention_ll4mi_QKV_mfma4_kernelI14__hip_bfloat16hLN4vllm18Fp8KVCacheDataTypeE1ES0_Li16ELi64ELi256ELb1ELi1EEvPKT_PKT0_S8_ifPKiSA_SA_iPKfiiiPfSD_PS3_PT2_iSC_SC_, 613

	.type	__PRETTY_FUNCTION__._Z38paged_attention_ll4mi_QKV_mfma4_kernelI14__hip_bfloat16hLN4vllm18Fp8KVCacheDataTypeE1ES0_Li16ELi64ELi256ELb1ELi2EEvPKT_PKT0_S8_ifPKiSA_SA_iPKfiiiPfSD_PS3_PT2_iSC_SC_,@object ; @__PRETTY_FUNCTION__._Z38paged_attention_ll4mi_QKV_mfma4_kernelI14__hip_bfloat16hLN4vllm18Fp8KVCacheDataTypeE1ES0_Li16ELi64ELi256ELb1ELi2EEvPKT_PKT0_S8_ifPKiSA_SA_iPKfiiiPfSD_PS3_PT2_iSC_SC_
__PRETTY_FUNCTION__._Z38paged_attention_ll4mi_QKV_mfma4_kernelI14__hip_bfloat16hLN4vllm18Fp8KVCacheDataTypeE1ES0_Li16ELi64ELi256ELb1ELi2EEvPKT_PKT0_S8_ifPKiSA_SA_iPKfiiiPfSD_PS3_PT2_iSC_SC_:
	.asciz	"void paged_attention_ll4mi_QKV_mfma4_kernel(const scalar_t *__restrict, const cache_t *__restrict, const cache_t *__restrict, const int, const float, const int *__restrict, const int *__restrict, const int *__restrict, const int, const float *__restrict, const int, const int, const int, float *__restrict, float *__restrict, scalar_t *__restrict, OUTT *__restrict, int, const float *, const float *) [scalar_t = __hip_bfloat16, cache_t = unsigned char, KV_DTYPE = vllm::Fp8KVCacheDataType::kFp8E4M3, OUTT = __hip_bfloat16, BLOCK_SIZE = 16, HEAD_SIZE = 64, NUM_THREADS = 256, ALIBI_ENABLED = true, GQA_RATIO = 2]"
	.size	__PRETTY_FUNCTION__._Z38paged_attention_ll4mi_QKV_mfma4_kernelI14__hip_bfloat16hLN4vllm18Fp8KVCacheDataTypeE1ES0_Li16ELi64ELi256ELb1ELi2EEvPKT_PKT0_S8_ifPKiSA_SA_iPKfiiiPfSD_PS3_PT2_iSC_SC_, 613

	.type	__PRETTY_FUNCTION__._Z38paged_attention_ll4mi_QKV_mfma4_kernelI14__hip_bfloat16hLN4vllm18Fp8KVCacheDataTypeE1ES0_Li16ELi64ELi256ELb1ELi3EEvPKT_PKT0_S8_ifPKiSA_SA_iPKfiiiPfSD_PS3_PT2_iSC_SC_,@object ; @__PRETTY_FUNCTION__._Z38paged_attention_ll4mi_QKV_mfma4_kernelI14__hip_bfloat16hLN4vllm18Fp8KVCacheDataTypeE1ES0_Li16ELi64ELi256ELb1ELi3EEvPKT_PKT0_S8_ifPKiSA_SA_iPKfiiiPfSD_PS3_PT2_iSC_SC_
__PRETTY_FUNCTION__._Z38paged_attention_ll4mi_QKV_mfma4_kernelI14__hip_bfloat16hLN4vllm18Fp8KVCacheDataTypeE1ES0_Li16ELi64ELi256ELb1ELi3EEvPKT_PKT0_S8_ifPKiSA_SA_iPKfiiiPfSD_PS3_PT2_iSC_SC_:
	.asciz	"void paged_attention_ll4mi_QKV_mfma4_kernel(const scalar_t *__restrict, const cache_t *__restrict, const cache_t *__restrict, const int, const float, const int *__restrict, const int *__restrict, const int *__restrict, const int, const float *__restrict, const int, const int, const int, float *__restrict, float *__restrict, scalar_t *__restrict, OUTT *__restrict, int, const float *, const float *) [scalar_t = __hip_bfloat16, cache_t = unsigned char, KV_DTYPE = vllm::Fp8KVCacheDataType::kFp8E4M3, OUTT = __hip_bfloat16, BLOCK_SIZE = 16, HEAD_SIZE = 64, NUM_THREADS = 256, ALIBI_ENABLED = true, GQA_RATIO = 3]"
	.size	__PRETTY_FUNCTION__._Z38paged_attention_ll4mi_QKV_mfma4_kernelI14__hip_bfloat16hLN4vllm18Fp8KVCacheDataTypeE1ES0_Li16ELi64ELi256ELb1ELi3EEvPKT_PKT0_S8_ifPKiSA_SA_iPKfiiiPfSD_PS3_PT2_iSC_SC_, 613

	.type	__PRETTY_FUNCTION__._Z38paged_attention_ll4mi_QKV_mfma4_kernelI14__hip_bfloat16hLN4vllm18Fp8KVCacheDataTypeE1ES0_Li16ELi64ELi256ELb1ELi4EEvPKT_PKT0_S8_ifPKiSA_SA_iPKfiiiPfSD_PS3_PT2_iSC_SC_,@object ; @__PRETTY_FUNCTION__._Z38paged_attention_ll4mi_QKV_mfma4_kernelI14__hip_bfloat16hLN4vllm18Fp8KVCacheDataTypeE1ES0_Li16ELi64ELi256ELb1ELi4EEvPKT_PKT0_S8_ifPKiSA_SA_iPKfiiiPfSD_PS3_PT2_iSC_SC_
__PRETTY_FUNCTION__._Z38paged_attention_ll4mi_QKV_mfma4_kernelI14__hip_bfloat16hLN4vllm18Fp8KVCacheDataTypeE1ES0_Li16ELi64ELi256ELb1ELi4EEvPKT_PKT0_S8_ifPKiSA_SA_iPKfiiiPfSD_PS3_PT2_iSC_SC_:
	.asciz	"void paged_attention_ll4mi_QKV_mfma4_kernel(const scalar_t *__restrict, const cache_t *__restrict, const cache_t *__restrict, const int, const float, const int *__restrict, const int *__restrict, const int *__restrict, const int, const float *__restrict, const int, const int, const int, float *__restrict, float *__restrict, scalar_t *__restrict, OUTT *__restrict, int, const float *, const float *) [scalar_t = __hip_bfloat16, cache_t = unsigned char, KV_DTYPE = vllm::Fp8KVCacheDataType::kFp8E4M3, OUTT = __hip_bfloat16, BLOCK_SIZE = 16, HEAD_SIZE = 64, NUM_THREADS = 256, ALIBI_ENABLED = true, GQA_RATIO = 4]"
	.size	__PRETTY_FUNCTION__._Z38paged_attention_ll4mi_QKV_mfma4_kernelI14__hip_bfloat16hLN4vllm18Fp8KVCacheDataTypeE1ES0_Li16ELi64ELi256ELb1ELi4EEvPKT_PKT0_S8_ifPKiSA_SA_iPKfiiiPfSD_PS3_PT2_iSC_SC_, 613

	.type	__PRETTY_FUNCTION__._Z39paged_attention_ll4mi_QKV_mfma16_kernelI14__hip_bfloat16hLN4vllm18Fp8KVCacheDataTypeE1ES0_Li16ELi64ELi256ELb1ELi5EEvPKT_PKT0_S8_ifPKiSA_SA_iPKfiiiPfSD_PS3_PT2_iSC_SC_,@object ; @__PRETTY_FUNCTION__._Z39paged_attention_ll4mi_QKV_mfma16_kernelI14__hip_bfloat16hLN4vllm18Fp8KVCacheDataTypeE1ES0_Li16ELi64ELi256ELb1ELi5EEvPKT_PKT0_S8_ifPKiSA_SA_iPKfiiiPfSD_PS3_PT2_iSC_SC_
__PRETTY_FUNCTION__._Z39paged_attention_ll4mi_QKV_mfma16_kernelI14__hip_bfloat16hLN4vllm18Fp8KVCacheDataTypeE1ES0_Li16ELi64ELi256ELb1ELi5EEvPKT_PKT0_S8_ifPKiSA_SA_iPKfiiiPfSD_PS3_PT2_iSC_SC_:
	.asciz	"void paged_attention_ll4mi_QKV_mfma16_kernel(const scalar_t *__restrict, const cache_t *__restrict, const cache_t *__restrict, const int, const float, const int *__restrict, const int *__restrict, const int *__restrict, const int, const float *__restrict, const int, const int, const int, float *__restrict, float *__restrict, scalar_t *__restrict, OUTT *__restrict, int, const float *, const float *) [scalar_t = __hip_bfloat16, cache_t = unsigned char, KV_DTYPE = vllm::Fp8KVCacheDataType::kFp8E4M3, OUTT = __hip_bfloat16, BLOCK_SIZE = 16, HEAD_SIZE = 64, NUM_THREADS = 256, ALIBI_ENABLED = true, GQA_RATIO = 5]"
	.size	__PRETTY_FUNCTION__._Z39paged_attention_ll4mi_QKV_mfma16_kernelI14__hip_bfloat16hLN4vllm18Fp8KVCacheDataTypeE1ES0_Li16ELi64ELi256ELb1ELi5EEvPKT_PKT0_S8_ifPKiSA_SA_iPKfiiiPfSD_PS3_PT2_iSC_SC_, 614

	.type	__PRETTY_FUNCTION__._Z39paged_attention_ll4mi_QKV_mfma16_kernelI14__hip_bfloat16hLN4vllm18Fp8KVCacheDataTypeE1ES0_Li16ELi64ELi256ELb1ELi6EEvPKT_PKT0_S8_ifPKiSA_SA_iPKfiiiPfSD_PS3_PT2_iSC_SC_,@object ; @__PRETTY_FUNCTION__._Z39paged_attention_ll4mi_QKV_mfma16_kernelI14__hip_bfloat16hLN4vllm18Fp8KVCacheDataTypeE1ES0_Li16ELi64ELi256ELb1ELi6EEvPKT_PKT0_S8_ifPKiSA_SA_iPKfiiiPfSD_PS3_PT2_iSC_SC_
__PRETTY_FUNCTION__._Z39paged_attention_ll4mi_QKV_mfma16_kernelI14__hip_bfloat16hLN4vllm18Fp8KVCacheDataTypeE1ES0_Li16ELi64ELi256ELb1ELi6EEvPKT_PKT0_S8_ifPKiSA_SA_iPKfiiiPfSD_PS3_PT2_iSC_SC_:
	.asciz	"void paged_attention_ll4mi_QKV_mfma16_kernel(const scalar_t *__restrict, const cache_t *__restrict, const cache_t *__restrict, const int, const float, const int *__restrict, const int *__restrict, const int *__restrict, const int, const float *__restrict, const int, const int, const int, float *__restrict, float *__restrict, scalar_t *__restrict, OUTT *__restrict, int, const float *, const float *) [scalar_t = __hip_bfloat16, cache_t = unsigned char, KV_DTYPE = vllm::Fp8KVCacheDataType::kFp8E4M3, OUTT = __hip_bfloat16, BLOCK_SIZE = 16, HEAD_SIZE = 64, NUM_THREADS = 256, ALIBI_ENABLED = true, GQA_RATIO = 6]"
	.size	__PRETTY_FUNCTION__._Z39paged_attention_ll4mi_QKV_mfma16_kernelI14__hip_bfloat16hLN4vllm18Fp8KVCacheDataTypeE1ES0_Li16ELi64ELi256ELb1ELi6EEvPKT_PKT0_S8_ifPKiSA_SA_iPKfiiiPfSD_PS3_PT2_iSC_SC_, 614

	.type	__PRETTY_FUNCTION__._Z39paged_attention_ll4mi_QKV_mfma16_kernelI14__hip_bfloat16hLN4vllm18Fp8KVCacheDataTypeE1ES0_Li16ELi64ELi256ELb1ELi7EEvPKT_PKT0_S8_ifPKiSA_SA_iPKfiiiPfSD_PS3_PT2_iSC_SC_,@object ; @__PRETTY_FUNCTION__._Z39paged_attention_ll4mi_QKV_mfma16_kernelI14__hip_bfloat16hLN4vllm18Fp8KVCacheDataTypeE1ES0_Li16ELi64ELi256ELb1ELi7EEvPKT_PKT0_S8_ifPKiSA_SA_iPKfiiiPfSD_PS3_PT2_iSC_SC_
__PRETTY_FUNCTION__._Z39paged_attention_ll4mi_QKV_mfma16_kernelI14__hip_bfloat16hLN4vllm18Fp8KVCacheDataTypeE1ES0_Li16ELi64ELi256ELb1ELi7EEvPKT_PKT0_S8_ifPKiSA_SA_iPKfiiiPfSD_PS3_PT2_iSC_SC_:
	.asciz	"void paged_attention_ll4mi_QKV_mfma16_kernel(const scalar_t *__restrict, const cache_t *__restrict, const cache_t *__restrict, const int, const float, const int *__restrict, const int *__restrict, const int *__restrict, const int, const float *__restrict, const int, const int, const int, float *__restrict, float *__restrict, scalar_t *__restrict, OUTT *__restrict, int, const float *, const float *) [scalar_t = __hip_bfloat16, cache_t = unsigned char, KV_DTYPE = vllm::Fp8KVCacheDataType::kFp8E4M3, OUTT = __hip_bfloat16, BLOCK_SIZE = 16, HEAD_SIZE = 64, NUM_THREADS = 256, ALIBI_ENABLED = true, GQA_RATIO = 7]"
	.size	__PRETTY_FUNCTION__._Z39paged_attention_ll4mi_QKV_mfma16_kernelI14__hip_bfloat16hLN4vllm18Fp8KVCacheDataTypeE1ES0_Li16ELi64ELi256ELb1ELi7EEvPKT_PKT0_S8_ifPKiSA_SA_iPKfiiiPfSD_PS3_PT2_iSC_SC_, 614

	.type	__PRETTY_FUNCTION__._Z39paged_attention_ll4mi_QKV_mfma16_kernelI14__hip_bfloat16hLN4vllm18Fp8KVCacheDataTypeE1ES0_Li16ELi64ELi256ELb1ELi8EEvPKT_PKT0_S8_ifPKiSA_SA_iPKfiiiPfSD_PS3_PT2_iSC_SC_,@object ; @__PRETTY_FUNCTION__._Z39paged_attention_ll4mi_QKV_mfma16_kernelI14__hip_bfloat16hLN4vllm18Fp8KVCacheDataTypeE1ES0_Li16ELi64ELi256ELb1ELi8EEvPKT_PKT0_S8_ifPKiSA_SA_iPKfiiiPfSD_PS3_PT2_iSC_SC_
__PRETTY_FUNCTION__._Z39paged_attention_ll4mi_QKV_mfma16_kernelI14__hip_bfloat16hLN4vllm18Fp8KVCacheDataTypeE1ES0_Li16ELi64ELi256ELb1ELi8EEvPKT_PKT0_S8_ifPKiSA_SA_iPKfiiiPfSD_PS3_PT2_iSC_SC_:
	.asciz	"void paged_attention_ll4mi_QKV_mfma16_kernel(const scalar_t *__restrict, const cache_t *__restrict, const cache_t *__restrict, const int, const float, const int *__restrict, const int *__restrict, const int *__restrict, const int, const float *__restrict, const int, const int, const int, float *__restrict, float *__restrict, scalar_t *__restrict, OUTT *__restrict, int, const float *, const float *) [scalar_t = __hip_bfloat16, cache_t = unsigned char, KV_DTYPE = vllm::Fp8KVCacheDataType::kFp8E4M3, OUTT = __hip_bfloat16, BLOCK_SIZE = 16, HEAD_SIZE = 64, NUM_THREADS = 256, ALIBI_ENABLED = true, GQA_RATIO = 8]"
	.size	__PRETTY_FUNCTION__._Z39paged_attention_ll4mi_QKV_mfma16_kernelI14__hip_bfloat16hLN4vllm18Fp8KVCacheDataTypeE1ES0_Li16ELi64ELi256ELb1ELi8EEvPKT_PKT0_S8_ifPKiSA_SA_iPKfiiiPfSD_PS3_PT2_iSC_SC_, 614

	.type	__PRETTY_FUNCTION__._Z39paged_attention_ll4mi_QKV_mfma16_kernelI14__hip_bfloat16hLN4vllm18Fp8KVCacheDataTypeE1ES0_Li16ELi64ELi256ELb1ELi9EEvPKT_PKT0_S8_ifPKiSA_SA_iPKfiiiPfSD_PS3_PT2_iSC_SC_,@object ; @__PRETTY_FUNCTION__._Z39paged_attention_ll4mi_QKV_mfma16_kernelI14__hip_bfloat16hLN4vllm18Fp8KVCacheDataTypeE1ES0_Li16ELi64ELi256ELb1ELi9EEvPKT_PKT0_S8_ifPKiSA_SA_iPKfiiiPfSD_PS3_PT2_iSC_SC_
__PRETTY_FUNCTION__._Z39paged_attention_ll4mi_QKV_mfma16_kernelI14__hip_bfloat16hLN4vllm18Fp8KVCacheDataTypeE1ES0_Li16ELi64ELi256ELb1ELi9EEvPKT_PKT0_S8_ifPKiSA_SA_iPKfiiiPfSD_PS3_PT2_iSC_SC_:
	.asciz	"void paged_attention_ll4mi_QKV_mfma16_kernel(const scalar_t *__restrict, const cache_t *__restrict, const cache_t *__restrict, const int, const float, const int *__restrict, const int *__restrict, const int *__restrict, const int, const float *__restrict, const int, const int, const int, float *__restrict, float *__restrict, scalar_t *__restrict, OUTT *__restrict, int, const float *, const float *) [scalar_t = __hip_bfloat16, cache_t = unsigned char, KV_DTYPE = vllm::Fp8KVCacheDataType::kFp8E4M3, OUTT = __hip_bfloat16, BLOCK_SIZE = 16, HEAD_SIZE = 64, NUM_THREADS = 256, ALIBI_ENABLED = true, GQA_RATIO = 9]"
	.size	__PRETTY_FUNCTION__._Z39paged_attention_ll4mi_QKV_mfma16_kernelI14__hip_bfloat16hLN4vllm18Fp8KVCacheDataTypeE1ES0_Li16ELi64ELi256ELb1ELi9EEvPKT_PKT0_S8_ifPKiSA_SA_iPKfiiiPfSD_PS3_PT2_iSC_SC_, 614

	.type	__PRETTY_FUNCTION__._Z39paged_attention_ll4mi_QKV_mfma16_kernelI14__hip_bfloat16hLN4vllm18Fp8KVCacheDataTypeE1ES0_Li16ELi64ELi256ELb1ELi10EEvPKT_PKT0_S8_ifPKiSA_SA_iPKfiiiPfSD_PS3_PT2_iSC_SC_,@object ; @__PRETTY_FUNCTION__._Z39paged_attention_ll4mi_QKV_mfma16_kernelI14__hip_bfloat16hLN4vllm18Fp8KVCacheDataTypeE1ES0_Li16ELi64ELi256ELb1ELi10EEvPKT_PKT0_S8_ifPKiSA_SA_iPKfiiiPfSD_PS3_PT2_iSC_SC_
__PRETTY_FUNCTION__._Z39paged_attention_ll4mi_QKV_mfma16_kernelI14__hip_bfloat16hLN4vllm18Fp8KVCacheDataTypeE1ES0_Li16ELi64ELi256ELb1ELi10EEvPKT_PKT0_S8_ifPKiSA_SA_iPKfiiiPfSD_PS3_PT2_iSC_SC_:
	.asciz	"void paged_attention_ll4mi_QKV_mfma16_kernel(const scalar_t *__restrict, const cache_t *__restrict, const cache_t *__restrict, const int, const float, const int *__restrict, const int *__restrict, const int *__restrict, const int, const float *__restrict, const int, const int, const int, float *__restrict, float *__restrict, scalar_t *__restrict, OUTT *__restrict, int, const float *, const float *) [scalar_t = __hip_bfloat16, cache_t = unsigned char, KV_DTYPE = vllm::Fp8KVCacheDataType::kFp8E4M3, OUTT = __hip_bfloat16, BLOCK_SIZE = 16, HEAD_SIZE = 64, NUM_THREADS = 256, ALIBI_ENABLED = true, GQA_RATIO = 10]"
	.size	__PRETTY_FUNCTION__._Z39paged_attention_ll4mi_QKV_mfma16_kernelI14__hip_bfloat16hLN4vllm18Fp8KVCacheDataTypeE1ES0_Li16ELi64ELi256ELb1ELi10EEvPKT_PKT0_S8_ifPKiSA_SA_iPKfiiiPfSD_PS3_PT2_iSC_SC_, 615

	.type	__PRETTY_FUNCTION__._Z39paged_attention_ll4mi_QKV_mfma16_kernelI14__hip_bfloat16hLN4vllm18Fp8KVCacheDataTypeE1ES0_Li16ELi64ELi256ELb1ELi11EEvPKT_PKT0_S8_ifPKiSA_SA_iPKfiiiPfSD_PS3_PT2_iSC_SC_,@object ; @__PRETTY_FUNCTION__._Z39paged_attention_ll4mi_QKV_mfma16_kernelI14__hip_bfloat16hLN4vllm18Fp8KVCacheDataTypeE1ES0_Li16ELi64ELi256ELb1ELi11EEvPKT_PKT0_S8_ifPKiSA_SA_iPKfiiiPfSD_PS3_PT2_iSC_SC_
__PRETTY_FUNCTION__._Z39paged_attention_ll4mi_QKV_mfma16_kernelI14__hip_bfloat16hLN4vllm18Fp8KVCacheDataTypeE1ES0_Li16ELi64ELi256ELb1ELi11EEvPKT_PKT0_S8_ifPKiSA_SA_iPKfiiiPfSD_PS3_PT2_iSC_SC_:
	.asciz	"void paged_attention_ll4mi_QKV_mfma16_kernel(const scalar_t *__restrict, const cache_t *__restrict, const cache_t *__restrict, const int, const float, const int *__restrict, const int *__restrict, const int *__restrict, const int, const float *__restrict, const int, const int, const int, float *__restrict, float *__restrict, scalar_t *__restrict, OUTT *__restrict, int, const float *, const float *) [scalar_t = __hip_bfloat16, cache_t = unsigned char, KV_DTYPE = vllm::Fp8KVCacheDataType::kFp8E4M3, OUTT = __hip_bfloat16, BLOCK_SIZE = 16, HEAD_SIZE = 64, NUM_THREADS = 256, ALIBI_ENABLED = true, GQA_RATIO = 11]"
	.size	__PRETTY_FUNCTION__._Z39paged_attention_ll4mi_QKV_mfma16_kernelI14__hip_bfloat16hLN4vllm18Fp8KVCacheDataTypeE1ES0_Li16ELi64ELi256ELb1ELi11EEvPKT_PKT0_S8_ifPKiSA_SA_iPKfiiiPfSD_PS3_PT2_iSC_SC_, 615

	.type	__PRETTY_FUNCTION__._Z39paged_attention_ll4mi_QKV_mfma16_kernelI14__hip_bfloat16hLN4vllm18Fp8KVCacheDataTypeE1ES0_Li16ELi64ELi256ELb1ELi12EEvPKT_PKT0_S8_ifPKiSA_SA_iPKfiiiPfSD_PS3_PT2_iSC_SC_,@object ; @__PRETTY_FUNCTION__._Z39paged_attention_ll4mi_QKV_mfma16_kernelI14__hip_bfloat16hLN4vllm18Fp8KVCacheDataTypeE1ES0_Li16ELi64ELi256ELb1ELi12EEvPKT_PKT0_S8_ifPKiSA_SA_iPKfiiiPfSD_PS3_PT2_iSC_SC_
__PRETTY_FUNCTION__._Z39paged_attention_ll4mi_QKV_mfma16_kernelI14__hip_bfloat16hLN4vllm18Fp8KVCacheDataTypeE1ES0_Li16ELi64ELi256ELb1ELi12EEvPKT_PKT0_S8_ifPKiSA_SA_iPKfiiiPfSD_PS3_PT2_iSC_SC_:
	.asciz	"void paged_attention_ll4mi_QKV_mfma16_kernel(const scalar_t *__restrict, const cache_t *__restrict, const cache_t *__restrict, const int, const float, const int *__restrict, const int *__restrict, const int *__restrict, const int, const float *__restrict, const int, const int, const int, float *__restrict, float *__restrict, scalar_t *__restrict, OUTT *__restrict, int, const float *, const float *) [scalar_t = __hip_bfloat16, cache_t = unsigned char, KV_DTYPE = vllm::Fp8KVCacheDataType::kFp8E4M3, OUTT = __hip_bfloat16, BLOCK_SIZE = 16, HEAD_SIZE = 64, NUM_THREADS = 256, ALIBI_ENABLED = true, GQA_RATIO = 12]"
	.size	__PRETTY_FUNCTION__._Z39paged_attention_ll4mi_QKV_mfma16_kernelI14__hip_bfloat16hLN4vllm18Fp8KVCacheDataTypeE1ES0_Li16ELi64ELi256ELb1ELi12EEvPKT_PKT0_S8_ifPKiSA_SA_iPKfiiiPfSD_PS3_PT2_iSC_SC_, 615

	.type	__PRETTY_FUNCTION__._Z39paged_attention_ll4mi_QKV_mfma16_kernelI14__hip_bfloat16hLN4vllm18Fp8KVCacheDataTypeE1ES0_Li16ELi64ELi256ELb1ELi13EEvPKT_PKT0_S8_ifPKiSA_SA_iPKfiiiPfSD_PS3_PT2_iSC_SC_,@object ; @__PRETTY_FUNCTION__._Z39paged_attention_ll4mi_QKV_mfma16_kernelI14__hip_bfloat16hLN4vllm18Fp8KVCacheDataTypeE1ES0_Li16ELi64ELi256ELb1ELi13EEvPKT_PKT0_S8_ifPKiSA_SA_iPKfiiiPfSD_PS3_PT2_iSC_SC_
__PRETTY_FUNCTION__._Z39paged_attention_ll4mi_QKV_mfma16_kernelI14__hip_bfloat16hLN4vllm18Fp8KVCacheDataTypeE1ES0_Li16ELi64ELi256ELb1ELi13EEvPKT_PKT0_S8_ifPKiSA_SA_iPKfiiiPfSD_PS3_PT2_iSC_SC_:
	.asciz	"void paged_attention_ll4mi_QKV_mfma16_kernel(const scalar_t *__restrict, const cache_t *__restrict, const cache_t *__restrict, const int, const float, const int *__restrict, const int *__restrict, const int *__restrict, const int, const float *__restrict, const int, const int, const int, float *__restrict, float *__restrict, scalar_t *__restrict, OUTT *__restrict, int, const float *, const float *) [scalar_t = __hip_bfloat16, cache_t = unsigned char, KV_DTYPE = vllm::Fp8KVCacheDataType::kFp8E4M3, OUTT = __hip_bfloat16, BLOCK_SIZE = 16, HEAD_SIZE = 64, NUM_THREADS = 256, ALIBI_ENABLED = true, GQA_RATIO = 13]"
	.size	__PRETTY_FUNCTION__._Z39paged_attention_ll4mi_QKV_mfma16_kernelI14__hip_bfloat16hLN4vllm18Fp8KVCacheDataTypeE1ES0_Li16ELi64ELi256ELb1ELi13EEvPKT_PKT0_S8_ifPKiSA_SA_iPKfiiiPfSD_PS3_PT2_iSC_SC_, 615

	.type	__PRETTY_FUNCTION__._Z39paged_attention_ll4mi_QKV_mfma16_kernelI14__hip_bfloat16hLN4vllm18Fp8KVCacheDataTypeE1ES0_Li16ELi64ELi256ELb1ELi14EEvPKT_PKT0_S8_ifPKiSA_SA_iPKfiiiPfSD_PS3_PT2_iSC_SC_,@object ; @__PRETTY_FUNCTION__._Z39paged_attention_ll4mi_QKV_mfma16_kernelI14__hip_bfloat16hLN4vllm18Fp8KVCacheDataTypeE1ES0_Li16ELi64ELi256ELb1ELi14EEvPKT_PKT0_S8_ifPKiSA_SA_iPKfiiiPfSD_PS3_PT2_iSC_SC_
__PRETTY_FUNCTION__._Z39paged_attention_ll4mi_QKV_mfma16_kernelI14__hip_bfloat16hLN4vllm18Fp8KVCacheDataTypeE1ES0_Li16ELi64ELi256ELb1ELi14EEvPKT_PKT0_S8_ifPKiSA_SA_iPKfiiiPfSD_PS3_PT2_iSC_SC_:
	.asciz	"void paged_attention_ll4mi_QKV_mfma16_kernel(const scalar_t *__restrict, const cache_t *__restrict, const cache_t *__restrict, const int, const float, const int *__restrict, const int *__restrict, const int *__restrict, const int, const float *__restrict, const int, const int, const int, float *__restrict, float *__restrict, scalar_t *__restrict, OUTT *__restrict, int, const float *, const float *) [scalar_t = __hip_bfloat16, cache_t = unsigned char, KV_DTYPE = vllm::Fp8KVCacheDataType::kFp8E4M3, OUTT = __hip_bfloat16, BLOCK_SIZE = 16, HEAD_SIZE = 64, NUM_THREADS = 256, ALIBI_ENABLED = true, GQA_RATIO = 14]"
	.size	__PRETTY_FUNCTION__._Z39paged_attention_ll4mi_QKV_mfma16_kernelI14__hip_bfloat16hLN4vllm18Fp8KVCacheDataTypeE1ES0_Li16ELi64ELi256ELb1ELi14EEvPKT_PKT0_S8_ifPKiSA_SA_iPKfiiiPfSD_PS3_PT2_iSC_SC_, 615

	.type	__PRETTY_FUNCTION__._Z39paged_attention_ll4mi_QKV_mfma16_kernelI14__hip_bfloat16hLN4vllm18Fp8KVCacheDataTypeE1ES0_Li16ELi64ELi256ELb1ELi15EEvPKT_PKT0_S8_ifPKiSA_SA_iPKfiiiPfSD_PS3_PT2_iSC_SC_,@object ; @__PRETTY_FUNCTION__._Z39paged_attention_ll4mi_QKV_mfma16_kernelI14__hip_bfloat16hLN4vllm18Fp8KVCacheDataTypeE1ES0_Li16ELi64ELi256ELb1ELi15EEvPKT_PKT0_S8_ifPKiSA_SA_iPKfiiiPfSD_PS3_PT2_iSC_SC_
__PRETTY_FUNCTION__._Z39paged_attention_ll4mi_QKV_mfma16_kernelI14__hip_bfloat16hLN4vllm18Fp8KVCacheDataTypeE1ES0_Li16ELi64ELi256ELb1ELi15EEvPKT_PKT0_S8_ifPKiSA_SA_iPKfiiiPfSD_PS3_PT2_iSC_SC_:
	.asciz	"void paged_attention_ll4mi_QKV_mfma16_kernel(const scalar_t *__restrict, const cache_t *__restrict, const cache_t *__restrict, const int, const float, const int *__restrict, const int *__restrict, const int *__restrict, const int, const float *__restrict, const int, const int, const int, float *__restrict, float *__restrict, scalar_t *__restrict, OUTT *__restrict, int, const float *, const float *) [scalar_t = __hip_bfloat16, cache_t = unsigned char, KV_DTYPE = vllm::Fp8KVCacheDataType::kFp8E4M3, OUTT = __hip_bfloat16, BLOCK_SIZE = 16, HEAD_SIZE = 64, NUM_THREADS = 256, ALIBI_ENABLED = true, GQA_RATIO = 15]"
	.size	__PRETTY_FUNCTION__._Z39paged_attention_ll4mi_QKV_mfma16_kernelI14__hip_bfloat16hLN4vllm18Fp8KVCacheDataTypeE1ES0_Li16ELi64ELi256ELb1ELi15EEvPKT_PKT0_S8_ifPKiSA_SA_iPKfiiiPfSD_PS3_PT2_iSC_SC_, 615

	.type	__PRETTY_FUNCTION__._Z39paged_attention_ll4mi_QKV_mfma16_kernelI14__hip_bfloat16hLN4vllm18Fp8KVCacheDataTypeE1ES0_Li16ELi64ELi256ELb1ELi16EEvPKT_PKT0_S8_ifPKiSA_SA_iPKfiiiPfSD_PS3_PT2_iSC_SC_,@object ; @__PRETTY_FUNCTION__._Z39paged_attention_ll4mi_QKV_mfma16_kernelI14__hip_bfloat16hLN4vllm18Fp8KVCacheDataTypeE1ES0_Li16ELi64ELi256ELb1ELi16EEvPKT_PKT0_S8_ifPKiSA_SA_iPKfiiiPfSD_PS3_PT2_iSC_SC_
__PRETTY_FUNCTION__._Z39paged_attention_ll4mi_QKV_mfma16_kernelI14__hip_bfloat16hLN4vllm18Fp8KVCacheDataTypeE1ES0_Li16ELi64ELi256ELb1ELi16EEvPKT_PKT0_S8_ifPKiSA_SA_iPKfiiiPfSD_PS3_PT2_iSC_SC_:
	.asciz	"void paged_attention_ll4mi_QKV_mfma16_kernel(const scalar_t *__restrict, const cache_t *__restrict, const cache_t *__restrict, const int, const float, const int *__restrict, const int *__restrict, const int *__restrict, const int, const float *__restrict, const int, const int, const int, float *__restrict, float *__restrict, scalar_t *__restrict, OUTT *__restrict, int, const float *, const float *) [scalar_t = __hip_bfloat16, cache_t = unsigned char, KV_DTYPE = vllm::Fp8KVCacheDataType::kFp8E4M3, OUTT = __hip_bfloat16, BLOCK_SIZE = 16, HEAD_SIZE = 64, NUM_THREADS = 256, ALIBI_ENABLED = true, GQA_RATIO = 16]"
	.size	__PRETTY_FUNCTION__._Z39paged_attention_ll4mi_QKV_mfma16_kernelI14__hip_bfloat16hLN4vllm18Fp8KVCacheDataTypeE1ES0_Li16ELi64ELi256ELb1ELi16EEvPKT_PKT0_S8_ifPKiSA_SA_iPKfiiiPfSD_PS3_PT2_iSC_SC_, 615

	.type	__PRETTY_FUNCTION__._Z39paged_attention_ll4mi_QKV_mfma16_kernelI14__hip_bfloat16hLN4vllm18Fp8KVCacheDataTypeE1ES0_Li16ELi64ELi256ELb1ELi1EEvPKT_PKT0_S8_ifPKiSA_SA_iPKfiiiPfSD_PS3_PT2_iSC_SC_,@object ; @__PRETTY_FUNCTION__._Z39paged_attention_ll4mi_QKV_mfma16_kernelI14__hip_bfloat16hLN4vllm18Fp8KVCacheDataTypeE1ES0_Li16ELi64ELi256ELb1ELi1EEvPKT_PKT0_S8_ifPKiSA_SA_iPKfiiiPfSD_PS3_PT2_iSC_SC_
__PRETTY_FUNCTION__._Z39paged_attention_ll4mi_QKV_mfma16_kernelI14__hip_bfloat16hLN4vllm18Fp8KVCacheDataTypeE1ES0_Li16ELi64ELi256ELb1ELi1EEvPKT_PKT0_S8_ifPKiSA_SA_iPKfiiiPfSD_PS3_PT2_iSC_SC_:
	.asciz	"void paged_attention_ll4mi_QKV_mfma16_kernel(const scalar_t *__restrict, const cache_t *__restrict, const cache_t *__restrict, const int, const float, const int *__restrict, const int *__restrict, const int *__restrict, const int, const float *__restrict, const int, const int, const int, float *__restrict, float *__restrict, scalar_t *__restrict, OUTT *__restrict, int, const float *, const float *) [scalar_t = __hip_bfloat16, cache_t = unsigned char, KV_DTYPE = vllm::Fp8KVCacheDataType::kFp8E4M3, OUTT = __hip_bfloat16, BLOCK_SIZE = 16, HEAD_SIZE = 64, NUM_THREADS = 256, ALIBI_ENABLED = true, GQA_RATIO = 1]"
	.size	__PRETTY_FUNCTION__._Z39paged_attention_ll4mi_QKV_mfma16_kernelI14__hip_bfloat16hLN4vllm18Fp8KVCacheDataTypeE1ES0_Li16ELi64ELi256ELb1ELi1EEvPKT_PKT0_S8_ifPKiSA_SA_iPKfiiiPfSD_PS3_PT2_iSC_SC_, 614

	.type	__PRETTY_FUNCTION__._Z39paged_attention_ll4mi_QKV_mfma16_kernelI14__hip_bfloat16hLN4vllm18Fp8KVCacheDataTypeE1ES0_Li16ELi64ELi256ELb1ELi2EEvPKT_PKT0_S8_ifPKiSA_SA_iPKfiiiPfSD_PS3_PT2_iSC_SC_,@object ; @__PRETTY_FUNCTION__._Z39paged_attention_ll4mi_QKV_mfma16_kernelI14__hip_bfloat16hLN4vllm18Fp8KVCacheDataTypeE1ES0_Li16ELi64ELi256ELb1ELi2EEvPKT_PKT0_S8_ifPKiSA_SA_iPKfiiiPfSD_PS3_PT2_iSC_SC_
__PRETTY_FUNCTION__._Z39paged_attention_ll4mi_QKV_mfma16_kernelI14__hip_bfloat16hLN4vllm18Fp8KVCacheDataTypeE1ES0_Li16ELi64ELi256ELb1ELi2EEvPKT_PKT0_S8_ifPKiSA_SA_iPKfiiiPfSD_PS3_PT2_iSC_SC_:
	.asciz	"void paged_attention_ll4mi_QKV_mfma16_kernel(const scalar_t *__restrict, const cache_t *__restrict, const cache_t *__restrict, const int, const float, const int *__restrict, const int *__restrict, const int *__restrict, const int, const float *__restrict, const int, const int, const int, float *__restrict, float *__restrict, scalar_t *__restrict, OUTT *__restrict, int, const float *, const float *) [scalar_t = __hip_bfloat16, cache_t = unsigned char, KV_DTYPE = vllm::Fp8KVCacheDataType::kFp8E4M3, OUTT = __hip_bfloat16, BLOCK_SIZE = 16, HEAD_SIZE = 64, NUM_THREADS = 256, ALIBI_ENABLED = true, GQA_RATIO = 2]"
	.size	__PRETTY_FUNCTION__._Z39paged_attention_ll4mi_QKV_mfma16_kernelI14__hip_bfloat16hLN4vllm18Fp8KVCacheDataTypeE1ES0_Li16ELi64ELi256ELb1ELi2EEvPKT_PKT0_S8_ifPKiSA_SA_iPKfiiiPfSD_PS3_PT2_iSC_SC_, 614

	.type	__PRETTY_FUNCTION__._Z39paged_attention_ll4mi_QKV_mfma16_kernelI14__hip_bfloat16hLN4vllm18Fp8KVCacheDataTypeE1ES0_Li16ELi64ELi256ELb1ELi3EEvPKT_PKT0_S8_ifPKiSA_SA_iPKfiiiPfSD_PS3_PT2_iSC_SC_,@object ; @__PRETTY_FUNCTION__._Z39paged_attention_ll4mi_QKV_mfma16_kernelI14__hip_bfloat16hLN4vllm18Fp8KVCacheDataTypeE1ES0_Li16ELi64ELi256ELb1ELi3EEvPKT_PKT0_S8_ifPKiSA_SA_iPKfiiiPfSD_PS3_PT2_iSC_SC_
__PRETTY_FUNCTION__._Z39paged_attention_ll4mi_QKV_mfma16_kernelI14__hip_bfloat16hLN4vllm18Fp8KVCacheDataTypeE1ES0_Li16ELi64ELi256ELb1ELi3EEvPKT_PKT0_S8_ifPKiSA_SA_iPKfiiiPfSD_PS3_PT2_iSC_SC_:
	.asciz	"void paged_attention_ll4mi_QKV_mfma16_kernel(const scalar_t *__restrict, const cache_t *__restrict, const cache_t *__restrict, const int, const float, const int *__restrict, const int *__restrict, const int *__restrict, const int, const float *__restrict, const int, const int, const int, float *__restrict, float *__restrict, scalar_t *__restrict, OUTT *__restrict, int, const float *, const float *) [scalar_t = __hip_bfloat16, cache_t = unsigned char, KV_DTYPE = vllm::Fp8KVCacheDataType::kFp8E4M3, OUTT = __hip_bfloat16, BLOCK_SIZE = 16, HEAD_SIZE = 64, NUM_THREADS = 256, ALIBI_ENABLED = true, GQA_RATIO = 3]"
	.size	__PRETTY_FUNCTION__._Z39paged_attention_ll4mi_QKV_mfma16_kernelI14__hip_bfloat16hLN4vllm18Fp8KVCacheDataTypeE1ES0_Li16ELi64ELi256ELb1ELi3EEvPKT_PKT0_S8_ifPKiSA_SA_iPKfiiiPfSD_PS3_PT2_iSC_SC_, 614

	.type	__PRETTY_FUNCTION__._Z39paged_attention_ll4mi_QKV_mfma16_kernelI14__hip_bfloat16hLN4vllm18Fp8KVCacheDataTypeE1ES0_Li16ELi64ELi256ELb1ELi4EEvPKT_PKT0_S8_ifPKiSA_SA_iPKfiiiPfSD_PS3_PT2_iSC_SC_,@object ; @__PRETTY_FUNCTION__._Z39paged_attention_ll4mi_QKV_mfma16_kernelI14__hip_bfloat16hLN4vllm18Fp8KVCacheDataTypeE1ES0_Li16ELi64ELi256ELb1ELi4EEvPKT_PKT0_S8_ifPKiSA_SA_iPKfiiiPfSD_PS3_PT2_iSC_SC_
__PRETTY_FUNCTION__._Z39paged_attention_ll4mi_QKV_mfma16_kernelI14__hip_bfloat16hLN4vllm18Fp8KVCacheDataTypeE1ES0_Li16ELi64ELi256ELb1ELi4EEvPKT_PKT0_S8_ifPKiSA_SA_iPKfiiiPfSD_PS3_PT2_iSC_SC_:
	.asciz	"void paged_attention_ll4mi_QKV_mfma16_kernel(const scalar_t *__restrict, const cache_t *__restrict, const cache_t *__restrict, const int, const float, const int *__restrict, const int *__restrict, const int *__restrict, const int, const float *__restrict, const int, const int, const int, float *__restrict, float *__restrict, scalar_t *__restrict, OUTT *__restrict, int, const float *, const float *) [scalar_t = __hip_bfloat16, cache_t = unsigned char, KV_DTYPE = vllm::Fp8KVCacheDataType::kFp8E4M3, OUTT = __hip_bfloat16, BLOCK_SIZE = 16, HEAD_SIZE = 64, NUM_THREADS = 256, ALIBI_ENABLED = true, GQA_RATIO = 4]"
	.size	__PRETTY_FUNCTION__._Z39paged_attention_ll4mi_QKV_mfma16_kernelI14__hip_bfloat16hLN4vllm18Fp8KVCacheDataTypeE1ES0_Li16ELi64ELi256ELb1ELi4EEvPKT_PKT0_S8_ifPKiSA_SA_iPKfiiiPfSD_PS3_PT2_iSC_SC_, 614

	.type	__PRETTY_FUNCTION__._Z38paged_attention_ll4mi_QKV_mfma4_kernelI14__hip_bfloat16hLN4vllm18Fp8KVCacheDataTypeE1ES0_Li16ELi64ELi256ELb0ELi1EEvPKT_PKT0_S8_ifPKiSA_SA_iPKfiiiPfSD_PS3_PT2_iSC_SC_,@object ; @__PRETTY_FUNCTION__._Z38paged_attention_ll4mi_QKV_mfma4_kernelI14__hip_bfloat16hLN4vllm18Fp8KVCacheDataTypeE1ES0_Li16ELi64ELi256ELb0ELi1EEvPKT_PKT0_S8_ifPKiSA_SA_iPKfiiiPfSD_PS3_PT2_iSC_SC_
__PRETTY_FUNCTION__._Z38paged_attention_ll4mi_QKV_mfma4_kernelI14__hip_bfloat16hLN4vllm18Fp8KVCacheDataTypeE1ES0_Li16ELi64ELi256ELb0ELi1EEvPKT_PKT0_S8_ifPKiSA_SA_iPKfiiiPfSD_PS3_PT2_iSC_SC_:
	.asciz	"void paged_attention_ll4mi_QKV_mfma4_kernel(const scalar_t *__restrict, const cache_t *__restrict, const cache_t *__restrict, const int, const float, const int *__restrict, const int *__restrict, const int *__restrict, const int, const float *__restrict, const int, const int, const int, float *__restrict, float *__restrict, scalar_t *__restrict, OUTT *__restrict, int, const float *, const float *) [scalar_t = __hip_bfloat16, cache_t = unsigned char, KV_DTYPE = vllm::Fp8KVCacheDataType::kFp8E4M3, OUTT = __hip_bfloat16, BLOCK_SIZE = 16, HEAD_SIZE = 64, NUM_THREADS = 256, ALIBI_ENABLED = false, GQA_RATIO = 1]"
	.size	__PRETTY_FUNCTION__._Z38paged_attention_ll4mi_QKV_mfma4_kernelI14__hip_bfloat16hLN4vllm18Fp8KVCacheDataTypeE1ES0_Li16ELi64ELi256ELb0ELi1EEvPKT_PKT0_S8_ifPKiSA_SA_iPKfiiiPfSD_PS3_PT2_iSC_SC_, 614

	.type	__PRETTY_FUNCTION__._Z38paged_attention_ll4mi_QKV_mfma4_kernelI14__hip_bfloat16hLN4vllm18Fp8KVCacheDataTypeE1ES0_Li16ELi64ELi256ELb0ELi2EEvPKT_PKT0_S8_ifPKiSA_SA_iPKfiiiPfSD_PS3_PT2_iSC_SC_,@object ; @__PRETTY_FUNCTION__._Z38paged_attention_ll4mi_QKV_mfma4_kernelI14__hip_bfloat16hLN4vllm18Fp8KVCacheDataTypeE1ES0_Li16ELi64ELi256ELb0ELi2EEvPKT_PKT0_S8_ifPKiSA_SA_iPKfiiiPfSD_PS3_PT2_iSC_SC_
__PRETTY_FUNCTION__._Z38paged_attention_ll4mi_QKV_mfma4_kernelI14__hip_bfloat16hLN4vllm18Fp8KVCacheDataTypeE1ES0_Li16ELi64ELi256ELb0ELi2EEvPKT_PKT0_S8_ifPKiSA_SA_iPKfiiiPfSD_PS3_PT2_iSC_SC_:
	.asciz	"void paged_attention_ll4mi_QKV_mfma4_kernel(const scalar_t *__restrict, const cache_t *__restrict, const cache_t *__restrict, const int, const float, const int *__restrict, const int *__restrict, const int *__restrict, const int, const float *__restrict, const int, const int, const int, float *__restrict, float *__restrict, scalar_t *__restrict, OUTT *__restrict, int, const float *, const float *) [scalar_t = __hip_bfloat16, cache_t = unsigned char, KV_DTYPE = vllm::Fp8KVCacheDataType::kFp8E4M3, OUTT = __hip_bfloat16, BLOCK_SIZE = 16, HEAD_SIZE = 64, NUM_THREADS = 256, ALIBI_ENABLED = false, GQA_RATIO = 2]"
	.size	__PRETTY_FUNCTION__._Z38paged_attention_ll4mi_QKV_mfma4_kernelI14__hip_bfloat16hLN4vllm18Fp8KVCacheDataTypeE1ES0_Li16ELi64ELi256ELb0ELi2EEvPKT_PKT0_S8_ifPKiSA_SA_iPKfiiiPfSD_PS3_PT2_iSC_SC_, 614

	.type	__PRETTY_FUNCTION__._Z38paged_attention_ll4mi_QKV_mfma4_kernelI14__hip_bfloat16hLN4vllm18Fp8KVCacheDataTypeE1ES0_Li16ELi64ELi256ELb0ELi3EEvPKT_PKT0_S8_ifPKiSA_SA_iPKfiiiPfSD_PS3_PT2_iSC_SC_,@object ; @__PRETTY_FUNCTION__._Z38paged_attention_ll4mi_QKV_mfma4_kernelI14__hip_bfloat16hLN4vllm18Fp8KVCacheDataTypeE1ES0_Li16ELi64ELi256ELb0ELi3EEvPKT_PKT0_S8_ifPKiSA_SA_iPKfiiiPfSD_PS3_PT2_iSC_SC_
__PRETTY_FUNCTION__._Z38paged_attention_ll4mi_QKV_mfma4_kernelI14__hip_bfloat16hLN4vllm18Fp8KVCacheDataTypeE1ES0_Li16ELi64ELi256ELb0ELi3EEvPKT_PKT0_S8_ifPKiSA_SA_iPKfiiiPfSD_PS3_PT2_iSC_SC_:
	.asciz	"void paged_attention_ll4mi_QKV_mfma4_kernel(const scalar_t *__restrict, const cache_t *__restrict, const cache_t *__restrict, const int, const float, const int *__restrict, const int *__restrict, const int *__restrict, const int, const float *__restrict, const int, const int, const int, float *__restrict, float *__restrict, scalar_t *__restrict, OUTT *__restrict, int, const float *, const float *) [scalar_t = __hip_bfloat16, cache_t = unsigned char, KV_DTYPE = vllm::Fp8KVCacheDataType::kFp8E4M3, OUTT = __hip_bfloat16, BLOCK_SIZE = 16, HEAD_SIZE = 64, NUM_THREADS = 256, ALIBI_ENABLED = false, GQA_RATIO = 3]"
	.size	__PRETTY_FUNCTION__._Z38paged_attention_ll4mi_QKV_mfma4_kernelI14__hip_bfloat16hLN4vllm18Fp8KVCacheDataTypeE1ES0_Li16ELi64ELi256ELb0ELi3EEvPKT_PKT0_S8_ifPKiSA_SA_iPKfiiiPfSD_PS3_PT2_iSC_SC_, 614

	.type	__PRETTY_FUNCTION__._Z38paged_attention_ll4mi_QKV_mfma4_kernelI14__hip_bfloat16hLN4vllm18Fp8KVCacheDataTypeE1ES0_Li16ELi64ELi256ELb0ELi4EEvPKT_PKT0_S8_ifPKiSA_SA_iPKfiiiPfSD_PS3_PT2_iSC_SC_,@object ; @__PRETTY_FUNCTION__._Z38paged_attention_ll4mi_QKV_mfma4_kernelI14__hip_bfloat16hLN4vllm18Fp8KVCacheDataTypeE1ES0_Li16ELi64ELi256ELb0ELi4EEvPKT_PKT0_S8_ifPKiSA_SA_iPKfiiiPfSD_PS3_PT2_iSC_SC_
__PRETTY_FUNCTION__._Z38paged_attention_ll4mi_QKV_mfma4_kernelI14__hip_bfloat16hLN4vllm18Fp8KVCacheDataTypeE1ES0_Li16ELi64ELi256ELb0ELi4EEvPKT_PKT0_S8_ifPKiSA_SA_iPKfiiiPfSD_PS3_PT2_iSC_SC_:
	.asciz	"void paged_attention_ll4mi_QKV_mfma4_kernel(const scalar_t *__restrict, const cache_t *__restrict, const cache_t *__restrict, const int, const float, const int *__restrict, const int *__restrict, const int *__restrict, const int, const float *__restrict, const int, const int, const int, float *__restrict, float *__restrict, scalar_t *__restrict, OUTT *__restrict, int, const float *, const float *) [scalar_t = __hip_bfloat16, cache_t = unsigned char, KV_DTYPE = vllm::Fp8KVCacheDataType::kFp8E4M3, OUTT = __hip_bfloat16, BLOCK_SIZE = 16, HEAD_SIZE = 64, NUM_THREADS = 256, ALIBI_ENABLED = false, GQA_RATIO = 4]"
	.size	__PRETTY_FUNCTION__._Z38paged_attention_ll4mi_QKV_mfma4_kernelI14__hip_bfloat16hLN4vllm18Fp8KVCacheDataTypeE1ES0_Li16ELi64ELi256ELb0ELi4EEvPKT_PKT0_S8_ifPKiSA_SA_iPKfiiiPfSD_PS3_PT2_iSC_SC_, 614

	.type	__PRETTY_FUNCTION__._Z39paged_attention_ll4mi_QKV_mfma16_kernelI14__hip_bfloat16hLN4vllm18Fp8KVCacheDataTypeE1ES0_Li16ELi64ELi256ELb0ELi5EEvPKT_PKT0_S8_ifPKiSA_SA_iPKfiiiPfSD_PS3_PT2_iSC_SC_,@object ; @__PRETTY_FUNCTION__._Z39paged_attention_ll4mi_QKV_mfma16_kernelI14__hip_bfloat16hLN4vllm18Fp8KVCacheDataTypeE1ES0_Li16ELi64ELi256ELb0ELi5EEvPKT_PKT0_S8_ifPKiSA_SA_iPKfiiiPfSD_PS3_PT2_iSC_SC_
__PRETTY_FUNCTION__._Z39paged_attention_ll4mi_QKV_mfma16_kernelI14__hip_bfloat16hLN4vllm18Fp8KVCacheDataTypeE1ES0_Li16ELi64ELi256ELb0ELi5EEvPKT_PKT0_S8_ifPKiSA_SA_iPKfiiiPfSD_PS3_PT2_iSC_SC_:
	.asciz	"void paged_attention_ll4mi_QKV_mfma16_kernel(const scalar_t *__restrict, const cache_t *__restrict, const cache_t *__restrict, const int, const float, const int *__restrict, const int *__restrict, const int *__restrict, const int, const float *__restrict, const int, const int, const int, float *__restrict, float *__restrict, scalar_t *__restrict, OUTT *__restrict, int, const float *, const float *) [scalar_t = __hip_bfloat16, cache_t = unsigned char, KV_DTYPE = vllm::Fp8KVCacheDataType::kFp8E4M3, OUTT = __hip_bfloat16, BLOCK_SIZE = 16, HEAD_SIZE = 64, NUM_THREADS = 256, ALIBI_ENABLED = false, GQA_RATIO = 5]"
	.size	__PRETTY_FUNCTION__._Z39paged_attention_ll4mi_QKV_mfma16_kernelI14__hip_bfloat16hLN4vllm18Fp8KVCacheDataTypeE1ES0_Li16ELi64ELi256ELb0ELi5EEvPKT_PKT0_S8_ifPKiSA_SA_iPKfiiiPfSD_PS3_PT2_iSC_SC_, 615

	.type	__PRETTY_FUNCTION__._Z39paged_attention_ll4mi_QKV_mfma16_kernelI14__hip_bfloat16hLN4vllm18Fp8KVCacheDataTypeE1ES0_Li16ELi64ELi256ELb0ELi6EEvPKT_PKT0_S8_ifPKiSA_SA_iPKfiiiPfSD_PS3_PT2_iSC_SC_,@object ; @__PRETTY_FUNCTION__._Z39paged_attention_ll4mi_QKV_mfma16_kernelI14__hip_bfloat16hLN4vllm18Fp8KVCacheDataTypeE1ES0_Li16ELi64ELi256ELb0ELi6EEvPKT_PKT0_S8_ifPKiSA_SA_iPKfiiiPfSD_PS3_PT2_iSC_SC_
__PRETTY_FUNCTION__._Z39paged_attention_ll4mi_QKV_mfma16_kernelI14__hip_bfloat16hLN4vllm18Fp8KVCacheDataTypeE1ES0_Li16ELi64ELi256ELb0ELi6EEvPKT_PKT0_S8_ifPKiSA_SA_iPKfiiiPfSD_PS3_PT2_iSC_SC_:
	.asciz	"void paged_attention_ll4mi_QKV_mfma16_kernel(const scalar_t *__restrict, const cache_t *__restrict, const cache_t *__restrict, const int, const float, const int *__restrict, const int *__restrict, const int *__restrict, const int, const float *__restrict, const int, const int, const int, float *__restrict, float *__restrict, scalar_t *__restrict, OUTT *__restrict, int, const float *, const float *) [scalar_t = __hip_bfloat16, cache_t = unsigned char, KV_DTYPE = vllm::Fp8KVCacheDataType::kFp8E4M3, OUTT = __hip_bfloat16, BLOCK_SIZE = 16, HEAD_SIZE = 64, NUM_THREADS = 256, ALIBI_ENABLED = false, GQA_RATIO = 6]"
	.size	__PRETTY_FUNCTION__._Z39paged_attention_ll4mi_QKV_mfma16_kernelI14__hip_bfloat16hLN4vllm18Fp8KVCacheDataTypeE1ES0_Li16ELi64ELi256ELb0ELi6EEvPKT_PKT0_S8_ifPKiSA_SA_iPKfiiiPfSD_PS3_PT2_iSC_SC_, 615

	.type	__PRETTY_FUNCTION__._Z39paged_attention_ll4mi_QKV_mfma16_kernelI14__hip_bfloat16hLN4vllm18Fp8KVCacheDataTypeE1ES0_Li16ELi64ELi256ELb0ELi7EEvPKT_PKT0_S8_ifPKiSA_SA_iPKfiiiPfSD_PS3_PT2_iSC_SC_,@object ; @__PRETTY_FUNCTION__._Z39paged_attention_ll4mi_QKV_mfma16_kernelI14__hip_bfloat16hLN4vllm18Fp8KVCacheDataTypeE1ES0_Li16ELi64ELi256ELb0ELi7EEvPKT_PKT0_S8_ifPKiSA_SA_iPKfiiiPfSD_PS3_PT2_iSC_SC_
__PRETTY_FUNCTION__._Z39paged_attention_ll4mi_QKV_mfma16_kernelI14__hip_bfloat16hLN4vllm18Fp8KVCacheDataTypeE1ES0_Li16ELi64ELi256ELb0ELi7EEvPKT_PKT0_S8_ifPKiSA_SA_iPKfiiiPfSD_PS3_PT2_iSC_SC_:
	.asciz	"void paged_attention_ll4mi_QKV_mfma16_kernel(const scalar_t *__restrict, const cache_t *__restrict, const cache_t *__restrict, const int, const float, const int *__restrict, const int *__restrict, const int *__restrict, const int, const float *__restrict, const int, const int, const int, float *__restrict, float *__restrict, scalar_t *__restrict, OUTT *__restrict, int, const float *, const float *) [scalar_t = __hip_bfloat16, cache_t = unsigned char, KV_DTYPE = vllm::Fp8KVCacheDataType::kFp8E4M3, OUTT = __hip_bfloat16, BLOCK_SIZE = 16, HEAD_SIZE = 64, NUM_THREADS = 256, ALIBI_ENABLED = false, GQA_RATIO = 7]"
	.size	__PRETTY_FUNCTION__._Z39paged_attention_ll4mi_QKV_mfma16_kernelI14__hip_bfloat16hLN4vllm18Fp8KVCacheDataTypeE1ES0_Li16ELi64ELi256ELb0ELi7EEvPKT_PKT0_S8_ifPKiSA_SA_iPKfiiiPfSD_PS3_PT2_iSC_SC_, 615

	.type	__PRETTY_FUNCTION__._Z39paged_attention_ll4mi_QKV_mfma16_kernelI14__hip_bfloat16hLN4vllm18Fp8KVCacheDataTypeE1ES0_Li16ELi64ELi256ELb0ELi8EEvPKT_PKT0_S8_ifPKiSA_SA_iPKfiiiPfSD_PS3_PT2_iSC_SC_,@object ; @__PRETTY_FUNCTION__._Z39paged_attention_ll4mi_QKV_mfma16_kernelI14__hip_bfloat16hLN4vllm18Fp8KVCacheDataTypeE1ES0_Li16ELi64ELi256ELb0ELi8EEvPKT_PKT0_S8_ifPKiSA_SA_iPKfiiiPfSD_PS3_PT2_iSC_SC_
__PRETTY_FUNCTION__._Z39paged_attention_ll4mi_QKV_mfma16_kernelI14__hip_bfloat16hLN4vllm18Fp8KVCacheDataTypeE1ES0_Li16ELi64ELi256ELb0ELi8EEvPKT_PKT0_S8_ifPKiSA_SA_iPKfiiiPfSD_PS3_PT2_iSC_SC_:
	.asciz	"void paged_attention_ll4mi_QKV_mfma16_kernel(const scalar_t *__restrict, const cache_t *__restrict, const cache_t *__restrict, const int, const float, const int *__restrict, const int *__restrict, const int *__restrict, const int, const float *__restrict, const int, const int, const int, float *__restrict, float *__restrict, scalar_t *__restrict, OUTT *__restrict, int, const float *, const float *) [scalar_t = __hip_bfloat16, cache_t = unsigned char, KV_DTYPE = vllm::Fp8KVCacheDataType::kFp8E4M3, OUTT = __hip_bfloat16, BLOCK_SIZE = 16, HEAD_SIZE = 64, NUM_THREADS = 256, ALIBI_ENABLED = false, GQA_RATIO = 8]"
	.size	__PRETTY_FUNCTION__._Z39paged_attention_ll4mi_QKV_mfma16_kernelI14__hip_bfloat16hLN4vllm18Fp8KVCacheDataTypeE1ES0_Li16ELi64ELi256ELb0ELi8EEvPKT_PKT0_S8_ifPKiSA_SA_iPKfiiiPfSD_PS3_PT2_iSC_SC_, 615

	.type	__PRETTY_FUNCTION__._Z39paged_attention_ll4mi_QKV_mfma16_kernelI14__hip_bfloat16hLN4vllm18Fp8KVCacheDataTypeE1ES0_Li16ELi64ELi256ELb0ELi9EEvPKT_PKT0_S8_ifPKiSA_SA_iPKfiiiPfSD_PS3_PT2_iSC_SC_,@object ; @__PRETTY_FUNCTION__._Z39paged_attention_ll4mi_QKV_mfma16_kernelI14__hip_bfloat16hLN4vllm18Fp8KVCacheDataTypeE1ES0_Li16ELi64ELi256ELb0ELi9EEvPKT_PKT0_S8_ifPKiSA_SA_iPKfiiiPfSD_PS3_PT2_iSC_SC_
__PRETTY_FUNCTION__._Z39paged_attention_ll4mi_QKV_mfma16_kernelI14__hip_bfloat16hLN4vllm18Fp8KVCacheDataTypeE1ES0_Li16ELi64ELi256ELb0ELi9EEvPKT_PKT0_S8_ifPKiSA_SA_iPKfiiiPfSD_PS3_PT2_iSC_SC_:
	.asciz	"void paged_attention_ll4mi_QKV_mfma16_kernel(const scalar_t *__restrict, const cache_t *__restrict, const cache_t *__restrict, const int, const float, const int *__restrict, const int *__restrict, const int *__restrict, const int, const float *__restrict, const int, const int, const int, float *__restrict, float *__restrict, scalar_t *__restrict, OUTT *__restrict, int, const float *, const float *) [scalar_t = __hip_bfloat16, cache_t = unsigned char, KV_DTYPE = vllm::Fp8KVCacheDataType::kFp8E4M3, OUTT = __hip_bfloat16, BLOCK_SIZE = 16, HEAD_SIZE = 64, NUM_THREADS = 256, ALIBI_ENABLED = false, GQA_RATIO = 9]"
	.size	__PRETTY_FUNCTION__._Z39paged_attention_ll4mi_QKV_mfma16_kernelI14__hip_bfloat16hLN4vllm18Fp8KVCacheDataTypeE1ES0_Li16ELi64ELi256ELb0ELi9EEvPKT_PKT0_S8_ifPKiSA_SA_iPKfiiiPfSD_PS3_PT2_iSC_SC_, 615

	.type	__PRETTY_FUNCTION__._Z39paged_attention_ll4mi_QKV_mfma16_kernelI14__hip_bfloat16hLN4vllm18Fp8KVCacheDataTypeE1ES0_Li16ELi64ELi256ELb0ELi10EEvPKT_PKT0_S8_ifPKiSA_SA_iPKfiiiPfSD_PS3_PT2_iSC_SC_,@object ; @__PRETTY_FUNCTION__._Z39paged_attention_ll4mi_QKV_mfma16_kernelI14__hip_bfloat16hLN4vllm18Fp8KVCacheDataTypeE1ES0_Li16ELi64ELi256ELb0ELi10EEvPKT_PKT0_S8_ifPKiSA_SA_iPKfiiiPfSD_PS3_PT2_iSC_SC_
__PRETTY_FUNCTION__._Z39paged_attention_ll4mi_QKV_mfma16_kernelI14__hip_bfloat16hLN4vllm18Fp8KVCacheDataTypeE1ES0_Li16ELi64ELi256ELb0ELi10EEvPKT_PKT0_S8_ifPKiSA_SA_iPKfiiiPfSD_PS3_PT2_iSC_SC_:
	.asciz	"void paged_attention_ll4mi_QKV_mfma16_kernel(const scalar_t *__restrict, const cache_t *__restrict, const cache_t *__restrict, const int, const float, const int *__restrict, const int *__restrict, const int *__restrict, const int, const float *__restrict, const int, const int, const int, float *__restrict, float *__restrict, scalar_t *__restrict, OUTT *__restrict, int, const float *, const float *) [scalar_t = __hip_bfloat16, cache_t = unsigned char, KV_DTYPE = vllm::Fp8KVCacheDataType::kFp8E4M3, OUTT = __hip_bfloat16, BLOCK_SIZE = 16, HEAD_SIZE = 64, NUM_THREADS = 256, ALIBI_ENABLED = false, GQA_RATIO = 10]"
	.size	__PRETTY_FUNCTION__._Z39paged_attention_ll4mi_QKV_mfma16_kernelI14__hip_bfloat16hLN4vllm18Fp8KVCacheDataTypeE1ES0_Li16ELi64ELi256ELb0ELi10EEvPKT_PKT0_S8_ifPKiSA_SA_iPKfiiiPfSD_PS3_PT2_iSC_SC_, 616

	.type	__PRETTY_FUNCTION__._Z39paged_attention_ll4mi_QKV_mfma16_kernelI14__hip_bfloat16hLN4vllm18Fp8KVCacheDataTypeE1ES0_Li16ELi64ELi256ELb0ELi11EEvPKT_PKT0_S8_ifPKiSA_SA_iPKfiiiPfSD_PS3_PT2_iSC_SC_,@object ; @__PRETTY_FUNCTION__._Z39paged_attention_ll4mi_QKV_mfma16_kernelI14__hip_bfloat16hLN4vllm18Fp8KVCacheDataTypeE1ES0_Li16ELi64ELi256ELb0ELi11EEvPKT_PKT0_S8_ifPKiSA_SA_iPKfiiiPfSD_PS3_PT2_iSC_SC_
__PRETTY_FUNCTION__._Z39paged_attention_ll4mi_QKV_mfma16_kernelI14__hip_bfloat16hLN4vllm18Fp8KVCacheDataTypeE1ES0_Li16ELi64ELi256ELb0ELi11EEvPKT_PKT0_S8_ifPKiSA_SA_iPKfiiiPfSD_PS3_PT2_iSC_SC_:
	.asciz	"void paged_attention_ll4mi_QKV_mfma16_kernel(const scalar_t *__restrict, const cache_t *__restrict, const cache_t *__restrict, const int, const float, const int *__restrict, const int *__restrict, const int *__restrict, const int, const float *__restrict, const int, const int, const int, float *__restrict, float *__restrict, scalar_t *__restrict, OUTT *__restrict, int, const float *, const float *) [scalar_t = __hip_bfloat16, cache_t = unsigned char, KV_DTYPE = vllm::Fp8KVCacheDataType::kFp8E4M3, OUTT = __hip_bfloat16, BLOCK_SIZE = 16, HEAD_SIZE = 64, NUM_THREADS = 256, ALIBI_ENABLED = false, GQA_RATIO = 11]"
	.size	__PRETTY_FUNCTION__._Z39paged_attention_ll4mi_QKV_mfma16_kernelI14__hip_bfloat16hLN4vllm18Fp8KVCacheDataTypeE1ES0_Li16ELi64ELi256ELb0ELi11EEvPKT_PKT0_S8_ifPKiSA_SA_iPKfiiiPfSD_PS3_PT2_iSC_SC_, 616

	.type	__PRETTY_FUNCTION__._Z39paged_attention_ll4mi_QKV_mfma16_kernelI14__hip_bfloat16hLN4vllm18Fp8KVCacheDataTypeE1ES0_Li16ELi64ELi256ELb0ELi12EEvPKT_PKT0_S8_ifPKiSA_SA_iPKfiiiPfSD_PS3_PT2_iSC_SC_,@object ; @__PRETTY_FUNCTION__._Z39paged_attention_ll4mi_QKV_mfma16_kernelI14__hip_bfloat16hLN4vllm18Fp8KVCacheDataTypeE1ES0_Li16ELi64ELi256ELb0ELi12EEvPKT_PKT0_S8_ifPKiSA_SA_iPKfiiiPfSD_PS3_PT2_iSC_SC_
__PRETTY_FUNCTION__._Z39paged_attention_ll4mi_QKV_mfma16_kernelI14__hip_bfloat16hLN4vllm18Fp8KVCacheDataTypeE1ES0_Li16ELi64ELi256ELb0ELi12EEvPKT_PKT0_S8_ifPKiSA_SA_iPKfiiiPfSD_PS3_PT2_iSC_SC_:
	.asciz	"void paged_attention_ll4mi_QKV_mfma16_kernel(const scalar_t *__restrict, const cache_t *__restrict, const cache_t *__restrict, const int, const float, const int *__restrict, const int *__restrict, const int *__restrict, const int, const float *__restrict, const int, const int, const int, float *__restrict, float *__restrict, scalar_t *__restrict, OUTT *__restrict, int, const float *, const float *) [scalar_t = __hip_bfloat16, cache_t = unsigned char, KV_DTYPE = vllm::Fp8KVCacheDataType::kFp8E4M3, OUTT = __hip_bfloat16, BLOCK_SIZE = 16, HEAD_SIZE = 64, NUM_THREADS = 256, ALIBI_ENABLED = false, GQA_RATIO = 12]"
	.size	__PRETTY_FUNCTION__._Z39paged_attention_ll4mi_QKV_mfma16_kernelI14__hip_bfloat16hLN4vllm18Fp8KVCacheDataTypeE1ES0_Li16ELi64ELi256ELb0ELi12EEvPKT_PKT0_S8_ifPKiSA_SA_iPKfiiiPfSD_PS3_PT2_iSC_SC_, 616

	.type	__PRETTY_FUNCTION__._Z39paged_attention_ll4mi_QKV_mfma16_kernelI14__hip_bfloat16hLN4vllm18Fp8KVCacheDataTypeE1ES0_Li16ELi64ELi256ELb0ELi13EEvPKT_PKT0_S8_ifPKiSA_SA_iPKfiiiPfSD_PS3_PT2_iSC_SC_,@object ; @__PRETTY_FUNCTION__._Z39paged_attention_ll4mi_QKV_mfma16_kernelI14__hip_bfloat16hLN4vllm18Fp8KVCacheDataTypeE1ES0_Li16ELi64ELi256ELb0ELi13EEvPKT_PKT0_S8_ifPKiSA_SA_iPKfiiiPfSD_PS3_PT2_iSC_SC_
__PRETTY_FUNCTION__._Z39paged_attention_ll4mi_QKV_mfma16_kernelI14__hip_bfloat16hLN4vllm18Fp8KVCacheDataTypeE1ES0_Li16ELi64ELi256ELb0ELi13EEvPKT_PKT0_S8_ifPKiSA_SA_iPKfiiiPfSD_PS3_PT2_iSC_SC_:
	.asciz	"void paged_attention_ll4mi_QKV_mfma16_kernel(const scalar_t *__restrict, const cache_t *__restrict, const cache_t *__restrict, const int, const float, const int *__restrict, const int *__restrict, const int *__restrict, const int, const float *__restrict, const int, const int, const int, float *__restrict, float *__restrict, scalar_t *__restrict, OUTT *__restrict, int, const float *, const float *) [scalar_t = __hip_bfloat16, cache_t = unsigned char, KV_DTYPE = vllm::Fp8KVCacheDataType::kFp8E4M3, OUTT = __hip_bfloat16, BLOCK_SIZE = 16, HEAD_SIZE = 64, NUM_THREADS = 256, ALIBI_ENABLED = false, GQA_RATIO = 13]"
	.size	__PRETTY_FUNCTION__._Z39paged_attention_ll4mi_QKV_mfma16_kernelI14__hip_bfloat16hLN4vllm18Fp8KVCacheDataTypeE1ES0_Li16ELi64ELi256ELb0ELi13EEvPKT_PKT0_S8_ifPKiSA_SA_iPKfiiiPfSD_PS3_PT2_iSC_SC_, 616

	.type	__PRETTY_FUNCTION__._Z39paged_attention_ll4mi_QKV_mfma16_kernelI14__hip_bfloat16hLN4vllm18Fp8KVCacheDataTypeE1ES0_Li16ELi64ELi256ELb0ELi14EEvPKT_PKT0_S8_ifPKiSA_SA_iPKfiiiPfSD_PS3_PT2_iSC_SC_,@object ; @__PRETTY_FUNCTION__._Z39paged_attention_ll4mi_QKV_mfma16_kernelI14__hip_bfloat16hLN4vllm18Fp8KVCacheDataTypeE1ES0_Li16ELi64ELi256ELb0ELi14EEvPKT_PKT0_S8_ifPKiSA_SA_iPKfiiiPfSD_PS3_PT2_iSC_SC_
__PRETTY_FUNCTION__._Z39paged_attention_ll4mi_QKV_mfma16_kernelI14__hip_bfloat16hLN4vllm18Fp8KVCacheDataTypeE1ES0_Li16ELi64ELi256ELb0ELi14EEvPKT_PKT0_S8_ifPKiSA_SA_iPKfiiiPfSD_PS3_PT2_iSC_SC_:
	.asciz	"void paged_attention_ll4mi_QKV_mfma16_kernel(const scalar_t *__restrict, const cache_t *__restrict, const cache_t *__restrict, const int, const float, const int *__restrict, const int *__restrict, const int *__restrict, const int, const float *__restrict, const int, const int, const int, float *__restrict, float *__restrict, scalar_t *__restrict, OUTT *__restrict, int, const float *, const float *) [scalar_t = __hip_bfloat16, cache_t = unsigned char, KV_DTYPE = vllm::Fp8KVCacheDataType::kFp8E4M3, OUTT = __hip_bfloat16, BLOCK_SIZE = 16, HEAD_SIZE = 64, NUM_THREADS = 256, ALIBI_ENABLED = false, GQA_RATIO = 14]"
	.size	__PRETTY_FUNCTION__._Z39paged_attention_ll4mi_QKV_mfma16_kernelI14__hip_bfloat16hLN4vllm18Fp8KVCacheDataTypeE1ES0_Li16ELi64ELi256ELb0ELi14EEvPKT_PKT0_S8_ifPKiSA_SA_iPKfiiiPfSD_PS3_PT2_iSC_SC_, 616

	.type	__PRETTY_FUNCTION__._Z39paged_attention_ll4mi_QKV_mfma16_kernelI14__hip_bfloat16hLN4vllm18Fp8KVCacheDataTypeE1ES0_Li16ELi64ELi256ELb0ELi15EEvPKT_PKT0_S8_ifPKiSA_SA_iPKfiiiPfSD_PS3_PT2_iSC_SC_,@object ; @__PRETTY_FUNCTION__._Z39paged_attention_ll4mi_QKV_mfma16_kernelI14__hip_bfloat16hLN4vllm18Fp8KVCacheDataTypeE1ES0_Li16ELi64ELi256ELb0ELi15EEvPKT_PKT0_S8_ifPKiSA_SA_iPKfiiiPfSD_PS3_PT2_iSC_SC_
__PRETTY_FUNCTION__._Z39paged_attention_ll4mi_QKV_mfma16_kernelI14__hip_bfloat16hLN4vllm18Fp8KVCacheDataTypeE1ES0_Li16ELi64ELi256ELb0ELi15EEvPKT_PKT0_S8_ifPKiSA_SA_iPKfiiiPfSD_PS3_PT2_iSC_SC_:
	.asciz	"void paged_attention_ll4mi_QKV_mfma16_kernel(const scalar_t *__restrict, const cache_t *__restrict, const cache_t *__restrict, const int, const float, const int *__restrict, const int *__restrict, const int *__restrict, const int, const float *__restrict, const int, const int, const int, float *__restrict, float *__restrict, scalar_t *__restrict, OUTT *__restrict, int, const float *, const float *) [scalar_t = __hip_bfloat16, cache_t = unsigned char, KV_DTYPE = vllm::Fp8KVCacheDataType::kFp8E4M3, OUTT = __hip_bfloat16, BLOCK_SIZE = 16, HEAD_SIZE = 64, NUM_THREADS = 256, ALIBI_ENABLED = false, GQA_RATIO = 15]"
	.size	__PRETTY_FUNCTION__._Z39paged_attention_ll4mi_QKV_mfma16_kernelI14__hip_bfloat16hLN4vllm18Fp8KVCacheDataTypeE1ES0_Li16ELi64ELi256ELb0ELi15EEvPKT_PKT0_S8_ifPKiSA_SA_iPKfiiiPfSD_PS3_PT2_iSC_SC_, 616

	.type	__PRETTY_FUNCTION__._Z39paged_attention_ll4mi_QKV_mfma16_kernelI14__hip_bfloat16hLN4vllm18Fp8KVCacheDataTypeE1ES0_Li16ELi64ELi256ELb0ELi16EEvPKT_PKT0_S8_ifPKiSA_SA_iPKfiiiPfSD_PS3_PT2_iSC_SC_,@object ; @__PRETTY_FUNCTION__._Z39paged_attention_ll4mi_QKV_mfma16_kernelI14__hip_bfloat16hLN4vllm18Fp8KVCacheDataTypeE1ES0_Li16ELi64ELi256ELb0ELi16EEvPKT_PKT0_S8_ifPKiSA_SA_iPKfiiiPfSD_PS3_PT2_iSC_SC_
__PRETTY_FUNCTION__._Z39paged_attention_ll4mi_QKV_mfma16_kernelI14__hip_bfloat16hLN4vllm18Fp8KVCacheDataTypeE1ES0_Li16ELi64ELi256ELb0ELi16EEvPKT_PKT0_S8_ifPKiSA_SA_iPKfiiiPfSD_PS3_PT2_iSC_SC_:
	.asciz	"void paged_attention_ll4mi_QKV_mfma16_kernel(const scalar_t *__restrict, const cache_t *__restrict, const cache_t *__restrict, const int, const float, const int *__restrict, const int *__restrict, const int *__restrict, const int, const float *__restrict, const int, const int, const int, float *__restrict, float *__restrict, scalar_t *__restrict, OUTT *__restrict, int, const float *, const float *) [scalar_t = __hip_bfloat16, cache_t = unsigned char, KV_DTYPE = vllm::Fp8KVCacheDataType::kFp8E4M3, OUTT = __hip_bfloat16, BLOCK_SIZE = 16, HEAD_SIZE = 64, NUM_THREADS = 256, ALIBI_ENABLED = false, GQA_RATIO = 16]"
	.size	__PRETTY_FUNCTION__._Z39paged_attention_ll4mi_QKV_mfma16_kernelI14__hip_bfloat16hLN4vllm18Fp8KVCacheDataTypeE1ES0_Li16ELi64ELi256ELb0ELi16EEvPKT_PKT0_S8_ifPKiSA_SA_iPKfiiiPfSD_PS3_PT2_iSC_SC_, 616

	.type	__PRETTY_FUNCTION__._Z39paged_attention_ll4mi_QKV_mfma16_kernelI14__hip_bfloat16hLN4vllm18Fp8KVCacheDataTypeE1ES0_Li16ELi64ELi256ELb0ELi1EEvPKT_PKT0_S8_ifPKiSA_SA_iPKfiiiPfSD_PS3_PT2_iSC_SC_,@object ; @__PRETTY_FUNCTION__._Z39paged_attention_ll4mi_QKV_mfma16_kernelI14__hip_bfloat16hLN4vllm18Fp8KVCacheDataTypeE1ES0_Li16ELi64ELi256ELb0ELi1EEvPKT_PKT0_S8_ifPKiSA_SA_iPKfiiiPfSD_PS3_PT2_iSC_SC_
__PRETTY_FUNCTION__._Z39paged_attention_ll4mi_QKV_mfma16_kernelI14__hip_bfloat16hLN4vllm18Fp8KVCacheDataTypeE1ES0_Li16ELi64ELi256ELb0ELi1EEvPKT_PKT0_S8_ifPKiSA_SA_iPKfiiiPfSD_PS3_PT2_iSC_SC_:
	.asciz	"void paged_attention_ll4mi_QKV_mfma16_kernel(const scalar_t *__restrict, const cache_t *__restrict, const cache_t *__restrict, const int, const float, const int *__restrict, const int *__restrict, const int *__restrict, const int, const float *__restrict, const int, const int, const int, float *__restrict, float *__restrict, scalar_t *__restrict, OUTT *__restrict, int, const float *, const float *) [scalar_t = __hip_bfloat16, cache_t = unsigned char, KV_DTYPE = vllm::Fp8KVCacheDataType::kFp8E4M3, OUTT = __hip_bfloat16, BLOCK_SIZE = 16, HEAD_SIZE = 64, NUM_THREADS = 256, ALIBI_ENABLED = false, GQA_RATIO = 1]"
	.size	__PRETTY_FUNCTION__._Z39paged_attention_ll4mi_QKV_mfma16_kernelI14__hip_bfloat16hLN4vllm18Fp8KVCacheDataTypeE1ES0_Li16ELi64ELi256ELb0ELi1EEvPKT_PKT0_S8_ifPKiSA_SA_iPKfiiiPfSD_PS3_PT2_iSC_SC_, 615

	.type	__PRETTY_FUNCTION__._Z39paged_attention_ll4mi_QKV_mfma16_kernelI14__hip_bfloat16hLN4vllm18Fp8KVCacheDataTypeE1ES0_Li16ELi64ELi256ELb0ELi2EEvPKT_PKT0_S8_ifPKiSA_SA_iPKfiiiPfSD_PS3_PT2_iSC_SC_,@object ; @__PRETTY_FUNCTION__._Z39paged_attention_ll4mi_QKV_mfma16_kernelI14__hip_bfloat16hLN4vllm18Fp8KVCacheDataTypeE1ES0_Li16ELi64ELi256ELb0ELi2EEvPKT_PKT0_S8_ifPKiSA_SA_iPKfiiiPfSD_PS3_PT2_iSC_SC_
__PRETTY_FUNCTION__._Z39paged_attention_ll4mi_QKV_mfma16_kernelI14__hip_bfloat16hLN4vllm18Fp8KVCacheDataTypeE1ES0_Li16ELi64ELi256ELb0ELi2EEvPKT_PKT0_S8_ifPKiSA_SA_iPKfiiiPfSD_PS3_PT2_iSC_SC_:
	.asciz	"void paged_attention_ll4mi_QKV_mfma16_kernel(const scalar_t *__restrict, const cache_t *__restrict, const cache_t *__restrict, const int, const float, const int *__restrict, const int *__restrict, const int *__restrict, const int, const float *__restrict, const int, const int, const int, float *__restrict, float *__restrict, scalar_t *__restrict, OUTT *__restrict, int, const float *, const float *) [scalar_t = __hip_bfloat16, cache_t = unsigned char, KV_DTYPE = vllm::Fp8KVCacheDataType::kFp8E4M3, OUTT = __hip_bfloat16, BLOCK_SIZE = 16, HEAD_SIZE = 64, NUM_THREADS = 256, ALIBI_ENABLED = false, GQA_RATIO = 2]"
	.size	__PRETTY_FUNCTION__._Z39paged_attention_ll4mi_QKV_mfma16_kernelI14__hip_bfloat16hLN4vllm18Fp8KVCacheDataTypeE1ES0_Li16ELi64ELi256ELb0ELi2EEvPKT_PKT0_S8_ifPKiSA_SA_iPKfiiiPfSD_PS3_PT2_iSC_SC_, 615

	.type	__PRETTY_FUNCTION__._Z39paged_attention_ll4mi_QKV_mfma16_kernelI14__hip_bfloat16hLN4vllm18Fp8KVCacheDataTypeE1ES0_Li16ELi64ELi256ELb0ELi3EEvPKT_PKT0_S8_ifPKiSA_SA_iPKfiiiPfSD_PS3_PT2_iSC_SC_,@object ; @__PRETTY_FUNCTION__._Z39paged_attention_ll4mi_QKV_mfma16_kernelI14__hip_bfloat16hLN4vllm18Fp8KVCacheDataTypeE1ES0_Li16ELi64ELi256ELb0ELi3EEvPKT_PKT0_S8_ifPKiSA_SA_iPKfiiiPfSD_PS3_PT2_iSC_SC_
__PRETTY_FUNCTION__._Z39paged_attention_ll4mi_QKV_mfma16_kernelI14__hip_bfloat16hLN4vllm18Fp8KVCacheDataTypeE1ES0_Li16ELi64ELi256ELb0ELi3EEvPKT_PKT0_S8_ifPKiSA_SA_iPKfiiiPfSD_PS3_PT2_iSC_SC_:
	.asciz	"void paged_attention_ll4mi_QKV_mfma16_kernel(const scalar_t *__restrict, const cache_t *__restrict, const cache_t *__restrict, const int, const float, const int *__restrict, const int *__restrict, const int *__restrict, const int, const float *__restrict, const int, const int, const int, float *__restrict, float *__restrict, scalar_t *__restrict, OUTT *__restrict, int, const float *, const float *) [scalar_t = __hip_bfloat16, cache_t = unsigned char, KV_DTYPE = vllm::Fp8KVCacheDataType::kFp8E4M3, OUTT = __hip_bfloat16, BLOCK_SIZE = 16, HEAD_SIZE = 64, NUM_THREADS = 256, ALIBI_ENABLED = false, GQA_RATIO = 3]"
	.size	__PRETTY_FUNCTION__._Z39paged_attention_ll4mi_QKV_mfma16_kernelI14__hip_bfloat16hLN4vllm18Fp8KVCacheDataTypeE1ES0_Li16ELi64ELi256ELb0ELi3EEvPKT_PKT0_S8_ifPKiSA_SA_iPKfiiiPfSD_PS3_PT2_iSC_SC_, 615

	.type	__PRETTY_FUNCTION__._Z39paged_attention_ll4mi_QKV_mfma16_kernelI14__hip_bfloat16hLN4vllm18Fp8KVCacheDataTypeE1ES0_Li16ELi64ELi256ELb0ELi4EEvPKT_PKT0_S8_ifPKiSA_SA_iPKfiiiPfSD_PS3_PT2_iSC_SC_,@object ; @__PRETTY_FUNCTION__._Z39paged_attention_ll4mi_QKV_mfma16_kernelI14__hip_bfloat16hLN4vllm18Fp8KVCacheDataTypeE1ES0_Li16ELi64ELi256ELb0ELi4EEvPKT_PKT0_S8_ifPKiSA_SA_iPKfiiiPfSD_PS3_PT2_iSC_SC_
__PRETTY_FUNCTION__._Z39paged_attention_ll4mi_QKV_mfma16_kernelI14__hip_bfloat16hLN4vllm18Fp8KVCacheDataTypeE1ES0_Li16ELi64ELi256ELb0ELi4EEvPKT_PKT0_S8_ifPKiSA_SA_iPKfiiiPfSD_PS3_PT2_iSC_SC_:
	.asciz	"void paged_attention_ll4mi_QKV_mfma16_kernel(const scalar_t *__restrict, const cache_t *__restrict, const cache_t *__restrict, const int, const float, const int *__restrict, const int *__restrict, const int *__restrict, const int, const float *__restrict, const int, const int, const int, float *__restrict, float *__restrict, scalar_t *__restrict, OUTT *__restrict, int, const float *, const float *) [scalar_t = __hip_bfloat16, cache_t = unsigned char, KV_DTYPE = vllm::Fp8KVCacheDataType::kFp8E4M3, OUTT = __hip_bfloat16, BLOCK_SIZE = 16, HEAD_SIZE = 64, NUM_THREADS = 256, ALIBI_ENABLED = false, GQA_RATIO = 4]"
	.size	__PRETTY_FUNCTION__._Z39paged_attention_ll4mi_QKV_mfma16_kernelI14__hip_bfloat16hLN4vllm18Fp8KVCacheDataTypeE1ES0_Li16ELi64ELi256ELb0ELi4EEvPKT_PKT0_S8_ifPKiSA_SA_iPKfiiiPfSD_PS3_PT2_iSC_SC_, 615

	.type	__PRETTY_FUNCTION__._Z38paged_attention_ll4mi_QKV_mfma4_kernelI14__hip_bfloat16hLN4vllm18Fp8KVCacheDataTypeE1EhLi32ELi64ELi256ELb1ELi1EEvPKT_PKT0_S8_ifPKiSA_SA_iPKfiiiPfSD_PS3_PT2_iSC_SC_,@object ; @__PRETTY_FUNCTION__._Z38paged_attention_ll4mi_QKV_mfma4_kernelI14__hip_bfloat16hLN4vllm18Fp8KVCacheDataTypeE1EhLi32ELi64ELi256ELb1ELi1EEvPKT_PKT0_S8_ifPKiSA_SA_iPKfiiiPfSD_PS3_PT2_iSC_SC_
__PRETTY_FUNCTION__._Z38paged_attention_ll4mi_QKV_mfma4_kernelI14__hip_bfloat16hLN4vllm18Fp8KVCacheDataTypeE1EhLi32ELi64ELi256ELb1ELi1EEvPKT_PKT0_S8_ifPKiSA_SA_iPKfiiiPfSD_PS3_PT2_iSC_SC_:
	.asciz	"void paged_attention_ll4mi_QKV_mfma4_kernel(const scalar_t *__restrict, const cache_t *__restrict, const cache_t *__restrict, const int, const float, const int *__restrict, const int *__restrict, const int *__restrict, const int, const float *__restrict, const int, const int, const int, float *__restrict, float *__restrict, scalar_t *__restrict, OUTT *__restrict, int, const float *, const float *) [scalar_t = __hip_bfloat16, cache_t = unsigned char, KV_DTYPE = vllm::Fp8KVCacheDataType::kFp8E4M3, OUTT = unsigned char, BLOCK_SIZE = 32, HEAD_SIZE = 64, NUM_THREADS = 256, ALIBI_ENABLED = true, GQA_RATIO = 1]"
	.size	__PRETTY_FUNCTION__._Z38paged_attention_ll4mi_QKV_mfma4_kernelI14__hip_bfloat16hLN4vllm18Fp8KVCacheDataTypeE1EhLi32ELi64ELi256ELb1ELi1EEvPKT_PKT0_S8_ifPKiSA_SA_iPKfiiiPfSD_PS3_PT2_iSC_SC_, 612

	.type	__PRETTY_FUNCTION__._Z38paged_attention_ll4mi_QKV_mfma4_kernelI14__hip_bfloat16hLN4vllm18Fp8KVCacheDataTypeE1EhLi32ELi64ELi256ELb1ELi2EEvPKT_PKT0_S8_ifPKiSA_SA_iPKfiiiPfSD_PS3_PT2_iSC_SC_,@object ; @__PRETTY_FUNCTION__._Z38paged_attention_ll4mi_QKV_mfma4_kernelI14__hip_bfloat16hLN4vllm18Fp8KVCacheDataTypeE1EhLi32ELi64ELi256ELb1ELi2EEvPKT_PKT0_S8_ifPKiSA_SA_iPKfiiiPfSD_PS3_PT2_iSC_SC_
__PRETTY_FUNCTION__._Z38paged_attention_ll4mi_QKV_mfma4_kernelI14__hip_bfloat16hLN4vllm18Fp8KVCacheDataTypeE1EhLi32ELi64ELi256ELb1ELi2EEvPKT_PKT0_S8_ifPKiSA_SA_iPKfiiiPfSD_PS3_PT2_iSC_SC_:
	.asciz	"void paged_attention_ll4mi_QKV_mfma4_kernel(const scalar_t *__restrict, const cache_t *__restrict, const cache_t *__restrict, const int, const float, const int *__restrict, const int *__restrict, const int *__restrict, const int, const float *__restrict, const int, const int, const int, float *__restrict, float *__restrict, scalar_t *__restrict, OUTT *__restrict, int, const float *, const float *) [scalar_t = __hip_bfloat16, cache_t = unsigned char, KV_DTYPE = vllm::Fp8KVCacheDataType::kFp8E4M3, OUTT = unsigned char, BLOCK_SIZE = 32, HEAD_SIZE = 64, NUM_THREADS = 256, ALIBI_ENABLED = true, GQA_RATIO = 2]"
	.size	__PRETTY_FUNCTION__._Z38paged_attention_ll4mi_QKV_mfma4_kernelI14__hip_bfloat16hLN4vllm18Fp8KVCacheDataTypeE1EhLi32ELi64ELi256ELb1ELi2EEvPKT_PKT0_S8_ifPKiSA_SA_iPKfiiiPfSD_PS3_PT2_iSC_SC_, 612

	.type	__PRETTY_FUNCTION__._Z38paged_attention_ll4mi_QKV_mfma4_kernelI14__hip_bfloat16hLN4vllm18Fp8KVCacheDataTypeE1EhLi32ELi64ELi256ELb1ELi3EEvPKT_PKT0_S8_ifPKiSA_SA_iPKfiiiPfSD_PS3_PT2_iSC_SC_,@object ; @__PRETTY_FUNCTION__._Z38paged_attention_ll4mi_QKV_mfma4_kernelI14__hip_bfloat16hLN4vllm18Fp8KVCacheDataTypeE1EhLi32ELi64ELi256ELb1ELi3EEvPKT_PKT0_S8_ifPKiSA_SA_iPKfiiiPfSD_PS3_PT2_iSC_SC_
__PRETTY_FUNCTION__._Z38paged_attention_ll4mi_QKV_mfma4_kernelI14__hip_bfloat16hLN4vllm18Fp8KVCacheDataTypeE1EhLi32ELi64ELi256ELb1ELi3EEvPKT_PKT0_S8_ifPKiSA_SA_iPKfiiiPfSD_PS3_PT2_iSC_SC_:
	.asciz	"void paged_attention_ll4mi_QKV_mfma4_kernel(const scalar_t *__restrict, const cache_t *__restrict, const cache_t *__restrict, const int, const float, const int *__restrict, const int *__restrict, const int *__restrict, const int, const float *__restrict, const int, const int, const int, float *__restrict, float *__restrict, scalar_t *__restrict, OUTT *__restrict, int, const float *, const float *) [scalar_t = __hip_bfloat16, cache_t = unsigned char, KV_DTYPE = vllm::Fp8KVCacheDataType::kFp8E4M3, OUTT = unsigned char, BLOCK_SIZE = 32, HEAD_SIZE = 64, NUM_THREADS = 256, ALIBI_ENABLED = true, GQA_RATIO = 3]"
	.size	__PRETTY_FUNCTION__._Z38paged_attention_ll4mi_QKV_mfma4_kernelI14__hip_bfloat16hLN4vllm18Fp8KVCacheDataTypeE1EhLi32ELi64ELi256ELb1ELi3EEvPKT_PKT0_S8_ifPKiSA_SA_iPKfiiiPfSD_PS3_PT2_iSC_SC_, 612

	.type	__PRETTY_FUNCTION__._Z38paged_attention_ll4mi_QKV_mfma4_kernelI14__hip_bfloat16hLN4vllm18Fp8KVCacheDataTypeE1EhLi32ELi64ELi256ELb1ELi4EEvPKT_PKT0_S8_ifPKiSA_SA_iPKfiiiPfSD_PS3_PT2_iSC_SC_,@object ; @__PRETTY_FUNCTION__._Z38paged_attention_ll4mi_QKV_mfma4_kernelI14__hip_bfloat16hLN4vllm18Fp8KVCacheDataTypeE1EhLi32ELi64ELi256ELb1ELi4EEvPKT_PKT0_S8_ifPKiSA_SA_iPKfiiiPfSD_PS3_PT2_iSC_SC_
__PRETTY_FUNCTION__._Z38paged_attention_ll4mi_QKV_mfma4_kernelI14__hip_bfloat16hLN4vllm18Fp8KVCacheDataTypeE1EhLi32ELi64ELi256ELb1ELi4EEvPKT_PKT0_S8_ifPKiSA_SA_iPKfiiiPfSD_PS3_PT2_iSC_SC_:
	.asciz	"void paged_attention_ll4mi_QKV_mfma4_kernel(const scalar_t *__restrict, const cache_t *__restrict, const cache_t *__restrict, const int, const float, const int *__restrict, const int *__restrict, const int *__restrict, const int, const float *__restrict, const int, const int, const int, float *__restrict, float *__restrict, scalar_t *__restrict, OUTT *__restrict, int, const float *, const float *) [scalar_t = __hip_bfloat16, cache_t = unsigned char, KV_DTYPE = vllm::Fp8KVCacheDataType::kFp8E4M3, OUTT = unsigned char, BLOCK_SIZE = 32, HEAD_SIZE = 64, NUM_THREADS = 256, ALIBI_ENABLED = true, GQA_RATIO = 4]"
	.size	__PRETTY_FUNCTION__._Z38paged_attention_ll4mi_QKV_mfma4_kernelI14__hip_bfloat16hLN4vllm18Fp8KVCacheDataTypeE1EhLi32ELi64ELi256ELb1ELi4EEvPKT_PKT0_S8_ifPKiSA_SA_iPKfiiiPfSD_PS3_PT2_iSC_SC_, 612

	.type	__PRETTY_FUNCTION__._Z39paged_attention_ll4mi_QKV_mfma16_kernelI14__hip_bfloat16hLN4vllm18Fp8KVCacheDataTypeE1EhLi32ELi64ELi256ELb1ELi5EEvPKT_PKT0_S8_ifPKiSA_SA_iPKfiiiPfSD_PS3_PT2_iSC_SC_,@object ; @__PRETTY_FUNCTION__._Z39paged_attention_ll4mi_QKV_mfma16_kernelI14__hip_bfloat16hLN4vllm18Fp8KVCacheDataTypeE1EhLi32ELi64ELi256ELb1ELi5EEvPKT_PKT0_S8_ifPKiSA_SA_iPKfiiiPfSD_PS3_PT2_iSC_SC_
__PRETTY_FUNCTION__._Z39paged_attention_ll4mi_QKV_mfma16_kernelI14__hip_bfloat16hLN4vllm18Fp8KVCacheDataTypeE1EhLi32ELi64ELi256ELb1ELi5EEvPKT_PKT0_S8_ifPKiSA_SA_iPKfiiiPfSD_PS3_PT2_iSC_SC_:
	.asciz	"void paged_attention_ll4mi_QKV_mfma16_kernel(const scalar_t *__restrict, const cache_t *__restrict, const cache_t *__restrict, const int, const float, const int *__restrict, const int *__restrict, const int *__restrict, const int, const float *__restrict, const int, const int, const int, float *__restrict, float *__restrict, scalar_t *__restrict, OUTT *__restrict, int, const float *, const float *) [scalar_t = __hip_bfloat16, cache_t = unsigned char, KV_DTYPE = vllm::Fp8KVCacheDataType::kFp8E4M3, OUTT = unsigned char, BLOCK_SIZE = 32, HEAD_SIZE = 64, NUM_THREADS = 256, ALIBI_ENABLED = true, GQA_RATIO = 5]"
	.size	__PRETTY_FUNCTION__._Z39paged_attention_ll4mi_QKV_mfma16_kernelI14__hip_bfloat16hLN4vllm18Fp8KVCacheDataTypeE1EhLi32ELi64ELi256ELb1ELi5EEvPKT_PKT0_S8_ifPKiSA_SA_iPKfiiiPfSD_PS3_PT2_iSC_SC_, 613

	.type	__PRETTY_FUNCTION__._Z39paged_attention_ll4mi_QKV_mfma16_kernelI14__hip_bfloat16hLN4vllm18Fp8KVCacheDataTypeE1EhLi32ELi64ELi256ELb1ELi6EEvPKT_PKT0_S8_ifPKiSA_SA_iPKfiiiPfSD_PS3_PT2_iSC_SC_,@object ; @__PRETTY_FUNCTION__._Z39paged_attention_ll4mi_QKV_mfma16_kernelI14__hip_bfloat16hLN4vllm18Fp8KVCacheDataTypeE1EhLi32ELi64ELi256ELb1ELi6EEvPKT_PKT0_S8_ifPKiSA_SA_iPKfiiiPfSD_PS3_PT2_iSC_SC_
__PRETTY_FUNCTION__._Z39paged_attention_ll4mi_QKV_mfma16_kernelI14__hip_bfloat16hLN4vllm18Fp8KVCacheDataTypeE1EhLi32ELi64ELi256ELb1ELi6EEvPKT_PKT0_S8_ifPKiSA_SA_iPKfiiiPfSD_PS3_PT2_iSC_SC_:
	.asciz	"void paged_attention_ll4mi_QKV_mfma16_kernel(const scalar_t *__restrict, const cache_t *__restrict, const cache_t *__restrict, const int, const float, const int *__restrict, const int *__restrict, const int *__restrict, const int, const float *__restrict, const int, const int, const int, float *__restrict, float *__restrict, scalar_t *__restrict, OUTT *__restrict, int, const float *, const float *) [scalar_t = __hip_bfloat16, cache_t = unsigned char, KV_DTYPE = vllm::Fp8KVCacheDataType::kFp8E4M3, OUTT = unsigned char, BLOCK_SIZE = 32, HEAD_SIZE = 64, NUM_THREADS = 256, ALIBI_ENABLED = true, GQA_RATIO = 6]"
	.size	__PRETTY_FUNCTION__._Z39paged_attention_ll4mi_QKV_mfma16_kernelI14__hip_bfloat16hLN4vllm18Fp8KVCacheDataTypeE1EhLi32ELi64ELi256ELb1ELi6EEvPKT_PKT0_S8_ifPKiSA_SA_iPKfiiiPfSD_PS3_PT2_iSC_SC_, 613

	.type	__PRETTY_FUNCTION__._Z39paged_attention_ll4mi_QKV_mfma16_kernelI14__hip_bfloat16hLN4vllm18Fp8KVCacheDataTypeE1EhLi32ELi64ELi256ELb1ELi7EEvPKT_PKT0_S8_ifPKiSA_SA_iPKfiiiPfSD_PS3_PT2_iSC_SC_,@object ; @__PRETTY_FUNCTION__._Z39paged_attention_ll4mi_QKV_mfma16_kernelI14__hip_bfloat16hLN4vllm18Fp8KVCacheDataTypeE1EhLi32ELi64ELi256ELb1ELi7EEvPKT_PKT0_S8_ifPKiSA_SA_iPKfiiiPfSD_PS3_PT2_iSC_SC_
__PRETTY_FUNCTION__._Z39paged_attention_ll4mi_QKV_mfma16_kernelI14__hip_bfloat16hLN4vllm18Fp8KVCacheDataTypeE1EhLi32ELi64ELi256ELb1ELi7EEvPKT_PKT0_S8_ifPKiSA_SA_iPKfiiiPfSD_PS3_PT2_iSC_SC_:
	.asciz	"void paged_attention_ll4mi_QKV_mfma16_kernel(const scalar_t *__restrict, const cache_t *__restrict, const cache_t *__restrict, const int, const float, const int *__restrict, const int *__restrict, const int *__restrict, const int, const float *__restrict, const int, const int, const int, float *__restrict, float *__restrict, scalar_t *__restrict, OUTT *__restrict, int, const float *, const float *) [scalar_t = __hip_bfloat16, cache_t = unsigned char, KV_DTYPE = vllm::Fp8KVCacheDataType::kFp8E4M3, OUTT = unsigned char, BLOCK_SIZE = 32, HEAD_SIZE = 64, NUM_THREADS = 256, ALIBI_ENABLED = true, GQA_RATIO = 7]"
	.size	__PRETTY_FUNCTION__._Z39paged_attention_ll4mi_QKV_mfma16_kernelI14__hip_bfloat16hLN4vllm18Fp8KVCacheDataTypeE1EhLi32ELi64ELi256ELb1ELi7EEvPKT_PKT0_S8_ifPKiSA_SA_iPKfiiiPfSD_PS3_PT2_iSC_SC_, 613

	.type	__PRETTY_FUNCTION__._Z39paged_attention_ll4mi_QKV_mfma16_kernelI14__hip_bfloat16hLN4vllm18Fp8KVCacheDataTypeE1EhLi32ELi64ELi256ELb1ELi8EEvPKT_PKT0_S8_ifPKiSA_SA_iPKfiiiPfSD_PS3_PT2_iSC_SC_,@object ; @__PRETTY_FUNCTION__._Z39paged_attention_ll4mi_QKV_mfma16_kernelI14__hip_bfloat16hLN4vllm18Fp8KVCacheDataTypeE1EhLi32ELi64ELi256ELb1ELi8EEvPKT_PKT0_S8_ifPKiSA_SA_iPKfiiiPfSD_PS3_PT2_iSC_SC_
__PRETTY_FUNCTION__._Z39paged_attention_ll4mi_QKV_mfma16_kernelI14__hip_bfloat16hLN4vllm18Fp8KVCacheDataTypeE1EhLi32ELi64ELi256ELb1ELi8EEvPKT_PKT0_S8_ifPKiSA_SA_iPKfiiiPfSD_PS3_PT2_iSC_SC_:
	.asciz	"void paged_attention_ll4mi_QKV_mfma16_kernel(const scalar_t *__restrict, const cache_t *__restrict, const cache_t *__restrict, const int, const float, const int *__restrict, const int *__restrict, const int *__restrict, const int, const float *__restrict, const int, const int, const int, float *__restrict, float *__restrict, scalar_t *__restrict, OUTT *__restrict, int, const float *, const float *) [scalar_t = __hip_bfloat16, cache_t = unsigned char, KV_DTYPE = vllm::Fp8KVCacheDataType::kFp8E4M3, OUTT = unsigned char, BLOCK_SIZE = 32, HEAD_SIZE = 64, NUM_THREADS = 256, ALIBI_ENABLED = true, GQA_RATIO = 8]"
	.size	__PRETTY_FUNCTION__._Z39paged_attention_ll4mi_QKV_mfma16_kernelI14__hip_bfloat16hLN4vllm18Fp8KVCacheDataTypeE1EhLi32ELi64ELi256ELb1ELi8EEvPKT_PKT0_S8_ifPKiSA_SA_iPKfiiiPfSD_PS3_PT2_iSC_SC_, 613

	.type	__PRETTY_FUNCTION__._Z39paged_attention_ll4mi_QKV_mfma16_kernelI14__hip_bfloat16hLN4vllm18Fp8KVCacheDataTypeE1EhLi32ELi64ELi256ELb1ELi9EEvPKT_PKT0_S8_ifPKiSA_SA_iPKfiiiPfSD_PS3_PT2_iSC_SC_,@object ; @__PRETTY_FUNCTION__._Z39paged_attention_ll4mi_QKV_mfma16_kernelI14__hip_bfloat16hLN4vllm18Fp8KVCacheDataTypeE1EhLi32ELi64ELi256ELb1ELi9EEvPKT_PKT0_S8_ifPKiSA_SA_iPKfiiiPfSD_PS3_PT2_iSC_SC_
__PRETTY_FUNCTION__._Z39paged_attention_ll4mi_QKV_mfma16_kernelI14__hip_bfloat16hLN4vllm18Fp8KVCacheDataTypeE1EhLi32ELi64ELi256ELb1ELi9EEvPKT_PKT0_S8_ifPKiSA_SA_iPKfiiiPfSD_PS3_PT2_iSC_SC_:
	.asciz	"void paged_attention_ll4mi_QKV_mfma16_kernel(const scalar_t *__restrict, const cache_t *__restrict, const cache_t *__restrict, const int, const float, const int *__restrict, const int *__restrict, const int *__restrict, const int, const float *__restrict, const int, const int, const int, float *__restrict, float *__restrict, scalar_t *__restrict, OUTT *__restrict, int, const float *, const float *) [scalar_t = __hip_bfloat16, cache_t = unsigned char, KV_DTYPE = vllm::Fp8KVCacheDataType::kFp8E4M3, OUTT = unsigned char, BLOCK_SIZE = 32, HEAD_SIZE = 64, NUM_THREADS = 256, ALIBI_ENABLED = true, GQA_RATIO = 9]"
	.size	__PRETTY_FUNCTION__._Z39paged_attention_ll4mi_QKV_mfma16_kernelI14__hip_bfloat16hLN4vllm18Fp8KVCacheDataTypeE1EhLi32ELi64ELi256ELb1ELi9EEvPKT_PKT0_S8_ifPKiSA_SA_iPKfiiiPfSD_PS3_PT2_iSC_SC_, 613

	.type	__PRETTY_FUNCTION__._Z39paged_attention_ll4mi_QKV_mfma16_kernelI14__hip_bfloat16hLN4vllm18Fp8KVCacheDataTypeE1EhLi32ELi64ELi256ELb1ELi10EEvPKT_PKT0_S8_ifPKiSA_SA_iPKfiiiPfSD_PS3_PT2_iSC_SC_,@object ; @__PRETTY_FUNCTION__._Z39paged_attention_ll4mi_QKV_mfma16_kernelI14__hip_bfloat16hLN4vllm18Fp8KVCacheDataTypeE1EhLi32ELi64ELi256ELb1ELi10EEvPKT_PKT0_S8_ifPKiSA_SA_iPKfiiiPfSD_PS3_PT2_iSC_SC_
__PRETTY_FUNCTION__._Z39paged_attention_ll4mi_QKV_mfma16_kernelI14__hip_bfloat16hLN4vllm18Fp8KVCacheDataTypeE1EhLi32ELi64ELi256ELb1ELi10EEvPKT_PKT0_S8_ifPKiSA_SA_iPKfiiiPfSD_PS3_PT2_iSC_SC_:
	.asciz	"void paged_attention_ll4mi_QKV_mfma16_kernel(const scalar_t *__restrict, const cache_t *__restrict, const cache_t *__restrict, const int, const float, const int *__restrict, const int *__restrict, const int *__restrict, const int, const float *__restrict, const int, const int, const int, float *__restrict, float *__restrict, scalar_t *__restrict, OUTT *__restrict, int, const float *, const float *) [scalar_t = __hip_bfloat16, cache_t = unsigned char, KV_DTYPE = vllm::Fp8KVCacheDataType::kFp8E4M3, OUTT = unsigned char, BLOCK_SIZE = 32, HEAD_SIZE = 64, NUM_THREADS = 256, ALIBI_ENABLED = true, GQA_RATIO = 10]"
	.size	__PRETTY_FUNCTION__._Z39paged_attention_ll4mi_QKV_mfma16_kernelI14__hip_bfloat16hLN4vllm18Fp8KVCacheDataTypeE1EhLi32ELi64ELi256ELb1ELi10EEvPKT_PKT0_S8_ifPKiSA_SA_iPKfiiiPfSD_PS3_PT2_iSC_SC_, 614

	.type	__PRETTY_FUNCTION__._Z39paged_attention_ll4mi_QKV_mfma16_kernelI14__hip_bfloat16hLN4vllm18Fp8KVCacheDataTypeE1EhLi32ELi64ELi256ELb1ELi11EEvPKT_PKT0_S8_ifPKiSA_SA_iPKfiiiPfSD_PS3_PT2_iSC_SC_,@object ; @__PRETTY_FUNCTION__._Z39paged_attention_ll4mi_QKV_mfma16_kernelI14__hip_bfloat16hLN4vllm18Fp8KVCacheDataTypeE1EhLi32ELi64ELi256ELb1ELi11EEvPKT_PKT0_S8_ifPKiSA_SA_iPKfiiiPfSD_PS3_PT2_iSC_SC_
__PRETTY_FUNCTION__._Z39paged_attention_ll4mi_QKV_mfma16_kernelI14__hip_bfloat16hLN4vllm18Fp8KVCacheDataTypeE1EhLi32ELi64ELi256ELb1ELi11EEvPKT_PKT0_S8_ifPKiSA_SA_iPKfiiiPfSD_PS3_PT2_iSC_SC_:
	.asciz	"void paged_attention_ll4mi_QKV_mfma16_kernel(const scalar_t *__restrict, const cache_t *__restrict, const cache_t *__restrict, const int, const float, const int *__restrict, const int *__restrict, const int *__restrict, const int, const float *__restrict, const int, const int, const int, float *__restrict, float *__restrict, scalar_t *__restrict, OUTT *__restrict, int, const float *, const float *) [scalar_t = __hip_bfloat16, cache_t = unsigned char, KV_DTYPE = vllm::Fp8KVCacheDataType::kFp8E4M3, OUTT = unsigned char, BLOCK_SIZE = 32, HEAD_SIZE = 64, NUM_THREADS = 256, ALIBI_ENABLED = true, GQA_RATIO = 11]"
	.size	__PRETTY_FUNCTION__._Z39paged_attention_ll4mi_QKV_mfma16_kernelI14__hip_bfloat16hLN4vllm18Fp8KVCacheDataTypeE1EhLi32ELi64ELi256ELb1ELi11EEvPKT_PKT0_S8_ifPKiSA_SA_iPKfiiiPfSD_PS3_PT2_iSC_SC_, 614

	.type	__PRETTY_FUNCTION__._Z39paged_attention_ll4mi_QKV_mfma16_kernelI14__hip_bfloat16hLN4vllm18Fp8KVCacheDataTypeE1EhLi32ELi64ELi256ELb1ELi12EEvPKT_PKT0_S8_ifPKiSA_SA_iPKfiiiPfSD_PS3_PT2_iSC_SC_,@object ; @__PRETTY_FUNCTION__._Z39paged_attention_ll4mi_QKV_mfma16_kernelI14__hip_bfloat16hLN4vllm18Fp8KVCacheDataTypeE1EhLi32ELi64ELi256ELb1ELi12EEvPKT_PKT0_S8_ifPKiSA_SA_iPKfiiiPfSD_PS3_PT2_iSC_SC_
__PRETTY_FUNCTION__._Z39paged_attention_ll4mi_QKV_mfma16_kernelI14__hip_bfloat16hLN4vllm18Fp8KVCacheDataTypeE1EhLi32ELi64ELi256ELb1ELi12EEvPKT_PKT0_S8_ifPKiSA_SA_iPKfiiiPfSD_PS3_PT2_iSC_SC_:
	.asciz	"void paged_attention_ll4mi_QKV_mfma16_kernel(const scalar_t *__restrict, const cache_t *__restrict, const cache_t *__restrict, const int, const float, const int *__restrict, const int *__restrict, const int *__restrict, const int, const float *__restrict, const int, const int, const int, float *__restrict, float *__restrict, scalar_t *__restrict, OUTT *__restrict, int, const float *, const float *) [scalar_t = __hip_bfloat16, cache_t = unsigned char, KV_DTYPE = vllm::Fp8KVCacheDataType::kFp8E4M3, OUTT = unsigned char, BLOCK_SIZE = 32, HEAD_SIZE = 64, NUM_THREADS = 256, ALIBI_ENABLED = true, GQA_RATIO = 12]"
	.size	__PRETTY_FUNCTION__._Z39paged_attention_ll4mi_QKV_mfma16_kernelI14__hip_bfloat16hLN4vllm18Fp8KVCacheDataTypeE1EhLi32ELi64ELi256ELb1ELi12EEvPKT_PKT0_S8_ifPKiSA_SA_iPKfiiiPfSD_PS3_PT2_iSC_SC_, 614

	.type	__PRETTY_FUNCTION__._Z39paged_attention_ll4mi_QKV_mfma16_kernelI14__hip_bfloat16hLN4vllm18Fp8KVCacheDataTypeE1EhLi32ELi64ELi256ELb1ELi13EEvPKT_PKT0_S8_ifPKiSA_SA_iPKfiiiPfSD_PS3_PT2_iSC_SC_,@object ; @__PRETTY_FUNCTION__._Z39paged_attention_ll4mi_QKV_mfma16_kernelI14__hip_bfloat16hLN4vllm18Fp8KVCacheDataTypeE1EhLi32ELi64ELi256ELb1ELi13EEvPKT_PKT0_S8_ifPKiSA_SA_iPKfiiiPfSD_PS3_PT2_iSC_SC_
__PRETTY_FUNCTION__._Z39paged_attention_ll4mi_QKV_mfma16_kernelI14__hip_bfloat16hLN4vllm18Fp8KVCacheDataTypeE1EhLi32ELi64ELi256ELb1ELi13EEvPKT_PKT0_S8_ifPKiSA_SA_iPKfiiiPfSD_PS3_PT2_iSC_SC_:
	.asciz	"void paged_attention_ll4mi_QKV_mfma16_kernel(const scalar_t *__restrict, const cache_t *__restrict, const cache_t *__restrict, const int, const float, const int *__restrict, const int *__restrict, const int *__restrict, const int, const float *__restrict, const int, const int, const int, float *__restrict, float *__restrict, scalar_t *__restrict, OUTT *__restrict, int, const float *, const float *) [scalar_t = __hip_bfloat16, cache_t = unsigned char, KV_DTYPE = vllm::Fp8KVCacheDataType::kFp8E4M3, OUTT = unsigned char, BLOCK_SIZE = 32, HEAD_SIZE = 64, NUM_THREADS = 256, ALIBI_ENABLED = true, GQA_RATIO = 13]"
	.size	__PRETTY_FUNCTION__._Z39paged_attention_ll4mi_QKV_mfma16_kernelI14__hip_bfloat16hLN4vllm18Fp8KVCacheDataTypeE1EhLi32ELi64ELi256ELb1ELi13EEvPKT_PKT0_S8_ifPKiSA_SA_iPKfiiiPfSD_PS3_PT2_iSC_SC_, 614

	.type	__PRETTY_FUNCTION__._Z39paged_attention_ll4mi_QKV_mfma16_kernelI14__hip_bfloat16hLN4vllm18Fp8KVCacheDataTypeE1EhLi32ELi64ELi256ELb1ELi14EEvPKT_PKT0_S8_ifPKiSA_SA_iPKfiiiPfSD_PS3_PT2_iSC_SC_,@object ; @__PRETTY_FUNCTION__._Z39paged_attention_ll4mi_QKV_mfma16_kernelI14__hip_bfloat16hLN4vllm18Fp8KVCacheDataTypeE1EhLi32ELi64ELi256ELb1ELi14EEvPKT_PKT0_S8_ifPKiSA_SA_iPKfiiiPfSD_PS3_PT2_iSC_SC_
__PRETTY_FUNCTION__._Z39paged_attention_ll4mi_QKV_mfma16_kernelI14__hip_bfloat16hLN4vllm18Fp8KVCacheDataTypeE1EhLi32ELi64ELi256ELb1ELi14EEvPKT_PKT0_S8_ifPKiSA_SA_iPKfiiiPfSD_PS3_PT2_iSC_SC_:
	.asciz	"void paged_attention_ll4mi_QKV_mfma16_kernel(const scalar_t *__restrict, const cache_t *__restrict, const cache_t *__restrict, const int, const float, const int *__restrict, const int *__restrict, const int *__restrict, const int, const float *__restrict, const int, const int, const int, float *__restrict, float *__restrict, scalar_t *__restrict, OUTT *__restrict, int, const float *, const float *) [scalar_t = __hip_bfloat16, cache_t = unsigned char, KV_DTYPE = vllm::Fp8KVCacheDataType::kFp8E4M3, OUTT = unsigned char, BLOCK_SIZE = 32, HEAD_SIZE = 64, NUM_THREADS = 256, ALIBI_ENABLED = true, GQA_RATIO = 14]"
	.size	__PRETTY_FUNCTION__._Z39paged_attention_ll4mi_QKV_mfma16_kernelI14__hip_bfloat16hLN4vllm18Fp8KVCacheDataTypeE1EhLi32ELi64ELi256ELb1ELi14EEvPKT_PKT0_S8_ifPKiSA_SA_iPKfiiiPfSD_PS3_PT2_iSC_SC_, 614

	.type	__PRETTY_FUNCTION__._Z39paged_attention_ll4mi_QKV_mfma16_kernelI14__hip_bfloat16hLN4vllm18Fp8KVCacheDataTypeE1EhLi32ELi64ELi256ELb1ELi15EEvPKT_PKT0_S8_ifPKiSA_SA_iPKfiiiPfSD_PS3_PT2_iSC_SC_,@object ; @__PRETTY_FUNCTION__._Z39paged_attention_ll4mi_QKV_mfma16_kernelI14__hip_bfloat16hLN4vllm18Fp8KVCacheDataTypeE1EhLi32ELi64ELi256ELb1ELi15EEvPKT_PKT0_S8_ifPKiSA_SA_iPKfiiiPfSD_PS3_PT2_iSC_SC_
__PRETTY_FUNCTION__._Z39paged_attention_ll4mi_QKV_mfma16_kernelI14__hip_bfloat16hLN4vllm18Fp8KVCacheDataTypeE1EhLi32ELi64ELi256ELb1ELi15EEvPKT_PKT0_S8_ifPKiSA_SA_iPKfiiiPfSD_PS3_PT2_iSC_SC_:
	.asciz	"void paged_attention_ll4mi_QKV_mfma16_kernel(const scalar_t *__restrict, const cache_t *__restrict, const cache_t *__restrict, const int, const float, const int *__restrict, const int *__restrict, const int *__restrict, const int, const float *__restrict, const int, const int, const int, float *__restrict, float *__restrict, scalar_t *__restrict, OUTT *__restrict, int, const float *, const float *) [scalar_t = __hip_bfloat16, cache_t = unsigned char, KV_DTYPE = vllm::Fp8KVCacheDataType::kFp8E4M3, OUTT = unsigned char, BLOCK_SIZE = 32, HEAD_SIZE = 64, NUM_THREADS = 256, ALIBI_ENABLED = true, GQA_RATIO = 15]"
	.size	__PRETTY_FUNCTION__._Z39paged_attention_ll4mi_QKV_mfma16_kernelI14__hip_bfloat16hLN4vllm18Fp8KVCacheDataTypeE1EhLi32ELi64ELi256ELb1ELi15EEvPKT_PKT0_S8_ifPKiSA_SA_iPKfiiiPfSD_PS3_PT2_iSC_SC_, 614

	.type	__PRETTY_FUNCTION__._Z39paged_attention_ll4mi_QKV_mfma16_kernelI14__hip_bfloat16hLN4vllm18Fp8KVCacheDataTypeE1EhLi32ELi64ELi256ELb1ELi16EEvPKT_PKT0_S8_ifPKiSA_SA_iPKfiiiPfSD_PS3_PT2_iSC_SC_,@object ; @__PRETTY_FUNCTION__._Z39paged_attention_ll4mi_QKV_mfma16_kernelI14__hip_bfloat16hLN4vllm18Fp8KVCacheDataTypeE1EhLi32ELi64ELi256ELb1ELi16EEvPKT_PKT0_S8_ifPKiSA_SA_iPKfiiiPfSD_PS3_PT2_iSC_SC_
__PRETTY_FUNCTION__._Z39paged_attention_ll4mi_QKV_mfma16_kernelI14__hip_bfloat16hLN4vllm18Fp8KVCacheDataTypeE1EhLi32ELi64ELi256ELb1ELi16EEvPKT_PKT0_S8_ifPKiSA_SA_iPKfiiiPfSD_PS3_PT2_iSC_SC_:
	.asciz	"void paged_attention_ll4mi_QKV_mfma16_kernel(const scalar_t *__restrict, const cache_t *__restrict, const cache_t *__restrict, const int, const float, const int *__restrict, const int *__restrict, const int *__restrict, const int, const float *__restrict, const int, const int, const int, float *__restrict, float *__restrict, scalar_t *__restrict, OUTT *__restrict, int, const float *, const float *) [scalar_t = __hip_bfloat16, cache_t = unsigned char, KV_DTYPE = vllm::Fp8KVCacheDataType::kFp8E4M3, OUTT = unsigned char, BLOCK_SIZE = 32, HEAD_SIZE = 64, NUM_THREADS = 256, ALIBI_ENABLED = true, GQA_RATIO = 16]"
	.size	__PRETTY_FUNCTION__._Z39paged_attention_ll4mi_QKV_mfma16_kernelI14__hip_bfloat16hLN4vllm18Fp8KVCacheDataTypeE1EhLi32ELi64ELi256ELb1ELi16EEvPKT_PKT0_S8_ifPKiSA_SA_iPKfiiiPfSD_PS3_PT2_iSC_SC_, 614

	.type	__PRETTY_FUNCTION__._Z39paged_attention_ll4mi_QKV_mfma16_kernelI14__hip_bfloat16hLN4vllm18Fp8KVCacheDataTypeE1EhLi32ELi64ELi256ELb1ELi1EEvPKT_PKT0_S8_ifPKiSA_SA_iPKfiiiPfSD_PS3_PT2_iSC_SC_,@object ; @__PRETTY_FUNCTION__._Z39paged_attention_ll4mi_QKV_mfma16_kernelI14__hip_bfloat16hLN4vllm18Fp8KVCacheDataTypeE1EhLi32ELi64ELi256ELb1ELi1EEvPKT_PKT0_S8_ifPKiSA_SA_iPKfiiiPfSD_PS3_PT2_iSC_SC_
__PRETTY_FUNCTION__._Z39paged_attention_ll4mi_QKV_mfma16_kernelI14__hip_bfloat16hLN4vllm18Fp8KVCacheDataTypeE1EhLi32ELi64ELi256ELb1ELi1EEvPKT_PKT0_S8_ifPKiSA_SA_iPKfiiiPfSD_PS3_PT2_iSC_SC_:
	.asciz	"void paged_attention_ll4mi_QKV_mfma16_kernel(const scalar_t *__restrict, const cache_t *__restrict, const cache_t *__restrict, const int, const float, const int *__restrict, const int *__restrict, const int *__restrict, const int, const float *__restrict, const int, const int, const int, float *__restrict, float *__restrict, scalar_t *__restrict, OUTT *__restrict, int, const float *, const float *) [scalar_t = __hip_bfloat16, cache_t = unsigned char, KV_DTYPE = vllm::Fp8KVCacheDataType::kFp8E4M3, OUTT = unsigned char, BLOCK_SIZE = 32, HEAD_SIZE = 64, NUM_THREADS = 256, ALIBI_ENABLED = true, GQA_RATIO = 1]"
	.size	__PRETTY_FUNCTION__._Z39paged_attention_ll4mi_QKV_mfma16_kernelI14__hip_bfloat16hLN4vllm18Fp8KVCacheDataTypeE1EhLi32ELi64ELi256ELb1ELi1EEvPKT_PKT0_S8_ifPKiSA_SA_iPKfiiiPfSD_PS3_PT2_iSC_SC_, 613

	.type	__PRETTY_FUNCTION__._Z39paged_attention_ll4mi_QKV_mfma16_kernelI14__hip_bfloat16hLN4vllm18Fp8KVCacheDataTypeE1EhLi32ELi64ELi256ELb1ELi2EEvPKT_PKT0_S8_ifPKiSA_SA_iPKfiiiPfSD_PS3_PT2_iSC_SC_,@object ; @__PRETTY_FUNCTION__._Z39paged_attention_ll4mi_QKV_mfma16_kernelI14__hip_bfloat16hLN4vllm18Fp8KVCacheDataTypeE1EhLi32ELi64ELi256ELb1ELi2EEvPKT_PKT0_S8_ifPKiSA_SA_iPKfiiiPfSD_PS3_PT2_iSC_SC_
__PRETTY_FUNCTION__._Z39paged_attention_ll4mi_QKV_mfma16_kernelI14__hip_bfloat16hLN4vllm18Fp8KVCacheDataTypeE1EhLi32ELi64ELi256ELb1ELi2EEvPKT_PKT0_S8_ifPKiSA_SA_iPKfiiiPfSD_PS3_PT2_iSC_SC_:
	.asciz	"void paged_attention_ll4mi_QKV_mfma16_kernel(const scalar_t *__restrict, const cache_t *__restrict, const cache_t *__restrict, const int, const float, const int *__restrict, const int *__restrict, const int *__restrict, const int, const float *__restrict, const int, const int, const int, float *__restrict, float *__restrict, scalar_t *__restrict, OUTT *__restrict, int, const float *, const float *) [scalar_t = __hip_bfloat16, cache_t = unsigned char, KV_DTYPE = vllm::Fp8KVCacheDataType::kFp8E4M3, OUTT = unsigned char, BLOCK_SIZE = 32, HEAD_SIZE = 64, NUM_THREADS = 256, ALIBI_ENABLED = true, GQA_RATIO = 2]"
	.size	__PRETTY_FUNCTION__._Z39paged_attention_ll4mi_QKV_mfma16_kernelI14__hip_bfloat16hLN4vllm18Fp8KVCacheDataTypeE1EhLi32ELi64ELi256ELb1ELi2EEvPKT_PKT0_S8_ifPKiSA_SA_iPKfiiiPfSD_PS3_PT2_iSC_SC_, 613

	.type	__PRETTY_FUNCTION__._Z39paged_attention_ll4mi_QKV_mfma16_kernelI14__hip_bfloat16hLN4vllm18Fp8KVCacheDataTypeE1EhLi32ELi64ELi256ELb1ELi3EEvPKT_PKT0_S8_ifPKiSA_SA_iPKfiiiPfSD_PS3_PT2_iSC_SC_,@object ; @__PRETTY_FUNCTION__._Z39paged_attention_ll4mi_QKV_mfma16_kernelI14__hip_bfloat16hLN4vllm18Fp8KVCacheDataTypeE1EhLi32ELi64ELi256ELb1ELi3EEvPKT_PKT0_S8_ifPKiSA_SA_iPKfiiiPfSD_PS3_PT2_iSC_SC_
__PRETTY_FUNCTION__._Z39paged_attention_ll4mi_QKV_mfma16_kernelI14__hip_bfloat16hLN4vllm18Fp8KVCacheDataTypeE1EhLi32ELi64ELi256ELb1ELi3EEvPKT_PKT0_S8_ifPKiSA_SA_iPKfiiiPfSD_PS3_PT2_iSC_SC_:
	.asciz	"void paged_attention_ll4mi_QKV_mfma16_kernel(const scalar_t *__restrict, const cache_t *__restrict, const cache_t *__restrict, const int, const float, const int *__restrict, const int *__restrict, const int *__restrict, const int, const float *__restrict, const int, const int, const int, float *__restrict, float *__restrict, scalar_t *__restrict, OUTT *__restrict, int, const float *, const float *) [scalar_t = __hip_bfloat16, cache_t = unsigned char, KV_DTYPE = vllm::Fp8KVCacheDataType::kFp8E4M3, OUTT = unsigned char, BLOCK_SIZE = 32, HEAD_SIZE = 64, NUM_THREADS = 256, ALIBI_ENABLED = true, GQA_RATIO = 3]"
	.size	__PRETTY_FUNCTION__._Z39paged_attention_ll4mi_QKV_mfma16_kernelI14__hip_bfloat16hLN4vllm18Fp8KVCacheDataTypeE1EhLi32ELi64ELi256ELb1ELi3EEvPKT_PKT0_S8_ifPKiSA_SA_iPKfiiiPfSD_PS3_PT2_iSC_SC_, 613

	.type	__PRETTY_FUNCTION__._Z39paged_attention_ll4mi_QKV_mfma16_kernelI14__hip_bfloat16hLN4vllm18Fp8KVCacheDataTypeE1EhLi32ELi64ELi256ELb1ELi4EEvPKT_PKT0_S8_ifPKiSA_SA_iPKfiiiPfSD_PS3_PT2_iSC_SC_,@object ; @__PRETTY_FUNCTION__._Z39paged_attention_ll4mi_QKV_mfma16_kernelI14__hip_bfloat16hLN4vllm18Fp8KVCacheDataTypeE1EhLi32ELi64ELi256ELb1ELi4EEvPKT_PKT0_S8_ifPKiSA_SA_iPKfiiiPfSD_PS3_PT2_iSC_SC_
__PRETTY_FUNCTION__._Z39paged_attention_ll4mi_QKV_mfma16_kernelI14__hip_bfloat16hLN4vllm18Fp8KVCacheDataTypeE1EhLi32ELi64ELi256ELb1ELi4EEvPKT_PKT0_S8_ifPKiSA_SA_iPKfiiiPfSD_PS3_PT2_iSC_SC_:
	.asciz	"void paged_attention_ll4mi_QKV_mfma16_kernel(const scalar_t *__restrict, const cache_t *__restrict, const cache_t *__restrict, const int, const float, const int *__restrict, const int *__restrict, const int *__restrict, const int, const float *__restrict, const int, const int, const int, float *__restrict, float *__restrict, scalar_t *__restrict, OUTT *__restrict, int, const float *, const float *) [scalar_t = __hip_bfloat16, cache_t = unsigned char, KV_DTYPE = vllm::Fp8KVCacheDataType::kFp8E4M3, OUTT = unsigned char, BLOCK_SIZE = 32, HEAD_SIZE = 64, NUM_THREADS = 256, ALIBI_ENABLED = true, GQA_RATIO = 4]"
	.size	__PRETTY_FUNCTION__._Z39paged_attention_ll4mi_QKV_mfma16_kernelI14__hip_bfloat16hLN4vllm18Fp8KVCacheDataTypeE1EhLi32ELi64ELi256ELb1ELi4EEvPKT_PKT0_S8_ifPKiSA_SA_iPKfiiiPfSD_PS3_PT2_iSC_SC_, 613

	.type	__PRETTY_FUNCTION__._Z38paged_attention_ll4mi_QKV_mfma4_kernelI14__hip_bfloat16hLN4vllm18Fp8KVCacheDataTypeE1EhLi32ELi64ELi256ELb0ELi1EEvPKT_PKT0_S8_ifPKiSA_SA_iPKfiiiPfSD_PS3_PT2_iSC_SC_,@object ; @__PRETTY_FUNCTION__._Z38paged_attention_ll4mi_QKV_mfma4_kernelI14__hip_bfloat16hLN4vllm18Fp8KVCacheDataTypeE1EhLi32ELi64ELi256ELb0ELi1EEvPKT_PKT0_S8_ifPKiSA_SA_iPKfiiiPfSD_PS3_PT2_iSC_SC_
__PRETTY_FUNCTION__._Z38paged_attention_ll4mi_QKV_mfma4_kernelI14__hip_bfloat16hLN4vllm18Fp8KVCacheDataTypeE1EhLi32ELi64ELi256ELb0ELi1EEvPKT_PKT0_S8_ifPKiSA_SA_iPKfiiiPfSD_PS3_PT2_iSC_SC_:
	.asciz	"void paged_attention_ll4mi_QKV_mfma4_kernel(const scalar_t *__restrict, const cache_t *__restrict, const cache_t *__restrict, const int, const float, const int *__restrict, const int *__restrict, const int *__restrict, const int, const float *__restrict, const int, const int, const int, float *__restrict, float *__restrict, scalar_t *__restrict, OUTT *__restrict, int, const float *, const float *) [scalar_t = __hip_bfloat16, cache_t = unsigned char, KV_DTYPE = vllm::Fp8KVCacheDataType::kFp8E4M3, OUTT = unsigned char, BLOCK_SIZE = 32, HEAD_SIZE = 64, NUM_THREADS = 256, ALIBI_ENABLED = false, GQA_RATIO = 1]"
	.size	__PRETTY_FUNCTION__._Z38paged_attention_ll4mi_QKV_mfma4_kernelI14__hip_bfloat16hLN4vllm18Fp8KVCacheDataTypeE1EhLi32ELi64ELi256ELb0ELi1EEvPKT_PKT0_S8_ifPKiSA_SA_iPKfiiiPfSD_PS3_PT2_iSC_SC_, 613

	.type	__PRETTY_FUNCTION__._Z38paged_attention_ll4mi_QKV_mfma4_kernelI14__hip_bfloat16hLN4vllm18Fp8KVCacheDataTypeE1EhLi32ELi64ELi256ELb0ELi2EEvPKT_PKT0_S8_ifPKiSA_SA_iPKfiiiPfSD_PS3_PT2_iSC_SC_,@object ; @__PRETTY_FUNCTION__._Z38paged_attention_ll4mi_QKV_mfma4_kernelI14__hip_bfloat16hLN4vllm18Fp8KVCacheDataTypeE1EhLi32ELi64ELi256ELb0ELi2EEvPKT_PKT0_S8_ifPKiSA_SA_iPKfiiiPfSD_PS3_PT2_iSC_SC_
__PRETTY_FUNCTION__._Z38paged_attention_ll4mi_QKV_mfma4_kernelI14__hip_bfloat16hLN4vllm18Fp8KVCacheDataTypeE1EhLi32ELi64ELi256ELb0ELi2EEvPKT_PKT0_S8_ifPKiSA_SA_iPKfiiiPfSD_PS3_PT2_iSC_SC_:
	.asciz	"void paged_attention_ll4mi_QKV_mfma4_kernel(const scalar_t *__restrict, const cache_t *__restrict, const cache_t *__restrict, const int, const float, const int *__restrict, const int *__restrict, const int *__restrict, const int, const float *__restrict, const int, const int, const int, float *__restrict, float *__restrict, scalar_t *__restrict, OUTT *__restrict, int, const float *, const float *) [scalar_t = __hip_bfloat16, cache_t = unsigned char, KV_DTYPE = vllm::Fp8KVCacheDataType::kFp8E4M3, OUTT = unsigned char, BLOCK_SIZE = 32, HEAD_SIZE = 64, NUM_THREADS = 256, ALIBI_ENABLED = false, GQA_RATIO = 2]"
	.size	__PRETTY_FUNCTION__._Z38paged_attention_ll4mi_QKV_mfma4_kernelI14__hip_bfloat16hLN4vllm18Fp8KVCacheDataTypeE1EhLi32ELi64ELi256ELb0ELi2EEvPKT_PKT0_S8_ifPKiSA_SA_iPKfiiiPfSD_PS3_PT2_iSC_SC_, 613

	.type	__PRETTY_FUNCTION__._Z38paged_attention_ll4mi_QKV_mfma4_kernelI14__hip_bfloat16hLN4vllm18Fp8KVCacheDataTypeE1EhLi32ELi64ELi256ELb0ELi3EEvPKT_PKT0_S8_ifPKiSA_SA_iPKfiiiPfSD_PS3_PT2_iSC_SC_,@object ; @__PRETTY_FUNCTION__._Z38paged_attention_ll4mi_QKV_mfma4_kernelI14__hip_bfloat16hLN4vllm18Fp8KVCacheDataTypeE1EhLi32ELi64ELi256ELb0ELi3EEvPKT_PKT0_S8_ifPKiSA_SA_iPKfiiiPfSD_PS3_PT2_iSC_SC_
__PRETTY_FUNCTION__._Z38paged_attention_ll4mi_QKV_mfma4_kernelI14__hip_bfloat16hLN4vllm18Fp8KVCacheDataTypeE1EhLi32ELi64ELi256ELb0ELi3EEvPKT_PKT0_S8_ifPKiSA_SA_iPKfiiiPfSD_PS3_PT2_iSC_SC_:
	.asciz	"void paged_attention_ll4mi_QKV_mfma4_kernel(const scalar_t *__restrict, const cache_t *__restrict, const cache_t *__restrict, const int, const float, const int *__restrict, const int *__restrict, const int *__restrict, const int, const float *__restrict, const int, const int, const int, float *__restrict, float *__restrict, scalar_t *__restrict, OUTT *__restrict, int, const float *, const float *) [scalar_t = __hip_bfloat16, cache_t = unsigned char, KV_DTYPE = vllm::Fp8KVCacheDataType::kFp8E4M3, OUTT = unsigned char, BLOCK_SIZE = 32, HEAD_SIZE = 64, NUM_THREADS = 256, ALIBI_ENABLED = false, GQA_RATIO = 3]"
	.size	__PRETTY_FUNCTION__._Z38paged_attention_ll4mi_QKV_mfma4_kernelI14__hip_bfloat16hLN4vllm18Fp8KVCacheDataTypeE1EhLi32ELi64ELi256ELb0ELi3EEvPKT_PKT0_S8_ifPKiSA_SA_iPKfiiiPfSD_PS3_PT2_iSC_SC_, 613

	.type	__PRETTY_FUNCTION__._Z38paged_attention_ll4mi_QKV_mfma4_kernelI14__hip_bfloat16hLN4vllm18Fp8KVCacheDataTypeE1EhLi32ELi64ELi256ELb0ELi4EEvPKT_PKT0_S8_ifPKiSA_SA_iPKfiiiPfSD_PS3_PT2_iSC_SC_,@object ; @__PRETTY_FUNCTION__._Z38paged_attention_ll4mi_QKV_mfma4_kernelI14__hip_bfloat16hLN4vllm18Fp8KVCacheDataTypeE1EhLi32ELi64ELi256ELb0ELi4EEvPKT_PKT0_S8_ifPKiSA_SA_iPKfiiiPfSD_PS3_PT2_iSC_SC_
__PRETTY_FUNCTION__._Z38paged_attention_ll4mi_QKV_mfma4_kernelI14__hip_bfloat16hLN4vllm18Fp8KVCacheDataTypeE1EhLi32ELi64ELi256ELb0ELi4EEvPKT_PKT0_S8_ifPKiSA_SA_iPKfiiiPfSD_PS3_PT2_iSC_SC_:
	.asciz	"void paged_attention_ll4mi_QKV_mfma4_kernel(const scalar_t *__restrict, const cache_t *__restrict, const cache_t *__restrict, const int, const float, const int *__restrict, const int *__restrict, const int *__restrict, const int, const float *__restrict, const int, const int, const int, float *__restrict, float *__restrict, scalar_t *__restrict, OUTT *__restrict, int, const float *, const float *) [scalar_t = __hip_bfloat16, cache_t = unsigned char, KV_DTYPE = vllm::Fp8KVCacheDataType::kFp8E4M3, OUTT = unsigned char, BLOCK_SIZE = 32, HEAD_SIZE = 64, NUM_THREADS = 256, ALIBI_ENABLED = false, GQA_RATIO = 4]"
	.size	__PRETTY_FUNCTION__._Z38paged_attention_ll4mi_QKV_mfma4_kernelI14__hip_bfloat16hLN4vllm18Fp8KVCacheDataTypeE1EhLi32ELi64ELi256ELb0ELi4EEvPKT_PKT0_S8_ifPKiSA_SA_iPKfiiiPfSD_PS3_PT2_iSC_SC_, 613

	.type	__PRETTY_FUNCTION__._Z39paged_attention_ll4mi_QKV_mfma16_kernelI14__hip_bfloat16hLN4vllm18Fp8KVCacheDataTypeE1EhLi32ELi64ELi256ELb0ELi5EEvPKT_PKT0_S8_ifPKiSA_SA_iPKfiiiPfSD_PS3_PT2_iSC_SC_,@object ; @__PRETTY_FUNCTION__._Z39paged_attention_ll4mi_QKV_mfma16_kernelI14__hip_bfloat16hLN4vllm18Fp8KVCacheDataTypeE1EhLi32ELi64ELi256ELb0ELi5EEvPKT_PKT0_S8_ifPKiSA_SA_iPKfiiiPfSD_PS3_PT2_iSC_SC_
__PRETTY_FUNCTION__._Z39paged_attention_ll4mi_QKV_mfma16_kernelI14__hip_bfloat16hLN4vllm18Fp8KVCacheDataTypeE1EhLi32ELi64ELi256ELb0ELi5EEvPKT_PKT0_S8_ifPKiSA_SA_iPKfiiiPfSD_PS3_PT2_iSC_SC_:
	.asciz	"void paged_attention_ll4mi_QKV_mfma16_kernel(const scalar_t *__restrict, const cache_t *__restrict, const cache_t *__restrict, const int, const float, const int *__restrict, const int *__restrict, const int *__restrict, const int, const float *__restrict, const int, const int, const int, float *__restrict, float *__restrict, scalar_t *__restrict, OUTT *__restrict, int, const float *, const float *) [scalar_t = __hip_bfloat16, cache_t = unsigned char, KV_DTYPE = vllm::Fp8KVCacheDataType::kFp8E4M3, OUTT = unsigned char, BLOCK_SIZE = 32, HEAD_SIZE = 64, NUM_THREADS = 256, ALIBI_ENABLED = false, GQA_RATIO = 5]"
	.size	__PRETTY_FUNCTION__._Z39paged_attention_ll4mi_QKV_mfma16_kernelI14__hip_bfloat16hLN4vllm18Fp8KVCacheDataTypeE1EhLi32ELi64ELi256ELb0ELi5EEvPKT_PKT0_S8_ifPKiSA_SA_iPKfiiiPfSD_PS3_PT2_iSC_SC_, 614

	.type	__PRETTY_FUNCTION__._Z39paged_attention_ll4mi_QKV_mfma16_kernelI14__hip_bfloat16hLN4vllm18Fp8KVCacheDataTypeE1EhLi32ELi64ELi256ELb0ELi6EEvPKT_PKT0_S8_ifPKiSA_SA_iPKfiiiPfSD_PS3_PT2_iSC_SC_,@object ; @__PRETTY_FUNCTION__._Z39paged_attention_ll4mi_QKV_mfma16_kernelI14__hip_bfloat16hLN4vllm18Fp8KVCacheDataTypeE1EhLi32ELi64ELi256ELb0ELi6EEvPKT_PKT0_S8_ifPKiSA_SA_iPKfiiiPfSD_PS3_PT2_iSC_SC_
__PRETTY_FUNCTION__._Z39paged_attention_ll4mi_QKV_mfma16_kernelI14__hip_bfloat16hLN4vllm18Fp8KVCacheDataTypeE1EhLi32ELi64ELi256ELb0ELi6EEvPKT_PKT0_S8_ifPKiSA_SA_iPKfiiiPfSD_PS3_PT2_iSC_SC_:
	.asciz	"void paged_attention_ll4mi_QKV_mfma16_kernel(const scalar_t *__restrict, const cache_t *__restrict, const cache_t *__restrict, const int, const float, const int *__restrict, const int *__restrict, const int *__restrict, const int, const float *__restrict, const int, const int, const int, float *__restrict, float *__restrict, scalar_t *__restrict, OUTT *__restrict, int, const float *, const float *) [scalar_t = __hip_bfloat16, cache_t = unsigned char, KV_DTYPE = vllm::Fp8KVCacheDataType::kFp8E4M3, OUTT = unsigned char, BLOCK_SIZE = 32, HEAD_SIZE = 64, NUM_THREADS = 256, ALIBI_ENABLED = false, GQA_RATIO = 6]"
	.size	__PRETTY_FUNCTION__._Z39paged_attention_ll4mi_QKV_mfma16_kernelI14__hip_bfloat16hLN4vllm18Fp8KVCacheDataTypeE1EhLi32ELi64ELi256ELb0ELi6EEvPKT_PKT0_S8_ifPKiSA_SA_iPKfiiiPfSD_PS3_PT2_iSC_SC_, 614

	.type	__PRETTY_FUNCTION__._Z39paged_attention_ll4mi_QKV_mfma16_kernelI14__hip_bfloat16hLN4vllm18Fp8KVCacheDataTypeE1EhLi32ELi64ELi256ELb0ELi7EEvPKT_PKT0_S8_ifPKiSA_SA_iPKfiiiPfSD_PS3_PT2_iSC_SC_,@object ; @__PRETTY_FUNCTION__._Z39paged_attention_ll4mi_QKV_mfma16_kernelI14__hip_bfloat16hLN4vllm18Fp8KVCacheDataTypeE1EhLi32ELi64ELi256ELb0ELi7EEvPKT_PKT0_S8_ifPKiSA_SA_iPKfiiiPfSD_PS3_PT2_iSC_SC_
__PRETTY_FUNCTION__._Z39paged_attention_ll4mi_QKV_mfma16_kernelI14__hip_bfloat16hLN4vllm18Fp8KVCacheDataTypeE1EhLi32ELi64ELi256ELb0ELi7EEvPKT_PKT0_S8_ifPKiSA_SA_iPKfiiiPfSD_PS3_PT2_iSC_SC_:
	.asciz	"void paged_attention_ll4mi_QKV_mfma16_kernel(const scalar_t *__restrict, const cache_t *__restrict, const cache_t *__restrict, const int, const float, const int *__restrict, const int *__restrict, const int *__restrict, const int, const float *__restrict, const int, const int, const int, float *__restrict, float *__restrict, scalar_t *__restrict, OUTT *__restrict, int, const float *, const float *) [scalar_t = __hip_bfloat16, cache_t = unsigned char, KV_DTYPE = vllm::Fp8KVCacheDataType::kFp8E4M3, OUTT = unsigned char, BLOCK_SIZE = 32, HEAD_SIZE = 64, NUM_THREADS = 256, ALIBI_ENABLED = false, GQA_RATIO = 7]"
	.size	__PRETTY_FUNCTION__._Z39paged_attention_ll4mi_QKV_mfma16_kernelI14__hip_bfloat16hLN4vllm18Fp8KVCacheDataTypeE1EhLi32ELi64ELi256ELb0ELi7EEvPKT_PKT0_S8_ifPKiSA_SA_iPKfiiiPfSD_PS3_PT2_iSC_SC_, 614

	.type	__PRETTY_FUNCTION__._Z39paged_attention_ll4mi_QKV_mfma16_kernelI14__hip_bfloat16hLN4vllm18Fp8KVCacheDataTypeE1EhLi32ELi64ELi256ELb0ELi8EEvPKT_PKT0_S8_ifPKiSA_SA_iPKfiiiPfSD_PS3_PT2_iSC_SC_,@object ; @__PRETTY_FUNCTION__._Z39paged_attention_ll4mi_QKV_mfma16_kernelI14__hip_bfloat16hLN4vllm18Fp8KVCacheDataTypeE1EhLi32ELi64ELi256ELb0ELi8EEvPKT_PKT0_S8_ifPKiSA_SA_iPKfiiiPfSD_PS3_PT2_iSC_SC_
__PRETTY_FUNCTION__._Z39paged_attention_ll4mi_QKV_mfma16_kernelI14__hip_bfloat16hLN4vllm18Fp8KVCacheDataTypeE1EhLi32ELi64ELi256ELb0ELi8EEvPKT_PKT0_S8_ifPKiSA_SA_iPKfiiiPfSD_PS3_PT2_iSC_SC_:
	.asciz	"void paged_attention_ll4mi_QKV_mfma16_kernel(const scalar_t *__restrict, const cache_t *__restrict, const cache_t *__restrict, const int, const float, const int *__restrict, const int *__restrict, const int *__restrict, const int, const float *__restrict, const int, const int, const int, float *__restrict, float *__restrict, scalar_t *__restrict, OUTT *__restrict, int, const float *, const float *) [scalar_t = __hip_bfloat16, cache_t = unsigned char, KV_DTYPE = vllm::Fp8KVCacheDataType::kFp8E4M3, OUTT = unsigned char, BLOCK_SIZE = 32, HEAD_SIZE = 64, NUM_THREADS = 256, ALIBI_ENABLED = false, GQA_RATIO = 8]"
	.size	__PRETTY_FUNCTION__._Z39paged_attention_ll4mi_QKV_mfma16_kernelI14__hip_bfloat16hLN4vllm18Fp8KVCacheDataTypeE1EhLi32ELi64ELi256ELb0ELi8EEvPKT_PKT0_S8_ifPKiSA_SA_iPKfiiiPfSD_PS3_PT2_iSC_SC_, 614

	.type	__PRETTY_FUNCTION__._Z39paged_attention_ll4mi_QKV_mfma16_kernelI14__hip_bfloat16hLN4vllm18Fp8KVCacheDataTypeE1EhLi32ELi64ELi256ELb0ELi9EEvPKT_PKT0_S8_ifPKiSA_SA_iPKfiiiPfSD_PS3_PT2_iSC_SC_,@object ; @__PRETTY_FUNCTION__._Z39paged_attention_ll4mi_QKV_mfma16_kernelI14__hip_bfloat16hLN4vllm18Fp8KVCacheDataTypeE1EhLi32ELi64ELi256ELb0ELi9EEvPKT_PKT0_S8_ifPKiSA_SA_iPKfiiiPfSD_PS3_PT2_iSC_SC_
__PRETTY_FUNCTION__._Z39paged_attention_ll4mi_QKV_mfma16_kernelI14__hip_bfloat16hLN4vllm18Fp8KVCacheDataTypeE1EhLi32ELi64ELi256ELb0ELi9EEvPKT_PKT0_S8_ifPKiSA_SA_iPKfiiiPfSD_PS3_PT2_iSC_SC_:
	.asciz	"void paged_attention_ll4mi_QKV_mfma16_kernel(const scalar_t *__restrict, const cache_t *__restrict, const cache_t *__restrict, const int, const float, const int *__restrict, const int *__restrict, const int *__restrict, const int, const float *__restrict, const int, const int, const int, float *__restrict, float *__restrict, scalar_t *__restrict, OUTT *__restrict, int, const float *, const float *) [scalar_t = __hip_bfloat16, cache_t = unsigned char, KV_DTYPE = vllm::Fp8KVCacheDataType::kFp8E4M3, OUTT = unsigned char, BLOCK_SIZE = 32, HEAD_SIZE = 64, NUM_THREADS = 256, ALIBI_ENABLED = false, GQA_RATIO = 9]"
	.size	__PRETTY_FUNCTION__._Z39paged_attention_ll4mi_QKV_mfma16_kernelI14__hip_bfloat16hLN4vllm18Fp8KVCacheDataTypeE1EhLi32ELi64ELi256ELb0ELi9EEvPKT_PKT0_S8_ifPKiSA_SA_iPKfiiiPfSD_PS3_PT2_iSC_SC_, 614

	.type	__PRETTY_FUNCTION__._Z39paged_attention_ll4mi_QKV_mfma16_kernelI14__hip_bfloat16hLN4vllm18Fp8KVCacheDataTypeE1EhLi32ELi64ELi256ELb0ELi10EEvPKT_PKT0_S8_ifPKiSA_SA_iPKfiiiPfSD_PS3_PT2_iSC_SC_,@object ; @__PRETTY_FUNCTION__._Z39paged_attention_ll4mi_QKV_mfma16_kernelI14__hip_bfloat16hLN4vllm18Fp8KVCacheDataTypeE1EhLi32ELi64ELi256ELb0ELi10EEvPKT_PKT0_S8_ifPKiSA_SA_iPKfiiiPfSD_PS3_PT2_iSC_SC_
__PRETTY_FUNCTION__._Z39paged_attention_ll4mi_QKV_mfma16_kernelI14__hip_bfloat16hLN4vllm18Fp8KVCacheDataTypeE1EhLi32ELi64ELi256ELb0ELi10EEvPKT_PKT0_S8_ifPKiSA_SA_iPKfiiiPfSD_PS3_PT2_iSC_SC_:
	.asciz	"void paged_attention_ll4mi_QKV_mfma16_kernel(const scalar_t *__restrict, const cache_t *__restrict, const cache_t *__restrict, const int, const float, const int *__restrict, const int *__restrict, const int *__restrict, const int, const float *__restrict, const int, const int, const int, float *__restrict, float *__restrict, scalar_t *__restrict, OUTT *__restrict, int, const float *, const float *) [scalar_t = __hip_bfloat16, cache_t = unsigned char, KV_DTYPE = vllm::Fp8KVCacheDataType::kFp8E4M3, OUTT = unsigned char, BLOCK_SIZE = 32, HEAD_SIZE = 64, NUM_THREADS = 256, ALIBI_ENABLED = false, GQA_RATIO = 10]"
	.size	__PRETTY_FUNCTION__._Z39paged_attention_ll4mi_QKV_mfma16_kernelI14__hip_bfloat16hLN4vllm18Fp8KVCacheDataTypeE1EhLi32ELi64ELi256ELb0ELi10EEvPKT_PKT0_S8_ifPKiSA_SA_iPKfiiiPfSD_PS3_PT2_iSC_SC_, 615

	.type	__PRETTY_FUNCTION__._Z39paged_attention_ll4mi_QKV_mfma16_kernelI14__hip_bfloat16hLN4vllm18Fp8KVCacheDataTypeE1EhLi32ELi64ELi256ELb0ELi11EEvPKT_PKT0_S8_ifPKiSA_SA_iPKfiiiPfSD_PS3_PT2_iSC_SC_,@object ; @__PRETTY_FUNCTION__._Z39paged_attention_ll4mi_QKV_mfma16_kernelI14__hip_bfloat16hLN4vllm18Fp8KVCacheDataTypeE1EhLi32ELi64ELi256ELb0ELi11EEvPKT_PKT0_S8_ifPKiSA_SA_iPKfiiiPfSD_PS3_PT2_iSC_SC_
__PRETTY_FUNCTION__._Z39paged_attention_ll4mi_QKV_mfma16_kernelI14__hip_bfloat16hLN4vllm18Fp8KVCacheDataTypeE1EhLi32ELi64ELi256ELb0ELi11EEvPKT_PKT0_S8_ifPKiSA_SA_iPKfiiiPfSD_PS3_PT2_iSC_SC_:
	.asciz	"void paged_attention_ll4mi_QKV_mfma16_kernel(const scalar_t *__restrict, const cache_t *__restrict, const cache_t *__restrict, const int, const float, const int *__restrict, const int *__restrict, const int *__restrict, const int, const float *__restrict, const int, const int, const int, float *__restrict, float *__restrict, scalar_t *__restrict, OUTT *__restrict, int, const float *, const float *) [scalar_t = __hip_bfloat16, cache_t = unsigned char, KV_DTYPE = vllm::Fp8KVCacheDataType::kFp8E4M3, OUTT = unsigned char, BLOCK_SIZE = 32, HEAD_SIZE = 64, NUM_THREADS = 256, ALIBI_ENABLED = false, GQA_RATIO = 11]"
	.size	__PRETTY_FUNCTION__._Z39paged_attention_ll4mi_QKV_mfma16_kernelI14__hip_bfloat16hLN4vllm18Fp8KVCacheDataTypeE1EhLi32ELi64ELi256ELb0ELi11EEvPKT_PKT0_S8_ifPKiSA_SA_iPKfiiiPfSD_PS3_PT2_iSC_SC_, 615

	.type	__PRETTY_FUNCTION__._Z39paged_attention_ll4mi_QKV_mfma16_kernelI14__hip_bfloat16hLN4vllm18Fp8KVCacheDataTypeE1EhLi32ELi64ELi256ELb0ELi12EEvPKT_PKT0_S8_ifPKiSA_SA_iPKfiiiPfSD_PS3_PT2_iSC_SC_,@object ; @__PRETTY_FUNCTION__._Z39paged_attention_ll4mi_QKV_mfma16_kernelI14__hip_bfloat16hLN4vllm18Fp8KVCacheDataTypeE1EhLi32ELi64ELi256ELb0ELi12EEvPKT_PKT0_S8_ifPKiSA_SA_iPKfiiiPfSD_PS3_PT2_iSC_SC_
__PRETTY_FUNCTION__._Z39paged_attention_ll4mi_QKV_mfma16_kernelI14__hip_bfloat16hLN4vllm18Fp8KVCacheDataTypeE1EhLi32ELi64ELi256ELb0ELi12EEvPKT_PKT0_S8_ifPKiSA_SA_iPKfiiiPfSD_PS3_PT2_iSC_SC_:
	.asciz	"void paged_attention_ll4mi_QKV_mfma16_kernel(const scalar_t *__restrict, const cache_t *__restrict, const cache_t *__restrict, const int, const float, const int *__restrict, const int *__restrict, const int *__restrict, const int, const float *__restrict, const int, const int, const int, float *__restrict, float *__restrict, scalar_t *__restrict, OUTT *__restrict, int, const float *, const float *) [scalar_t = __hip_bfloat16, cache_t = unsigned char, KV_DTYPE = vllm::Fp8KVCacheDataType::kFp8E4M3, OUTT = unsigned char, BLOCK_SIZE = 32, HEAD_SIZE = 64, NUM_THREADS = 256, ALIBI_ENABLED = false, GQA_RATIO = 12]"
	.size	__PRETTY_FUNCTION__._Z39paged_attention_ll4mi_QKV_mfma16_kernelI14__hip_bfloat16hLN4vllm18Fp8KVCacheDataTypeE1EhLi32ELi64ELi256ELb0ELi12EEvPKT_PKT0_S8_ifPKiSA_SA_iPKfiiiPfSD_PS3_PT2_iSC_SC_, 615

	.type	__PRETTY_FUNCTION__._Z39paged_attention_ll4mi_QKV_mfma16_kernelI14__hip_bfloat16hLN4vllm18Fp8KVCacheDataTypeE1EhLi32ELi64ELi256ELb0ELi13EEvPKT_PKT0_S8_ifPKiSA_SA_iPKfiiiPfSD_PS3_PT2_iSC_SC_,@object ; @__PRETTY_FUNCTION__._Z39paged_attention_ll4mi_QKV_mfma16_kernelI14__hip_bfloat16hLN4vllm18Fp8KVCacheDataTypeE1EhLi32ELi64ELi256ELb0ELi13EEvPKT_PKT0_S8_ifPKiSA_SA_iPKfiiiPfSD_PS3_PT2_iSC_SC_
__PRETTY_FUNCTION__._Z39paged_attention_ll4mi_QKV_mfma16_kernelI14__hip_bfloat16hLN4vllm18Fp8KVCacheDataTypeE1EhLi32ELi64ELi256ELb0ELi13EEvPKT_PKT0_S8_ifPKiSA_SA_iPKfiiiPfSD_PS3_PT2_iSC_SC_:
	.asciz	"void paged_attention_ll4mi_QKV_mfma16_kernel(const scalar_t *__restrict, const cache_t *__restrict, const cache_t *__restrict, const int, const float, const int *__restrict, const int *__restrict, const int *__restrict, const int, const float *__restrict, const int, const int, const int, float *__restrict, float *__restrict, scalar_t *__restrict, OUTT *__restrict, int, const float *, const float *) [scalar_t = __hip_bfloat16, cache_t = unsigned char, KV_DTYPE = vllm::Fp8KVCacheDataType::kFp8E4M3, OUTT = unsigned char, BLOCK_SIZE = 32, HEAD_SIZE = 64, NUM_THREADS = 256, ALIBI_ENABLED = false, GQA_RATIO = 13]"
	.size	__PRETTY_FUNCTION__._Z39paged_attention_ll4mi_QKV_mfma16_kernelI14__hip_bfloat16hLN4vllm18Fp8KVCacheDataTypeE1EhLi32ELi64ELi256ELb0ELi13EEvPKT_PKT0_S8_ifPKiSA_SA_iPKfiiiPfSD_PS3_PT2_iSC_SC_, 615

	.type	__PRETTY_FUNCTION__._Z39paged_attention_ll4mi_QKV_mfma16_kernelI14__hip_bfloat16hLN4vllm18Fp8KVCacheDataTypeE1EhLi32ELi64ELi256ELb0ELi14EEvPKT_PKT0_S8_ifPKiSA_SA_iPKfiiiPfSD_PS3_PT2_iSC_SC_,@object ; @__PRETTY_FUNCTION__._Z39paged_attention_ll4mi_QKV_mfma16_kernelI14__hip_bfloat16hLN4vllm18Fp8KVCacheDataTypeE1EhLi32ELi64ELi256ELb0ELi14EEvPKT_PKT0_S8_ifPKiSA_SA_iPKfiiiPfSD_PS3_PT2_iSC_SC_
__PRETTY_FUNCTION__._Z39paged_attention_ll4mi_QKV_mfma16_kernelI14__hip_bfloat16hLN4vllm18Fp8KVCacheDataTypeE1EhLi32ELi64ELi256ELb0ELi14EEvPKT_PKT0_S8_ifPKiSA_SA_iPKfiiiPfSD_PS3_PT2_iSC_SC_:
	.asciz	"void paged_attention_ll4mi_QKV_mfma16_kernel(const scalar_t *__restrict, const cache_t *__restrict, const cache_t *__restrict, const int, const float, const int *__restrict, const int *__restrict, const int *__restrict, const int, const float *__restrict, const int, const int, const int, float *__restrict, float *__restrict, scalar_t *__restrict, OUTT *__restrict, int, const float *, const float *) [scalar_t = __hip_bfloat16, cache_t = unsigned char, KV_DTYPE = vllm::Fp8KVCacheDataType::kFp8E4M3, OUTT = unsigned char, BLOCK_SIZE = 32, HEAD_SIZE = 64, NUM_THREADS = 256, ALIBI_ENABLED = false, GQA_RATIO = 14]"
	.size	__PRETTY_FUNCTION__._Z39paged_attention_ll4mi_QKV_mfma16_kernelI14__hip_bfloat16hLN4vllm18Fp8KVCacheDataTypeE1EhLi32ELi64ELi256ELb0ELi14EEvPKT_PKT0_S8_ifPKiSA_SA_iPKfiiiPfSD_PS3_PT2_iSC_SC_, 615

	.type	__PRETTY_FUNCTION__._Z39paged_attention_ll4mi_QKV_mfma16_kernelI14__hip_bfloat16hLN4vllm18Fp8KVCacheDataTypeE1EhLi32ELi64ELi256ELb0ELi15EEvPKT_PKT0_S8_ifPKiSA_SA_iPKfiiiPfSD_PS3_PT2_iSC_SC_,@object ; @__PRETTY_FUNCTION__._Z39paged_attention_ll4mi_QKV_mfma16_kernelI14__hip_bfloat16hLN4vllm18Fp8KVCacheDataTypeE1EhLi32ELi64ELi256ELb0ELi15EEvPKT_PKT0_S8_ifPKiSA_SA_iPKfiiiPfSD_PS3_PT2_iSC_SC_
__PRETTY_FUNCTION__._Z39paged_attention_ll4mi_QKV_mfma16_kernelI14__hip_bfloat16hLN4vllm18Fp8KVCacheDataTypeE1EhLi32ELi64ELi256ELb0ELi15EEvPKT_PKT0_S8_ifPKiSA_SA_iPKfiiiPfSD_PS3_PT2_iSC_SC_:
	.asciz	"void paged_attention_ll4mi_QKV_mfma16_kernel(const scalar_t *__restrict, const cache_t *__restrict, const cache_t *__restrict, const int, const float, const int *__restrict, const int *__restrict, const int *__restrict, const int, const float *__restrict, const int, const int, const int, float *__restrict, float *__restrict, scalar_t *__restrict, OUTT *__restrict, int, const float *, const float *) [scalar_t = __hip_bfloat16, cache_t = unsigned char, KV_DTYPE = vllm::Fp8KVCacheDataType::kFp8E4M3, OUTT = unsigned char, BLOCK_SIZE = 32, HEAD_SIZE = 64, NUM_THREADS = 256, ALIBI_ENABLED = false, GQA_RATIO = 15]"
	.size	__PRETTY_FUNCTION__._Z39paged_attention_ll4mi_QKV_mfma16_kernelI14__hip_bfloat16hLN4vllm18Fp8KVCacheDataTypeE1EhLi32ELi64ELi256ELb0ELi15EEvPKT_PKT0_S8_ifPKiSA_SA_iPKfiiiPfSD_PS3_PT2_iSC_SC_, 615

	.type	__PRETTY_FUNCTION__._Z39paged_attention_ll4mi_QKV_mfma16_kernelI14__hip_bfloat16hLN4vllm18Fp8KVCacheDataTypeE1EhLi32ELi64ELi256ELb0ELi16EEvPKT_PKT0_S8_ifPKiSA_SA_iPKfiiiPfSD_PS3_PT2_iSC_SC_,@object ; @__PRETTY_FUNCTION__._Z39paged_attention_ll4mi_QKV_mfma16_kernelI14__hip_bfloat16hLN4vllm18Fp8KVCacheDataTypeE1EhLi32ELi64ELi256ELb0ELi16EEvPKT_PKT0_S8_ifPKiSA_SA_iPKfiiiPfSD_PS3_PT2_iSC_SC_
__PRETTY_FUNCTION__._Z39paged_attention_ll4mi_QKV_mfma16_kernelI14__hip_bfloat16hLN4vllm18Fp8KVCacheDataTypeE1EhLi32ELi64ELi256ELb0ELi16EEvPKT_PKT0_S8_ifPKiSA_SA_iPKfiiiPfSD_PS3_PT2_iSC_SC_:
	.asciz	"void paged_attention_ll4mi_QKV_mfma16_kernel(const scalar_t *__restrict, const cache_t *__restrict, const cache_t *__restrict, const int, const float, const int *__restrict, const int *__restrict, const int *__restrict, const int, const float *__restrict, const int, const int, const int, float *__restrict, float *__restrict, scalar_t *__restrict, OUTT *__restrict, int, const float *, const float *) [scalar_t = __hip_bfloat16, cache_t = unsigned char, KV_DTYPE = vllm::Fp8KVCacheDataType::kFp8E4M3, OUTT = unsigned char, BLOCK_SIZE = 32, HEAD_SIZE = 64, NUM_THREADS = 256, ALIBI_ENABLED = false, GQA_RATIO = 16]"
	.size	__PRETTY_FUNCTION__._Z39paged_attention_ll4mi_QKV_mfma16_kernelI14__hip_bfloat16hLN4vllm18Fp8KVCacheDataTypeE1EhLi32ELi64ELi256ELb0ELi16EEvPKT_PKT0_S8_ifPKiSA_SA_iPKfiiiPfSD_PS3_PT2_iSC_SC_, 615

	.type	__PRETTY_FUNCTION__._Z39paged_attention_ll4mi_QKV_mfma16_kernelI14__hip_bfloat16hLN4vllm18Fp8KVCacheDataTypeE1EhLi32ELi64ELi256ELb0ELi1EEvPKT_PKT0_S8_ifPKiSA_SA_iPKfiiiPfSD_PS3_PT2_iSC_SC_,@object ; @__PRETTY_FUNCTION__._Z39paged_attention_ll4mi_QKV_mfma16_kernelI14__hip_bfloat16hLN4vllm18Fp8KVCacheDataTypeE1EhLi32ELi64ELi256ELb0ELi1EEvPKT_PKT0_S8_ifPKiSA_SA_iPKfiiiPfSD_PS3_PT2_iSC_SC_
__PRETTY_FUNCTION__._Z39paged_attention_ll4mi_QKV_mfma16_kernelI14__hip_bfloat16hLN4vllm18Fp8KVCacheDataTypeE1EhLi32ELi64ELi256ELb0ELi1EEvPKT_PKT0_S8_ifPKiSA_SA_iPKfiiiPfSD_PS3_PT2_iSC_SC_:
	.asciz	"void paged_attention_ll4mi_QKV_mfma16_kernel(const scalar_t *__restrict, const cache_t *__restrict, const cache_t *__restrict, const int, const float, const int *__restrict, const int *__restrict, const int *__restrict, const int, const float *__restrict, const int, const int, const int, float *__restrict, float *__restrict, scalar_t *__restrict, OUTT *__restrict, int, const float *, const float *) [scalar_t = __hip_bfloat16, cache_t = unsigned char, KV_DTYPE = vllm::Fp8KVCacheDataType::kFp8E4M3, OUTT = unsigned char, BLOCK_SIZE = 32, HEAD_SIZE = 64, NUM_THREADS = 256, ALIBI_ENABLED = false, GQA_RATIO = 1]"
	.size	__PRETTY_FUNCTION__._Z39paged_attention_ll4mi_QKV_mfma16_kernelI14__hip_bfloat16hLN4vllm18Fp8KVCacheDataTypeE1EhLi32ELi64ELi256ELb0ELi1EEvPKT_PKT0_S8_ifPKiSA_SA_iPKfiiiPfSD_PS3_PT2_iSC_SC_, 614

	.type	__PRETTY_FUNCTION__._Z39paged_attention_ll4mi_QKV_mfma16_kernelI14__hip_bfloat16hLN4vllm18Fp8KVCacheDataTypeE1EhLi32ELi64ELi256ELb0ELi2EEvPKT_PKT0_S8_ifPKiSA_SA_iPKfiiiPfSD_PS3_PT2_iSC_SC_,@object ; @__PRETTY_FUNCTION__._Z39paged_attention_ll4mi_QKV_mfma16_kernelI14__hip_bfloat16hLN4vllm18Fp8KVCacheDataTypeE1EhLi32ELi64ELi256ELb0ELi2EEvPKT_PKT0_S8_ifPKiSA_SA_iPKfiiiPfSD_PS3_PT2_iSC_SC_
__PRETTY_FUNCTION__._Z39paged_attention_ll4mi_QKV_mfma16_kernelI14__hip_bfloat16hLN4vllm18Fp8KVCacheDataTypeE1EhLi32ELi64ELi256ELb0ELi2EEvPKT_PKT0_S8_ifPKiSA_SA_iPKfiiiPfSD_PS3_PT2_iSC_SC_:
	.asciz	"void paged_attention_ll4mi_QKV_mfma16_kernel(const scalar_t *__restrict, const cache_t *__restrict, const cache_t *__restrict, const int, const float, const int *__restrict, const int *__restrict, const int *__restrict, const int, const float *__restrict, const int, const int, const int, float *__restrict, float *__restrict, scalar_t *__restrict, OUTT *__restrict, int, const float *, const float *) [scalar_t = __hip_bfloat16, cache_t = unsigned char, KV_DTYPE = vllm::Fp8KVCacheDataType::kFp8E4M3, OUTT = unsigned char, BLOCK_SIZE = 32, HEAD_SIZE = 64, NUM_THREADS = 256, ALIBI_ENABLED = false, GQA_RATIO = 2]"
	.size	__PRETTY_FUNCTION__._Z39paged_attention_ll4mi_QKV_mfma16_kernelI14__hip_bfloat16hLN4vllm18Fp8KVCacheDataTypeE1EhLi32ELi64ELi256ELb0ELi2EEvPKT_PKT0_S8_ifPKiSA_SA_iPKfiiiPfSD_PS3_PT2_iSC_SC_, 614

	.type	__PRETTY_FUNCTION__._Z39paged_attention_ll4mi_QKV_mfma16_kernelI14__hip_bfloat16hLN4vllm18Fp8KVCacheDataTypeE1EhLi32ELi64ELi256ELb0ELi3EEvPKT_PKT0_S8_ifPKiSA_SA_iPKfiiiPfSD_PS3_PT2_iSC_SC_,@object ; @__PRETTY_FUNCTION__._Z39paged_attention_ll4mi_QKV_mfma16_kernelI14__hip_bfloat16hLN4vllm18Fp8KVCacheDataTypeE1EhLi32ELi64ELi256ELb0ELi3EEvPKT_PKT0_S8_ifPKiSA_SA_iPKfiiiPfSD_PS3_PT2_iSC_SC_
__PRETTY_FUNCTION__._Z39paged_attention_ll4mi_QKV_mfma16_kernelI14__hip_bfloat16hLN4vllm18Fp8KVCacheDataTypeE1EhLi32ELi64ELi256ELb0ELi3EEvPKT_PKT0_S8_ifPKiSA_SA_iPKfiiiPfSD_PS3_PT2_iSC_SC_:
	.asciz	"void paged_attention_ll4mi_QKV_mfma16_kernel(const scalar_t *__restrict, const cache_t *__restrict, const cache_t *__restrict, const int, const float, const int *__restrict, const int *__restrict, const int *__restrict, const int, const float *__restrict, const int, const int, const int, float *__restrict, float *__restrict, scalar_t *__restrict, OUTT *__restrict, int, const float *, const float *) [scalar_t = __hip_bfloat16, cache_t = unsigned char, KV_DTYPE = vllm::Fp8KVCacheDataType::kFp8E4M3, OUTT = unsigned char, BLOCK_SIZE = 32, HEAD_SIZE = 64, NUM_THREADS = 256, ALIBI_ENABLED = false, GQA_RATIO = 3]"
	.size	__PRETTY_FUNCTION__._Z39paged_attention_ll4mi_QKV_mfma16_kernelI14__hip_bfloat16hLN4vllm18Fp8KVCacheDataTypeE1EhLi32ELi64ELi256ELb0ELi3EEvPKT_PKT0_S8_ifPKiSA_SA_iPKfiiiPfSD_PS3_PT2_iSC_SC_, 614

	.type	__PRETTY_FUNCTION__._Z39paged_attention_ll4mi_QKV_mfma16_kernelI14__hip_bfloat16hLN4vllm18Fp8KVCacheDataTypeE1EhLi32ELi64ELi256ELb0ELi4EEvPKT_PKT0_S8_ifPKiSA_SA_iPKfiiiPfSD_PS3_PT2_iSC_SC_,@object ; @__PRETTY_FUNCTION__._Z39paged_attention_ll4mi_QKV_mfma16_kernelI14__hip_bfloat16hLN4vllm18Fp8KVCacheDataTypeE1EhLi32ELi64ELi256ELb0ELi4EEvPKT_PKT0_S8_ifPKiSA_SA_iPKfiiiPfSD_PS3_PT2_iSC_SC_
__PRETTY_FUNCTION__._Z39paged_attention_ll4mi_QKV_mfma16_kernelI14__hip_bfloat16hLN4vllm18Fp8KVCacheDataTypeE1EhLi32ELi64ELi256ELb0ELi4EEvPKT_PKT0_S8_ifPKiSA_SA_iPKfiiiPfSD_PS3_PT2_iSC_SC_:
	.asciz	"void paged_attention_ll4mi_QKV_mfma16_kernel(const scalar_t *__restrict, const cache_t *__restrict, const cache_t *__restrict, const int, const float, const int *__restrict, const int *__restrict, const int *__restrict, const int, const float *__restrict, const int, const int, const int, float *__restrict, float *__restrict, scalar_t *__restrict, OUTT *__restrict, int, const float *, const float *) [scalar_t = __hip_bfloat16, cache_t = unsigned char, KV_DTYPE = vllm::Fp8KVCacheDataType::kFp8E4M3, OUTT = unsigned char, BLOCK_SIZE = 32, HEAD_SIZE = 64, NUM_THREADS = 256, ALIBI_ENABLED = false, GQA_RATIO = 4]"
	.size	__PRETTY_FUNCTION__._Z39paged_attention_ll4mi_QKV_mfma16_kernelI14__hip_bfloat16hLN4vllm18Fp8KVCacheDataTypeE1EhLi32ELi64ELi256ELb0ELi4EEvPKT_PKT0_S8_ifPKiSA_SA_iPKfiiiPfSD_PS3_PT2_iSC_SC_, 614

	.type	__PRETTY_FUNCTION__._Z38paged_attention_ll4mi_QKV_mfma4_kernelI14__hip_bfloat16hLN4vllm18Fp8KVCacheDataTypeE1ES0_Li32ELi64ELi256ELb1ELi1EEvPKT_PKT0_S8_ifPKiSA_SA_iPKfiiiPfSD_PS3_PT2_iSC_SC_,@object ; @__PRETTY_FUNCTION__._Z38paged_attention_ll4mi_QKV_mfma4_kernelI14__hip_bfloat16hLN4vllm18Fp8KVCacheDataTypeE1ES0_Li32ELi64ELi256ELb1ELi1EEvPKT_PKT0_S8_ifPKiSA_SA_iPKfiiiPfSD_PS3_PT2_iSC_SC_
__PRETTY_FUNCTION__._Z38paged_attention_ll4mi_QKV_mfma4_kernelI14__hip_bfloat16hLN4vllm18Fp8KVCacheDataTypeE1ES0_Li32ELi64ELi256ELb1ELi1EEvPKT_PKT0_S8_ifPKiSA_SA_iPKfiiiPfSD_PS3_PT2_iSC_SC_:
	.asciz	"void paged_attention_ll4mi_QKV_mfma4_kernel(const scalar_t *__restrict, const cache_t *__restrict, const cache_t *__restrict, const int, const float, const int *__restrict, const int *__restrict, const int *__restrict, const int, const float *__restrict, const int, const int, const int, float *__restrict, float *__restrict, scalar_t *__restrict, OUTT *__restrict, int, const float *, const float *) [scalar_t = __hip_bfloat16, cache_t = unsigned char, KV_DTYPE = vllm::Fp8KVCacheDataType::kFp8E4M3, OUTT = __hip_bfloat16, BLOCK_SIZE = 32, HEAD_SIZE = 64, NUM_THREADS = 256, ALIBI_ENABLED = true, GQA_RATIO = 1]"
	.size	__PRETTY_FUNCTION__._Z38paged_attention_ll4mi_QKV_mfma4_kernelI14__hip_bfloat16hLN4vllm18Fp8KVCacheDataTypeE1ES0_Li32ELi64ELi256ELb1ELi1EEvPKT_PKT0_S8_ifPKiSA_SA_iPKfiiiPfSD_PS3_PT2_iSC_SC_, 613

	.type	__PRETTY_FUNCTION__._Z38paged_attention_ll4mi_QKV_mfma4_kernelI14__hip_bfloat16hLN4vllm18Fp8KVCacheDataTypeE1ES0_Li32ELi64ELi256ELb1ELi2EEvPKT_PKT0_S8_ifPKiSA_SA_iPKfiiiPfSD_PS3_PT2_iSC_SC_,@object ; @__PRETTY_FUNCTION__._Z38paged_attention_ll4mi_QKV_mfma4_kernelI14__hip_bfloat16hLN4vllm18Fp8KVCacheDataTypeE1ES0_Li32ELi64ELi256ELb1ELi2EEvPKT_PKT0_S8_ifPKiSA_SA_iPKfiiiPfSD_PS3_PT2_iSC_SC_
__PRETTY_FUNCTION__._Z38paged_attention_ll4mi_QKV_mfma4_kernelI14__hip_bfloat16hLN4vllm18Fp8KVCacheDataTypeE1ES0_Li32ELi64ELi256ELb1ELi2EEvPKT_PKT0_S8_ifPKiSA_SA_iPKfiiiPfSD_PS3_PT2_iSC_SC_:
	.asciz	"void paged_attention_ll4mi_QKV_mfma4_kernel(const scalar_t *__restrict, const cache_t *__restrict, const cache_t *__restrict, const int, const float, const int *__restrict, const int *__restrict, const int *__restrict, const int, const float *__restrict, const int, const int, const int, float *__restrict, float *__restrict, scalar_t *__restrict, OUTT *__restrict, int, const float *, const float *) [scalar_t = __hip_bfloat16, cache_t = unsigned char, KV_DTYPE = vllm::Fp8KVCacheDataType::kFp8E4M3, OUTT = __hip_bfloat16, BLOCK_SIZE = 32, HEAD_SIZE = 64, NUM_THREADS = 256, ALIBI_ENABLED = true, GQA_RATIO = 2]"
	.size	__PRETTY_FUNCTION__._Z38paged_attention_ll4mi_QKV_mfma4_kernelI14__hip_bfloat16hLN4vllm18Fp8KVCacheDataTypeE1ES0_Li32ELi64ELi256ELb1ELi2EEvPKT_PKT0_S8_ifPKiSA_SA_iPKfiiiPfSD_PS3_PT2_iSC_SC_, 613

	.type	__PRETTY_FUNCTION__._Z38paged_attention_ll4mi_QKV_mfma4_kernelI14__hip_bfloat16hLN4vllm18Fp8KVCacheDataTypeE1ES0_Li32ELi64ELi256ELb1ELi3EEvPKT_PKT0_S8_ifPKiSA_SA_iPKfiiiPfSD_PS3_PT2_iSC_SC_,@object ; @__PRETTY_FUNCTION__._Z38paged_attention_ll4mi_QKV_mfma4_kernelI14__hip_bfloat16hLN4vllm18Fp8KVCacheDataTypeE1ES0_Li32ELi64ELi256ELb1ELi3EEvPKT_PKT0_S8_ifPKiSA_SA_iPKfiiiPfSD_PS3_PT2_iSC_SC_
__PRETTY_FUNCTION__._Z38paged_attention_ll4mi_QKV_mfma4_kernelI14__hip_bfloat16hLN4vllm18Fp8KVCacheDataTypeE1ES0_Li32ELi64ELi256ELb1ELi3EEvPKT_PKT0_S8_ifPKiSA_SA_iPKfiiiPfSD_PS3_PT2_iSC_SC_:
	.asciz	"void paged_attention_ll4mi_QKV_mfma4_kernel(const scalar_t *__restrict, const cache_t *__restrict, const cache_t *__restrict, const int, const float, const int *__restrict, const int *__restrict, const int *__restrict, const int, const float *__restrict, const int, const int, const int, float *__restrict, float *__restrict, scalar_t *__restrict, OUTT *__restrict, int, const float *, const float *) [scalar_t = __hip_bfloat16, cache_t = unsigned char, KV_DTYPE = vllm::Fp8KVCacheDataType::kFp8E4M3, OUTT = __hip_bfloat16, BLOCK_SIZE = 32, HEAD_SIZE = 64, NUM_THREADS = 256, ALIBI_ENABLED = true, GQA_RATIO = 3]"
	.size	__PRETTY_FUNCTION__._Z38paged_attention_ll4mi_QKV_mfma4_kernelI14__hip_bfloat16hLN4vllm18Fp8KVCacheDataTypeE1ES0_Li32ELi64ELi256ELb1ELi3EEvPKT_PKT0_S8_ifPKiSA_SA_iPKfiiiPfSD_PS3_PT2_iSC_SC_, 613

	.type	__PRETTY_FUNCTION__._Z38paged_attention_ll4mi_QKV_mfma4_kernelI14__hip_bfloat16hLN4vllm18Fp8KVCacheDataTypeE1ES0_Li32ELi64ELi256ELb1ELi4EEvPKT_PKT0_S8_ifPKiSA_SA_iPKfiiiPfSD_PS3_PT2_iSC_SC_,@object ; @__PRETTY_FUNCTION__._Z38paged_attention_ll4mi_QKV_mfma4_kernelI14__hip_bfloat16hLN4vllm18Fp8KVCacheDataTypeE1ES0_Li32ELi64ELi256ELb1ELi4EEvPKT_PKT0_S8_ifPKiSA_SA_iPKfiiiPfSD_PS3_PT2_iSC_SC_
__PRETTY_FUNCTION__._Z38paged_attention_ll4mi_QKV_mfma4_kernelI14__hip_bfloat16hLN4vllm18Fp8KVCacheDataTypeE1ES0_Li32ELi64ELi256ELb1ELi4EEvPKT_PKT0_S8_ifPKiSA_SA_iPKfiiiPfSD_PS3_PT2_iSC_SC_:
	.asciz	"void paged_attention_ll4mi_QKV_mfma4_kernel(const scalar_t *__restrict, const cache_t *__restrict, const cache_t *__restrict, const int, const float, const int *__restrict, const int *__restrict, const int *__restrict, const int, const float *__restrict, const int, const int, const int, float *__restrict, float *__restrict, scalar_t *__restrict, OUTT *__restrict, int, const float *, const float *) [scalar_t = __hip_bfloat16, cache_t = unsigned char, KV_DTYPE = vllm::Fp8KVCacheDataType::kFp8E4M3, OUTT = __hip_bfloat16, BLOCK_SIZE = 32, HEAD_SIZE = 64, NUM_THREADS = 256, ALIBI_ENABLED = true, GQA_RATIO = 4]"
	.size	__PRETTY_FUNCTION__._Z38paged_attention_ll4mi_QKV_mfma4_kernelI14__hip_bfloat16hLN4vllm18Fp8KVCacheDataTypeE1ES0_Li32ELi64ELi256ELb1ELi4EEvPKT_PKT0_S8_ifPKiSA_SA_iPKfiiiPfSD_PS3_PT2_iSC_SC_, 613

	.type	__PRETTY_FUNCTION__._Z39paged_attention_ll4mi_QKV_mfma16_kernelI14__hip_bfloat16hLN4vllm18Fp8KVCacheDataTypeE1ES0_Li32ELi64ELi256ELb1ELi5EEvPKT_PKT0_S8_ifPKiSA_SA_iPKfiiiPfSD_PS3_PT2_iSC_SC_,@object ; @__PRETTY_FUNCTION__._Z39paged_attention_ll4mi_QKV_mfma16_kernelI14__hip_bfloat16hLN4vllm18Fp8KVCacheDataTypeE1ES0_Li32ELi64ELi256ELb1ELi5EEvPKT_PKT0_S8_ifPKiSA_SA_iPKfiiiPfSD_PS3_PT2_iSC_SC_
__PRETTY_FUNCTION__._Z39paged_attention_ll4mi_QKV_mfma16_kernelI14__hip_bfloat16hLN4vllm18Fp8KVCacheDataTypeE1ES0_Li32ELi64ELi256ELb1ELi5EEvPKT_PKT0_S8_ifPKiSA_SA_iPKfiiiPfSD_PS3_PT2_iSC_SC_:
	.asciz	"void paged_attention_ll4mi_QKV_mfma16_kernel(const scalar_t *__restrict, const cache_t *__restrict, const cache_t *__restrict, const int, const float, const int *__restrict, const int *__restrict, const int *__restrict, const int, const float *__restrict, const int, const int, const int, float *__restrict, float *__restrict, scalar_t *__restrict, OUTT *__restrict, int, const float *, const float *) [scalar_t = __hip_bfloat16, cache_t = unsigned char, KV_DTYPE = vllm::Fp8KVCacheDataType::kFp8E4M3, OUTT = __hip_bfloat16, BLOCK_SIZE = 32, HEAD_SIZE = 64, NUM_THREADS = 256, ALIBI_ENABLED = true, GQA_RATIO = 5]"
	.size	__PRETTY_FUNCTION__._Z39paged_attention_ll4mi_QKV_mfma16_kernelI14__hip_bfloat16hLN4vllm18Fp8KVCacheDataTypeE1ES0_Li32ELi64ELi256ELb1ELi5EEvPKT_PKT0_S8_ifPKiSA_SA_iPKfiiiPfSD_PS3_PT2_iSC_SC_, 614

	.type	__PRETTY_FUNCTION__._Z39paged_attention_ll4mi_QKV_mfma16_kernelI14__hip_bfloat16hLN4vllm18Fp8KVCacheDataTypeE1ES0_Li32ELi64ELi256ELb1ELi6EEvPKT_PKT0_S8_ifPKiSA_SA_iPKfiiiPfSD_PS3_PT2_iSC_SC_,@object ; @__PRETTY_FUNCTION__._Z39paged_attention_ll4mi_QKV_mfma16_kernelI14__hip_bfloat16hLN4vllm18Fp8KVCacheDataTypeE1ES0_Li32ELi64ELi256ELb1ELi6EEvPKT_PKT0_S8_ifPKiSA_SA_iPKfiiiPfSD_PS3_PT2_iSC_SC_
__PRETTY_FUNCTION__._Z39paged_attention_ll4mi_QKV_mfma16_kernelI14__hip_bfloat16hLN4vllm18Fp8KVCacheDataTypeE1ES0_Li32ELi64ELi256ELb1ELi6EEvPKT_PKT0_S8_ifPKiSA_SA_iPKfiiiPfSD_PS3_PT2_iSC_SC_:
	.asciz	"void paged_attention_ll4mi_QKV_mfma16_kernel(const scalar_t *__restrict, const cache_t *__restrict, const cache_t *__restrict, const int, const float, const int *__restrict, const int *__restrict, const int *__restrict, const int, const float *__restrict, const int, const int, const int, float *__restrict, float *__restrict, scalar_t *__restrict, OUTT *__restrict, int, const float *, const float *) [scalar_t = __hip_bfloat16, cache_t = unsigned char, KV_DTYPE = vllm::Fp8KVCacheDataType::kFp8E4M3, OUTT = __hip_bfloat16, BLOCK_SIZE = 32, HEAD_SIZE = 64, NUM_THREADS = 256, ALIBI_ENABLED = true, GQA_RATIO = 6]"
	.size	__PRETTY_FUNCTION__._Z39paged_attention_ll4mi_QKV_mfma16_kernelI14__hip_bfloat16hLN4vllm18Fp8KVCacheDataTypeE1ES0_Li32ELi64ELi256ELb1ELi6EEvPKT_PKT0_S8_ifPKiSA_SA_iPKfiiiPfSD_PS3_PT2_iSC_SC_, 614

	.type	__PRETTY_FUNCTION__._Z39paged_attention_ll4mi_QKV_mfma16_kernelI14__hip_bfloat16hLN4vllm18Fp8KVCacheDataTypeE1ES0_Li32ELi64ELi256ELb1ELi7EEvPKT_PKT0_S8_ifPKiSA_SA_iPKfiiiPfSD_PS3_PT2_iSC_SC_,@object ; @__PRETTY_FUNCTION__._Z39paged_attention_ll4mi_QKV_mfma16_kernelI14__hip_bfloat16hLN4vllm18Fp8KVCacheDataTypeE1ES0_Li32ELi64ELi256ELb1ELi7EEvPKT_PKT0_S8_ifPKiSA_SA_iPKfiiiPfSD_PS3_PT2_iSC_SC_
__PRETTY_FUNCTION__._Z39paged_attention_ll4mi_QKV_mfma16_kernelI14__hip_bfloat16hLN4vllm18Fp8KVCacheDataTypeE1ES0_Li32ELi64ELi256ELb1ELi7EEvPKT_PKT0_S8_ifPKiSA_SA_iPKfiiiPfSD_PS3_PT2_iSC_SC_:
	.asciz	"void paged_attention_ll4mi_QKV_mfma16_kernel(const scalar_t *__restrict, const cache_t *__restrict, const cache_t *__restrict, const int, const float, const int *__restrict, const int *__restrict, const int *__restrict, const int, const float *__restrict, const int, const int, const int, float *__restrict, float *__restrict, scalar_t *__restrict, OUTT *__restrict, int, const float *, const float *) [scalar_t = __hip_bfloat16, cache_t = unsigned char, KV_DTYPE = vllm::Fp8KVCacheDataType::kFp8E4M3, OUTT = __hip_bfloat16, BLOCK_SIZE = 32, HEAD_SIZE = 64, NUM_THREADS = 256, ALIBI_ENABLED = true, GQA_RATIO = 7]"
	.size	__PRETTY_FUNCTION__._Z39paged_attention_ll4mi_QKV_mfma16_kernelI14__hip_bfloat16hLN4vllm18Fp8KVCacheDataTypeE1ES0_Li32ELi64ELi256ELb1ELi7EEvPKT_PKT0_S8_ifPKiSA_SA_iPKfiiiPfSD_PS3_PT2_iSC_SC_, 614

	.type	__PRETTY_FUNCTION__._Z39paged_attention_ll4mi_QKV_mfma16_kernelI14__hip_bfloat16hLN4vllm18Fp8KVCacheDataTypeE1ES0_Li32ELi64ELi256ELb1ELi8EEvPKT_PKT0_S8_ifPKiSA_SA_iPKfiiiPfSD_PS3_PT2_iSC_SC_,@object ; @__PRETTY_FUNCTION__._Z39paged_attention_ll4mi_QKV_mfma16_kernelI14__hip_bfloat16hLN4vllm18Fp8KVCacheDataTypeE1ES0_Li32ELi64ELi256ELb1ELi8EEvPKT_PKT0_S8_ifPKiSA_SA_iPKfiiiPfSD_PS3_PT2_iSC_SC_
__PRETTY_FUNCTION__._Z39paged_attention_ll4mi_QKV_mfma16_kernelI14__hip_bfloat16hLN4vllm18Fp8KVCacheDataTypeE1ES0_Li32ELi64ELi256ELb1ELi8EEvPKT_PKT0_S8_ifPKiSA_SA_iPKfiiiPfSD_PS3_PT2_iSC_SC_:
	.asciz	"void paged_attention_ll4mi_QKV_mfma16_kernel(const scalar_t *__restrict, const cache_t *__restrict, const cache_t *__restrict, const int, const float, const int *__restrict, const int *__restrict, const int *__restrict, const int, const float *__restrict, const int, const int, const int, float *__restrict, float *__restrict, scalar_t *__restrict, OUTT *__restrict, int, const float *, const float *) [scalar_t = __hip_bfloat16, cache_t = unsigned char, KV_DTYPE = vllm::Fp8KVCacheDataType::kFp8E4M3, OUTT = __hip_bfloat16, BLOCK_SIZE = 32, HEAD_SIZE = 64, NUM_THREADS = 256, ALIBI_ENABLED = true, GQA_RATIO = 8]"
	.size	__PRETTY_FUNCTION__._Z39paged_attention_ll4mi_QKV_mfma16_kernelI14__hip_bfloat16hLN4vllm18Fp8KVCacheDataTypeE1ES0_Li32ELi64ELi256ELb1ELi8EEvPKT_PKT0_S8_ifPKiSA_SA_iPKfiiiPfSD_PS3_PT2_iSC_SC_, 614

	.type	__PRETTY_FUNCTION__._Z39paged_attention_ll4mi_QKV_mfma16_kernelI14__hip_bfloat16hLN4vllm18Fp8KVCacheDataTypeE1ES0_Li32ELi64ELi256ELb1ELi9EEvPKT_PKT0_S8_ifPKiSA_SA_iPKfiiiPfSD_PS3_PT2_iSC_SC_,@object ; @__PRETTY_FUNCTION__._Z39paged_attention_ll4mi_QKV_mfma16_kernelI14__hip_bfloat16hLN4vllm18Fp8KVCacheDataTypeE1ES0_Li32ELi64ELi256ELb1ELi9EEvPKT_PKT0_S8_ifPKiSA_SA_iPKfiiiPfSD_PS3_PT2_iSC_SC_
__PRETTY_FUNCTION__._Z39paged_attention_ll4mi_QKV_mfma16_kernelI14__hip_bfloat16hLN4vllm18Fp8KVCacheDataTypeE1ES0_Li32ELi64ELi256ELb1ELi9EEvPKT_PKT0_S8_ifPKiSA_SA_iPKfiiiPfSD_PS3_PT2_iSC_SC_:
	.asciz	"void paged_attention_ll4mi_QKV_mfma16_kernel(const scalar_t *__restrict, const cache_t *__restrict, const cache_t *__restrict, const int, const float, const int *__restrict, const int *__restrict, const int *__restrict, const int, const float *__restrict, const int, const int, const int, float *__restrict, float *__restrict, scalar_t *__restrict, OUTT *__restrict, int, const float *, const float *) [scalar_t = __hip_bfloat16, cache_t = unsigned char, KV_DTYPE = vllm::Fp8KVCacheDataType::kFp8E4M3, OUTT = __hip_bfloat16, BLOCK_SIZE = 32, HEAD_SIZE = 64, NUM_THREADS = 256, ALIBI_ENABLED = true, GQA_RATIO = 9]"
	.size	__PRETTY_FUNCTION__._Z39paged_attention_ll4mi_QKV_mfma16_kernelI14__hip_bfloat16hLN4vllm18Fp8KVCacheDataTypeE1ES0_Li32ELi64ELi256ELb1ELi9EEvPKT_PKT0_S8_ifPKiSA_SA_iPKfiiiPfSD_PS3_PT2_iSC_SC_, 614

	.type	__PRETTY_FUNCTION__._Z39paged_attention_ll4mi_QKV_mfma16_kernelI14__hip_bfloat16hLN4vllm18Fp8KVCacheDataTypeE1ES0_Li32ELi64ELi256ELb1ELi10EEvPKT_PKT0_S8_ifPKiSA_SA_iPKfiiiPfSD_PS3_PT2_iSC_SC_,@object ; @__PRETTY_FUNCTION__._Z39paged_attention_ll4mi_QKV_mfma16_kernelI14__hip_bfloat16hLN4vllm18Fp8KVCacheDataTypeE1ES0_Li32ELi64ELi256ELb1ELi10EEvPKT_PKT0_S8_ifPKiSA_SA_iPKfiiiPfSD_PS3_PT2_iSC_SC_
__PRETTY_FUNCTION__._Z39paged_attention_ll4mi_QKV_mfma16_kernelI14__hip_bfloat16hLN4vllm18Fp8KVCacheDataTypeE1ES0_Li32ELi64ELi256ELb1ELi10EEvPKT_PKT0_S8_ifPKiSA_SA_iPKfiiiPfSD_PS3_PT2_iSC_SC_:
	.asciz	"void paged_attention_ll4mi_QKV_mfma16_kernel(const scalar_t *__restrict, const cache_t *__restrict, const cache_t *__restrict, const int, const float, const int *__restrict, const int *__restrict, const int *__restrict, const int, const float *__restrict, const int, const int, const int, float *__restrict, float *__restrict, scalar_t *__restrict, OUTT *__restrict, int, const float *, const float *) [scalar_t = __hip_bfloat16, cache_t = unsigned char, KV_DTYPE = vllm::Fp8KVCacheDataType::kFp8E4M3, OUTT = __hip_bfloat16, BLOCK_SIZE = 32, HEAD_SIZE = 64, NUM_THREADS = 256, ALIBI_ENABLED = true, GQA_RATIO = 10]"
	.size	__PRETTY_FUNCTION__._Z39paged_attention_ll4mi_QKV_mfma16_kernelI14__hip_bfloat16hLN4vllm18Fp8KVCacheDataTypeE1ES0_Li32ELi64ELi256ELb1ELi10EEvPKT_PKT0_S8_ifPKiSA_SA_iPKfiiiPfSD_PS3_PT2_iSC_SC_, 615

	.type	__PRETTY_FUNCTION__._Z39paged_attention_ll4mi_QKV_mfma16_kernelI14__hip_bfloat16hLN4vllm18Fp8KVCacheDataTypeE1ES0_Li32ELi64ELi256ELb1ELi11EEvPKT_PKT0_S8_ifPKiSA_SA_iPKfiiiPfSD_PS3_PT2_iSC_SC_,@object ; @__PRETTY_FUNCTION__._Z39paged_attention_ll4mi_QKV_mfma16_kernelI14__hip_bfloat16hLN4vllm18Fp8KVCacheDataTypeE1ES0_Li32ELi64ELi256ELb1ELi11EEvPKT_PKT0_S8_ifPKiSA_SA_iPKfiiiPfSD_PS3_PT2_iSC_SC_
__PRETTY_FUNCTION__._Z39paged_attention_ll4mi_QKV_mfma16_kernelI14__hip_bfloat16hLN4vllm18Fp8KVCacheDataTypeE1ES0_Li32ELi64ELi256ELb1ELi11EEvPKT_PKT0_S8_ifPKiSA_SA_iPKfiiiPfSD_PS3_PT2_iSC_SC_:
	.asciz	"void paged_attention_ll4mi_QKV_mfma16_kernel(const scalar_t *__restrict, const cache_t *__restrict, const cache_t *__restrict, const int, const float, const int *__restrict, const int *__restrict, const int *__restrict, const int, const float *__restrict, const int, const int, const int, float *__restrict, float *__restrict, scalar_t *__restrict, OUTT *__restrict, int, const float *, const float *) [scalar_t = __hip_bfloat16, cache_t = unsigned char, KV_DTYPE = vllm::Fp8KVCacheDataType::kFp8E4M3, OUTT = __hip_bfloat16, BLOCK_SIZE = 32, HEAD_SIZE = 64, NUM_THREADS = 256, ALIBI_ENABLED = true, GQA_RATIO = 11]"
	.size	__PRETTY_FUNCTION__._Z39paged_attention_ll4mi_QKV_mfma16_kernelI14__hip_bfloat16hLN4vllm18Fp8KVCacheDataTypeE1ES0_Li32ELi64ELi256ELb1ELi11EEvPKT_PKT0_S8_ifPKiSA_SA_iPKfiiiPfSD_PS3_PT2_iSC_SC_, 615

	.type	__PRETTY_FUNCTION__._Z39paged_attention_ll4mi_QKV_mfma16_kernelI14__hip_bfloat16hLN4vllm18Fp8KVCacheDataTypeE1ES0_Li32ELi64ELi256ELb1ELi12EEvPKT_PKT0_S8_ifPKiSA_SA_iPKfiiiPfSD_PS3_PT2_iSC_SC_,@object ; @__PRETTY_FUNCTION__._Z39paged_attention_ll4mi_QKV_mfma16_kernelI14__hip_bfloat16hLN4vllm18Fp8KVCacheDataTypeE1ES0_Li32ELi64ELi256ELb1ELi12EEvPKT_PKT0_S8_ifPKiSA_SA_iPKfiiiPfSD_PS3_PT2_iSC_SC_
__PRETTY_FUNCTION__._Z39paged_attention_ll4mi_QKV_mfma16_kernelI14__hip_bfloat16hLN4vllm18Fp8KVCacheDataTypeE1ES0_Li32ELi64ELi256ELb1ELi12EEvPKT_PKT0_S8_ifPKiSA_SA_iPKfiiiPfSD_PS3_PT2_iSC_SC_:
	.asciz	"void paged_attention_ll4mi_QKV_mfma16_kernel(const scalar_t *__restrict, const cache_t *__restrict, const cache_t *__restrict, const int, const float, const int *__restrict, const int *__restrict, const int *__restrict, const int, const float *__restrict, const int, const int, const int, float *__restrict, float *__restrict, scalar_t *__restrict, OUTT *__restrict, int, const float *, const float *) [scalar_t = __hip_bfloat16, cache_t = unsigned char, KV_DTYPE = vllm::Fp8KVCacheDataType::kFp8E4M3, OUTT = __hip_bfloat16, BLOCK_SIZE = 32, HEAD_SIZE = 64, NUM_THREADS = 256, ALIBI_ENABLED = true, GQA_RATIO = 12]"
	.size	__PRETTY_FUNCTION__._Z39paged_attention_ll4mi_QKV_mfma16_kernelI14__hip_bfloat16hLN4vllm18Fp8KVCacheDataTypeE1ES0_Li32ELi64ELi256ELb1ELi12EEvPKT_PKT0_S8_ifPKiSA_SA_iPKfiiiPfSD_PS3_PT2_iSC_SC_, 615

	.type	__PRETTY_FUNCTION__._Z39paged_attention_ll4mi_QKV_mfma16_kernelI14__hip_bfloat16hLN4vllm18Fp8KVCacheDataTypeE1ES0_Li32ELi64ELi256ELb1ELi13EEvPKT_PKT0_S8_ifPKiSA_SA_iPKfiiiPfSD_PS3_PT2_iSC_SC_,@object ; @__PRETTY_FUNCTION__._Z39paged_attention_ll4mi_QKV_mfma16_kernelI14__hip_bfloat16hLN4vllm18Fp8KVCacheDataTypeE1ES0_Li32ELi64ELi256ELb1ELi13EEvPKT_PKT0_S8_ifPKiSA_SA_iPKfiiiPfSD_PS3_PT2_iSC_SC_
__PRETTY_FUNCTION__._Z39paged_attention_ll4mi_QKV_mfma16_kernelI14__hip_bfloat16hLN4vllm18Fp8KVCacheDataTypeE1ES0_Li32ELi64ELi256ELb1ELi13EEvPKT_PKT0_S8_ifPKiSA_SA_iPKfiiiPfSD_PS3_PT2_iSC_SC_:
	.asciz	"void paged_attention_ll4mi_QKV_mfma16_kernel(const scalar_t *__restrict, const cache_t *__restrict, const cache_t *__restrict, const int, const float, const int *__restrict, const int *__restrict, const int *__restrict, const int, const float *__restrict, const int, const int, const int, float *__restrict, float *__restrict, scalar_t *__restrict, OUTT *__restrict, int, const float *, const float *) [scalar_t = __hip_bfloat16, cache_t = unsigned char, KV_DTYPE = vllm::Fp8KVCacheDataType::kFp8E4M3, OUTT = __hip_bfloat16, BLOCK_SIZE = 32, HEAD_SIZE = 64, NUM_THREADS = 256, ALIBI_ENABLED = true, GQA_RATIO = 13]"
	.size	__PRETTY_FUNCTION__._Z39paged_attention_ll4mi_QKV_mfma16_kernelI14__hip_bfloat16hLN4vllm18Fp8KVCacheDataTypeE1ES0_Li32ELi64ELi256ELb1ELi13EEvPKT_PKT0_S8_ifPKiSA_SA_iPKfiiiPfSD_PS3_PT2_iSC_SC_, 615

	.type	__PRETTY_FUNCTION__._Z39paged_attention_ll4mi_QKV_mfma16_kernelI14__hip_bfloat16hLN4vllm18Fp8KVCacheDataTypeE1ES0_Li32ELi64ELi256ELb1ELi14EEvPKT_PKT0_S8_ifPKiSA_SA_iPKfiiiPfSD_PS3_PT2_iSC_SC_,@object ; @__PRETTY_FUNCTION__._Z39paged_attention_ll4mi_QKV_mfma16_kernelI14__hip_bfloat16hLN4vllm18Fp8KVCacheDataTypeE1ES0_Li32ELi64ELi256ELb1ELi14EEvPKT_PKT0_S8_ifPKiSA_SA_iPKfiiiPfSD_PS3_PT2_iSC_SC_
__PRETTY_FUNCTION__._Z39paged_attention_ll4mi_QKV_mfma16_kernelI14__hip_bfloat16hLN4vllm18Fp8KVCacheDataTypeE1ES0_Li32ELi64ELi256ELb1ELi14EEvPKT_PKT0_S8_ifPKiSA_SA_iPKfiiiPfSD_PS3_PT2_iSC_SC_:
	.asciz	"void paged_attention_ll4mi_QKV_mfma16_kernel(const scalar_t *__restrict, const cache_t *__restrict, const cache_t *__restrict, const int, const float, const int *__restrict, const int *__restrict, const int *__restrict, const int, const float *__restrict, const int, const int, const int, float *__restrict, float *__restrict, scalar_t *__restrict, OUTT *__restrict, int, const float *, const float *) [scalar_t = __hip_bfloat16, cache_t = unsigned char, KV_DTYPE = vllm::Fp8KVCacheDataType::kFp8E4M3, OUTT = __hip_bfloat16, BLOCK_SIZE = 32, HEAD_SIZE = 64, NUM_THREADS = 256, ALIBI_ENABLED = true, GQA_RATIO = 14]"
	.size	__PRETTY_FUNCTION__._Z39paged_attention_ll4mi_QKV_mfma16_kernelI14__hip_bfloat16hLN4vllm18Fp8KVCacheDataTypeE1ES0_Li32ELi64ELi256ELb1ELi14EEvPKT_PKT0_S8_ifPKiSA_SA_iPKfiiiPfSD_PS3_PT2_iSC_SC_, 615

	.type	__PRETTY_FUNCTION__._Z39paged_attention_ll4mi_QKV_mfma16_kernelI14__hip_bfloat16hLN4vllm18Fp8KVCacheDataTypeE1ES0_Li32ELi64ELi256ELb1ELi15EEvPKT_PKT0_S8_ifPKiSA_SA_iPKfiiiPfSD_PS3_PT2_iSC_SC_,@object ; @__PRETTY_FUNCTION__._Z39paged_attention_ll4mi_QKV_mfma16_kernelI14__hip_bfloat16hLN4vllm18Fp8KVCacheDataTypeE1ES0_Li32ELi64ELi256ELb1ELi15EEvPKT_PKT0_S8_ifPKiSA_SA_iPKfiiiPfSD_PS3_PT2_iSC_SC_
__PRETTY_FUNCTION__._Z39paged_attention_ll4mi_QKV_mfma16_kernelI14__hip_bfloat16hLN4vllm18Fp8KVCacheDataTypeE1ES0_Li32ELi64ELi256ELb1ELi15EEvPKT_PKT0_S8_ifPKiSA_SA_iPKfiiiPfSD_PS3_PT2_iSC_SC_:
	.asciz	"void paged_attention_ll4mi_QKV_mfma16_kernel(const scalar_t *__restrict, const cache_t *__restrict, const cache_t *__restrict, const int, const float, const int *__restrict, const int *__restrict, const int *__restrict, const int, const float *__restrict, const int, const int, const int, float *__restrict, float *__restrict, scalar_t *__restrict, OUTT *__restrict, int, const float *, const float *) [scalar_t = __hip_bfloat16, cache_t = unsigned char, KV_DTYPE = vllm::Fp8KVCacheDataType::kFp8E4M3, OUTT = __hip_bfloat16, BLOCK_SIZE = 32, HEAD_SIZE = 64, NUM_THREADS = 256, ALIBI_ENABLED = true, GQA_RATIO = 15]"
	.size	__PRETTY_FUNCTION__._Z39paged_attention_ll4mi_QKV_mfma16_kernelI14__hip_bfloat16hLN4vllm18Fp8KVCacheDataTypeE1ES0_Li32ELi64ELi256ELb1ELi15EEvPKT_PKT0_S8_ifPKiSA_SA_iPKfiiiPfSD_PS3_PT2_iSC_SC_, 615

	.type	__PRETTY_FUNCTION__._Z39paged_attention_ll4mi_QKV_mfma16_kernelI14__hip_bfloat16hLN4vllm18Fp8KVCacheDataTypeE1ES0_Li32ELi64ELi256ELb1ELi16EEvPKT_PKT0_S8_ifPKiSA_SA_iPKfiiiPfSD_PS3_PT2_iSC_SC_,@object ; @__PRETTY_FUNCTION__._Z39paged_attention_ll4mi_QKV_mfma16_kernelI14__hip_bfloat16hLN4vllm18Fp8KVCacheDataTypeE1ES0_Li32ELi64ELi256ELb1ELi16EEvPKT_PKT0_S8_ifPKiSA_SA_iPKfiiiPfSD_PS3_PT2_iSC_SC_
__PRETTY_FUNCTION__._Z39paged_attention_ll4mi_QKV_mfma16_kernelI14__hip_bfloat16hLN4vllm18Fp8KVCacheDataTypeE1ES0_Li32ELi64ELi256ELb1ELi16EEvPKT_PKT0_S8_ifPKiSA_SA_iPKfiiiPfSD_PS3_PT2_iSC_SC_:
	.asciz	"void paged_attention_ll4mi_QKV_mfma16_kernel(const scalar_t *__restrict, const cache_t *__restrict, const cache_t *__restrict, const int, const float, const int *__restrict, const int *__restrict, const int *__restrict, const int, const float *__restrict, const int, const int, const int, float *__restrict, float *__restrict, scalar_t *__restrict, OUTT *__restrict, int, const float *, const float *) [scalar_t = __hip_bfloat16, cache_t = unsigned char, KV_DTYPE = vllm::Fp8KVCacheDataType::kFp8E4M3, OUTT = __hip_bfloat16, BLOCK_SIZE = 32, HEAD_SIZE = 64, NUM_THREADS = 256, ALIBI_ENABLED = true, GQA_RATIO = 16]"
	.size	__PRETTY_FUNCTION__._Z39paged_attention_ll4mi_QKV_mfma16_kernelI14__hip_bfloat16hLN4vllm18Fp8KVCacheDataTypeE1ES0_Li32ELi64ELi256ELb1ELi16EEvPKT_PKT0_S8_ifPKiSA_SA_iPKfiiiPfSD_PS3_PT2_iSC_SC_, 615

	.type	__PRETTY_FUNCTION__._Z39paged_attention_ll4mi_QKV_mfma16_kernelI14__hip_bfloat16hLN4vllm18Fp8KVCacheDataTypeE1ES0_Li32ELi64ELi256ELb1ELi1EEvPKT_PKT0_S8_ifPKiSA_SA_iPKfiiiPfSD_PS3_PT2_iSC_SC_,@object ; @__PRETTY_FUNCTION__._Z39paged_attention_ll4mi_QKV_mfma16_kernelI14__hip_bfloat16hLN4vllm18Fp8KVCacheDataTypeE1ES0_Li32ELi64ELi256ELb1ELi1EEvPKT_PKT0_S8_ifPKiSA_SA_iPKfiiiPfSD_PS3_PT2_iSC_SC_
__PRETTY_FUNCTION__._Z39paged_attention_ll4mi_QKV_mfma16_kernelI14__hip_bfloat16hLN4vllm18Fp8KVCacheDataTypeE1ES0_Li32ELi64ELi256ELb1ELi1EEvPKT_PKT0_S8_ifPKiSA_SA_iPKfiiiPfSD_PS3_PT2_iSC_SC_:
	.asciz	"void paged_attention_ll4mi_QKV_mfma16_kernel(const scalar_t *__restrict, const cache_t *__restrict, const cache_t *__restrict, const int, const float, const int *__restrict, const int *__restrict, const int *__restrict, const int, const float *__restrict, const int, const int, const int, float *__restrict, float *__restrict, scalar_t *__restrict, OUTT *__restrict, int, const float *, const float *) [scalar_t = __hip_bfloat16, cache_t = unsigned char, KV_DTYPE = vllm::Fp8KVCacheDataType::kFp8E4M3, OUTT = __hip_bfloat16, BLOCK_SIZE = 32, HEAD_SIZE = 64, NUM_THREADS = 256, ALIBI_ENABLED = true, GQA_RATIO = 1]"
	.size	__PRETTY_FUNCTION__._Z39paged_attention_ll4mi_QKV_mfma16_kernelI14__hip_bfloat16hLN4vllm18Fp8KVCacheDataTypeE1ES0_Li32ELi64ELi256ELb1ELi1EEvPKT_PKT0_S8_ifPKiSA_SA_iPKfiiiPfSD_PS3_PT2_iSC_SC_, 614

	.type	__PRETTY_FUNCTION__._Z39paged_attention_ll4mi_QKV_mfma16_kernelI14__hip_bfloat16hLN4vllm18Fp8KVCacheDataTypeE1ES0_Li32ELi64ELi256ELb1ELi2EEvPKT_PKT0_S8_ifPKiSA_SA_iPKfiiiPfSD_PS3_PT2_iSC_SC_,@object ; @__PRETTY_FUNCTION__._Z39paged_attention_ll4mi_QKV_mfma16_kernelI14__hip_bfloat16hLN4vllm18Fp8KVCacheDataTypeE1ES0_Li32ELi64ELi256ELb1ELi2EEvPKT_PKT0_S8_ifPKiSA_SA_iPKfiiiPfSD_PS3_PT2_iSC_SC_
__PRETTY_FUNCTION__._Z39paged_attention_ll4mi_QKV_mfma16_kernelI14__hip_bfloat16hLN4vllm18Fp8KVCacheDataTypeE1ES0_Li32ELi64ELi256ELb1ELi2EEvPKT_PKT0_S8_ifPKiSA_SA_iPKfiiiPfSD_PS3_PT2_iSC_SC_:
	.asciz	"void paged_attention_ll4mi_QKV_mfma16_kernel(const scalar_t *__restrict, const cache_t *__restrict, const cache_t *__restrict, const int, const float, const int *__restrict, const int *__restrict, const int *__restrict, const int, const float *__restrict, const int, const int, const int, float *__restrict, float *__restrict, scalar_t *__restrict, OUTT *__restrict, int, const float *, const float *) [scalar_t = __hip_bfloat16, cache_t = unsigned char, KV_DTYPE = vllm::Fp8KVCacheDataType::kFp8E4M3, OUTT = __hip_bfloat16, BLOCK_SIZE = 32, HEAD_SIZE = 64, NUM_THREADS = 256, ALIBI_ENABLED = true, GQA_RATIO = 2]"
	.size	__PRETTY_FUNCTION__._Z39paged_attention_ll4mi_QKV_mfma16_kernelI14__hip_bfloat16hLN4vllm18Fp8KVCacheDataTypeE1ES0_Li32ELi64ELi256ELb1ELi2EEvPKT_PKT0_S8_ifPKiSA_SA_iPKfiiiPfSD_PS3_PT2_iSC_SC_, 614

	.type	__PRETTY_FUNCTION__._Z39paged_attention_ll4mi_QKV_mfma16_kernelI14__hip_bfloat16hLN4vllm18Fp8KVCacheDataTypeE1ES0_Li32ELi64ELi256ELb1ELi3EEvPKT_PKT0_S8_ifPKiSA_SA_iPKfiiiPfSD_PS3_PT2_iSC_SC_,@object ; @__PRETTY_FUNCTION__._Z39paged_attention_ll4mi_QKV_mfma16_kernelI14__hip_bfloat16hLN4vllm18Fp8KVCacheDataTypeE1ES0_Li32ELi64ELi256ELb1ELi3EEvPKT_PKT0_S8_ifPKiSA_SA_iPKfiiiPfSD_PS3_PT2_iSC_SC_
__PRETTY_FUNCTION__._Z39paged_attention_ll4mi_QKV_mfma16_kernelI14__hip_bfloat16hLN4vllm18Fp8KVCacheDataTypeE1ES0_Li32ELi64ELi256ELb1ELi3EEvPKT_PKT0_S8_ifPKiSA_SA_iPKfiiiPfSD_PS3_PT2_iSC_SC_:
	.asciz	"void paged_attention_ll4mi_QKV_mfma16_kernel(const scalar_t *__restrict, const cache_t *__restrict, const cache_t *__restrict, const int, const float, const int *__restrict, const int *__restrict, const int *__restrict, const int, const float *__restrict, const int, const int, const int, float *__restrict, float *__restrict, scalar_t *__restrict, OUTT *__restrict, int, const float *, const float *) [scalar_t = __hip_bfloat16, cache_t = unsigned char, KV_DTYPE = vllm::Fp8KVCacheDataType::kFp8E4M3, OUTT = __hip_bfloat16, BLOCK_SIZE = 32, HEAD_SIZE = 64, NUM_THREADS = 256, ALIBI_ENABLED = true, GQA_RATIO = 3]"
	.size	__PRETTY_FUNCTION__._Z39paged_attention_ll4mi_QKV_mfma16_kernelI14__hip_bfloat16hLN4vllm18Fp8KVCacheDataTypeE1ES0_Li32ELi64ELi256ELb1ELi3EEvPKT_PKT0_S8_ifPKiSA_SA_iPKfiiiPfSD_PS3_PT2_iSC_SC_, 614

	.type	__PRETTY_FUNCTION__._Z39paged_attention_ll4mi_QKV_mfma16_kernelI14__hip_bfloat16hLN4vllm18Fp8KVCacheDataTypeE1ES0_Li32ELi64ELi256ELb1ELi4EEvPKT_PKT0_S8_ifPKiSA_SA_iPKfiiiPfSD_PS3_PT2_iSC_SC_,@object ; @__PRETTY_FUNCTION__._Z39paged_attention_ll4mi_QKV_mfma16_kernelI14__hip_bfloat16hLN4vllm18Fp8KVCacheDataTypeE1ES0_Li32ELi64ELi256ELb1ELi4EEvPKT_PKT0_S8_ifPKiSA_SA_iPKfiiiPfSD_PS3_PT2_iSC_SC_
__PRETTY_FUNCTION__._Z39paged_attention_ll4mi_QKV_mfma16_kernelI14__hip_bfloat16hLN4vllm18Fp8KVCacheDataTypeE1ES0_Li32ELi64ELi256ELb1ELi4EEvPKT_PKT0_S8_ifPKiSA_SA_iPKfiiiPfSD_PS3_PT2_iSC_SC_:
	.asciz	"void paged_attention_ll4mi_QKV_mfma16_kernel(const scalar_t *__restrict, const cache_t *__restrict, const cache_t *__restrict, const int, const float, const int *__restrict, const int *__restrict, const int *__restrict, const int, const float *__restrict, const int, const int, const int, float *__restrict, float *__restrict, scalar_t *__restrict, OUTT *__restrict, int, const float *, const float *) [scalar_t = __hip_bfloat16, cache_t = unsigned char, KV_DTYPE = vllm::Fp8KVCacheDataType::kFp8E4M3, OUTT = __hip_bfloat16, BLOCK_SIZE = 32, HEAD_SIZE = 64, NUM_THREADS = 256, ALIBI_ENABLED = true, GQA_RATIO = 4]"
	.size	__PRETTY_FUNCTION__._Z39paged_attention_ll4mi_QKV_mfma16_kernelI14__hip_bfloat16hLN4vllm18Fp8KVCacheDataTypeE1ES0_Li32ELi64ELi256ELb1ELi4EEvPKT_PKT0_S8_ifPKiSA_SA_iPKfiiiPfSD_PS3_PT2_iSC_SC_, 614

	.type	__PRETTY_FUNCTION__._Z38paged_attention_ll4mi_QKV_mfma4_kernelI14__hip_bfloat16hLN4vllm18Fp8KVCacheDataTypeE1ES0_Li32ELi64ELi256ELb0ELi1EEvPKT_PKT0_S8_ifPKiSA_SA_iPKfiiiPfSD_PS3_PT2_iSC_SC_,@object ; @__PRETTY_FUNCTION__._Z38paged_attention_ll4mi_QKV_mfma4_kernelI14__hip_bfloat16hLN4vllm18Fp8KVCacheDataTypeE1ES0_Li32ELi64ELi256ELb0ELi1EEvPKT_PKT0_S8_ifPKiSA_SA_iPKfiiiPfSD_PS3_PT2_iSC_SC_
__PRETTY_FUNCTION__._Z38paged_attention_ll4mi_QKV_mfma4_kernelI14__hip_bfloat16hLN4vllm18Fp8KVCacheDataTypeE1ES0_Li32ELi64ELi256ELb0ELi1EEvPKT_PKT0_S8_ifPKiSA_SA_iPKfiiiPfSD_PS3_PT2_iSC_SC_:
	.asciz	"void paged_attention_ll4mi_QKV_mfma4_kernel(const scalar_t *__restrict, const cache_t *__restrict, const cache_t *__restrict, const int, const float, const int *__restrict, const int *__restrict, const int *__restrict, const int, const float *__restrict, const int, const int, const int, float *__restrict, float *__restrict, scalar_t *__restrict, OUTT *__restrict, int, const float *, const float *) [scalar_t = __hip_bfloat16, cache_t = unsigned char, KV_DTYPE = vllm::Fp8KVCacheDataType::kFp8E4M3, OUTT = __hip_bfloat16, BLOCK_SIZE = 32, HEAD_SIZE = 64, NUM_THREADS = 256, ALIBI_ENABLED = false, GQA_RATIO = 1]"
	.size	__PRETTY_FUNCTION__._Z38paged_attention_ll4mi_QKV_mfma4_kernelI14__hip_bfloat16hLN4vllm18Fp8KVCacheDataTypeE1ES0_Li32ELi64ELi256ELb0ELi1EEvPKT_PKT0_S8_ifPKiSA_SA_iPKfiiiPfSD_PS3_PT2_iSC_SC_, 614

	.type	__PRETTY_FUNCTION__._Z38paged_attention_ll4mi_QKV_mfma4_kernelI14__hip_bfloat16hLN4vllm18Fp8KVCacheDataTypeE1ES0_Li32ELi64ELi256ELb0ELi2EEvPKT_PKT0_S8_ifPKiSA_SA_iPKfiiiPfSD_PS3_PT2_iSC_SC_,@object ; @__PRETTY_FUNCTION__._Z38paged_attention_ll4mi_QKV_mfma4_kernelI14__hip_bfloat16hLN4vllm18Fp8KVCacheDataTypeE1ES0_Li32ELi64ELi256ELb0ELi2EEvPKT_PKT0_S8_ifPKiSA_SA_iPKfiiiPfSD_PS3_PT2_iSC_SC_
__PRETTY_FUNCTION__._Z38paged_attention_ll4mi_QKV_mfma4_kernelI14__hip_bfloat16hLN4vllm18Fp8KVCacheDataTypeE1ES0_Li32ELi64ELi256ELb0ELi2EEvPKT_PKT0_S8_ifPKiSA_SA_iPKfiiiPfSD_PS3_PT2_iSC_SC_:
	.asciz	"void paged_attention_ll4mi_QKV_mfma4_kernel(const scalar_t *__restrict, const cache_t *__restrict, const cache_t *__restrict, const int, const float, const int *__restrict, const int *__restrict, const int *__restrict, const int, const float *__restrict, const int, const int, const int, float *__restrict, float *__restrict, scalar_t *__restrict, OUTT *__restrict, int, const float *, const float *) [scalar_t = __hip_bfloat16, cache_t = unsigned char, KV_DTYPE = vllm::Fp8KVCacheDataType::kFp8E4M3, OUTT = __hip_bfloat16, BLOCK_SIZE = 32, HEAD_SIZE = 64, NUM_THREADS = 256, ALIBI_ENABLED = false, GQA_RATIO = 2]"
	.size	__PRETTY_FUNCTION__._Z38paged_attention_ll4mi_QKV_mfma4_kernelI14__hip_bfloat16hLN4vllm18Fp8KVCacheDataTypeE1ES0_Li32ELi64ELi256ELb0ELi2EEvPKT_PKT0_S8_ifPKiSA_SA_iPKfiiiPfSD_PS3_PT2_iSC_SC_, 614

	.type	__PRETTY_FUNCTION__._Z38paged_attention_ll4mi_QKV_mfma4_kernelI14__hip_bfloat16hLN4vllm18Fp8KVCacheDataTypeE1ES0_Li32ELi64ELi256ELb0ELi3EEvPKT_PKT0_S8_ifPKiSA_SA_iPKfiiiPfSD_PS3_PT2_iSC_SC_,@object ; @__PRETTY_FUNCTION__._Z38paged_attention_ll4mi_QKV_mfma4_kernelI14__hip_bfloat16hLN4vllm18Fp8KVCacheDataTypeE1ES0_Li32ELi64ELi256ELb0ELi3EEvPKT_PKT0_S8_ifPKiSA_SA_iPKfiiiPfSD_PS3_PT2_iSC_SC_
__PRETTY_FUNCTION__._Z38paged_attention_ll4mi_QKV_mfma4_kernelI14__hip_bfloat16hLN4vllm18Fp8KVCacheDataTypeE1ES0_Li32ELi64ELi256ELb0ELi3EEvPKT_PKT0_S8_ifPKiSA_SA_iPKfiiiPfSD_PS3_PT2_iSC_SC_:
	.asciz	"void paged_attention_ll4mi_QKV_mfma4_kernel(const scalar_t *__restrict, const cache_t *__restrict, const cache_t *__restrict, const int, const float, const int *__restrict, const int *__restrict, const int *__restrict, const int, const float *__restrict, const int, const int, const int, float *__restrict, float *__restrict, scalar_t *__restrict, OUTT *__restrict, int, const float *, const float *) [scalar_t = __hip_bfloat16, cache_t = unsigned char, KV_DTYPE = vllm::Fp8KVCacheDataType::kFp8E4M3, OUTT = __hip_bfloat16, BLOCK_SIZE = 32, HEAD_SIZE = 64, NUM_THREADS = 256, ALIBI_ENABLED = false, GQA_RATIO = 3]"
	.size	__PRETTY_FUNCTION__._Z38paged_attention_ll4mi_QKV_mfma4_kernelI14__hip_bfloat16hLN4vllm18Fp8KVCacheDataTypeE1ES0_Li32ELi64ELi256ELb0ELi3EEvPKT_PKT0_S8_ifPKiSA_SA_iPKfiiiPfSD_PS3_PT2_iSC_SC_, 614

	.type	__PRETTY_FUNCTION__._Z38paged_attention_ll4mi_QKV_mfma4_kernelI14__hip_bfloat16hLN4vllm18Fp8KVCacheDataTypeE1ES0_Li32ELi64ELi256ELb0ELi4EEvPKT_PKT0_S8_ifPKiSA_SA_iPKfiiiPfSD_PS3_PT2_iSC_SC_,@object ; @__PRETTY_FUNCTION__._Z38paged_attention_ll4mi_QKV_mfma4_kernelI14__hip_bfloat16hLN4vllm18Fp8KVCacheDataTypeE1ES0_Li32ELi64ELi256ELb0ELi4EEvPKT_PKT0_S8_ifPKiSA_SA_iPKfiiiPfSD_PS3_PT2_iSC_SC_
__PRETTY_FUNCTION__._Z38paged_attention_ll4mi_QKV_mfma4_kernelI14__hip_bfloat16hLN4vllm18Fp8KVCacheDataTypeE1ES0_Li32ELi64ELi256ELb0ELi4EEvPKT_PKT0_S8_ifPKiSA_SA_iPKfiiiPfSD_PS3_PT2_iSC_SC_:
	.asciz	"void paged_attention_ll4mi_QKV_mfma4_kernel(const scalar_t *__restrict, const cache_t *__restrict, const cache_t *__restrict, const int, const float, const int *__restrict, const int *__restrict, const int *__restrict, const int, const float *__restrict, const int, const int, const int, float *__restrict, float *__restrict, scalar_t *__restrict, OUTT *__restrict, int, const float *, const float *) [scalar_t = __hip_bfloat16, cache_t = unsigned char, KV_DTYPE = vllm::Fp8KVCacheDataType::kFp8E4M3, OUTT = __hip_bfloat16, BLOCK_SIZE = 32, HEAD_SIZE = 64, NUM_THREADS = 256, ALIBI_ENABLED = false, GQA_RATIO = 4]"
	.size	__PRETTY_FUNCTION__._Z38paged_attention_ll4mi_QKV_mfma4_kernelI14__hip_bfloat16hLN4vllm18Fp8KVCacheDataTypeE1ES0_Li32ELi64ELi256ELb0ELi4EEvPKT_PKT0_S8_ifPKiSA_SA_iPKfiiiPfSD_PS3_PT2_iSC_SC_, 614

	.type	__PRETTY_FUNCTION__._Z39paged_attention_ll4mi_QKV_mfma16_kernelI14__hip_bfloat16hLN4vllm18Fp8KVCacheDataTypeE1ES0_Li32ELi64ELi256ELb0ELi5EEvPKT_PKT0_S8_ifPKiSA_SA_iPKfiiiPfSD_PS3_PT2_iSC_SC_,@object ; @__PRETTY_FUNCTION__._Z39paged_attention_ll4mi_QKV_mfma16_kernelI14__hip_bfloat16hLN4vllm18Fp8KVCacheDataTypeE1ES0_Li32ELi64ELi256ELb0ELi5EEvPKT_PKT0_S8_ifPKiSA_SA_iPKfiiiPfSD_PS3_PT2_iSC_SC_
__PRETTY_FUNCTION__._Z39paged_attention_ll4mi_QKV_mfma16_kernelI14__hip_bfloat16hLN4vllm18Fp8KVCacheDataTypeE1ES0_Li32ELi64ELi256ELb0ELi5EEvPKT_PKT0_S8_ifPKiSA_SA_iPKfiiiPfSD_PS3_PT2_iSC_SC_:
	.asciz	"void paged_attention_ll4mi_QKV_mfma16_kernel(const scalar_t *__restrict, const cache_t *__restrict, const cache_t *__restrict, const int, const float, const int *__restrict, const int *__restrict, const int *__restrict, const int, const float *__restrict, const int, const int, const int, float *__restrict, float *__restrict, scalar_t *__restrict, OUTT *__restrict, int, const float *, const float *) [scalar_t = __hip_bfloat16, cache_t = unsigned char, KV_DTYPE = vllm::Fp8KVCacheDataType::kFp8E4M3, OUTT = __hip_bfloat16, BLOCK_SIZE = 32, HEAD_SIZE = 64, NUM_THREADS = 256, ALIBI_ENABLED = false, GQA_RATIO = 5]"
	.size	__PRETTY_FUNCTION__._Z39paged_attention_ll4mi_QKV_mfma16_kernelI14__hip_bfloat16hLN4vllm18Fp8KVCacheDataTypeE1ES0_Li32ELi64ELi256ELb0ELi5EEvPKT_PKT0_S8_ifPKiSA_SA_iPKfiiiPfSD_PS3_PT2_iSC_SC_, 615

	.type	__PRETTY_FUNCTION__._Z39paged_attention_ll4mi_QKV_mfma16_kernelI14__hip_bfloat16hLN4vllm18Fp8KVCacheDataTypeE1ES0_Li32ELi64ELi256ELb0ELi6EEvPKT_PKT0_S8_ifPKiSA_SA_iPKfiiiPfSD_PS3_PT2_iSC_SC_,@object ; @__PRETTY_FUNCTION__._Z39paged_attention_ll4mi_QKV_mfma16_kernelI14__hip_bfloat16hLN4vllm18Fp8KVCacheDataTypeE1ES0_Li32ELi64ELi256ELb0ELi6EEvPKT_PKT0_S8_ifPKiSA_SA_iPKfiiiPfSD_PS3_PT2_iSC_SC_
__PRETTY_FUNCTION__._Z39paged_attention_ll4mi_QKV_mfma16_kernelI14__hip_bfloat16hLN4vllm18Fp8KVCacheDataTypeE1ES0_Li32ELi64ELi256ELb0ELi6EEvPKT_PKT0_S8_ifPKiSA_SA_iPKfiiiPfSD_PS3_PT2_iSC_SC_:
	.asciz	"void paged_attention_ll4mi_QKV_mfma16_kernel(const scalar_t *__restrict, const cache_t *__restrict, const cache_t *__restrict, const int, const float, const int *__restrict, const int *__restrict, const int *__restrict, const int, const float *__restrict, const int, const int, const int, float *__restrict, float *__restrict, scalar_t *__restrict, OUTT *__restrict, int, const float *, const float *) [scalar_t = __hip_bfloat16, cache_t = unsigned char, KV_DTYPE = vllm::Fp8KVCacheDataType::kFp8E4M3, OUTT = __hip_bfloat16, BLOCK_SIZE = 32, HEAD_SIZE = 64, NUM_THREADS = 256, ALIBI_ENABLED = false, GQA_RATIO = 6]"
	.size	__PRETTY_FUNCTION__._Z39paged_attention_ll4mi_QKV_mfma16_kernelI14__hip_bfloat16hLN4vllm18Fp8KVCacheDataTypeE1ES0_Li32ELi64ELi256ELb0ELi6EEvPKT_PKT0_S8_ifPKiSA_SA_iPKfiiiPfSD_PS3_PT2_iSC_SC_, 615

	.type	__PRETTY_FUNCTION__._Z39paged_attention_ll4mi_QKV_mfma16_kernelI14__hip_bfloat16hLN4vllm18Fp8KVCacheDataTypeE1ES0_Li32ELi64ELi256ELb0ELi7EEvPKT_PKT0_S8_ifPKiSA_SA_iPKfiiiPfSD_PS3_PT2_iSC_SC_,@object ; @__PRETTY_FUNCTION__._Z39paged_attention_ll4mi_QKV_mfma16_kernelI14__hip_bfloat16hLN4vllm18Fp8KVCacheDataTypeE1ES0_Li32ELi64ELi256ELb0ELi7EEvPKT_PKT0_S8_ifPKiSA_SA_iPKfiiiPfSD_PS3_PT2_iSC_SC_
__PRETTY_FUNCTION__._Z39paged_attention_ll4mi_QKV_mfma16_kernelI14__hip_bfloat16hLN4vllm18Fp8KVCacheDataTypeE1ES0_Li32ELi64ELi256ELb0ELi7EEvPKT_PKT0_S8_ifPKiSA_SA_iPKfiiiPfSD_PS3_PT2_iSC_SC_:
	.asciz	"void paged_attention_ll4mi_QKV_mfma16_kernel(const scalar_t *__restrict, const cache_t *__restrict, const cache_t *__restrict, const int, const float, const int *__restrict, const int *__restrict, const int *__restrict, const int, const float *__restrict, const int, const int, const int, float *__restrict, float *__restrict, scalar_t *__restrict, OUTT *__restrict, int, const float *, const float *) [scalar_t = __hip_bfloat16, cache_t = unsigned char, KV_DTYPE = vllm::Fp8KVCacheDataType::kFp8E4M3, OUTT = __hip_bfloat16, BLOCK_SIZE = 32, HEAD_SIZE = 64, NUM_THREADS = 256, ALIBI_ENABLED = false, GQA_RATIO = 7]"
	.size	__PRETTY_FUNCTION__._Z39paged_attention_ll4mi_QKV_mfma16_kernelI14__hip_bfloat16hLN4vllm18Fp8KVCacheDataTypeE1ES0_Li32ELi64ELi256ELb0ELi7EEvPKT_PKT0_S8_ifPKiSA_SA_iPKfiiiPfSD_PS3_PT2_iSC_SC_, 615

	.type	__PRETTY_FUNCTION__._Z39paged_attention_ll4mi_QKV_mfma16_kernelI14__hip_bfloat16hLN4vllm18Fp8KVCacheDataTypeE1ES0_Li32ELi64ELi256ELb0ELi8EEvPKT_PKT0_S8_ifPKiSA_SA_iPKfiiiPfSD_PS3_PT2_iSC_SC_,@object ; @__PRETTY_FUNCTION__._Z39paged_attention_ll4mi_QKV_mfma16_kernelI14__hip_bfloat16hLN4vllm18Fp8KVCacheDataTypeE1ES0_Li32ELi64ELi256ELb0ELi8EEvPKT_PKT0_S8_ifPKiSA_SA_iPKfiiiPfSD_PS3_PT2_iSC_SC_
__PRETTY_FUNCTION__._Z39paged_attention_ll4mi_QKV_mfma16_kernelI14__hip_bfloat16hLN4vllm18Fp8KVCacheDataTypeE1ES0_Li32ELi64ELi256ELb0ELi8EEvPKT_PKT0_S8_ifPKiSA_SA_iPKfiiiPfSD_PS3_PT2_iSC_SC_:
	.asciz	"void paged_attention_ll4mi_QKV_mfma16_kernel(const scalar_t *__restrict, const cache_t *__restrict, const cache_t *__restrict, const int, const float, const int *__restrict, const int *__restrict, const int *__restrict, const int, const float *__restrict, const int, const int, const int, float *__restrict, float *__restrict, scalar_t *__restrict, OUTT *__restrict, int, const float *, const float *) [scalar_t = __hip_bfloat16, cache_t = unsigned char, KV_DTYPE = vllm::Fp8KVCacheDataType::kFp8E4M3, OUTT = __hip_bfloat16, BLOCK_SIZE = 32, HEAD_SIZE = 64, NUM_THREADS = 256, ALIBI_ENABLED = false, GQA_RATIO = 8]"
	.size	__PRETTY_FUNCTION__._Z39paged_attention_ll4mi_QKV_mfma16_kernelI14__hip_bfloat16hLN4vllm18Fp8KVCacheDataTypeE1ES0_Li32ELi64ELi256ELb0ELi8EEvPKT_PKT0_S8_ifPKiSA_SA_iPKfiiiPfSD_PS3_PT2_iSC_SC_, 615

	.type	__PRETTY_FUNCTION__._Z39paged_attention_ll4mi_QKV_mfma16_kernelI14__hip_bfloat16hLN4vllm18Fp8KVCacheDataTypeE1ES0_Li32ELi64ELi256ELb0ELi9EEvPKT_PKT0_S8_ifPKiSA_SA_iPKfiiiPfSD_PS3_PT2_iSC_SC_,@object ; @__PRETTY_FUNCTION__._Z39paged_attention_ll4mi_QKV_mfma16_kernelI14__hip_bfloat16hLN4vllm18Fp8KVCacheDataTypeE1ES0_Li32ELi64ELi256ELb0ELi9EEvPKT_PKT0_S8_ifPKiSA_SA_iPKfiiiPfSD_PS3_PT2_iSC_SC_
__PRETTY_FUNCTION__._Z39paged_attention_ll4mi_QKV_mfma16_kernelI14__hip_bfloat16hLN4vllm18Fp8KVCacheDataTypeE1ES0_Li32ELi64ELi256ELb0ELi9EEvPKT_PKT0_S8_ifPKiSA_SA_iPKfiiiPfSD_PS3_PT2_iSC_SC_:
	.asciz	"void paged_attention_ll4mi_QKV_mfma16_kernel(const scalar_t *__restrict, const cache_t *__restrict, const cache_t *__restrict, const int, const float, const int *__restrict, const int *__restrict, const int *__restrict, const int, const float *__restrict, const int, const int, const int, float *__restrict, float *__restrict, scalar_t *__restrict, OUTT *__restrict, int, const float *, const float *) [scalar_t = __hip_bfloat16, cache_t = unsigned char, KV_DTYPE = vllm::Fp8KVCacheDataType::kFp8E4M3, OUTT = __hip_bfloat16, BLOCK_SIZE = 32, HEAD_SIZE = 64, NUM_THREADS = 256, ALIBI_ENABLED = false, GQA_RATIO = 9]"
	.size	__PRETTY_FUNCTION__._Z39paged_attention_ll4mi_QKV_mfma16_kernelI14__hip_bfloat16hLN4vllm18Fp8KVCacheDataTypeE1ES0_Li32ELi64ELi256ELb0ELi9EEvPKT_PKT0_S8_ifPKiSA_SA_iPKfiiiPfSD_PS3_PT2_iSC_SC_, 615

	.type	__PRETTY_FUNCTION__._Z39paged_attention_ll4mi_QKV_mfma16_kernelI14__hip_bfloat16hLN4vllm18Fp8KVCacheDataTypeE1ES0_Li32ELi64ELi256ELb0ELi10EEvPKT_PKT0_S8_ifPKiSA_SA_iPKfiiiPfSD_PS3_PT2_iSC_SC_,@object ; @__PRETTY_FUNCTION__._Z39paged_attention_ll4mi_QKV_mfma16_kernelI14__hip_bfloat16hLN4vllm18Fp8KVCacheDataTypeE1ES0_Li32ELi64ELi256ELb0ELi10EEvPKT_PKT0_S8_ifPKiSA_SA_iPKfiiiPfSD_PS3_PT2_iSC_SC_
__PRETTY_FUNCTION__._Z39paged_attention_ll4mi_QKV_mfma16_kernelI14__hip_bfloat16hLN4vllm18Fp8KVCacheDataTypeE1ES0_Li32ELi64ELi256ELb0ELi10EEvPKT_PKT0_S8_ifPKiSA_SA_iPKfiiiPfSD_PS3_PT2_iSC_SC_:
	.asciz	"void paged_attention_ll4mi_QKV_mfma16_kernel(const scalar_t *__restrict, const cache_t *__restrict, const cache_t *__restrict, const int, const float, const int *__restrict, const int *__restrict, const int *__restrict, const int, const float *__restrict, const int, const int, const int, float *__restrict, float *__restrict, scalar_t *__restrict, OUTT *__restrict, int, const float *, const float *) [scalar_t = __hip_bfloat16, cache_t = unsigned char, KV_DTYPE = vllm::Fp8KVCacheDataType::kFp8E4M3, OUTT = __hip_bfloat16, BLOCK_SIZE = 32, HEAD_SIZE = 64, NUM_THREADS = 256, ALIBI_ENABLED = false, GQA_RATIO = 10]"
	.size	__PRETTY_FUNCTION__._Z39paged_attention_ll4mi_QKV_mfma16_kernelI14__hip_bfloat16hLN4vllm18Fp8KVCacheDataTypeE1ES0_Li32ELi64ELi256ELb0ELi10EEvPKT_PKT0_S8_ifPKiSA_SA_iPKfiiiPfSD_PS3_PT2_iSC_SC_, 616

	.type	__PRETTY_FUNCTION__._Z39paged_attention_ll4mi_QKV_mfma16_kernelI14__hip_bfloat16hLN4vllm18Fp8KVCacheDataTypeE1ES0_Li32ELi64ELi256ELb0ELi11EEvPKT_PKT0_S8_ifPKiSA_SA_iPKfiiiPfSD_PS3_PT2_iSC_SC_,@object ; @__PRETTY_FUNCTION__._Z39paged_attention_ll4mi_QKV_mfma16_kernelI14__hip_bfloat16hLN4vllm18Fp8KVCacheDataTypeE1ES0_Li32ELi64ELi256ELb0ELi11EEvPKT_PKT0_S8_ifPKiSA_SA_iPKfiiiPfSD_PS3_PT2_iSC_SC_
__PRETTY_FUNCTION__._Z39paged_attention_ll4mi_QKV_mfma16_kernelI14__hip_bfloat16hLN4vllm18Fp8KVCacheDataTypeE1ES0_Li32ELi64ELi256ELb0ELi11EEvPKT_PKT0_S8_ifPKiSA_SA_iPKfiiiPfSD_PS3_PT2_iSC_SC_:
	.asciz	"void paged_attention_ll4mi_QKV_mfma16_kernel(const scalar_t *__restrict, const cache_t *__restrict, const cache_t *__restrict, const int, const float, const int *__restrict, const int *__restrict, const int *__restrict, const int, const float *__restrict, const int, const int, const int, float *__restrict, float *__restrict, scalar_t *__restrict, OUTT *__restrict, int, const float *, const float *) [scalar_t = __hip_bfloat16, cache_t = unsigned char, KV_DTYPE = vllm::Fp8KVCacheDataType::kFp8E4M3, OUTT = __hip_bfloat16, BLOCK_SIZE = 32, HEAD_SIZE = 64, NUM_THREADS = 256, ALIBI_ENABLED = false, GQA_RATIO = 11]"
	.size	__PRETTY_FUNCTION__._Z39paged_attention_ll4mi_QKV_mfma16_kernelI14__hip_bfloat16hLN4vllm18Fp8KVCacheDataTypeE1ES0_Li32ELi64ELi256ELb0ELi11EEvPKT_PKT0_S8_ifPKiSA_SA_iPKfiiiPfSD_PS3_PT2_iSC_SC_, 616

	.type	__PRETTY_FUNCTION__._Z39paged_attention_ll4mi_QKV_mfma16_kernelI14__hip_bfloat16hLN4vllm18Fp8KVCacheDataTypeE1ES0_Li32ELi64ELi256ELb0ELi12EEvPKT_PKT0_S8_ifPKiSA_SA_iPKfiiiPfSD_PS3_PT2_iSC_SC_,@object ; @__PRETTY_FUNCTION__._Z39paged_attention_ll4mi_QKV_mfma16_kernelI14__hip_bfloat16hLN4vllm18Fp8KVCacheDataTypeE1ES0_Li32ELi64ELi256ELb0ELi12EEvPKT_PKT0_S8_ifPKiSA_SA_iPKfiiiPfSD_PS3_PT2_iSC_SC_
__PRETTY_FUNCTION__._Z39paged_attention_ll4mi_QKV_mfma16_kernelI14__hip_bfloat16hLN4vllm18Fp8KVCacheDataTypeE1ES0_Li32ELi64ELi256ELb0ELi12EEvPKT_PKT0_S8_ifPKiSA_SA_iPKfiiiPfSD_PS3_PT2_iSC_SC_:
	.asciz	"void paged_attention_ll4mi_QKV_mfma16_kernel(const scalar_t *__restrict, const cache_t *__restrict, const cache_t *__restrict, const int, const float, const int *__restrict, const int *__restrict, const int *__restrict, const int, const float *__restrict, const int, const int, const int, float *__restrict, float *__restrict, scalar_t *__restrict, OUTT *__restrict, int, const float *, const float *) [scalar_t = __hip_bfloat16, cache_t = unsigned char, KV_DTYPE = vllm::Fp8KVCacheDataType::kFp8E4M3, OUTT = __hip_bfloat16, BLOCK_SIZE = 32, HEAD_SIZE = 64, NUM_THREADS = 256, ALIBI_ENABLED = false, GQA_RATIO = 12]"
	.size	__PRETTY_FUNCTION__._Z39paged_attention_ll4mi_QKV_mfma16_kernelI14__hip_bfloat16hLN4vllm18Fp8KVCacheDataTypeE1ES0_Li32ELi64ELi256ELb0ELi12EEvPKT_PKT0_S8_ifPKiSA_SA_iPKfiiiPfSD_PS3_PT2_iSC_SC_, 616

	.type	__PRETTY_FUNCTION__._Z39paged_attention_ll4mi_QKV_mfma16_kernelI14__hip_bfloat16hLN4vllm18Fp8KVCacheDataTypeE1ES0_Li32ELi64ELi256ELb0ELi13EEvPKT_PKT0_S8_ifPKiSA_SA_iPKfiiiPfSD_PS3_PT2_iSC_SC_,@object ; @__PRETTY_FUNCTION__._Z39paged_attention_ll4mi_QKV_mfma16_kernelI14__hip_bfloat16hLN4vllm18Fp8KVCacheDataTypeE1ES0_Li32ELi64ELi256ELb0ELi13EEvPKT_PKT0_S8_ifPKiSA_SA_iPKfiiiPfSD_PS3_PT2_iSC_SC_
__PRETTY_FUNCTION__._Z39paged_attention_ll4mi_QKV_mfma16_kernelI14__hip_bfloat16hLN4vllm18Fp8KVCacheDataTypeE1ES0_Li32ELi64ELi256ELb0ELi13EEvPKT_PKT0_S8_ifPKiSA_SA_iPKfiiiPfSD_PS3_PT2_iSC_SC_:
	.asciz	"void paged_attention_ll4mi_QKV_mfma16_kernel(const scalar_t *__restrict, const cache_t *__restrict, const cache_t *__restrict, const int, const float, const int *__restrict, const int *__restrict, const int *__restrict, const int, const float *__restrict, const int, const int, const int, float *__restrict, float *__restrict, scalar_t *__restrict, OUTT *__restrict, int, const float *, const float *) [scalar_t = __hip_bfloat16, cache_t = unsigned char, KV_DTYPE = vllm::Fp8KVCacheDataType::kFp8E4M3, OUTT = __hip_bfloat16, BLOCK_SIZE = 32, HEAD_SIZE = 64, NUM_THREADS = 256, ALIBI_ENABLED = false, GQA_RATIO = 13]"
	.size	__PRETTY_FUNCTION__._Z39paged_attention_ll4mi_QKV_mfma16_kernelI14__hip_bfloat16hLN4vllm18Fp8KVCacheDataTypeE1ES0_Li32ELi64ELi256ELb0ELi13EEvPKT_PKT0_S8_ifPKiSA_SA_iPKfiiiPfSD_PS3_PT2_iSC_SC_, 616

	.type	__PRETTY_FUNCTION__._Z39paged_attention_ll4mi_QKV_mfma16_kernelI14__hip_bfloat16hLN4vllm18Fp8KVCacheDataTypeE1ES0_Li32ELi64ELi256ELb0ELi14EEvPKT_PKT0_S8_ifPKiSA_SA_iPKfiiiPfSD_PS3_PT2_iSC_SC_,@object ; @__PRETTY_FUNCTION__._Z39paged_attention_ll4mi_QKV_mfma16_kernelI14__hip_bfloat16hLN4vllm18Fp8KVCacheDataTypeE1ES0_Li32ELi64ELi256ELb0ELi14EEvPKT_PKT0_S8_ifPKiSA_SA_iPKfiiiPfSD_PS3_PT2_iSC_SC_
__PRETTY_FUNCTION__._Z39paged_attention_ll4mi_QKV_mfma16_kernelI14__hip_bfloat16hLN4vllm18Fp8KVCacheDataTypeE1ES0_Li32ELi64ELi256ELb0ELi14EEvPKT_PKT0_S8_ifPKiSA_SA_iPKfiiiPfSD_PS3_PT2_iSC_SC_:
	.asciz	"void paged_attention_ll4mi_QKV_mfma16_kernel(const scalar_t *__restrict, const cache_t *__restrict, const cache_t *__restrict, const int, const float, const int *__restrict, const int *__restrict, const int *__restrict, const int, const float *__restrict, const int, const int, const int, float *__restrict, float *__restrict, scalar_t *__restrict, OUTT *__restrict, int, const float *, const float *) [scalar_t = __hip_bfloat16, cache_t = unsigned char, KV_DTYPE = vllm::Fp8KVCacheDataType::kFp8E4M3, OUTT = __hip_bfloat16, BLOCK_SIZE = 32, HEAD_SIZE = 64, NUM_THREADS = 256, ALIBI_ENABLED = false, GQA_RATIO = 14]"
	.size	__PRETTY_FUNCTION__._Z39paged_attention_ll4mi_QKV_mfma16_kernelI14__hip_bfloat16hLN4vllm18Fp8KVCacheDataTypeE1ES0_Li32ELi64ELi256ELb0ELi14EEvPKT_PKT0_S8_ifPKiSA_SA_iPKfiiiPfSD_PS3_PT2_iSC_SC_, 616

	.type	__PRETTY_FUNCTION__._Z39paged_attention_ll4mi_QKV_mfma16_kernelI14__hip_bfloat16hLN4vllm18Fp8KVCacheDataTypeE1ES0_Li32ELi64ELi256ELb0ELi15EEvPKT_PKT0_S8_ifPKiSA_SA_iPKfiiiPfSD_PS3_PT2_iSC_SC_,@object ; @__PRETTY_FUNCTION__._Z39paged_attention_ll4mi_QKV_mfma16_kernelI14__hip_bfloat16hLN4vllm18Fp8KVCacheDataTypeE1ES0_Li32ELi64ELi256ELb0ELi15EEvPKT_PKT0_S8_ifPKiSA_SA_iPKfiiiPfSD_PS3_PT2_iSC_SC_
__PRETTY_FUNCTION__._Z39paged_attention_ll4mi_QKV_mfma16_kernelI14__hip_bfloat16hLN4vllm18Fp8KVCacheDataTypeE1ES0_Li32ELi64ELi256ELb0ELi15EEvPKT_PKT0_S8_ifPKiSA_SA_iPKfiiiPfSD_PS3_PT2_iSC_SC_:
	.asciz	"void paged_attention_ll4mi_QKV_mfma16_kernel(const scalar_t *__restrict, const cache_t *__restrict, const cache_t *__restrict, const int, const float, const int *__restrict, const int *__restrict, const int *__restrict, const int, const float *__restrict, const int, const int, const int, float *__restrict, float *__restrict, scalar_t *__restrict, OUTT *__restrict, int, const float *, const float *) [scalar_t = __hip_bfloat16, cache_t = unsigned char, KV_DTYPE = vllm::Fp8KVCacheDataType::kFp8E4M3, OUTT = __hip_bfloat16, BLOCK_SIZE = 32, HEAD_SIZE = 64, NUM_THREADS = 256, ALIBI_ENABLED = false, GQA_RATIO = 15]"
	.size	__PRETTY_FUNCTION__._Z39paged_attention_ll4mi_QKV_mfma16_kernelI14__hip_bfloat16hLN4vllm18Fp8KVCacheDataTypeE1ES0_Li32ELi64ELi256ELb0ELi15EEvPKT_PKT0_S8_ifPKiSA_SA_iPKfiiiPfSD_PS3_PT2_iSC_SC_, 616

	.type	__PRETTY_FUNCTION__._Z39paged_attention_ll4mi_QKV_mfma16_kernelI14__hip_bfloat16hLN4vllm18Fp8KVCacheDataTypeE1ES0_Li32ELi64ELi256ELb0ELi16EEvPKT_PKT0_S8_ifPKiSA_SA_iPKfiiiPfSD_PS3_PT2_iSC_SC_,@object ; @__PRETTY_FUNCTION__._Z39paged_attention_ll4mi_QKV_mfma16_kernelI14__hip_bfloat16hLN4vllm18Fp8KVCacheDataTypeE1ES0_Li32ELi64ELi256ELb0ELi16EEvPKT_PKT0_S8_ifPKiSA_SA_iPKfiiiPfSD_PS3_PT2_iSC_SC_
__PRETTY_FUNCTION__._Z39paged_attention_ll4mi_QKV_mfma16_kernelI14__hip_bfloat16hLN4vllm18Fp8KVCacheDataTypeE1ES0_Li32ELi64ELi256ELb0ELi16EEvPKT_PKT0_S8_ifPKiSA_SA_iPKfiiiPfSD_PS3_PT2_iSC_SC_:
	.asciz	"void paged_attention_ll4mi_QKV_mfma16_kernel(const scalar_t *__restrict, const cache_t *__restrict, const cache_t *__restrict, const int, const float, const int *__restrict, const int *__restrict, const int *__restrict, const int, const float *__restrict, const int, const int, const int, float *__restrict, float *__restrict, scalar_t *__restrict, OUTT *__restrict, int, const float *, const float *) [scalar_t = __hip_bfloat16, cache_t = unsigned char, KV_DTYPE = vllm::Fp8KVCacheDataType::kFp8E4M3, OUTT = __hip_bfloat16, BLOCK_SIZE = 32, HEAD_SIZE = 64, NUM_THREADS = 256, ALIBI_ENABLED = false, GQA_RATIO = 16]"
	.size	__PRETTY_FUNCTION__._Z39paged_attention_ll4mi_QKV_mfma16_kernelI14__hip_bfloat16hLN4vllm18Fp8KVCacheDataTypeE1ES0_Li32ELi64ELi256ELb0ELi16EEvPKT_PKT0_S8_ifPKiSA_SA_iPKfiiiPfSD_PS3_PT2_iSC_SC_, 616

	.type	__PRETTY_FUNCTION__._Z39paged_attention_ll4mi_QKV_mfma16_kernelI14__hip_bfloat16hLN4vllm18Fp8KVCacheDataTypeE1ES0_Li32ELi64ELi256ELb0ELi1EEvPKT_PKT0_S8_ifPKiSA_SA_iPKfiiiPfSD_PS3_PT2_iSC_SC_,@object ; @__PRETTY_FUNCTION__._Z39paged_attention_ll4mi_QKV_mfma16_kernelI14__hip_bfloat16hLN4vllm18Fp8KVCacheDataTypeE1ES0_Li32ELi64ELi256ELb0ELi1EEvPKT_PKT0_S8_ifPKiSA_SA_iPKfiiiPfSD_PS3_PT2_iSC_SC_
__PRETTY_FUNCTION__._Z39paged_attention_ll4mi_QKV_mfma16_kernelI14__hip_bfloat16hLN4vllm18Fp8KVCacheDataTypeE1ES0_Li32ELi64ELi256ELb0ELi1EEvPKT_PKT0_S8_ifPKiSA_SA_iPKfiiiPfSD_PS3_PT2_iSC_SC_:
	.asciz	"void paged_attention_ll4mi_QKV_mfma16_kernel(const scalar_t *__restrict, const cache_t *__restrict, const cache_t *__restrict, const int, const float, const int *__restrict, const int *__restrict, const int *__restrict, const int, const float *__restrict, const int, const int, const int, float *__restrict, float *__restrict, scalar_t *__restrict, OUTT *__restrict, int, const float *, const float *) [scalar_t = __hip_bfloat16, cache_t = unsigned char, KV_DTYPE = vllm::Fp8KVCacheDataType::kFp8E4M3, OUTT = __hip_bfloat16, BLOCK_SIZE = 32, HEAD_SIZE = 64, NUM_THREADS = 256, ALIBI_ENABLED = false, GQA_RATIO = 1]"
	.size	__PRETTY_FUNCTION__._Z39paged_attention_ll4mi_QKV_mfma16_kernelI14__hip_bfloat16hLN4vllm18Fp8KVCacheDataTypeE1ES0_Li32ELi64ELi256ELb0ELi1EEvPKT_PKT0_S8_ifPKiSA_SA_iPKfiiiPfSD_PS3_PT2_iSC_SC_, 615

	.type	__PRETTY_FUNCTION__._Z39paged_attention_ll4mi_QKV_mfma16_kernelI14__hip_bfloat16hLN4vllm18Fp8KVCacheDataTypeE1ES0_Li32ELi64ELi256ELb0ELi2EEvPKT_PKT0_S8_ifPKiSA_SA_iPKfiiiPfSD_PS3_PT2_iSC_SC_,@object ; @__PRETTY_FUNCTION__._Z39paged_attention_ll4mi_QKV_mfma16_kernelI14__hip_bfloat16hLN4vllm18Fp8KVCacheDataTypeE1ES0_Li32ELi64ELi256ELb0ELi2EEvPKT_PKT0_S8_ifPKiSA_SA_iPKfiiiPfSD_PS3_PT2_iSC_SC_
__PRETTY_FUNCTION__._Z39paged_attention_ll4mi_QKV_mfma16_kernelI14__hip_bfloat16hLN4vllm18Fp8KVCacheDataTypeE1ES0_Li32ELi64ELi256ELb0ELi2EEvPKT_PKT0_S8_ifPKiSA_SA_iPKfiiiPfSD_PS3_PT2_iSC_SC_:
	.asciz	"void paged_attention_ll4mi_QKV_mfma16_kernel(const scalar_t *__restrict, const cache_t *__restrict, const cache_t *__restrict, const int, const float, const int *__restrict, const int *__restrict, const int *__restrict, const int, const float *__restrict, const int, const int, const int, float *__restrict, float *__restrict, scalar_t *__restrict, OUTT *__restrict, int, const float *, const float *) [scalar_t = __hip_bfloat16, cache_t = unsigned char, KV_DTYPE = vllm::Fp8KVCacheDataType::kFp8E4M3, OUTT = __hip_bfloat16, BLOCK_SIZE = 32, HEAD_SIZE = 64, NUM_THREADS = 256, ALIBI_ENABLED = false, GQA_RATIO = 2]"
	.size	__PRETTY_FUNCTION__._Z39paged_attention_ll4mi_QKV_mfma16_kernelI14__hip_bfloat16hLN4vllm18Fp8KVCacheDataTypeE1ES0_Li32ELi64ELi256ELb0ELi2EEvPKT_PKT0_S8_ifPKiSA_SA_iPKfiiiPfSD_PS3_PT2_iSC_SC_, 615

	.type	__PRETTY_FUNCTION__._Z39paged_attention_ll4mi_QKV_mfma16_kernelI14__hip_bfloat16hLN4vllm18Fp8KVCacheDataTypeE1ES0_Li32ELi64ELi256ELb0ELi3EEvPKT_PKT0_S8_ifPKiSA_SA_iPKfiiiPfSD_PS3_PT2_iSC_SC_,@object ; @__PRETTY_FUNCTION__._Z39paged_attention_ll4mi_QKV_mfma16_kernelI14__hip_bfloat16hLN4vllm18Fp8KVCacheDataTypeE1ES0_Li32ELi64ELi256ELb0ELi3EEvPKT_PKT0_S8_ifPKiSA_SA_iPKfiiiPfSD_PS3_PT2_iSC_SC_
__PRETTY_FUNCTION__._Z39paged_attention_ll4mi_QKV_mfma16_kernelI14__hip_bfloat16hLN4vllm18Fp8KVCacheDataTypeE1ES0_Li32ELi64ELi256ELb0ELi3EEvPKT_PKT0_S8_ifPKiSA_SA_iPKfiiiPfSD_PS3_PT2_iSC_SC_:
	.asciz	"void paged_attention_ll4mi_QKV_mfma16_kernel(const scalar_t *__restrict, const cache_t *__restrict, const cache_t *__restrict, const int, const float, const int *__restrict, const int *__restrict, const int *__restrict, const int, const float *__restrict, const int, const int, const int, float *__restrict, float *__restrict, scalar_t *__restrict, OUTT *__restrict, int, const float *, const float *) [scalar_t = __hip_bfloat16, cache_t = unsigned char, KV_DTYPE = vllm::Fp8KVCacheDataType::kFp8E4M3, OUTT = __hip_bfloat16, BLOCK_SIZE = 32, HEAD_SIZE = 64, NUM_THREADS = 256, ALIBI_ENABLED = false, GQA_RATIO = 3]"
	.size	__PRETTY_FUNCTION__._Z39paged_attention_ll4mi_QKV_mfma16_kernelI14__hip_bfloat16hLN4vllm18Fp8KVCacheDataTypeE1ES0_Li32ELi64ELi256ELb0ELi3EEvPKT_PKT0_S8_ifPKiSA_SA_iPKfiiiPfSD_PS3_PT2_iSC_SC_, 615

	.type	__PRETTY_FUNCTION__._Z39paged_attention_ll4mi_QKV_mfma16_kernelI14__hip_bfloat16hLN4vllm18Fp8KVCacheDataTypeE1ES0_Li32ELi64ELi256ELb0ELi4EEvPKT_PKT0_S8_ifPKiSA_SA_iPKfiiiPfSD_PS3_PT2_iSC_SC_,@object ; @__PRETTY_FUNCTION__._Z39paged_attention_ll4mi_QKV_mfma16_kernelI14__hip_bfloat16hLN4vllm18Fp8KVCacheDataTypeE1ES0_Li32ELi64ELi256ELb0ELi4EEvPKT_PKT0_S8_ifPKiSA_SA_iPKfiiiPfSD_PS3_PT2_iSC_SC_
__PRETTY_FUNCTION__._Z39paged_attention_ll4mi_QKV_mfma16_kernelI14__hip_bfloat16hLN4vllm18Fp8KVCacheDataTypeE1ES0_Li32ELi64ELi256ELb0ELi4EEvPKT_PKT0_S8_ifPKiSA_SA_iPKfiiiPfSD_PS3_PT2_iSC_SC_:
	.asciz	"void paged_attention_ll4mi_QKV_mfma16_kernel(const scalar_t *__restrict, const cache_t *__restrict, const cache_t *__restrict, const int, const float, const int *__restrict, const int *__restrict, const int *__restrict, const int, const float *__restrict, const int, const int, const int, float *__restrict, float *__restrict, scalar_t *__restrict, OUTT *__restrict, int, const float *, const float *) [scalar_t = __hip_bfloat16, cache_t = unsigned char, KV_DTYPE = vllm::Fp8KVCacheDataType::kFp8E4M3, OUTT = __hip_bfloat16, BLOCK_SIZE = 32, HEAD_SIZE = 64, NUM_THREADS = 256, ALIBI_ENABLED = false, GQA_RATIO = 4]"
	.size	__PRETTY_FUNCTION__._Z39paged_attention_ll4mi_QKV_mfma16_kernelI14__hip_bfloat16hLN4vllm18Fp8KVCacheDataTypeE1ES0_Li32ELi64ELi256ELb0ELi4EEvPKT_PKT0_S8_ifPKiSA_SA_iPKfiiiPfSD_PS3_PT2_iSC_SC_, 615

	.type	__PRETTY_FUNCTION__._Z38paged_attention_ll4mi_QKV_mfma4_kernelI14__hip_bfloat16hLN4vllm18Fp8KVCacheDataTypeE1EhLi16ELi128ELi256ELb1ELi1EEvPKT_PKT0_S8_ifPKiSA_SA_iPKfiiiPfSD_PS3_PT2_iSC_SC_,@object ; @__PRETTY_FUNCTION__._Z38paged_attention_ll4mi_QKV_mfma4_kernelI14__hip_bfloat16hLN4vllm18Fp8KVCacheDataTypeE1EhLi16ELi128ELi256ELb1ELi1EEvPKT_PKT0_S8_ifPKiSA_SA_iPKfiiiPfSD_PS3_PT2_iSC_SC_
__PRETTY_FUNCTION__._Z38paged_attention_ll4mi_QKV_mfma4_kernelI14__hip_bfloat16hLN4vllm18Fp8KVCacheDataTypeE1EhLi16ELi128ELi256ELb1ELi1EEvPKT_PKT0_S8_ifPKiSA_SA_iPKfiiiPfSD_PS3_PT2_iSC_SC_:
	.asciz	"void paged_attention_ll4mi_QKV_mfma4_kernel(const scalar_t *__restrict, const cache_t *__restrict, const cache_t *__restrict, const int, const float, const int *__restrict, const int *__restrict, const int *__restrict, const int, const float *__restrict, const int, const int, const int, float *__restrict, float *__restrict, scalar_t *__restrict, OUTT *__restrict, int, const float *, const float *) [scalar_t = __hip_bfloat16, cache_t = unsigned char, KV_DTYPE = vllm::Fp8KVCacheDataType::kFp8E4M3, OUTT = unsigned char, BLOCK_SIZE = 16, HEAD_SIZE = 128, NUM_THREADS = 256, ALIBI_ENABLED = true, GQA_RATIO = 1]"
	.size	__PRETTY_FUNCTION__._Z38paged_attention_ll4mi_QKV_mfma4_kernelI14__hip_bfloat16hLN4vllm18Fp8KVCacheDataTypeE1EhLi16ELi128ELi256ELb1ELi1EEvPKT_PKT0_S8_ifPKiSA_SA_iPKfiiiPfSD_PS3_PT2_iSC_SC_, 613

	.type	__PRETTY_FUNCTION__._Z38paged_attention_ll4mi_QKV_mfma4_kernelI14__hip_bfloat16hLN4vllm18Fp8KVCacheDataTypeE1EhLi16ELi128ELi256ELb1ELi2EEvPKT_PKT0_S8_ifPKiSA_SA_iPKfiiiPfSD_PS3_PT2_iSC_SC_,@object ; @__PRETTY_FUNCTION__._Z38paged_attention_ll4mi_QKV_mfma4_kernelI14__hip_bfloat16hLN4vllm18Fp8KVCacheDataTypeE1EhLi16ELi128ELi256ELb1ELi2EEvPKT_PKT0_S8_ifPKiSA_SA_iPKfiiiPfSD_PS3_PT2_iSC_SC_
__PRETTY_FUNCTION__._Z38paged_attention_ll4mi_QKV_mfma4_kernelI14__hip_bfloat16hLN4vllm18Fp8KVCacheDataTypeE1EhLi16ELi128ELi256ELb1ELi2EEvPKT_PKT0_S8_ifPKiSA_SA_iPKfiiiPfSD_PS3_PT2_iSC_SC_:
	.asciz	"void paged_attention_ll4mi_QKV_mfma4_kernel(const scalar_t *__restrict, const cache_t *__restrict, const cache_t *__restrict, const int, const float, const int *__restrict, const int *__restrict, const int *__restrict, const int, const float *__restrict, const int, const int, const int, float *__restrict, float *__restrict, scalar_t *__restrict, OUTT *__restrict, int, const float *, const float *) [scalar_t = __hip_bfloat16, cache_t = unsigned char, KV_DTYPE = vllm::Fp8KVCacheDataType::kFp8E4M3, OUTT = unsigned char, BLOCK_SIZE = 16, HEAD_SIZE = 128, NUM_THREADS = 256, ALIBI_ENABLED = true, GQA_RATIO = 2]"
	.size	__PRETTY_FUNCTION__._Z38paged_attention_ll4mi_QKV_mfma4_kernelI14__hip_bfloat16hLN4vllm18Fp8KVCacheDataTypeE1EhLi16ELi128ELi256ELb1ELi2EEvPKT_PKT0_S8_ifPKiSA_SA_iPKfiiiPfSD_PS3_PT2_iSC_SC_, 613

	.type	__PRETTY_FUNCTION__._Z38paged_attention_ll4mi_QKV_mfma4_kernelI14__hip_bfloat16hLN4vllm18Fp8KVCacheDataTypeE1EhLi16ELi128ELi256ELb1ELi3EEvPKT_PKT0_S8_ifPKiSA_SA_iPKfiiiPfSD_PS3_PT2_iSC_SC_,@object ; @__PRETTY_FUNCTION__._Z38paged_attention_ll4mi_QKV_mfma4_kernelI14__hip_bfloat16hLN4vllm18Fp8KVCacheDataTypeE1EhLi16ELi128ELi256ELb1ELi3EEvPKT_PKT0_S8_ifPKiSA_SA_iPKfiiiPfSD_PS3_PT2_iSC_SC_
__PRETTY_FUNCTION__._Z38paged_attention_ll4mi_QKV_mfma4_kernelI14__hip_bfloat16hLN4vllm18Fp8KVCacheDataTypeE1EhLi16ELi128ELi256ELb1ELi3EEvPKT_PKT0_S8_ifPKiSA_SA_iPKfiiiPfSD_PS3_PT2_iSC_SC_:
	.asciz	"void paged_attention_ll4mi_QKV_mfma4_kernel(const scalar_t *__restrict, const cache_t *__restrict, const cache_t *__restrict, const int, const float, const int *__restrict, const int *__restrict, const int *__restrict, const int, const float *__restrict, const int, const int, const int, float *__restrict, float *__restrict, scalar_t *__restrict, OUTT *__restrict, int, const float *, const float *) [scalar_t = __hip_bfloat16, cache_t = unsigned char, KV_DTYPE = vllm::Fp8KVCacheDataType::kFp8E4M3, OUTT = unsigned char, BLOCK_SIZE = 16, HEAD_SIZE = 128, NUM_THREADS = 256, ALIBI_ENABLED = true, GQA_RATIO = 3]"
	.size	__PRETTY_FUNCTION__._Z38paged_attention_ll4mi_QKV_mfma4_kernelI14__hip_bfloat16hLN4vllm18Fp8KVCacheDataTypeE1EhLi16ELi128ELi256ELb1ELi3EEvPKT_PKT0_S8_ifPKiSA_SA_iPKfiiiPfSD_PS3_PT2_iSC_SC_, 613

	.type	__PRETTY_FUNCTION__._Z38paged_attention_ll4mi_QKV_mfma4_kernelI14__hip_bfloat16hLN4vllm18Fp8KVCacheDataTypeE1EhLi16ELi128ELi256ELb1ELi4EEvPKT_PKT0_S8_ifPKiSA_SA_iPKfiiiPfSD_PS3_PT2_iSC_SC_,@object ; @__PRETTY_FUNCTION__._Z38paged_attention_ll4mi_QKV_mfma4_kernelI14__hip_bfloat16hLN4vllm18Fp8KVCacheDataTypeE1EhLi16ELi128ELi256ELb1ELi4EEvPKT_PKT0_S8_ifPKiSA_SA_iPKfiiiPfSD_PS3_PT2_iSC_SC_
__PRETTY_FUNCTION__._Z38paged_attention_ll4mi_QKV_mfma4_kernelI14__hip_bfloat16hLN4vllm18Fp8KVCacheDataTypeE1EhLi16ELi128ELi256ELb1ELi4EEvPKT_PKT0_S8_ifPKiSA_SA_iPKfiiiPfSD_PS3_PT2_iSC_SC_:
	.asciz	"void paged_attention_ll4mi_QKV_mfma4_kernel(const scalar_t *__restrict, const cache_t *__restrict, const cache_t *__restrict, const int, const float, const int *__restrict, const int *__restrict, const int *__restrict, const int, const float *__restrict, const int, const int, const int, float *__restrict, float *__restrict, scalar_t *__restrict, OUTT *__restrict, int, const float *, const float *) [scalar_t = __hip_bfloat16, cache_t = unsigned char, KV_DTYPE = vllm::Fp8KVCacheDataType::kFp8E4M3, OUTT = unsigned char, BLOCK_SIZE = 16, HEAD_SIZE = 128, NUM_THREADS = 256, ALIBI_ENABLED = true, GQA_RATIO = 4]"
	.size	__PRETTY_FUNCTION__._Z38paged_attention_ll4mi_QKV_mfma4_kernelI14__hip_bfloat16hLN4vllm18Fp8KVCacheDataTypeE1EhLi16ELi128ELi256ELb1ELi4EEvPKT_PKT0_S8_ifPKiSA_SA_iPKfiiiPfSD_PS3_PT2_iSC_SC_, 613

	.type	__PRETTY_FUNCTION__._Z39paged_attention_ll4mi_QKV_mfma16_kernelI14__hip_bfloat16hLN4vllm18Fp8KVCacheDataTypeE1EhLi16ELi128ELi256ELb1ELi5EEvPKT_PKT0_S8_ifPKiSA_SA_iPKfiiiPfSD_PS3_PT2_iSC_SC_,@object ; @__PRETTY_FUNCTION__._Z39paged_attention_ll4mi_QKV_mfma16_kernelI14__hip_bfloat16hLN4vllm18Fp8KVCacheDataTypeE1EhLi16ELi128ELi256ELb1ELi5EEvPKT_PKT0_S8_ifPKiSA_SA_iPKfiiiPfSD_PS3_PT2_iSC_SC_
__PRETTY_FUNCTION__._Z39paged_attention_ll4mi_QKV_mfma16_kernelI14__hip_bfloat16hLN4vllm18Fp8KVCacheDataTypeE1EhLi16ELi128ELi256ELb1ELi5EEvPKT_PKT0_S8_ifPKiSA_SA_iPKfiiiPfSD_PS3_PT2_iSC_SC_:
	.asciz	"void paged_attention_ll4mi_QKV_mfma16_kernel(const scalar_t *__restrict, const cache_t *__restrict, const cache_t *__restrict, const int, const float, const int *__restrict, const int *__restrict, const int *__restrict, const int, const float *__restrict, const int, const int, const int, float *__restrict, float *__restrict, scalar_t *__restrict, OUTT *__restrict, int, const float *, const float *) [scalar_t = __hip_bfloat16, cache_t = unsigned char, KV_DTYPE = vllm::Fp8KVCacheDataType::kFp8E4M3, OUTT = unsigned char, BLOCK_SIZE = 16, HEAD_SIZE = 128, NUM_THREADS = 256, ALIBI_ENABLED = true, GQA_RATIO = 5]"
	.size	__PRETTY_FUNCTION__._Z39paged_attention_ll4mi_QKV_mfma16_kernelI14__hip_bfloat16hLN4vllm18Fp8KVCacheDataTypeE1EhLi16ELi128ELi256ELb1ELi5EEvPKT_PKT0_S8_ifPKiSA_SA_iPKfiiiPfSD_PS3_PT2_iSC_SC_, 614

	.type	__PRETTY_FUNCTION__._Z39paged_attention_ll4mi_QKV_mfma16_kernelI14__hip_bfloat16hLN4vllm18Fp8KVCacheDataTypeE1EhLi16ELi128ELi256ELb1ELi6EEvPKT_PKT0_S8_ifPKiSA_SA_iPKfiiiPfSD_PS3_PT2_iSC_SC_,@object ; @__PRETTY_FUNCTION__._Z39paged_attention_ll4mi_QKV_mfma16_kernelI14__hip_bfloat16hLN4vllm18Fp8KVCacheDataTypeE1EhLi16ELi128ELi256ELb1ELi6EEvPKT_PKT0_S8_ifPKiSA_SA_iPKfiiiPfSD_PS3_PT2_iSC_SC_
__PRETTY_FUNCTION__._Z39paged_attention_ll4mi_QKV_mfma16_kernelI14__hip_bfloat16hLN4vllm18Fp8KVCacheDataTypeE1EhLi16ELi128ELi256ELb1ELi6EEvPKT_PKT0_S8_ifPKiSA_SA_iPKfiiiPfSD_PS3_PT2_iSC_SC_:
	.asciz	"void paged_attention_ll4mi_QKV_mfma16_kernel(const scalar_t *__restrict, const cache_t *__restrict, const cache_t *__restrict, const int, const float, const int *__restrict, const int *__restrict, const int *__restrict, const int, const float *__restrict, const int, const int, const int, float *__restrict, float *__restrict, scalar_t *__restrict, OUTT *__restrict, int, const float *, const float *) [scalar_t = __hip_bfloat16, cache_t = unsigned char, KV_DTYPE = vllm::Fp8KVCacheDataType::kFp8E4M3, OUTT = unsigned char, BLOCK_SIZE = 16, HEAD_SIZE = 128, NUM_THREADS = 256, ALIBI_ENABLED = true, GQA_RATIO = 6]"
	.size	__PRETTY_FUNCTION__._Z39paged_attention_ll4mi_QKV_mfma16_kernelI14__hip_bfloat16hLN4vllm18Fp8KVCacheDataTypeE1EhLi16ELi128ELi256ELb1ELi6EEvPKT_PKT0_S8_ifPKiSA_SA_iPKfiiiPfSD_PS3_PT2_iSC_SC_, 614

	.type	__PRETTY_FUNCTION__._Z39paged_attention_ll4mi_QKV_mfma16_kernelI14__hip_bfloat16hLN4vllm18Fp8KVCacheDataTypeE1EhLi16ELi128ELi256ELb1ELi7EEvPKT_PKT0_S8_ifPKiSA_SA_iPKfiiiPfSD_PS3_PT2_iSC_SC_,@object ; @__PRETTY_FUNCTION__._Z39paged_attention_ll4mi_QKV_mfma16_kernelI14__hip_bfloat16hLN4vllm18Fp8KVCacheDataTypeE1EhLi16ELi128ELi256ELb1ELi7EEvPKT_PKT0_S8_ifPKiSA_SA_iPKfiiiPfSD_PS3_PT2_iSC_SC_
__PRETTY_FUNCTION__._Z39paged_attention_ll4mi_QKV_mfma16_kernelI14__hip_bfloat16hLN4vllm18Fp8KVCacheDataTypeE1EhLi16ELi128ELi256ELb1ELi7EEvPKT_PKT0_S8_ifPKiSA_SA_iPKfiiiPfSD_PS3_PT2_iSC_SC_:
	.asciz	"void paged_attention_ll4mi_QKV_mfma16_kernel(const scalar_t *__restrict, const cache_t *__restrict, const cache_t *__restrict, const int, const float, const int *__restrict, const int *__restrict, const int *__restrict, const int, const float *__restrict, const int, const int, const int, float *__restrict, float *__restrict, scalar_t *__restrict, OUTT *__restrict, int, const float *, const float *) [scalar_t = __hip_bfloat16, cache_t = unsigned char, KV_DTYPE = vllm::Fp8KVCacheDataType::kFp8E4M3, OUTT = unsigned char, BLOCK_SIZE = 16, HEAD_SIZE = 128, NUM_THREADS = 256, ALIBI_ENABLED = true, GQA_RATIO = 7]"
	.size	__PRETTY_FUNCTION__._Z39paged_attention_ll4mi_QKV_mfma16_kernelI14__hip_bfloat16hLN4vllm18Fp8KVCacheDataTypeE1EhLi16ELi128ELi256ELb1ELi7EEvPKT_PKT0_S8_ifPKiSA_SA_iPKfiiiPfSD_PS3_PT2_iSC_SC_, 614

	.type	__PRETTY_FUNCTION__._Z39paged_attention_ll4mi_QKV_mfma16_kernelI14__hip_bfloat16hLN4vllm18Fp8KVCacheDataTypeE1EhLi16ELi128ELi256ELb1ELi8EEvPKT_PKT0_S8_ifPKiSA_SA_iPKfiiiPfSD_PS3_PT2_iSC_SC_,@object ; @__PRETTY_FUNCTION__._Z39paged_attention_ll4mi_QKV_mfma16_kernelI14__hip_bfloat16hLN4vllm18Fp8KVCacheDataTypeE1EhLi16ELi128ELi256ELb1ELi8EEvPKT_PKT0_S8_ifPKiSA_SA_iPKfiiiPfSD_PS3_PT2_iSC_SC_
__PRETTY_FUNCTION__._Z39paged_attention_ll4mi_QKV_mfma16_kernelI14__hip_bfloat16hLN4vllm18Fp8KVCacheDataTypeE1EhLi16ELi128ELi256ELb1ELi8EEvPKT_PKT0_S8_ifPKiSA_SA_iPKfiiiPfSD_PS3_PT2_iSC_SC_:
	.asciz	"void paged_attention_ll4mi_QKV_mfma16_kernel(const scalar_t *__restrict, const cache_t *__restrict, const cache_t *__restrict, const int, const float, const int *__restrict, const int *__restrict, const int *__restrict, const int, const float *__restrict, const int, const int, const int, float *__restrict, float *__restrict, scalar_t *__restrict, OUTT *__restrict, int, const float *, const float *) [scalar_t = __hip_bfloat16, cache_t = unsigned char, KV_DTYPE = vllm::Fp8KVCacheDataType::kFp8E4M3, OUTT = unsigned char, BLOCK_SIZE = 16, HEAD_SIZE = 128, NUM_THREADS = 256, ALIBI_ENABLED = true, GQA_RATIO = 8]"
	.size	__PRETTY_FUNCTION__._Z39paged_attention_ll4mi_QKV_mfma16_kernelI14__hip_bfloat16hLN4vllm18Fp8KVCacheDataTypeE1EhLi16ELi128ELi256ELb1ELi8EEvPKT_PKT0_S8_ifPKiSA_SA_iPKfiiiPfSD_PS3_PT2_iSC_SC_, 614

	.type	__PRETTY_FUNCTION__._Z39paged_attention_ll4mi_QKV_mfma16_kernelI14__hip_bfloat16hLN4vllm18Fp8KVCacheDataTypeE1EhLi16ELi128ELi256ELb1ELi9EEvPKT_PKT0_S8_ifPKiSA_SA_iPKfiiiPfSD_PS3_PT2_iSC_SC_,@object ; @__PRETTY_FUNCTION__._Z39paged_attention_ll4mi_QKV_mfma16_kernelI14__hip_bfloat16hLN4vllm18Fp8KVCacheDataTypeE1EhLi16ELi128ELi256ELb1ELi9EEvPKT_PKT0_S8_ifPKiSA_SA_iPKfiiiPfSD_PS3_PT2_iSC_SC_
__PRETTY_FUNCTION__._Z39paged_attention_ll4mi_QKV_mfma16_kernelI14__hip_bfloat16hLN4vllm18Fp8KVCacheDataTypeE1EhLi16ELi128ELi256ELb1ELi9EEvPKT_PKT0_S8_ifPKiSA_SA_iPKfiiiPfSD_PS3_PT2_iSC_SC_:
	.asciz	"void paged_attention_ll4mi_QKV_mfma16_kernel(const scalar_t *__restrict, const cache_t *__restrict, const cache_t *__restrict, const int, const float, const int *__restrict, const int *__restrict, const int *__restrict, const int, const float *__restrict, const int, const int, const int, float *__restrict, float *__restrict, scalar_t *__restrict, OUTT *__restrict, int, const float *, const float *) [scalar_t = __hip_bfloat16, cache_t = unsigned char, KV_DTYPE = vllm::Fp8KVCacheDataType::kFp8E4M3, OUTT = unsigned char, BLOCK_SIZE = 16, HEAD_SIZE = 128, NUM_THREADS = 256, ALIBI_ENABLED = true, GQA_RATIO = 9]"
	.size	__PRETTY_FUNCTION__._Z39paged_attention_ll4mi_QKV_mfma16_kernelI14__hip_bfloat16hLN4vllm18Fp8KVCacheDataTypeE1EhLi16ELi128ELi256ELb1ELi9EEvPKT_PKT0_S8_ifPKiSA_SA_iPKfiiiPfSD_PS3_PT2_iSC_SC_, 614

	.type	__PRETTY_FUNCTION__._Z39paged_attention_ll4mi_QKV_mfma16_kernelI14__hip_bfloat16hLN4vllm18Fp8KVCacheDataTypeE1EhLi16ELi128ELi256ELb1ELi10EEvPKT_PKT0_S8_ifPKiSA_SA_iPKfiiiPfSD_PS3_PT2_iSC_SC_,@object ; @__PRETTY_FUNCTION__._Z39paged_attention_ll4mi_QKV_mfma16_kernelI14__hip_bfloat16hLN4vllm18Fp8KVCacheDataTypeE1EhLi16ELi128ELi256ELb1ELi10EEvPKT_PKT0_S8_ifPKiSA_SA_iPKfiiiPfSD_PS3_PT2_iSC_SC_
__PRETTY_FUNCTION__._Z39paged_attention_ll4mi_QKV_mfma16_kernelI14__hip_bfloat16hLN4vllm18Fp8KVCacheDataTypeE1EhLi16ELi128ELi256ELb1ELi10EEvPKT_PKT0_S8_ifPKiSA_SA_iPKfiiiPfSD_PS3_PT2_iSC_SC_:
	.asciz	"void paged_attention_ll4mi_QKV_mfma16_kernel(const scalar_t *__restrict, const cache_t *__restrict, const cache_t *__restrict, const int, const float, const int *__restrict, const int *__restrict, const int *__restrict, const int, const float *__restrict, const int, const int, const int, float *__restrict, float *__restrict, scalar_t *__restrict, OUTT *__restrict, int, const float *, const float *) [scalar_t = __hip_bfloat16, cache_t = unsigned char, KV_DTYPE = vllm::Fp8KVCacheDataType::kFp8E4M3, OUTT = unsigned char, BLOCK_SIZE = 16, HEAD_SIZE = 128, NUM_THREADS = 256, ALIBI_ENABLED = true, GQA_RATIO = 10]"
	.size	__PRETTY_FUNCTION__._Z39paged_attention_ll4mi_QKV_mfma16_kernelI14__hip_bfloat16hLN4vllm18Fp8KVCacheDataTypeE1EhLi16ELi128ELi256ELb1ELi10EEvPKT_PKT0_S8_ifPKiSA_SA_iPKfiiiPfSD_PS3_PT2_iSC_SC_, 615

	.type	__PRETTY_FUNCTION__._Z39paged_attention_ll4mi_QKV_mfma16_kernelI14__hip_bfloat16hLN4vllm18Fp8KVCacheDataTypeE1EhLi16ELi128ELi256ELb1ELi11EEvPKT_PKT0_S8_ifPKiSA_SA_iPKfiiiPfSD_PS3_PT2_iSC_SC_,@object ; @__PRETTY_FUNCTION__._Z39paged_attention_ll4mi_QKV_mfma16_kernelI14__hip_bfloat16hLN4vllm18Fp8KVCacheDataTypeE1EhLi16ELi128ELi256ELb1ELi11EEvPKT_PKT0_S8_ifPKiSA_SA_iPKfiiiPfSD_PS3_PT2_iSC_SC_
__PRETTY_FUNCTION__._Z39paged_attention_ll4mi_QKV_mfma16_kernelI14__hip_bfloat16hLN4vllm18Fp8KVCacheDataTypeE1EhLi16ELi128ELi256ELb1ELi11EEvPKT_PKT0_S8_ifPKiSA_SA_iPKfiiiPfSD_PS3_PT2_iSC_SC_:
	.asciz	"void paged_attention_ll4mi_QKV_mfma16_kernel(const scalar_t *__restrict, const cache_t *__restrict, const cache_t *__restrict, const int, const float, const int *__restrict, const int *__restrict, const int *__restrict, const int, const float *__restrict, const int, const int, const int, float *__restrict, float *__restrict, scalar_t *__restrict, OUTT *__restrict, int, const float *, const float *) [scalar_t = __hip_bfloat16, cache_t = unsigned char, KV_DTYPE = vllm::Fp8KVCacheDataType::kFp8E4M3, OUTT = unsigned char, BLOCK_SIZE = 16, HEAD_SIZE = 128, NUM_THREADS = 256, ALIBI_ENABLED = true, GQA_RATIO = 11]"
	.size	__PRETTY_FUNCTION__._Z39paged_attention_ll4mi_QKV_mfma16_kernelI14__hip_bfloat16hLN4vllm18Fp8KVCacheDataTypeE1EhLi16ELi128ELi256ELb1ELi11EEvPKT_PKT0_S8_ifPKiSA_SA_iPKfiiiPfSD_PS3_PT2_iSC_SC_, 615

	.type	__PRETTY_FUNCTION__._Z39paged_attention_ll4mi_QKV_mfma16_kernelI14__hip_bfloat16hLN4vllm18Fp8KVCacheDataTypeE1EhLi16ELi128ELi256ELb1ELi12EEvPKT_PKT0_S8_ifPKiSA_SA_iPKfiiiPfSD_PS3_PT2_iSC_SC_,@object ; @__PRETTY_FUNCTION__._Z39paged_attention_ll4mi_QKV_mfma16_kernelI14__hip_bfloat16hLN4vllm18Fp8KVCacheDataTypeE1EhLi16ELi128ELi256ELb1ELi12EEvPKT_PKT0_S8_ifPKiSA_SA_iPKfiiiPfSD_PS3_PT2_iSC_SC_
__PRETTY_FUNCTION__._Z39paged_attention_ll4mi_QKV_mfma16_kernelI14__hip_bfloat16hLN4vllm18Fp8KVCacheDataTypeE1EhLi16ELi128ELi256ELb1ELi12EEvPKT_PKT0_S8_ifPKiSA_SA_iPKfiiiPfSD_PS3_PT2_iSC_SC_:
	.asciz	"void paged_attention_ll4mi_QKV_mfma16_kernel(const scalar_t *__restrict, const cache_t *__restrict, const cache_t *__restrict, const int, const float, const int *__restrict, const int *__restrict, const int *__restrict, const int, const float *__restrict, const int, const int, const int, float *__restrict, float *__restrict, scalar_t *__restrict, OUTT *__restrict, int, const float *, const float *) [scalar_t = __hip_bfloat16, cache_t = unsigned char, KV_DTYPE = vllm::Fp8KVCacheDataType::kFp8E4M3, OUTT = unsigned char, BLOCK_SIZE = 16, HEAD_SIZE = 128, NUM_THREADS = 256, ALIBI_ENABLED = true, GQA_RATIO = 12]"
	.size	__PRETTY_FUNCTION__._Z39paged_attention_ll4mi_QKV_mfma16_kernelI14__hip_bfloat16hLN4vllm18Fp8KVCacheDataTypeE1EhLi16ELi128ELi256ELb1ELi12EEvPKT_PKT0_S8_ifPKiSA_SA_iPKfiiiPfSD_PS3_PT2_iSC_SC_, 615

	.type	__PRETTY_FUNCTION__._Z39paged_attention_ll4mi_QKV_mfma16_kernelI14__hip_bfloat16hLN4vllm18Fp8KVCacheDataTypeE1EhLi16ELi128ELi256ELb1ELi13EEvPKT_PKT0_S8_ifPKiSA_SA_iPKfiiiPfSD_PS3_PT2_iSC_SC_,@object ; @__PRETTY_FUNCTION__._Z39paged_attention_ll4mi_QKV_mfma16_kernelI14__hip_bfloat16hLN4vllm18Fp8KVCacheDataTypeE1EhLi16ELi128ELi256ELb1ELi13EEvPKT_PKT0_S8_ifPKiSA_SA_iPKfiiiPfSD_PS3_PT2_iSC_SC_
__PRETTY_FUNCTION__._Z39paged_attention_ll4mi_QKV_mfma16_kernelI14__hip_bfloat16hLN4vllm18Fp8KVCacheDataTypeE1EhLi16ELi128ELi256ELb1ELi13EEvPKT_PKT0_S8_ifPKiSA_SA_iPKfiiiPfSD_PS3_PT2_iSC_SC_:
	.asciz	"void paged_attention_ll4mi_QKV_mfma16_kernel(const scalar_t *__restrict, const cache_t *__restrict, const cache_t *__restrict, const int, const float, const int *__restrict, const int *__restrict, const int *__restrict, const int, const float *__restrict, const int, const int, const int, float *__restrict, float *__restrict, scalar_t *__restrict, OUTT *__restrict, int, const float *, const float *) [scalar_t = __hip_bfloat16, cache_t = unsigned char, KV_DTYPE = vllm::Fp8KVCacheDataType::kFp8E4M3, OUTT = unsigned char, BLOCK_SIZE = 16, HEAD_SIZE = 128, NUM_THREADS = 256, ALIBI_ENABLED = true, GQA_RATIO = 13]"
	.size	__PRETTY_FUNCTION__._Z39paged_attention_ll4mi_QKV_mfma16_kernelI14__hip_bfloat16hLN4vllm18Fp8KVCacheDataTypeE1EhLi16ELi128ELi256ELb1ELi13EEvPKT_PKT0_S8_ifPKiSA_SA_iPKfiiiPfSD_PS3_PT2_iSC_SC_, 615

	.type	__PRETTY_FUNCTION__._Z39paged_attention_ll4mi_QKV_mfma16_kernelI14__hip_bfloat16hLN4vllm18Fp8KVCacheDataTypeE1EhLi16ELi128ELi256ELb1ELi14EEvPKT_PKT0_S8_ifPKiSA_SA_iPKfiiiPfSD_PS3_PT2_iSC_SC_,@object ; @__PRETTY_FUNCTION__._Z39paged_attention_ll4mi_QKV_mfma16_kernelI14__hip_bfloat16hLN4vllm18Fp8KVCacheDataTypeE1EhLi16ELi128ELi256ELb1ELi14EEvPKT_PKT0_S8_ifPKiSA_SA_iPKfiiiPfSD_PS3_PT2_iSC_SC_
__PRETTY_FUNCTION__._Z39paged_attention_ll4mi_QKV_mfma16_kernelI14__hip_bfloat16hLN4vllm18Fp8KVCacheDataTypeE1EhLi16ELi128ELi256ELb1ELi14EEvPKT_PKT0_S8_ifPKiSA_SA_iPKfiiiPfSD_PS3_PT2_iSC_SC_:
	.asciz	"void paged_attention_ll4mi_QKV_mfma16_kernel(const scalar_t *__restrict, const cache_t *__restrict, const cache_t *__restrict, const int, const float, const int *__restrict, const int *__restrict, const int *__restrict, const int, const float *__restrict, const int, const int, const int, float *__restrict, float *__restrict, scalar_t *__restrict, OUTT *__restrict, int, const float *, const float *) [scalar_t = __hip_bfloat16, cache_t = unsigned char, KV_DTYPE = vllm::Fp8KVCacheDataType::kFp8E4M3, OUTT = unsigned char, BLOCK_SIZE = 16, HEAD_SIZE = 128, NUM_THREADS = 256, ALIBI_ENABLED = true, GQA_RATIO = 14]"
	.size	__PRETTY_FUNCTION__._Z39paged_attention_ll4mi_QKV_mfma16_kernelI14__hip_bfloat16hLN4vllm18Fp8KVCacheDataTypeE1EhLi16ELi128ELi256ELb1ELi14EEvPKT_PKT0_S8_ifPKiSA_SA_iPKfiiiPfSD_PS3_PT2_iSC_SC_, 615

	.type	__PRETTY_FUNCTION__._Z39paged_attention_ll4mi_QKV_mfma16_kernelI14__hip_bfloat16hLN4vllm18Fp8KVCacheDataTypeE1EhLi16ELi128ELi256ELb1ELi15EEvPKT_PKT0_S8_ifPKiSA_SA_iPKfiiiPfSD_PS3_PT2_iSC_SC_,@object ; @__PRETTY_FUNCTION__._Z39paged_attention_ll4mi_QKV_mfma16_kernelI14__hip_bfloat16hLN4vllm18Fp8KVCacheDataTypeE1EhLi16ELi128ELi256ELb1ELi15EEvPKT_PKT0_S8_ifPKiSA_SA_iPKfiiiPfSD_PS3_PT2_iSC_SC_
__PRETTY_FUNCTION__._Z39paged_attention_ll4mi_QKV_mfma16_kernelI14__hip_bfloat16hLN4vllm18Fp8KVCacheDataTypeE1EhLi16ELi128ELi256ELb1ELi15EEvPKT_PKT0_S8_ifPKiSA_SA_iPKfiiiPfSD_PS3_PT2_iSC_SC_:
	.asciz	"void paged_attention_ll4mi_QKV_mfma16_kernel(const scalar_t *__restrict, const cache_t *__restrict, const cache_t *__restrict, const int, const float, const int *__restrict, const int *__restrict, const int *__restrict, const int, const float *__restrict, const int, const int, const int, float *__restrict, float *__restrict, scalar_t *__restrict, OUTT *__restrict, int, const float *, const float *) [scalar_t = __hip_bfloat16, cache_t = unsigned char, KV_DTYPE = vllm::Fp8KVCacheDataType::kFp8E4M3, OUTT = unsigned char, BLOCK_SIZE = 16, HEAD_SIZE = 128, NUM_THREADS = 256, ALIBI_ENABLED = true, GQA_RATIO = 15]"
	.size	__PRETTY_FUNCTION__._Z39paged_attention_ll4mi_QKV_mfma16_kernelI14__hip_bfloat16hLN4vllm18Fp8KVCacheDataTypeE1EhLi16ELi128ELi256ELb1ELi15EEvPKT_PKT0_S8_ifPKiSA_SA_iPKfiiiPfSD_PS3_PT2_iSC_SC_, 615

	.type	__PRETTY_FUNCTION__._Z39paged_attention_ll4mi_QKV_mfma16_kernelI14__hip_bfloat16hLN4vllm18Fp8KVCacheDataTypeE1EhLi16ELi128ELi256ELb1ELi16EEvPKT_PKT0_S8_ifPKiSA_SA_iPKfiiiPfSD_PS3_PT2_iSC_SC_,@object ; @__PRETTY_FUNCTION__._Z39paged_attention_ll4mi_QKV_mfma16_kernelI14__hip_bfloat16hLN4vllm18Fp8KVCacheDataTypeE1EhLi16ELi128ELi256ELb1ELi16EEvPKT_PKT0_S8_ifPKiSA_SA_iPKfiiiPfSD_PS3_PT2_iSC_SC_
__PRETTY_FUNCTION__._Z39paged_attention_ll4mi_QKV_mfma16_kernelI14__hip_bfloat16hLN4vllm18Fp8KVCacheDataTypeE1EhLi16ELi128ELi256ELb1ELi16EEvPKT_PKT0_S8_ifPKiSA_SA_iPKfiiiPfSD_PS3_PT2_iSC_SC_:
	.asciz	"void paged_attention_ll4mi_QKV_mfma16_kernel(const scalar_t *__restrict, const cache_t *__restrict, const cache_t *__restrict, const int, const float, const int *__restrict, const int *__restrict, const int *__restrict, const int, const float *__restrict, const int, const int, const int, float *__restrict, float *__restrict, scalar_t *__restrict, OUTT *__restrict, int, const float *, const float *) [scalar_t = __hip_bfloat16, cache_t = unsigned char, KV_DTYPE = vllm::Fp8KVCacheDataType::kFp8E4M3, OUTT = unsigned char, BLOCK_SIZE = 16, HEAD_SIZE = 128, NUM_THREADS = 256, ALIBI_ENABLED = true, GQA_RATIO = 16]"
	.size	__PRETTY_FUNCTION__._Z39paged_attention_ll4mi_QKV_mfma16_kernelI14__hip_bfloat16hLN4vllm18Fp8KVCacheDataTypeE1EhLi16ELi128ELi256ELb1ELi16EEvPKT_PKT0_S8_ifPKiSA_SA_iPKfiiiPfSD_PS3_PT2_iSC_SC_, 615

	.type	__PRETTY_FUNCTION__._Z39paged_attention_ll4mi_QKV_mfma16_kernelI14__hip_bfloat16hLN4vllm18Fp8KVCacheDataTypeE1EhLi16ELi128ELi256ELb1ELi1EEvPKT_PKT0_S8_ifPKiSA_SA_iPKfiiiPfSD_PS3_PT2_iSC_SC_,@object ; @__PRETTY_FUNCTION__._Z39paged_attention_ll4mi_QKV_mfma16_kernelI14__hip_bfloat16hLN4vllm18Fp8KVCacheDataTypeE1EhLi16ELi128ELi256ELb1ELi1EEvPKT_PKT0_S8_ifPKiSA_SA_iPKfiiiPfSD_PS3_PT2_iSC_SC_
__PRETTY_FUNCTION__._Z39paged_attention_ll4mi_QKV_mfma16_kernelI14__hip_bfloat16hLN4vllm18Fp8KVCacheDataTypeE1EhLi16ELi128ELi256ELb1ELi1EEvPKT_PKT0_S8_ifPKiSA_SA_iPKfiiiPfSD_PS3_PT2_iSC_SC_:
	.asciz	"void paged_attention_ll4mi_QKV_mfma16_kernel(const scalar_t *__restrict, const cache_t *__restrict, const cache_t *__restrict, const int, const float, const int *__restrict, const int *__restrict, const int *__restrict, const int, const float *__restrict, const int, const int, const int, float *__restrict, float *__restrict, scalar_t *__restrict, OUTT *__restrict, int, const float *, const float *) [scalar_t = __hip_bfloat16, cache_t = unsigned char, KV_DTYPE = vllm::Fp8KVCacheDataType::kFp8E4M3, OUTT = unsigned char, BLOCK_SIZE = 16, HEAD_SIZE = 128, NUM_THREADS = 256, ALIBI_ENABLED = true, GQA_RATIO = 1]"
	.size	__PRETTY_FUNCTION__._Z39paged_attention_ll4mi_QKV_mfma16_kernelI14__hip_bfloat16hLN4vllm18Fp8KVCacheDataTypeE1EhLi16ELi128ELi256ELb1ELi1EEvPKT_PKT0_S8_ifPKiSA_SA_iPKfiiiPfSD_PS3_PT2_iSC_SC_, 614

	.type	__PRETTY_FUNCTION__._Z39paged_attention_ll4mi_QKV_mfma16_kernelI14__hip_bfloat16hLN4vllm18Fp8KVCacheDataTypeE1EhLi16ELi128ELi256ELb1ELi2EEvPKT_PKT0_S8_ifPKiSA_SA_iPKfiiiPfSD_PS3_PT2_iSC_SC_,@object ; @__PRETTY_FUNCTION__._Z39paged_attention_ll4mi_QKV_mfma16_kernelI14__hip_bfloat16hLN4vllm18Fp8KVCacheDataTypeE1EhLi16ELi128ELi256ELb1ELi2EEvPKT_PKT0_S8_ifPKiSA_SA_iPKfiiiPfSD_PS3_PT2_iSC_SC_
__PRETTY_FUNCTION__._Z39paged_attention_ll4mi_QKV_mfma16_kernelI14__hip_bfloat16hLN4vllm18Fp8KVCacheDataTypeE1EhLi16ELi128ELi256ELb1ELi2EEvPKT_PKT0_S8_ifPKiSA_SA_iPKfiiiPfSD_PS3_PT2_iSC_SC_:
	.asciz	"void paged_attention_ll4mi_QKV_mfma16_kernel(const scalar_t *__restrict, const cache_t *__restrict, const cache_t *__restrict, const int, const float, const int *__restrict, const int *__restrict, const int *__restrict, const int, const float *__restrict, const int, const int, const int, float *__restrict, float *__restrict, scalar_t *__restrict, OUTT *__restrict, int, const float *, const float *) [scalar_t = __hip_bfloat16, cache_t = unsigned char, KV_DTYPE = vllm::Fp8KVCacheDataType::kFp8E4M3, OUTT = unsigned char, BLOCK_SIZE = 16, HEAD_SIZE = 128, NUM_THREADS = 256, ALIBI_ENABLED = true, GQA_RATIO = 2]"
	.size	__PRETTY_FUNCTION__._Z39paged_attention_ll4mi_QKV_mfma16_kernelI14__hip_bfloat16hLN4vllm18Fp8KVCacheDataTypeE1EhLi16ELi128ELi256ELb1ELi2EEvPKT_PKT0_S8_ifPKiSA_SA_iPKfiiiPfSD_PS3_PT2_iSC_SC_, 614

	.type	__PRETTY_FUNCTION__._Z39paged_attention_ll4mi_QKV_mfma16_kernelI14__hip_bfloat16hLN4vllm18Fp8KVCacheDataTypeE1EhLi16ELi128ELi256ELb1ELi3EEvPKT_PKT0_S8_ifPKiSA_SA_iPKfiiiPfSD_PS3_PT2_iSC_SC_,@object ; @__PRETTY_FUNCTION__._Z39paged_attention_ll4mi_QKV_mfma16_kernelI14__hip_bfloat16hLN4vllm18Fp8KVCacheDataTypeE1EhLi16ELi128ELi256ELb1ELi3EEvPKT_PKT0_S8_ifPKiSA_SA_iPKfiiiPfSD_PS3_PT2_iSC_SC_
__PRETTY_FUNCTION__._Z39paged_attention_ll4mi_QKV_mfma16_kernelI14__hip_bfloat16hLN4vllm18Fp8KVCacheDataTypeE1EhLi16ELi128ELi256ELb1ELi3EEvPKT_PKT0_S8_ifPKiSA_SA_iPKfiiiPfSD_PS3_PT2_iSC_SC_:
	.asciz	"void paged_attention_ll4mi_QKV_mfma16_kernel(const scalar_t *__restrict, const cache_t *__restrict, const cache_t *__restrict, const int, const float, const int *__restrict, const int *__restrict, const int *__restrict, const int, const float *__restrict, const int, const int, const int, float *__restrict, float *__restrict, scalar_t *__restrict, OUTT *__restrict, int, const float *, const float *) [scalar_t = __hip_bfloat16, cache_t = unsigned char, KV_DTYPE = vllm::Fp8KVCacheDataType::kFp8E4M3, OUTT = unsigned char, BLOCK_SIZE = 16, HEAD_SIZE = 128, NUM_THREADS = 256, ALIBI_ENABLED = true, GQA_RATIO = 3]"
	.size	__PRETTY_FUNCTION__._Z39paged_attention_ll4mi_QKV_mfma16_kernelI14__hip_bfloat16hLN4vllm18Fp8KVCacheDataTypeE1EhLi16ELi128ELi256ELb1ELi3EEvPKT_PKT0_S8_ifPKiSA_SA_iPKfiiiPfSD_PS3_PT2_iSC_SC_, 614

	.type	__PRETTY_FUNCTION__._Z39paged_attention_ll4mi_QKV_mfma16_kernelI14__hip_bfloat16hLN4vllm18Fp8KVCacheDataTypeE1EhLi16ELi128ELi256ELb1ELi4EEvPKT_PKT0_S8_ifPKiSA_SA_iPKfiiiPfSD_PS3_PT2_iSC_SC_,@object ; @__PRETTY_FUNCTION__._Z39paged_attention_ll4mi_QKV_mfma16_kernelI14__hip_bfloat16hLN4vllm18Fp8KVCacheDataTypeE1EhLi16ELi128ELi256ELb1ELi4EEvPKT_PKT0_S8_ifPKiSA_SA_iPKfiiiPfSD_PS3_PT2_iSC_SC_
__PRETTY_FUNCTION__._Z39paged_attention_ll4mi_QKV_mfma16_kernelI14__hip_bfloat16hLN4vllm18Fp8KVCacheDataTypeE1EhLi16ELi128ELi256ELb1ELi4EEvPKT_PKT0_S8_ifPKiSA_SA_iPKfiiiPfSD_PS3_PT2_iSC_SC_:
	.asciz	"void paged_attention_ll4mi_QKV_mfma16_kernel(const scalar_t *__restrict, const cache_t *__restrict, const cache_t *__restrict, const int, const float, const int *__restrict, const int *__restrict, const int *__restrict, const int, const float *__restrict, const int, const int, const int, float *__restrict, float *__restrict, scalar_t *__restrict, OUTT *__restrict, int, const float *, const float *) [scalar_t = __hip_bfloat16, cache_t = unsigned char, KV_DTYPE = vllm::Fp8KVCacheDataType::kFp8E4M3, OUTT = unsigned char, BLOCK_SIZE = 16, HEAD_SIZE = 128, NUM_THREADS = 256, ALIBI_ENABLED = true, GQA_RATIO = 4]"
	.size	__PRETTY_FUNCTION__._Z39paged_attention_ll4mi_QKV_mfma16_kernelI14__hip_bfloat16hLN4vllm18Fp8KVCacheDataTypeE1EhLi16ELi128ELi256ELb1ELi4EEvPKT_PKT0_S8_ifPKiSA_SA_iPKfiiiPfSD_PS3_PT2_iSC_SC_, 614

	.type	__PRETTY_FUNCTION__._Z38paged_attention_ll4mi_QKV_mfma4_kernelI14__hip_bfloat16hLN4vllm18Fp8KVCacheDataTypeE1EhLi16ELi128ELi256ELb0ELi1EEvPKT_PKT0_S8_ifPKiSA_SA_iPKfiiiPfSD_PS3_PT2_iSC_SC_,@object ; @__PRETTY_FUNCTION__._Z38paged_attention_ll4mi_QKV_mfma4_kernelI14__hip_bfloat16hLN4vllm18Fp8KVCacheDataTypeE1EhLi16ELi128ELi256ELb0ELi1EEvPKT_PKT0_S8_ifPKiSA_SA_iPKfiiiPfSD_PS3_PT2_iSC_SC_
__PRETTY_FUNCTION__._Z38paged_attention_ll4mi_QKV_mfma4_kernelI14__hip_bfloat16hLN4vllm18Fp8KVCacheDataTypeE1EhLi16ELi128ELi256ELb0ELi1EEvPKT_PKT0_S8_ifPKiSA_SA_iPKfiiiPfSD_PS3_PT2_iSC_SC_:
	.asciz	"void paged_attention_ll4mi_QKV_mfma4_kernel(const scalar_t *__restrict, const cache_t *__restrict, const cache_t *__restrict, const int, const float, const int *__restrict, const int *__restrict, const int *__restrict, const int, const float *__restrict, const int, const int, const int, float *__restrict, float *__restrict, scalar_t *__restrict, OUTT *__restrict, int, const float *, const float *) [scalar_t = __hip_bfloat16, cache_t = unsigned char, KV_DTYPE = vllm::Fp8KVCacheDataType::kFp8E4M3, OUTT = unsigned char, BLOCK_SIZE = 16, HEAD_SIZE = 128, NUM_THREADS = 256, ALIBI_ENABLED = false, GQA_RATIO = 1]"
	.size	__PRETTY_FUNCTION__._Z38paged_attention_ll4mi_QKV_mfma4_kernelI14__hip_bfloat16hLN4vllm18Fp8KVCacheDataTypeE1EhLi16ELi128ELi256ELb0ELi1EEvPKT_PKT0_S8_ifPKiSA_SA_iPKfiiiPfSD_PS3_PT2_iSC_SC_, 614

	.type	__PRETTY_FUNCTION__._Z38paged_attention_ll4mi_QKV_mfma4_kernelI14__hip_bfloat16hLN4vllm18Fp8KVCacheDataTypeE1EhLi16ELi128ELi256ELb0ELi2EEvPKT_PKT0_S8_ifPKiSA_SA_iPKfiiiPfSD_PS3_PT2_iSC_SC_,@object ; @__PRETTY_FUNCTION__._Z38paged_attention_ll4mi_QKV_mfma4_kernelI14__hip_bfloat16hLN4vllm18Fp8KVCacheDataTypeE1EhLi16ELi128ELi256ELb0ELi2EEvPKT_PKT0_S8_ifPKiSA_SA_iPKfiiiPfSD_PS3_PT2_iSC_SC_
__PRETTY_FUNCTION__._Z38paged_attention_ll4mi_QKV_mfma4_kernelI14__hip_bfloat16hLN4vllm18Fp8KVCacheDataTypeE1EhLi16ELi128ELi256ELb0ELi2EEvPKT_PKT0_S8_ifPKiSA_SA_iPKfiiiPfSD_PS3_PT2_iSC_SC_:
	.asciz	"void paged_attention_ll4mi_QKV_mfma4_kernel(const scalar_t *__restrict, const cache_t *__restrict, const cache_t *__restrict, const int, const float, const int *__restrict, const int *__restrict, const int *__restrict, const int, const float *__restrict, const int, const int, const int, float *__restrict, float *__restrict, scalar_t *__restrict, OUTT *__restrict, int, const float *, const float *) [scalar_t = __hip_bfloat16, cache_t = unsigned char, KV_DTYPE = vllm::Fp8KVCacheDataType::kFp8E4M3, OUTT = unsigned char, BLOCK_SIZE = 16, HEAD_SIZE = 128, NUM_THREADS = 256, ALIBI_ENABLED = false, GQA_RATIO = 2]"
	.size	__PRETTY_FUNCTION__._Z38paged_attention_ll4mi_QKV_mfma4_kernelI14__hip_bfloat16hLN4vllm18Fp8KVCacheDataTypeE1EhLi16ELi128ELi256ELb0ELi2EEvPKT_PKT0_S8_ifPKiSA_SA_iPKfiiiPfSD_PS3_PT2_iSC_SC_, 614

	.type	__PRETTY_FUNCTION__._Z38paged_attention_ll4mi_QKV_mfma4_kernelI14__hip_bfloat16hLN4vllm18Fp8KVCacheDataTypeE1EhLi16ELi128ELi256ELb0ELi3EEvPKT_PKT0_S8_ifPKiSA_SA_iPKfiiiPfSD_PS3_PT2_iSC_SC_,@object ; @__PRETTY_FUNCTION__._Z38paged_attention_ll4mi_QKV_mfma4_kernelI14__hip_bfloat16hLN4vllm18Fp8KVCacheDataTypeE1EhLi16ELi128ELi256ELb0ELi3EEvPKT_PKT0_S8_ifPKiSA_SA_iPKfiiiPfSD_PS3_PT2_iSC_SC_
__PRETTY_FUNCTION__._Z38paged_attention_ll4mi_QKV_mfma4_kernelI14__hip_bfloat16hLN4vllm18Fp8KVCacheDataTypeE1EhLi16ELi128ELi256ELb0ELi3EEvPKT_PKT0_S8_ifPKiSA_SA_iPKfiiiPfSD_PS3_PT2_iSC_SC_:
	.asciz	"void paged_attention_ll4mi_QKV_mfma4_kernel(const scalar_t *__restrict, const cache_t *__restrict, const cache_t *__restrict, const int, const float, const int *__restrict, const int *__restrict, const int *__restrict, const int, const float *__restrict, const int, const int, const int, float *__restrict, float *__restrict, scalar_t *__restrict, OUTT *__restrict, int, const float *, const float *) [scalar_t = __hip_bfloat16, cache_t = unsigned char, KV_DTYPE = vllm::Fp8KVCacheDataType::kFp8E4M3, OUTT = unsigned char, BLOCK_SIZE = 16, HEAD_SIZE = 128, NUM_THREADS = 256, ALIBI_ENABLED = false, GQA_RATIO = 3]"
	.size	__PRETTY_FUNCTION__._Z38paged_attention_ll4mi_QKV_mfma4_kernelI14__hip_bfloat16hLN4vllm18Fp8KVCacheDataTypeE1EhLi16ELi128ELi256ELb0ELi3EEvPKT_PKT0_S8_ifPKiSA_SA_iPKfiiiPfSD_PS3_PT2_iSC_SC_, 614

	.type	__PRETTY_FUNCTION__._Z38paged_attention_ll4mi_QKV_mfma4_kernelI14__hip_bfloat16hLN4vllm18Fp8KVCacheDataTypeE1EhLi16ELi128ELi256ELb0ELi4EEvPKT_PKT0_S8_ifPKiSA_SA_iPKfiiiPfSD_PS3_PT2_iSC_SC_,@object ; @__PRETTY_FUNCTION__._Z38paged_attention_ll4mi_QKV_mfma4_kernelI14__hip_bfloat16hLN4vllm18Fp8KVCacheDataTypeE1EhLi16ELi128ELi256ELb0ELi4EEvPKT_PKT0_S8_ifPKiSA_SA_iPKfiiiPfSD_PS3_PT2_iSC_SC_
__PRETTY_FUNCTION__._Z38paged_attention_ll4mi_QKV_mfma4_kernelI14__hip_bfloat16hLN4vllm18Fp8KVCacheDataTypeE1EhLi16ELi128ELi256ELb0ELi4EEvPKT_PKT0_S8_ifPKiSA_SA_iPKfiiiPfSD_PS3_PT2_iSC_SC_:
	.asciz	"void paged_attention_ll4mi_QKV_mfma4_kernel(const scalar_t *__restrict, const cache_t *__restrict, const cache_t *__restrict, const int, const float, const int *__restrict, const int *__restrict, const int *__restrict, const int, const float *__restrict, const int, const int, const int, float *__restrict, float *__restrict, scalar_t *__restrict, OUTT *__restrict, int, const float *, const float *) [scalar_t = __hip_bfloat16, cache_t = unsigned char, KV_DTYPE = vllm::Fp8KVCacheDataType::kFp8E4M3, OUTT = unsigned char, BLOCK_SIZE = 16, HEAD_SIZE = 128, NUM_THREADS = 256, ALIBI_ENABLED = false, GQA_RATIO = 4]"
	.size	__PRETTY_FUNCTION__._Z38paged_attention_ll4mi_QKV_mfma4_kernelI14__hip_bfloat16hLN4vllm18Fp8KVCacheDataTypeE1EhLi16ELi128ELi256ELb0ELi4EEvPKT_PKT0_S8_ifPKiSA_SA_iPKfiiiPfSD_PS3_PT2_iSC_SC_, 614

	.type	__PRETTY_FUNCTION__._Z39paged_attention_ll4mi_QKV_mfma16_kernelI14__hip_bfloat16hLN4vllm18Fp8KVCacheDataTypeE1EhLi16ELi128ELi256ELb0ELi5EEvPKT_PKT0_S8_ifPKiSA_SA_iPKfiiiPfSD_PS3_PT2_iSC_SC_,@object ; @__PRETTY_FUNCTION__._Z39paged_attention_ll4mi_QKV_mfma16_kernelI14__hip_bfloat16hLN4vllm18Fp8KVCacheDataTypeE1EhLi16ELi128ELi256ELb0ELi5EEvPKT_PKT0_S8_ifPKiSA_SA_iPKfiiiPfSD_PS3_PT2_iSC_SC_
__PRETTY_FUNCTION__._Z39paged_attention_ll4mi_QKV_mfma16_kernelI14__hip_bfloat16hLN4vllm18Fp8KVCacheDataTypeE1EhLi16ELi128ELi256ELb0ELi5EEvPKT_PKT0_S8_ifPKiSA_SA_iPKfiiiPfSD_PS3_PT2_iSC_SC_:
	.asciz	"void paged_attention_ll4mi_QKV_mfma16_kernel(const scalar_t *__restrict, const cache_t *__restrict, const cache_t *__restrict, const int, const float, const int *__restrict, const int *__restrict, const int *__restrict, const int, const float *__restrict, const int, const int, const int, float *__restrict, float *__restrict, scalar_t *__restrict, OUTT *__restrict, int, const float *, const float *) [scalar_t = __hip_bfloat16, cache_t = unsigned char, KV_DTYPE = vllm::Fp8KVCacheDataType::kFp8E4M3, OUTT = unsigned char, BLOCK_SIZE = 16, HEAD_SIZE = 128, NUM_THREADS = 256, ALIBI_ENABLED = false, GQA_RATIO = 5]"
	.size	__PRETTY_FUNCTION__._Z39paged_attention_ll4mi_QKV_mfma16_kernelI14__hip_bfloat16hLN4vllm18Fp8KVCacheDataTypeE1EhLi16ELi128ELi256ELb0ELi5EEvPKT_PKT0_S8_ifPKiSA_SA_iPKfiiiPfSD_PS3_PT2_iSC_SC_, 615

	.type	__PRETTY_FUNCTION__._Z39paged_attention_ll4mi_QKV_mfma16_kernelI14__hip_bfloat16hLN4vllm18Fp8KVCacheDataTypeE1EhLi16ELi128ELi256ELb0ELi6EEvPKT_PKT0_S8_ifPKiSA_SA_iPKfiiiPfSD_PS3_PT2_iSC_SC_,@object ; @__PRETTY_FUNCTION__._Z39paged_attention_ll4mi_QKV_mfma16_kernelI14__hip_bfloat16hLN4vllm18Fp8KVCacheDataTypeE1EhLi16ELi128ELi256ELb0ELi6EEvPKT_PKT0_S8_ifPKiSA_SA_iPKfiiiPfSD_PS3_PT2_iSC_SC_
__PRETTY_FUNCTION__._Z39paged_attention_ll4mi_QKV_mfma16_kernelI14__hip_bfloat16hLN4vllm18Fp8KVCacheDataTypeE1EhLi16ELi128ELi256ELb0ELi6EEvPKT_PKT0_S8_ifPKiSA_SA_iPKfiiiPfSD_PS3_PT2_iSC_SC_:
	.asciz	"void paged_attention_ll4mi_QKV_mfma16_kernel(const scalar_t *__restrict, const cache_t *__restrict, const cache_t *__restrict, const int, const float, const int *__restrict, const int *__restrict, const int *__restrict, const int, const float *__restrict, const int, const int, const int, float *__restrict, float *__restrict, scalar_t *__restrict, OUTT *__restrict, int, const float *, const float *) [scalar_t = __hip_bfloat16, cache_t = unsigned char, KV_DTYPE = vllm::Fp8KVCacheDataType::kFp8E4M3, OUTT = unsigned char, BLOCK_SIZE = 16, HEAD_SIZE = 128, NUM_THREADS = 256, ALIBI_ENABLED = false, GQA_RATIO = 6]"
	.size	__PRETTY_FUNCTION__._Z39paged_attention_ll4mi_QKV_mfma16_kernelI14__hip_bfloat16hLN4vllm18Fp8KVCacheDataTypeE1EhLi16ELi128ELi256ELb0ELi6EEvPKT_PKT0_S8_ifPKiSA_SA_iPKfiiiPfSD_PS3_PT2_iSC_SC_, 615

	.type	__PRETTY_FUNCTION__._Z39paged_attention_ll4mi_QKV_mfma16_kernelI14__hip_bfloat16hLN4vllm18Fp8KVCacheDataTypeE1EhLi16ELi128ELi256ELb0ELi7EEvPKT_PKT0_S8_ifPKiSA_SA_iPKfiiiPfSD_PS3_PT2_iSC_SC_,@object ; @__PRETTY_FUNCTION__._Z39paged_attention_ll4mi_QKV_mfma16_kernelI14__hip_bfloat16hLN4vllm18Fp8KVCacheDataTypeE1EhLi16ELi128ELi256ELb0ELi7EEvPKT_PKT0_S8_ifPKiSA_SA_iPKfiiiPfSD_PS3_PT2_iSC_SC_
__PRETTY_FUNCTION__._Z39paged_attention_ll4mi_QKV_mfma16_kernelI14__hip_bfloat16hLN4vllm18Fp8KVCacheDataTypeE1EhLi16ELi128ELi256ELb0ELi7EEvPKT_PKT0_S8_ifPKiSA_SA_iPKfiiiPfSD_PS3_PT2_iSC_SC_:
	.asciz	"void paged_attention_ll4mi_QKV_mfma16_kernel(const scalar_t *__restrict, const cache_t *__restrict, const cache_t *__restrict, const int, const float, const int *__restrict, const int *__restrict, const int *__restrict, const int, const float *__restrict, const int, const int, const int, float *__restrict, float *__restrict, scalar_t *__restrict, OUTT *__restrict, int, const float *, const float *) [scalar_t = __hip_bfloat16, cache_t = unsigned char, KV_DTYPE = vllm::Fp8KVCacheDataType::kFp8E4M3, OUTT = unsigned char, BLOCK_SIZE = 16, HEAD_SIZE = 128, NUM_THREADS = 256, ALIBI_ENABLED = false, GQA_RATIO = 7]"
	.size	__PRETTY_FUNCTION__._Z39paged_attention_ll4mi_QKV_mfma16_kernelI14__hip_bfloat16hLN4vllm18Fp8KVCacheDataTypeE1EhLi16ELi128ELi256ELb0ELi7EEvPKT_PKT0_S8_ifPKiSA_SA_iPKfiiiPfSD_PS3_PT2_iSC_SC_, 615

	.type	__PRETTY_FUNCTION__._Z39paged_attention_ll4mi_QKV_mfma16_kernelI14__hip_bfloat16hLN4vllm18Fp8KVCacheDataTypeE1EhLi16ELi128ELi256ELb0ELi8EEvPKT_PKT0_S8_ifPKiSA_SA_iPKfiiiPfSD_PS3_PT2_iSC_SC_,@object ; @__PRETTY_FUNCTION__._Z39paged_attention_ll4mi_QKV_mfma16_kernelI14__hip_bfloat16hLN4vllm18Fp8KVCacheDataTypeE1EhLi16ELi128ELi256ELb0ELi8EEvPKT_PKT0_S8_ifPKiSA_SA_iPKfiiiPfSD_PS3_PT2_iSC_SC_
__PRETTY_FUNCTION__._Z39paged_attention_ll4mi_QKV_mfma16_kernelI14__hip_bfloat16hLN4vllm18Fp8KVCacheDataTypeE1EhLi16ELi128ELi256ELb0ELi8EEvPKT_PKT0_S8_ifPKiSA_SA_iPKfiiiPfSD_PS3_PT2_iSC_SC_:
	.asciz	"void paged_attention_ll4mi_QKV_mfma16_kernel(const scalar_t *__restrict, const cache_t *__restrict, const cache_t *__restrict, const int, const float, const int *__restrict, const int *__restrict, const int *__restrict, const int, const float *__restrict, const int, const int, const int, float *__restrict, float *__restrict, scalar_t *__restrict, OUTT *__restrict, int, const float *, const float *) [scalar_t = __hip_bfloat16, cache_t = unsigned char, KV_DTYPE = vllm::Fp8KVCacheDataType::kFp8E4M3, OUTT = unsigned char, BLOCK_SIZE = 16, HEAD_SIZE = 128, NUM_THREADS = 256, ALIBI_ENABLED = false, GQA_RATIO = 8]"
	.size	__PRETTY_FUNCTION__._Z39paged_attention_ll4mi_QKV_mfma16_kernelI14__hip_bfloat16hLN4vllm18Fp8KVCacheDataTypeE1EhLi16ELi128ELi256ELb0ELi8EEvPKT_PKT0_S8_ifPKiSA_SA_iPKfiiiPfSD_PS3_PT2_iSC_SC_, 615

	.type	__PRETTY_FUNCTION__._Z39paged_attention_ll4mi_QKV_mfma16_kernelI14__hip_bfloat16hLN4vllm18Fp8KVCacheDataTypeE1EhLi16ELi128ELi256ELb0ELi9EEvPKT_PKT0_S8_ifPKiSA_SA_iPKfiiiPfSD_PS3_PT2_iSC_SC_,@object ; @__PRETTY_FUNCTION__._Z39paged_attention_ll4mi_QKV_mfma16_kernelI14__hip_bfloat16hLN4vllm18Fp8KVCacheDataTypeE1EhLi16ELi128ELi256ELb0ELi9EEvPKT_PKT0_S8_ifPKiSA_SA_iPKfiiiPfSD_PS3_PT2_iSC_SC_
__PRETTY_FUNCTION__._Z39paged_attention_ll4mi_QKV_mfma16_kernelI14__hip_bfloat16hLN4vllm18Fp8KVCacheDataTypeE1EhLi16ELi128ELi256ELb0ELi9EEvPKT_PKT0_S8_ifPKiSA_SA_iPKfiiiPfSD_PS3_PT2_iSC_SC_:
	.asciz	"void paged_attention_ll4mi_QKV_mfma16_kernel(const scalar_t *__restrict, const cache_t *__restrict, const cache_t *__restrict, const int, const float, const int *__restrict, const int *__restrict, const int *__restrict, const int, const float *__restrict, const int, const int, const int, float *__restrict, float *__restrict, scalar_t *__restrict, OUTT *__restrict, int, const float *, const float *) [scalar_t = __hip_bfloat16, cache_t = unsigned char, KV_DTYPE = vllm::Fp8KVCacheDataType::kFp8E4M3, OUTT = unsigned char, BLOCK_SIZE = 16, HEAD_SIZE = 128, NUM_THREADS = 256, ALIBI_ENABLED = false, GQA_RATIO = 9]"
	.size	__PRETTY_FUNCTION__._Z39paged_attention_ll4mi_QKV_mfma16_kernelI14__hip_bfloat16hLN4vllm18Fp8KVCacheDataTypeE1EhLi16ELi128ELi256ELb0ELi9EEvPKT_PKT0_S8_ifPKiSA_SA_iPKfiiiPfSD_PS3_PT2_iSC_SC_, 615

	.type	__PRETTY_FUNCTION__._Z39paged_attention_ll4mi_QKV_mfma16_kernelI14__hip_bfloat16hLN4vllm18Fp8KVCacheDataTypeE1EhLi16ELi128ELi256ELb0ELi10EEvPKT_PKT0_S8_ifPKiSA_SA_iPKfiiiPfSD_PS3_PT2_iSC_SC_,@object ; @__PRETTY_FUNCTION__._Z39paged_attention_ll4mi_QKV_mfma16_kernelI14__hip_bfloat16hLN4vllm18Fp8KVCacheDataTypeE1EhLi16ELi128ELi256ELb0ELi10EEvPKT_PKT0_S8_ifPKiSA_SA_iPKfiiiPfSD_PS3_PT2_iSC_SC_
__PRETTY_FUNCTION__._Z39paged_attention_ll4mi_QKV_mfma16_kernelI14__hip_bfloat16hLN4vllm18Fp8KVCacheDataTypeE1EhLi16ELi128ELi256ELb0ELi10EEvPKT_PKT0_S8_ifPKiSA_SA_iPKfiiiPfSD_PS3_PT2_iSC_SC_:
	.asciz	"void paged_attention_ll4mi_QKV_mfma16_kernel(const scalar_t *__restrict, const cache_t *__restrict, const cache_t *__restrict, const int, const float, const int *__restrict, const int *__restrict, const int *__restrict, const int, const float *__restrict, const int, const int, const int, float *__restrict, float *__restrict, scalar_t *__restrict, OUTT *__restrict, int, const float *, const float *) [scalar_t = __hip_bfloat16, cache_t = unsigned char, KV_DTYPE = vllm::Fp8KVCacheDataType::kFp8E4M3, OUTT = unsigned char, BLOCK_SIZE = 16, HEAD_SIZE = 128, NUM_THREADS = 256, ALIBI_ENABLED = false, GQA_RATIO = 10]"
	.size	__PRETTY_FUNCTION__._Z39paged_attention_ll4mi_QKV_mfma16_kernelI14__hip_bfloat16hLN4vllm18Fp8KVCacheDataTypeE1EhLi16ELi128ELi256ELb0ELi10EEvPKT_PKT0_S8_ifPKiSA_SA_iPKfiiiPfSD_PS3_PT2_iSC_SC_, 616

	.type	__PRETTY_FUNCTION__._Z39paged_attention_ll4mi_QKV_mfma16_kernelI14__hip_bfloat16hLN4vllm18Fp8KVCacheDataTypeE1EhLi16ELi128ELi256ELb0ELi11EEvPKT_PKT0_S8_ifPKiSA_SA_iPKfiiiPfSD_PS3_PT2_iSC_SC_,@object ; @__PRETTY_FUNCTION__._Z39paged_attention_ll4mi_QKV_mfma16_kernelI14__hip_bfloat16hLN4vllm18Fp8KVCacheDataTypeE1EhLi16ELi128ELi256ELb0ELi11EEvPKT_PKT0_S8_ifPKiSA_SA_iPKfiiiPfSD_PS3_PT2_iSC_SC_
__PRETTY_FUNCTION__._Z39paged_attention_ll4mi_QKV_mfma16_kernelI14__hip_bfloat16hLN4vllm18Fp8KVCacheDataTypeE1EhLi16ELi128ELi256ELb0ELi11EEvPKT_PKT0_S8_ifPKiSA_SA_iPKfiiiPfSD_PS3_PT2_iSC_SC_:
	.asciz	"void paged_attention_ll4mi_QKV_mfma16_kernel(const scalar_t *__restrict, const cache_t *__restrict, const cache_t *__restrict, const int, const float, const int *__restrict, const int *__restrict, const int *__restrict, const int, const float *__restrict, const int, const int, const int, float *__restrict, float *__restrict, scalar_t *__restrict, OUTT *__restrict, int, const float *, const float *) [scalar_t = __hip_bfloat16, cache_t = unsigned char, KV_DTYPE = vllm::Fp8KVCacheDataType::kFp8E4M3, OUTT = unsigned char, BLOCK_SIZE = 16, HEAD_SIZE = 128, NUM_THREADS = 256, ALIBI_ENABLED = false, GQA_RATIO = 11]"
	.size	__PRETTY_FUNCTION__._Z39paged_attention_ll4mi_QKV_mfma16_kernelI14__hip_bfloat16hLN4vllm18Fp8KVCacheDataTypeE1EhLi16ELi128ELi256ELb0ELi11EEvPKT_PKT0_S8_ifPKiSA_SA_iPKfiiiPfSD_PS3_PT2_iSC_SC_, 616

	.type	__PRETTY_FUNCTION__._Z39paged_attention_ll4mi_QKV_mfma16_kernelI14__hip_bfloat16hLN4vllm18Fp8KVCacheDataTypeE1EhLi16ELi128ELi256ELb0ELi12EEvPKT_PKT0_S8_ifPKiSA_SA_iPKfiiiPfSD_PS3_PT2_iSC_SC_,@object ; @__PRETTY_FUNCTION__._Z39paged_attention_ll4mi_QKV_mfma16_kernelI14__hip_bfloat16hLN4vllm18Fp8KVCacheDataTypeE1EhLi16ELi128ELi256ELb0ELi12EEvPKT_PKT0_S8_ifPKiSA_SA_iPKfiiiPfSD_PS3_PT2_iSC_SC_
__PRETTY_FUNCTION__._Z39paged_attention_ll4mi_QKV_mfma16_kernelI14__hip_bfloat16hLN4vllm18Fp8KVCacheDataTypeE1EhLi16ELi128ELi256ELb0ELi12EEvPKT_PKT0_S8_ifPKiSA_SA_iPKfiiiPfSD_PS3_PT2_iSC_SC_:
	.asciz	"void paged_attention_ll4mi_QKV_mfma16_kernel(const scalar_t *__restrict, const cache_t *__restrict, const cache_t *__restrict, const int, const float, const int *__restrict, const int *__restrict, const int *__restrict, const int, const float *__restrict, const int, const int, const int, float *__restrict, float *__restrict, scalar_t *__restrict, OUTT *__restrict, int, const float *, const float *) [scalar_t = __hip_bfloat16, cache_t = unsigned char, KV_DTYPE = vllm::Fp8KVCacheDataType::kFp8E4M3, OUTT = unsigned char, BLOCK_SIZE = 16, HEAD_SIZE = 128, NUM_THREADS = 256, ALIBI_ENABLED = false, GQA_RATIO = 12]"
	.size	__PRETTY_FUNCTION__._Z39paged_attention_ll4mi_QKV_mfma16_kernelI14__hip_bfloat16hLN4vllm18Fp8KVCacheDataTypeE1EhLi16ELi128ELi256ELb0ELi12EEvPKT_PKT0_S8_ifPKiSA_SA_iPKfiiiPfSD_PS3_PT2_iSC_SC_, 616

	.type	__PRETTY_FUNCTION__._Z39paged_attention_ll4mi_QKV_mfma16_kernelI14__hip_bfloat16hLN4vllm18Fp8KVCacheDataTypeE1EhLi16ELi128ELi256ELb0ELi13EEvPKT_PKT0_S8_ifPKiSA_SA_iPKfiiiPfSD_PS3_PT2_iSC_SC_,@object ; @__PRETTY_FUNCTION__._Z39paged_attention_ll4mi_QKV_mfma16_kernelI14__hip_bfloat16hLN4vllm18Fp8KVCacheDataTypeE1EhLi16ELi128ELi256ELb0ELi13EEvPKT_PKT0_S8_ifPKiSA_SA_iPKfiiiPfSD_PS3_PT2_iSC_SC_
__PRETTY_FUNCTION__._Z39paged_attention_ll4mi_QKV_mfma16_kernelI14__hip_bfloat16hLN4vllm18Fp8KVCacheDataTypeE1EhLi16ELi128ELi256ELb0ELi13EEvPKT_PKT0_S8_ifPKiSA_SA_iPKfiiiPfSD_PS3_PT2_iSC_SC_:
	.asciz	"void paged_attention_ll4mi_QKV_mfma16_kernel(const scalar_t *__restrict, const cache_t *__restrict, const cache_t *__restrict, const int, const float, const int *__restrict, const int *__restrict, const int *__restrict, const int, const float *__restrict, const int, const int, const int, float *__restrict, float *__restrict, scalar_t *__restrict, OUTT *__restrict, int, const float *, const float *) [scalar_t = __hip_bfloat16, cache_t = unsigned char, KV_DTYPE = vllm::Fp8KVCacheDataType::kFp8E4M3, OUTT = unsigned char, BLOCK_SIZE = 16, HEAD_SIZE = 128, NUM_THREADS = 256, ALIBI_ENABLED = false, GQA_RATIO = 13]"
	.size	__PRETTY_FUNCTION__._Z39paged_attention_ll4mi_QKV_mfma16_kernelI14__hip_bfloat16hLN4vllm18Fp8KVCacheDataTypeE1EhLi16ELi128ELi256ELb0ELi13EEvPKT_PKT0_S8_ifPKiSA_SA_iPKfiiiPfSD_PS3_PT2_iSC_SC_, 616

	.type	__PRETTY_FUNCTION__._Z39paged_attention_ll4mi_QKV_mfma16_kernelI14__hip_bfloat16hLN4vllm18Fp8KVCacheDataTypeE1EhLi16ELi128ELi256ELb0ELi14EEvPKT_PKT0_S8_ifPKiSA_SA_iPKfiiiPfSD_PS3_PT2_iSC_SC_,@object ; @__PRETTY_FUNCTION__._Z39paged_attention_ll4mi_QKV_mfma16_kernelI14__hip_bfloat16hLN4vllm18Fp8KVCacheDataTypeE1EhLi16ELi128ELi256ELb0ELi14EEvPKT_PKT0_S8_ifPKiSA_SA_iPKfiiiPfSD_PS3_PT2_iSC_SC_
__PRETTY_FUNCTION__._Z39paged_attention_ll4mi_QKV_mfma16_kernelI14__hip_bfloat16hLN4vllm18Fp8KVCacheDataTypeE1EhLi16ELi128ELi256ELb0ELi14EEvPKT_PKT0_S8_ifPKiSA_SA_iPKfiiiPfSD_PS3_PT2_iSC_SC_:
	.asciz	"void paged_attention_ll4mi_QKV_mfma16_kernel(const scalar_t *__restrict, const cache_t *__restrict, const cache_t *__restrict, const int, const float, const int *__restrict, const int *__restrict, const int *__restrict, const int, const float *__restrict, const int, const int, const int, float *__restrict, float *__restrict, scalar_t *__restrict, OUTT *__restrict, int, const float *, const float *) [scalar_t = __hip_bfloat16, cache_t = unsigned char, KV_DTYPE = vllm::Fp8KVCacheDataType::kFp8E4M3, OUTT = unsigned char, BLOCK_SIZE = 16, HEAD_SIZE = 128, NUM_THREADS = 256, ALIBI_ENABLED = false, GQA_RATIO = 14]"
	.size	__PRETTY_FUNCTION__._Z39paged_attention_ll4mi_QKV_mfma16_kernelI14__hip_bfloat16hLN4vllm18Fp8KVCacheDataTypeE1EhLi16ELi128ELi256ELb0ELi14EEvPKT_PKT0_S8_ifPKiSA_SA_iPKfiiiPfSD_PS3_PT2_iSC_SC_, 616

	.type	__PRETTY_FUNCTION__._Z39paged_attention_ll4mi_QKV_mfma16_kernelI14__hip_bfloat16hLN4vllm18Fp8KVCacheDataTypeE1EhLi16ELi128ELi256ELb0ELi15EEvPKT_PKT0_S8_ifPKiSA_SA_iPKfiiiPfSD_PS3_PT2_iSC_SC_,@object ; @__PRETTY_FUNCTION__._Z39paged_attention_ll4mi_QKV_mfma16_kernelI14__hip_bfloat16hLN4vllm18Fp8KVCacheDataTypeE1EhLi16ELi128ELi256ELb0ELi15EEvPKT_PKT0_S8_ifPKiSA_SA_iPKfiiiPfSD_PS3_PT2_iSC_SC_
__PRETTY_FUNCTION__._Z39paged_attention_ll4mi_QKV_mfma16_kernelI14__hip_bfloat16hLN4vllm18Fp8KVCacheDataTypeE1EhLi16ELi128ELi256ELb0ELi15EEvPKT_PKT0_S8_ifPKiSA_SA_iPKfiiiPfSD_PS3_PT2_iSC_SC_:
	.asciz	"void paged_attention_ll4mi_QKV_mfma16_kernel(const scalar_t *__restrict, const cache_t *__restrict, const cache_t *__restrict, const int, const float, const int *__restrict, const int *__restrict, const int *__restrict, const int, const float *__restrict, const int, const int, const int, float *__restrict, float *__restrict, scalar_t *__restrict, OUTT *__restrict, int, const float *, const float *) [scalar_t = __hip_bfloat16, cache_t = unsigned char, KV_DTYPE = vllm::Fp8KVCacheDataType::kFp8E4M3, OUTT = unsigned char, BLOCK_SIZE = 16, HEAD_SIZE = 128, NUM_THREADS = 256, ALIBI_ENABLED = false, GQA_RATIO = 15]"
	.size	__PRETTY_FUNCTION__._Z39paged_attention_ll4mi_QKV_mfma16_kernelI14__hip_bfloat16hLN4vllm18Fp8KVCacheDataTypeE1EhLi16ELi128ELi256ELb0ELi15EEvPKT_PKT0_S8_ifPKiSA_SA_iPKfiiiPfSD_PS3_PT2_iSC_SC_, 616

	.type	__PRETTY_FUNCTION__._Z39paged_attention_ll4mi_QKV_mfma16_kernelI14__hip_bfloat16hLN4vllm18Fp8KVCacheDataTypeE1EhLi16ELi128ELi256ELb0ELi16EEvPKT_PKT0_S8_ifPKiSA_SA_iPKfiiiPfSD_PS3_PT2_iSC_SC_,@object ; @__PRETTY_FUNCTION__._Z39paged_attention_ll4mi_QKV_mfma16_kernelI14__hip_bfloat16hLN4vllm18Fp8KVCacheDataTypeE1EhLi16ELi128ELi256ELb0ELi16EEvPKT_PKT0_S8_ifPKiSA_SA_iPKfiiiPfSD_PS3_PT2_iSC_SC_
__PRETTY_FUNCTION__._Z39paged_attention_ll4mi_QKV_mfma16_kernelI14__hip_bfloat16hLN4vllm18Fp8KVCacheDataTypeE1EhLi16ELi128ELi256ELb0ELi16EEvPKT_PKT0_S8_ifPKiSA_SA_iPKfiiiPfSD_PS3_PT2_iSC_SC_:
	.asciz	"void paged_attention_ll4mi_QKV_mfma16_kernel(const scalar_t *__restrict, const cache_t *__restrict, const cache_t *__restrict, const int, const float, const int *__restrict, const int *__restrict, const int *__restrict, const int, const float *__restrict, const int, const int, const int, float *__restrict, float *__restrict, scalar_t *__restrict, OUTT *__restrict, int, const float *, const float *) [scalar_t = __hip_bfloat16, cache_t = unsigned char, KV_DTYPE = vllm::Fp8KVCacheDataType::kFp8E4M3, OUTT = unsigned char, BLOCK_SIZE = 16, HEAD_SIZE = 128, NUM_THREADS = 256, ALIBI_ENABLED = false, GQA_RATIO = 16]"
	.size	__PRETTY_FUNCTION__._Z39paged_attention_ll4mi_QKV_mfma16_kernelI14__hip_bfloat16hLN4vllm18Fp8KVCacheDataTypeE1EhLi16ELi128ELi256ELb0ELi16EEvPKT_PKT0_S8_ifPKiSA_SA_iPKfiiiPfSD_PS3_PT2_iSC_SC_, 616

	.type	__PRETTY_FUNCTION__._Z39paged_attention_ll4mi_QKV_mfma16_kernelI14__hip_bfloat16hLN4vllm18Fp8KVCacheDataTypeE1EhLi16ELi128ELi256ELb0ELi1EEvPKT_PKT0_S8_ifPKiSA_SA_iPKfiiiPfSD_PS3_PT2_iSC_SC_,@object ; @__PRETTY_FUNCTION__._Z39paged_attention_ll4mi_QKV_mfma16_kernelI14__hip_bfloat16hLN4vllm18Fp8KVCacheDataTypeE1EhLi16ELi128ELi256ELb0ELi1EEvPKT_PKT0_S8_ifPKiSA_SA_iPKfiiiPfSD_PS3_PT2_iSC_SC_
__PRETTY_FUNCTION__._Z39paged_attention_ll4mi_QKV_mfma16_kernelI14__hip_bfloat16hLN4vllm18Fp8KVCacheDataTypeE1EhLi16ELi128ELi256ELb0ELi1EEvPKT_PKT0_S8_ifPKiSA_SA_iPKfiiiPfSD_PS3_PT2_iSC_SC_:
	.asciz	"void paged_attention_ll4mi_QKV_mfma16_kernel(const scalar_t *__restrict, const cache_t *__restrict, const cache_t *__restrict, const int, const float, const int *__restrict, const int *__restrict, const int *__restrict, const int, const float *__restrict, const int, const int, const int, float *__restrict, float *__restrict, scalar_t *__restrict, OUTT *__restrict, int, const float *, const float *) [scalar_t = __hip_bfloat16, cache_t = unsigned char, KV_DTYPE = vllm::Fp8KVCacheDataType::kFp8E4M3, OUTT = unsigned char, BLOCK_SIZE = 16, HEAD_SIZE = 128, NUM_THREADS = 256, ALIBI_ENABLED = false, GQA_RATIO = 1]"
	.size	__PRETTY_FUNCTION__._Z39paged_attention_ll4mi_QKV_mfma16_kernelI14__hip_bfloat16hLN4vllm18Fp8KVCacheDataTypeE1EhLi16ELi128ELi256ELb0ELi1EEvPKT_PKT0_S8_ifPKiSA_SA_iPKfiiiPfSD_PS3_PT2_iSC_SC_, 615

	.type	__PRETTY_FUNCTION__._Z39paged_attention_ll4mi_QKV_mfma16_kernelI14__hip_bfloat16hLN4vllm18Fp8KVCacheDataTypeE1EhLi16ELi128ELi256ELb0ELi2EEvPKT_PKT0_S8_ifPKiSA_SA_iPKfiiiPfSD_PS3_PT2_iSC_SC_,@object ; @__PRETTY_FUNCTION__._Z39paged_attention_ll4mi_QKV_mfma16_kernelI14__hip_bfloat16hLN4vllm18Fp8KVCacheDataTypeE1EhLi16ELi128ELi256ELb0ELi2EEvPKT_PKT0_S8_ifPKiSA_SA_iPKfiiiPfSD_PS3_PT2_iSC_SC_
__PRETTY_FUNCTION__._Z39paged_attention_ll4mi_QKV_mfma16_kernelI14__hip_bfloat16hLN4vllm18Fp8KVCacheDataTypeE1EhLi16ELi128ELi256ELb0ELi2EEvPKT_PKT0_S8_ifPKiSA_SA_iPKfiiiPfSD_PS3_PT2_iSC_SC_:
	.asciz	"void paged_attention_ll4mi_QKV_mfma16_kernel(const scalar_t *__restrict, const cache_t *__restrict, const cache_t *__restrict, const int, const float, const int *__restrict, const int *__restrict, const int *__restrict, const int, const float *__restrict, const int, const int, const int, float *__restrict, float *__restrict, scalar_t *__restrict, OUTT *__restrict, int, const float *, const float *) [scalar_t = __hip_bfloat16, cache_t = unsigned char, KV_DTYPE = vllm::Fp8KVCacheDataType::kFp8E4M3, OUTT = unsigned char, BLOCK_SIZE = 16, HEAD_SIZE = 128, NUM_THREADS = 256, ALIBI_ENABLED = false, GQA_RATIO = 2]"
	.size	__PRETTY_FUNCTION__._Z39paged_attention_ll4mi_QKV_mfma16_kernelI14__hip_bfloat16hLN4vllm18Fp8KVCacheDataTypeE1EhLi16ELi128ELi256ELb0ELi2EEvPKT_PKT0_S8_ifPKiSA_SA_iPKfiiiPfSD_PS3_PT2_iSC_SC_, 615

	.type	__PRETTY_FUNCTION__._Z39paged_attention_ll4mi_QKV_mfma16_kernelI14__hip_bfloat16hLN4vllm18Fp8KVCacheDataTypeE1EhLi16ELi128ELi256ELb0ELi3EEvPKT_PKT0_S8_ifPKiSA_SA_iPKfiiiPfSD_PS3_PT2_iSC_SC_,@object ; @__PRETTY_FUNCTION__._Z39paged_attention_ll4mi_QKV_mfma16_kernelI14__hip_bfloat16hLN4vllm18Fp8KVCacheDataTypeE1EhLi16ELi128ELi256ELb0ELi3EEvPKT_PKT0_S8_ifPKiSA_SA_iPKfiiiPfSD_PS3_PT2_iSC_SC_
__PRETTY_FUNCTION__._Z39paged_attention_ll4mi_QKV_mfma16_kernelI14__hip_bfloat16hLN4vllm18Fp8KVCacheDataTypeE1EhLi16ELi128ELi256ELb0ELi3EEvPKT_PKT0_S8_ifPKiSA_SA_iPKfiiiPfSD_PS3_PT2_iSC_SC_:
	.asciz	"void paged_attention_ll4mi_QKV_mfma16_kernel(const scalar_t *__restrict, const cache_t *__restrict, const cache_t *__restrict, const int, const float, const int *__restrict, const int *__restrict, const int *__restrict, const int, const float *__restrict, const int, const int, const int, float *__restrict, float *__restrict, scalar_t *__restrict, OUTT *__restrict, int, const float *, const float *) [scalar_t = __hip_bfloat16, cache_t = unsigned char, KV_DTYPE = vllm::Fp8KVCacheDataType::kFp8E4M3, OUTT = unsigned char, BLOCK_SIZE = 16, HEAD_SIZE = 128, NUM_THREADS = 256, ALIBI_ENABLED = false, GQA_RATIO = 3]"
	.size	__PRETTY_FUNCTION__._Z39paged_attention_ll4mi_QKV_mfma16_kernelI14__hip_bfloat16hLN4vllm18Fp8KVCacheDataTypeE1EhLi16ELi128ELi256ELb0ELi3EEvPKT_PKT0_S8_ifPKiSA_SA_iPKfiiiPfSD_PS3_PT2_iSC_SC_, 615

	.type	__PRETTY_FUNCTION__._Z39paged_attention_ll4mi_QKV_mfma16_kernelI14__hip_bfloat16hLN4vllm18Fp8KVCacheDataTypeE1EhLi16ELi128ELi256ELb0ELi4EEvPKT_PKT0_S8_ifPKiSA_SA_iPKfiiiPfSD_PS3_PT2_iSC_SC_,@object ; @__PRETTY_FUNCTION__._Z39paged_attention_ll4mi_QKV_mfma16_kernelI14__hip_bfloat16hLN4vllm18Fp8KVCacheDataTypeE1EhLi16ELi128ELi256ELb0ELi4EEvPKT_PKT0_S8_ifPKiSA_SA_iPKfiiiPfSD_PS3_PT2_iSC_SC_
__PRETTY_FUNCTION__._Z39paged_attention_ll4mi_QKV_mfma16_kernelI14__hip_bfloat16hLN4vllm18Fp8KVCacheDataTypeE1EhLi16ELi128ELi256ELb0ELi4EEvPKT_PKT0_S8_ifPKiSA_SA_iPKfiiiPfSD_PS3_PT2_iSC_SC_:
	.asciz	"void paged_attention_ll4mi_QKV_mfma16_kernel(const scalar_t *__restrict, const cache_t *__restrict, const cache_t *__restrict, const int, const float, const int *__restrict, const int *__restrict, const int *__restrict, const int, const float *__restrict, const int, const int, const int, float *__restrict, float *__restrict, scalar_t *__restrict, OUTT *__restrict, int, const float *, const float *) [scalar_t = __hip_bfloat16, cache_t = unsigned char, KV_DTYPE = vllm::Fp8KVCacheDataType::kFp8E4M3, OUTT = unsigned char, BLOCK_SIZE = 16, HEAD_SIZE = 128, NUM_THREADS = 256, ALIBI_ENABLED = false, GQA_RATIO = 4]"
	.size	__PRETTY_FUNCTION__._Z39paged_attention_ll4mi_QKV_mfma16_kernelI14__hip_bfloat16hLN4vllm18Fp8KVCacheDataTypeE1EhLi16ELi128ELi256ELb0ELi4EEvPKT_PKT0_S8_ifPKiSA_SA_iPKfiiiPfSD_PS3_PT2_iSC_SC_, 615

	.type	__PRETTY_FUNCTION__._Z38paged_attention_ll4mi_QKV_mfma4_kernelI14__hip_bfloat16hLN4vllm18Fp8KVCacheDataTypeE1ES0_Li16ELi128ELi256ELb1ELi1EEvPKT_PKT0_S8_ifPKiSA_SA_iPKfiiiPfSD_PS3_PT2_iSC_SC_,@object ; @__PRETTY_FUNCTION__._Z38paged_attention_ll4mi_QKV_mfma4_kernelI14__hip_bfloat16hLN4vllm18Fp8KVCacheDataTypeE1ES0_Li16ELi128ELi256ELb1ELi1EEvPKT_PKT0_S8_ifPKiSA_SA_iPKfiiiPfSD_PS3_PT2_iSC_SC_
__PRETTY_FUNCTION__._Z38paged_attention_ll4mi_QKV_mfma4_kernelI14__hip_bfloat16hLN4vllm18Fp8KVCacheDataTypeE1ES0_Li16ELi128ELi256ELb1ELi1EEvPKT_PKT0_S8_ifPKiSA_SA_iPKfiiiPfSD_PS3_PT2_iSC_SC_:
	.asciz	"void paged_attention_ll4mi_QKV_mfma4_kernel(const scalar_t *__restrict, const cache_t *__restrict, const cache_t *__restrict, const int, const float, const int *__restrict, const int *__restrict, const int *__restrict, const int, const float *__restrict, const int, const int, const int, float *__restrict, float *__restrict, scalar_t *__restrict, OUTT *__restrict, int, const float *, const float *) [scalar_t = __hip_bfloat16, cache_t = unsigned char, KV_DTYPE = vllm::Fp8KVCacheDataType::kFp8E4M3, OUTT = __hip_bfloat16, BLOCK_SIZE = 16, HEAD_SIZE = 128, NUM_THREADS = 256, ALIBI_ENABLED = true, GQA_RATIO = 1]"
	.size	__PRETTY_FUNCTION__._Z38paged_attention_ll4mi_QKV_mfma4_kernelI14__hip_bfloat16hLN4vllm18Fp8KVCacheDataTypeE1ES0_Li16ELi128ELi256ELb1ELi1EEvPKT_PKT0_S8_ifPKiSA_SA_iPKfiiiPfSD_PS3_PT2_iSC_SC_, 614

	.type	__PRETTY_FUNCTION__._Z38paged_attention_ll4mi_QKV_mfma4_kernelI14__hip_bfloat16hLN4vllm18Fp8KVCacheDataTypeE1ES0_Li16ELi128ELi256ELb1ELi2EEvPKT_PKT0_S8_ifPKiSA_SA_iPKfiiiPfSD_PS3_PT2_iSC_SC_,@object ; @__PRETTY_FUNCTION__._Z38paged_attention_ll4mi_QKV_mfma4_kernelI14__hip_bfloat16hLN4vllm18Fp8KVCacheDataTypeE1ES0_Li16ELi128ELi256ELb1ELi2EEvPKT_PKT0_S8_ifPKiSA_SA_iPKfiiiPfSD_PS3_PT2_iSC_SC_
__PRETTY_FUNCTION__._Z38paged_attention_ll4mi_QKV_mfma4_kernelI14__hip_bfloat16hLN4vllm18Fp8KVCacheDataTypeE1ES0_Li16ELi128ELi256ELb1ELi2EEvPKT_PKT0_S8_ifPKiSA_SA_iPKfiiiPfSD_PS3_PT2_iSC_SC_:
	.asciz	"void paged_attention_ll4mi_QKV_mfma4_kernel(const scalar_t *__restrict, const cache_t *__restrict, const cache_t *__restrict, const int, const float, const int *__restrict, const int *__restrict, const int *__restrict, const int, const float *__restrict, const int, const int, const int, float *__restrict, float *__restrict, scalar_t *__restrict, OUTT *__restrict, int, const float *, const float *) [scalar_t = __hip_bfloat16, cache_t = unsigned char, KV_DTYPE = vllm::Fp8KVCacheDataType::kFp8E4M3, OUTT = __hip_bfloat16, BLOCK_SIZE = 16, HEAD_SIZE = 128, NUM_THREADS = 256, ALIBI_ENABLED = true, GQA_RATIO = 2]"
	.size	__PRETTY_FUNCTION__._Z38paged_attention_ll4mi_QKV_mfma4_kernelI14__hip_bfloat16hLN4vllm18Fp8KVCacheDataTypeE1ES0_Li16ELi128ELi256ELb1ELi2EEvPKT_PKT0_S8_ifPKiSA_SA_iPKfiiiPfSD_PS3_PT2_iSC_SC_, 614

	.type	__PRETTY_FUNCTION__._Z38paged_attention_ll4mi_QKV_mfma4_kernelI14__hip_bfloat16hLN4vllm18Fp8KVCacheDataTypeE1ES0_Li16ELi128ELi256ELb1ELi3EEvPKT_PKT0_S8_ifPKiSA_SA_iPKfiiiPfSD_PS3_PT2_iSC_SC_,@object ; @__PRETTY_FUNCTION__._Z38paged_attention_ll4mi_QKV_mfma4_kernelI14__hip_bfloat16hLN4vllm18Fp8KVCacheDataTypeE1ES0_Li16ELi128ELi256ELb1ELi3EEvPKT_PKT0_S8_ifPKiSA_SA_iPKfiiiPfSD_PS3_PT2_iSC_SC_
__PRETTY_FUNCTION__._Z38paged_attention_ll4mi_QKV_mfma4_kernelI14__hip_bfloat16hLN4vllm18Fp8KVCacheDataTypeE1ES0_Li16ELi128ELi256ELb1ELi3EEvPKT_PKT0_S8_ifPKiSA_SA_iPKfiiiPfSD_PS3_PT2_iSC_SC_:
	.asciz	"void paged_attention_ll4mi_QKV_mfma4_kernel(const scalar_t *__restrict, const cache_t *__restrict, const cache_t *__restrict, const int, const float, const int *__restrict, const int *__restrict, const int *__restrict, const int, const float *__restrict, const int, const int, const int, float *__restrict, float *__restrict, scalar_t *__restrict, OUTT *__restrict, int, const float *, const float *) [scalar_t = __hip_bfloat16, cache_t = unsigned char, KV_DTYPE = vllm::Fp8KVCacheDataType::kFp8E4M3, OUTT = __hip_bfloat16, BLOCK_SIZE = 16, HEAD_SIZE = 128, NUM_THREADS = 256, ALIBI_ENABLED = true, GQA_RATIO = 3]"
	.size	__PRETTY_FUNCTION__._Z38paged_attention_ll4mi_QKV_mfma4_kernelI14__hip_bfloat16hLN4vllm18Fp8KVCacheDataTypeE1ES0_Li16ELi128ELi256ELb1ELi3EEvPKT_PKT0_S8_ifPKiSA_SA_iPKfiiiPfSD_PS3_PT2_iSC_SC_, 614

	.type	__PRETTY_FUNCTION__._Z38paged_attention_ll4mi_QKV_mfma4_kernelI14__hip_bfloat16hLN4vllm18Fp8KVCacheDataTypeE1ES0_Li16ELi128ELi256ELb1ELi4EEvPKT_PKT0_S8_ifPKiSA_SA_iPKfiiiPfSD_PS3_PT2_iSC_SC_,@object ; @__PRETTY_FUNCTION__._Z38paged_attention_ll4mi_QKV_mfma4_kernelI14__hip_bfloat16hLN4vllm18Fp8KVCacheDataTypeE1ES0_Li16ELi128ELi256ELb1ELi4EEvPKT_PKT0_S8_ifPKiSA_SA_iPKfiiiPfSD_PS3_PT2_iSC_SC_
__PRETTY_FUNCTION__._Z38paged_attention_ll4mi_QKV_mfma4_kernelI14__hip_bfloat16hLN4vllm18Fp8KVCacheDataTypeE1ES0_Li16ELi128ELi256ELb1ELi4EEvPKT_PKT0_S8_ifPKiSA_SA_iPKfiiiPfSD_PS3_PT2_iSC_SC_:
	.asciz	"void paged_attention_ll4mi_QKV_mfma4_kernel(const scalar_t *__restrict, const cache_t *__restrict, const cache_t *__restrict, const int, const float, const int *__restrict, const int *__restrict, const int *__restrict, const int, const float *__restrict, const int, const int, const int, float *__restrict, float *__restrict, scalar_t *__restrict, OUTT *__restrict, int, const float *, const float *) [scalar_t = __hip_bfloat16, cache_t = unsigned char, KV_DTYPE = vllm::Fp8KVCacheDataType::kFp8E4M3, OUTT = __hip_bfloat16, BLOCK_SIZE = 16, HEAD_SIZE = 128, NUM_THREADS = 256, ALIBI_ENABLED = true, GQA_RATIO = 4]"
	.size	__PRETTY_FUNCTION__._Z38paged_attention_ll4mi_QKV_mfma4_kernelI14__hip_bfloat16hLN4vllm18Fp8KVCacheDataTypeE1ES0_Li16ELi128ELi256ELb1ELi4EEvPKT_PKT0_S8_ifPKiSA_SA_iPKfiiiPfSD_PS3_PT2_iSC_SC_, 614

	.type	__PRETTY_FUNCTION__._Z39paged_attention_ll4mi_QKV_mfma16_kernelI14__hip_bfloat16hLN4vllm18Fp8KVCacheDataTypeE1ES0_Li16ELi128ELi256ELb1ELi5EEvPKT_PKT0_S8_ifPKiSA_SA_iPKfiiiPfSD_PS3_PT2_iSC_SC_,@object ; @__PRETTY_FUNCTION__._Z39paged_attention_ll4mi_QKV_mfma16_kernelI14__hip_bfloat16hLN4vllm18Fp8KVCacheDataTypeE1ES0_Li16ELi128ELi256ELb1ELi5EEvPKT_PKT0_S8_ifPKiSA_SA_iPKfiiiPfSD_PS3_PT2_iSC_SC_
__PRETTY_FUNCTION__._Z39paged_attention_ll4mi_QKV_mfma16_kernelI14__hip_bfloat16hLN4vllm18Fp8KVCacheDataTypeE1ES0_Li16ELi128ELi256ELb1ELi5EEvPKT_PKT0_S8_ifPKiSA_SA_iPKfiiiPfSD_PS3_PT2_iSC_SC_:
	.asciz	"void paged_attention_ll4mi_QKV_mfma16_kernel(const scalar_t *__restrict, const cache_t *__restrict, const cache_t *__restrict, const int, const float, const int *__restrict, const int *__restrict, const int *__restrict, const int, const float *__restrict, const int, const int, const int, float *__restrict, float *__restrict, scalar_t *__restrict, OUTT *__restrict, int, const float *, const float *) [scalar_t = __hip_bfloat16, cache_t = unsigned char, KV_DTYPE = vllm::Fp8KVCacheDataType::kFp8E4M3, OUTT = __hip_bfloat16, BLOCK_SIZE = 16, HEAD_SIZE = 128, NUM_THREADS = 256, ALIBI_ENABLED = true, GQA_RATIO = 5]"
	.size	__PRETTY_FUNCTION__._Z39paged_attention_ll4mi_QKV_mfma16_kernelI14__hip_bfloat16hLN4vllm18Fp8KVCacheDataTypeE1ES0_Li16ELi128ELi256ELb1ELi5EEvPKT_PKT0_S8_ifPKiSA_SA_iPKfiiiPfSD_PS3_PT2_iSC_SC_, 615

	.type	__PRETTY_FUNCTION__._Z39paged_attention_ll4mi_QKV_mfma16_kernelI14__hip_bfloat16hLN4vllm18Fp8KVCacheDataTypeE1ES0_Li16ELi128ELi256ELb1ELi6EEvPKT_PKT0_S8_ifPKiSA_SA_iPKfiiiPfSD_PS3_PT2_iSC_SC_,@object ; @__PRETTY_FUNCTION__._Z39paged_attention_ll4mi_QKV_mfma16_kernelI14__hip_bfloat16hLN4vllm18Fp8KVCacheDataTypeE1ES0_Li16ELi128ELi256ELb1ELi6EEvPKT_PKT0_S8_ifPKiSA_SA_iPKfiiiPfSD_PS3_PT2_iSC_SC_
__PRETTY_FUNCTION__._Z39paged_attention_ll4mi_QKV_mfma16_kernelI14__hip_bfloat16hLN4vllm18Fp8KVCacheDataTypeE1ES0_Li16ELi128ELi256ELb1ELi6EEvPKT_PKT0_S8_ifPKiSA_SA_iPKfiiiPfSD_PS3_PT2_iSC_SC_:
	.asciz	"void paged_attention_ll4mi_QKV_mfma16_kernel(const scalar_t *__restrict, const cache_t *__restrict, const cache_t *__restrict, const int, const float, const int *__restrict, const int *__restrict, const int *__restrict, const int, const float *__restrict, const int, const int, const int, float *__restrict, float *__restrict, scalar_t *__restrict, OUTT *__restrict, int, const float *, const float *) [scalar_t = __hip_bfloat16, cache_t = unsigned char, KV_DTYPE = vllm::Fp8KVCacheDataType::kFp8E4M3, OUTT = __hip_bfloat16, BLOCK_SIZE = 16, HEAD_SIZE = 128, NUM_THREADS = 256, ALIBI_ENABLED = true, GQA_RATIO = 6]"
	.size	__PRETTY_FUNCTION__._Z39paged_attention_ll4mi_QKV_mfma16_kernelI14__hip_bfloat16hLN4vllm18Fp8KVCacheDataTypeE1ES0_Li16ELi128ELi256ELb1ELi6EEvPKT_PKT0_S8_ifPKiSA_SA_iPKfiiiPfSD_PS3_PT2_iSC_SC_, 615

	.type	__PRETTY_FUNCTION__._Z39paged_attention_ll4mi_QKV_mfma16_kernelI14__hip_bfloat16hLN4vllm18Fp8KVCacheDataTypeE1ES0_Li16ELi128ELi256ELb1ELi7EEvPKT_PKT0_S8_ifPKiSA_SA_iPKfiiiPfSD_PS3_PT2_iSC_SC_,@object ; @__PRETTY_FUNCTION__._Z39paged_attention_ll4mi_QKV_mfma16_kernelI14__hip_bfloat16hLN4vllm18Fp8KVCacheDataTypeE1ES0_Li16ELi128ELi256ELb1ELi7EEvPKT_PKT0_S8_ifPKiSA_SA_iPKfiiiPfSD_PS3_PT2_iSC_SC_
__PRETTY_FUNCTION__._Z39paged_attention_ll4mi_QKV_mfma16_kernelI14__hip_bfloat16hLN4vllm18Fp8KVCacheDataTypeE1ES0_Li16ELi128ELi256ELb1ELi7EEvPKT_PKT0_S8_ifPKiSA_SA_iPKfiiiPfSD_PS3_PT2_iSC_SC_:
	.asciz	"void paged_attention_ll4mi_QKV_mfma16_kernel(const scalar_t *__restrict, const cache_t *__restrict, const cache_t *__restrict, const int, const float, const int *__restrict, const int *__restrict, const int *__restrict, const int, const float *__restrict, const int, const int, const int, float *__restrict, float *__restrict, scalar_t *__restrict, OUTT *__restrict, int, const float *, const float *) [scalar_t = __hip_bfloat16, cache_t = unsigned char, KV_DTYPE = vllm::Fp8KVCacheDataType::kFp8E4M3, OUTT = __hip_bfloat16, BLOCK_SIZE = 16, HEAD_SIZE = 128, NUM_THREADS = 256, ALIBI_ENABLED = true, GQA_RATIO = 7]"
	.size	__PRETTY_FUNCTION__._Z39paged_attention_ll4mi_QKV_mfma16_kernelI14__hip_bfloat16hLN4vllm18Fp8KVCacheDataTypeE1ES0_Li16ELi128ELi256ELb1ELi7EEvPKT_PKT0_S8_ifPKiSA_SA_iPKfiiiPfSD_PS3_PT2_iSC_SC_, 615

	.type	__PRETTY_FUNCTION__._Z39paged_attention_ll4mi_QKV_mfma16_kernelI14__hip_bfloat16hLN4vllm18Fp8KVCacheDataTypeE1ES0_Li16ELi128ELi256ELb1ELi8EEvPKT_PKT0_S8_ifPKiSA_SA_iPKfiiiPfSD_PS3_PT2_iSC_SC_,@object ; @__PRETTY_FUNCTION__._Z39paged_attention_ll4mi_QKV_mfma16_kernelI14__hip_bfloat16hLN4vllm18Fp8KVCacheDataTypeE1ES0_Li16ELi128ELi256ELb1ELi8EEvPKT_PKT0_S8_ifPKiSA_SA_iPKfiiiPfSD_PS3_PT2_iSC_SC_
__PRETTY_FUNCTION__._Z39paged_attention_ll4mi_QKV_mfma16_kernelI14__hip_bfloat16hLN4vllm18Fp8KVCacheDataTypeE1ES0_Li16ELi128ELi256ELb1ELi8EEvPKT_PKT0_S8_ifPKiSA_SA_iPKfiiiPfSD_PS3_PT2_iSC_SC_:
	.asciz	"void paged_attention_ll4mi_QKV_mfma16_kernel(const scalar_t *__restrict, const cache_t *__restrict, const cache_t *__restrict, const int, const float, const int *__restrict, const int *__restrict, const int *__restrict, const int, const float *__restrict, const int, const int, const int, float *__restrict, float *__restrict, scalar_t *__restrict, OUTT *__restrict, int, const float *, const float *) [scalar_t = __hip_bfloat16, cache_t = unsigned char, KV_DTYPE = vllm::Fp8KVCacheDataType::kFp8E4M3, OUTT = __hip_bfloat16, BLOCK_SIZE = 16, HEAD_SIZE = 128, NUM_THREADS = 256, ALIBI_ENABLED = true, GQA_RATIO = 8]"
	.size	__PRETTY_FUNCTION__._Z39paged_attention_ll4mi_QKV_mfma16_kernelI14__hip_bfloat16hLN4vllm18Fp8KVCacheDataTypeE1ES0_Li16ELi128ELi256ELb1ELi8EEvPKT_PKT0_S8_ifPKiSA_SA_iPKfiiiPfSD_PS3_PT2_iSC_SC_, 615

	.type	__PRETTY_FUNCTION__._Z39paged_attention_ll4mi_QKV_mfma16_kernelI14__hip_bfloat16hLN4vllm18Fp8KVCacheDataTypeE1ES0_Li16ELi128ELi256ELb1ELi9EEvPKT_PKT0_S8_ifPKiSA_SA_iPKfiiiPfSD_PS3_PT2_iSC_SC_,@object ; @__PRETTY_FUNCTION__._Z39paged_attention_ll4mi_QKV_mfma16_kernelI14__hip_bfloat16hLN4vllm18Fp8KVCacheDataTypeE1ES0_Li16ELi128ELi256ELb1ELi9EEvPKT_PKT0_S8_ifPKiSA_SA_iPKfiiiPfSD_PS3_PT2_iSC_SC_
__PRETTY_FUNCTION__._Z39paged_attention_ll4mi_QKV_mfma16_kernelI14__hip_bfloat16hLN4vllm18Fp8KVCacheDataTypeE1ES0_Li16ELi128ELi256ELb1ELi9EEvPKT_PKT0_S8_ifPKiSA_SA_iPKfiiiPfSD_PS3_PT2_iSC_SC_:
	.asciz	"void paged_attention_ll4mi_QKV_mfma16_kernel(const scalar_t *__restrict, const cache_t *__restrict, const cache_t *__restrict, const int, const float, const int *__restrict, const int *__restrict, const int *__restrict, const int, const float *__restrict, const int, const int, const int, float *__restrict, float *__restrict, scalar_t *__restrict, OUTT *__restrict, int, const float *, const float *) [scalar_t = __hip_bfloat16, cache_t = unsigned char, KV_DTYPE = vllm::Fp8KVCacheDataType::kFp8E4M3, OUTT = __hip_bfloat16, BLOCK_SIZE = 16, HEAD_SIZE = 128, NUM_THREADS = 256, ALIBI_ENABLED = true, GQA_RATIO = 9]"
	.size	__PRETTY_FUNCTION__._Z39paged_attention_ll4mi_QKV_mfma16_kernelI14__hip_bfloat16hLN4vllm18Fp8KVCacheDataTypeE1ES0_Li16ELi128ELi256ELb1ELi9EEvPKT_PKT0_S8_ifPKiSA_SA_iPKfiiiPfSD_PS3_PT2_iSC_SC_, 615

	.type	__PRETTY_FUNCTION__._Z39paged_attention_ll4mi_QKV_mfma16_kernelI14__hip_bfloat16hLN4vllm18Fp8KVCacheDataTypeE1ES0_Li16ELi128ELi256ELb1ELi10EEvPKT_PKT0_S8_ifPKiSA_SA_iPKfiiiPfSD_PS3_PT2_iSC_SC_,@object ; @__PRETTY_FUNCTION__._Z39paged_attention_ll4mi_QKV_mfma16_kernelI14__hip_bfloat16hLN4vllm18Fp8KVCacheDataTypeE1ES0_Li16ELi128ELi256ELb1ELi10EEvPKT_PKT0_S8_ifPKiSA_SA_iPKfiiiPfSD_PS3_PT2_iSC_SC_
__PRETTY_FUNCTION__._Z39paged_attention_ll4mi_QKV_mfma16_kernelI14__hip_bfloat16hLN4vllm18Fp8KVCacheDataTypeE1ES0_Li16ELi128ELi256ELb1ELi10EEvPKT_PKT0_S8_ifPKiSA_SA_iPKfiiiPfSD_PS3_PT2_iSC_SC_:
	.asciz	"void paged_attention_ll4mi_QKV_mfma16_kernel(const scalar_t *__restrict, const cache_t *__restrict, const cache_t *__restrict, const int, const float, const int *__restrict, const int *__restrict, const int *__restrict, const int, const float *__restrict, const int, const int, const int, float *__restrict, float *__restrict, scalar_t *__restrict, OUTT *__restrict, int, const float *, const float *) [scalar_t = __hip_bfloat16, cache_t = unsigned char, KV_DTYPE = vllm::Fp8KVCacheDataType::kFp8E4M3, OUTT = __hip_bfloat16, BLOCK_SIZE = 16, HEAD_SIZE = 128, NUM_THREADS = 256, ALIBI_ENABLED = true, GQA_RATIO = 10]"
	.size	__PRETTY_FUNCTION__._Z39paged_attention_ll4mi_QKV_mfma16_kernelI14__hip_bfloat16hLN4vllm18Fp8KVCacheDataTypeE1ES0_Li16ELi128ELi256ELb1ELi10EEvPKT_PKT0_S8_ifPKiSA_SA_iPKfiiiPfSD_PS3_PT2_iSC_SC_, 616

	.type	__PRETTY_FUNCTION__._Z39paged_attention_ll4mi_QKV_mfma16_kernelI14__hip_bfloat16hLN4vllm18Fp8KVCacheDataTypeE1ES0_Li16ELi128ELi256ELb1ELi11EEvPKT_PKT0_S8_ifPKiSA_SA_iPKfiiiPfSD_PS3_PT2_iSC_SC_,@object ; @__PRETTY_FUNCTION__._Z39paged_attention_ll4mi_QKV_mfma16_kernelI14__hip_bfloat16hLN4vllm18Fp8KVCacheDataTypeE1ES0_Li16ELi128ELi256ELb1ELi11EEvPKT_PKT0_S8_ifPKiSA_SA_iPKfiiiPfSD_PS3_PT2_iSC_SC_
__PRETTY_FUNCTION__._Z39paged_attention_ll4mi_QKV_mfma16_kernelI14__hip_bfloat16hLN4vllm18Fp8KVCacheDataTypeE1ES0_Li16ELi128ELi256ELb1ELi11EEvPKT_PKT0_S8_ifPKiSA_SA_iPKfiiiPfSD_PS3_PT2_iSC_SC_:
	.asciz	"void paged_attention_ll4mi_QKV_mfma16_kernel(const scalar_t *__restrict, const cache_t *__restrict, const cache_t *__restrict, const int, const float, const int *__restrict, const int *__restrict, const int *__restrict, const int, const float *__restrict, const int, const int, const int, float *__restrict, float *__restrict, scalar_t *__restrict, OUTT *__restrict, int, const float *, const float *) [scalar_t = __hip_bfloat16, cache_t = unsigned char, KV_DTYPE = vllm::Fp8KVCacheDataType::kFp8E4M3, OUTT = __hip_bfloat16, BLOCK_SIZE = 16, HEAD_SIZE = 128, NUM_THREADS = 256, ALIBI_ENABLED = true, GQA_RATIO = 11]"
	.size	__PRETTY_FUNCTION__._Z39paged_attention_ll4mi_QKV_mfma16_kernelI14__hip_bfloat16hLN4vllm18Fp8KVCacheDataTypeE1ES0_Li16ELi128ELi256ELb1ELi11EEvPKT_PKT0_S8_ifPKiSA_SA_iPKfiiiPfSD_PS3_PT2_iSC_SC_, 616

	.type	__PRETTY_FUNCTION__._Z39paged_attention_ll4mi_QKV_mfma16_kernelI14__hip_bfloat16hLN4vllm18Fp8KVCacheDataTypeE1ES0_Li16ELi128ELi256ELb1ELi12EEvPKT_PKT0_S8_ifPKiSA_SA_iPKfiiiPfSD_PS3_PT2_iSC_SC_,@object ; @__PRETTY_FUNCTION__._Z39paged_attention_ll4mi_QKV_mfma16_kernelI14__hip_bfloat16hLN4vllm18Fp8KVCacheDataTypeE1ES0_Li16ELi128ELi256ELb1ELi12EEvPKT_PKT0_S8_ifPKiSA_SA_iPKfiiiPfSD_PS3_PT2_iSC_SC_
__PRETTY_FUNCTION__._Z39paged_attention_ll4mi_QKV_mfma16_kernelI14__hip_bfloat16hLN4vllm18Fp8KVCacheDataTypeE1ES0_Li16ELi128ELi256ELb1ELi12EEvPKT_PKT0_S8_ifPKiSA_SA_iPKfiiiPfSD_PS3_PT2_iSC_SC_:
	.asciz	"void paged_attention_ll4mi_QKV_mfma16_kernel(const scalar_t *__restrict, const cache_t *__restrict, const cache_t *__restrict, const int, const float, const int *__restrict, const int *__restrict, const int *__restrict, const int, const float *__restrict, const int, const int, const int, float *__restrict, float *__restrict, scalar_t *__restrict, OUTT *__restrict, int, const float *, const float *) [scalar_t = __hip_bfloat16, cache_t = unsigned char, KV_DTYPE = vllm::Fp8KVCacheDataType::kFp8E4M3, OUTT = __hip_bfloat16, BLOCK_SIZE = 16, HEAD_SIZE = 128, NUM_THREADS = 256, ALIBI_ENABLED = true, GQA_RATIO = 12]"
	.size	__PRETTY_FUNCTION__._Z39paged_attention_ll4mi_QKV_mfma16_kernelI14__hip_bfloat16hLN4vllm18Fp8KVCacheDataTypeE1ES0_Li16ELi128ELi256ELb1ELi12EEvPKT_PKT0_S8_ifPKiSA_SA_iPKfiiiPfSD_PS3_PT2_iSC_SC_, 616

	.type	__PRETTY_FUNCTION__._Z39paged_attention_ll4mi_QKV_mfma16_kernelI14__hip_bfloat16hLN4vllm18Fp8KVCacheDataTypeE1ES0_Li16ELi128ELi256ELb1ELi13EEvPKT_PKT0_S8_ifPKiSA_SA_iPKfiiiPfSD_PS3_PT2_iSC_SC_,@object ; @__PRETTY_FUNCTION__._Z39paged_attention_ll4mi_QKV_mfma16_kernelI14__hip_bfloat16hLN4vllm18Fp8KVCacheDataTypeE1ES0_Li16ELi128ELi256ELb1ELi13EEvPKT_PKT0_S8_ifPKiSA_SA_iPKfiiiPfSD_PS3_PT2_iSC_SC_
__PRETTY_FUNCTION__._Z39paged_attention_ll4mi_QKV_mfma16_kernelI14__hip_bfloat16hLN4vllm18Fp8KVCacheDataTypeE1ES0_Li16ELi128ELi256ELb1ELi13EEvPKT_PKT0_S8_ifPKiSA_SA_iPKfiiiPfSD_PS3_PT2_iSC_SC_:
	.asciz	"void paged_attention_ll4mi_QKV_mfma16_kernel(const scalar_t *__restrict, const cache_t *__restrict, const cache_t *__restrict, const int, const float, const int *__restrict, const int *__restrict, const int *__restrict, const int, const float *__restrict, const int, const int, const int, float *__restrict, float *__restrict, scalar_t *__restrict, OUTT *__restrict, int, const float *, const float *) [scalar_t = __hip_bfloat16, cache_t = unsigned char, KV_DTYPE = vllm::Fp8KVCacheDataType::kFp8E4M3, OUTT = __hip_bfloat16, BLOCK_SIZE = 16, HEAD_SIZE = 128, NUM_THREADS = 256, ALIBI_ENABLED = true, GQA_RATIO = 13]"
	.size	__PRETTY_FUNCTION__._Z39paged_attention_ll4mi_QKV_mfma16_kernelI14__hip_bfloat16hLN4vllm18Fp8KVCacheDataTypeE1ES0_Li16ELi128ELi256ELb1ELi13EEvPKT_PKT0_S8_ifPKiSA_SA_iPKfiiiPfSD_PS3_PT2_iSC_SC_, 616

	.type	__PRETTY_FUNCTION__._Z39paged_attention_ll4mi_QKV_mfma16_kernelI14__hip_bfloat16hLN4vllm18Fp8KVCacheDataTypeE1ES0_Li16ELi128ELi256ELb1ELi14EEvPKT_PKT0_S8_ifPKiSA_SA_iPKfiiiPfSD_PS3_PT2_iSC_SC_,@object ; @__PRETTY_FUNCTION__._Z39paged_attention_ll4mi_QKV_mfma16_kernelI14__hip_bfloat16hLN4vllm18Fp8KVCacheDataTypeE1ES0_Li16ELi128ELi256ELb1ELi14EEvPKT_PKT0_S8_ifPKiSA_SA_iPKfiiiPfSD_PS3_PT2_iSC_SC_
__PRETTY_FUNCTION__._Z39paged_attention_ll4mi_QKV_mfma16_kernelI14__hip_bfloat16hLN4vllm18Fp8KVCacheDataTypeE1ES0_Li16ELi128ELi256ELb1ELi14EEvPKT_PKT0_S8_ifPKiSA_SA_iPKfiiiPfSD_PS3_PT2_iSC_SC_:
	.asciz	"void paged_attention_ll4mi_QKV_mfma16_kernel(const scalar_t *__restrict, const cache_t *__restrict, const cache_t *__restrict, const int, const float, const int *__restrict, const int *__restrict, const int *__restrict, const int, const float *__restrict, const int, const int, const int, float *__restrict, float *__restrict, scalar_t *__restrict, OUTT *__restrict, int, const float *, const float *) [scalar_t = __hip_bfloat16, cache_t = unsigned char, KV_DTYPE = vllm::Fp8KVCacheDataType::kFp8E4M3, OUTT = __hip_bfloat16, BLOCK_SIZE = 16, HEAD_SIZE = 128, NUM_THREADS = 256, ALIBI_ENABLED = true, GQA_RATIO = 14]"
	.size	__PRETTY_FUNCTION__._Z39paged_attention_ll4mi_QKV_mfma16_kernelI14__hip_bfloat16hLN4vllm18Fp8KVCacheDataTypeE1ES0_Li16ELi128ELi256ELb1ELi14EEvPKT_PKT0_S8_ifPKiSA_SA_iPKfiiiPfSD_PS3_PT2_iSC_SC_, 616

	.type	__PRETTY_FUNCTION__._Z39paged_attention_ll4mi_QKV_mfma16_kernelI14__hip_bfloat16hLN4vllm18Fp8KVCacheDataTypeE1ES0_Li16ELi128ELi256ELb1ELi15EEvPKT_PKT0_S8_ifPKiSA_SA_iPKfiiiPfSD_PS3_PT2_iSC_SC_,@object ; @__PRETTY_FUNCTION__._Z39paged_attention_ll4mi_QKV_mfma16_kernelI14__hip_bfloat16hLN4vllm18Fp8KVCacheDataTypeE1ES0_Li16ELi128ELi256ELb1ELi15EEvPKT_PKT0_S8_ifPKiSA_SA_iPKfiiiPfSD_PS3_PT2_iSC_SC_
__PRETTY_FUNCTION__._Z39paged_attention_ll4mi_QKV_mfma16_kernelI14__hip_bfloat16hLN4vllm18Fp8KVCacheDataTypeE1ES0_Li16ELi128ELi256ELb1ELi15EEvPKT_PKT0_S8_ifPKiSA_SA_iPKfiiiPfSD_PS3_PT2_iSC_SC_:
	.asciz	"void paged_attention_ll4mi_QKV_mfma16_kernel(const scalar_t *__restrict, const cache_t *__restrict, const cache_t *__restrict, const int, const float, const int *__restrict, const int *__restrict, const int *__restrict, const int, const float *__restrict, const int, const int, const int, float *__restrict, float *__restrict, scalar_t *__restrict, OUTT *__restrict, int, const float *, const float *) [scalar_t = __hip_bfloat16, cache_t = unsigned char, KV_DTYPE = vllm::Fp8KVCacheDataType::kFp8E4M3, OUTT = __hip_bfloat16, BLOCK_SIZE = 16, HEAD_SIZE = 128, NUM_THREADS = 256, ALIBI_ENABLED = true, GQA_RATIO = 15]"
	.size	__PRETTY_FUNCTION__._Z39paged_attention_ll4mi_QKV_mfma16_kernelI14__hip_bfloat16hLN4vllm18Fp8KVCacheDataTypeE1ES0_Li16ELi128ELi256ELb1ELi15EEvPKT_PKT0_S8_ifPKiSA_SA_iPKfiiiPfSD_PS3_PT2_iSC_SC_, 616

	.type	__PRETTY_FUNCTION__._Z39paged_attention_ll4mi_QKV_mfma16_kernelI14__hip_bfloat16hLN4vllm18Fp8KVCacheDataTypeE1ES0_Li16ELi128ELi256ELb1ELi16EEvPKT_PKT0_S8_ifPKiSA_SA_iPKfiiiPfSD_PS3_PT2_iSC_SC_,@object ; @__PRETTY_FUNCTION__._Z39paged_attention_ll4mi_QKV_mfma16_kernelI14__hip_bfloat16hLN4vllm18Fp8KVCacheDataTypeE1ES0_Li16ELi128ELi256ELb1ELi16EEvPKT_PKT0_S8_ifPKiSA_SA_iPKfiiiPfSD_PS3_PT2_iSC_SC_
__PRETTY_FUNCTION__._Z39paged_attention_ll4mi_QKV_mfma16_kernelI14__hip_bfloat16hLN4vllm18Fp8KVCacheDataTypeE1ES0_Li16ELi128ELi256ELb1ELi16EEvPKT_PKT0_S8_ifPKiSA_SA_iPKfiiiPfSD_PS3_PT2_iSC_SC_:
	.asciz	"void paged_attention_ll4mi_QKV_mfma16_kernel(const scalar_t *__restrict, const cache_t *__restrict, const cache_t *__restrict, const int, const float, const int *__restrict, const int *__restrict, const int *__restrict, const int, const float *__restrict, const int, const int, const int, float *__restrict, float *__restrict, scalar_t *__restrict, OUTT *__restrict, int, const float *, const float *) [scalar_t = __hip_bfloat16, cache_t = unsigned char, KV_DTYPE = vllm::Fp8KVCacheDataType::kFp8E4M3, OUTT = __hip_bfloat16, BLOCK_SIZE = 16, HEAD_SIZE = 128, NUM_THREADS = 256, ALIBI_ENABLED = true, GQA_RATIO = 16]"
	.size	__PRETTY_FUNCTION__._Z39paged_attention_ll4mi_QKV_mfma16_kernelI14__hip_bfloat16hLN4vllm18Fp8KVCacheDataTypeE1ES0_Li16ELi128ELi256ELb1ELi16EEvPKT_PKT0_S8_ifPKiSA_SA_iPKfiiiPfSD_PS3_PT2_iSC_SC_, 616

	.type	__PRETTY_FUNCTION__._Z39paged_attention_ll4mi_QKV_mfma16_kernelI14__hip_bfloat16hLN4vllm18Fp8KVCacheDataTypeE1ES0_Li16ELi128ELi256ELb1ELi1EEvPKT_PKT0_S8_ifPKiSA_SA_iPKfiiiPfSD_PS3_PT2_iSC_SC_,@object ; @__PRETTY_FUNCTION__._Z39paged_attention_ll4mi_QKV_mfma16_kernelI14__hip_bfloat16hLN4vllm18Fp8KVCacheDataTypeE1ES0_Li16ELi128ELi256ELb1ELi1EEvPKT_PKT0_S8_ifPKiSA_SA_iPKfiiiPfSD_PS3_PT2_iSC_SC_
__PRETTY_FUNCTION__._Z39paged_attention_ll4mi_QKV_mfma16_kernelI14__hip_bfloat16hLN4vllm18Fp8KVCacheDataTypeE1ES0_Li16ELi128ELi256ELb1ELi1EEvPKT_PKT0_S8_ifPKiSA_SA_iPKfiiiPfSD_PS3_PT2_iSC_SC_:
	.asciz	"void paged_attention_ll4mi_QKV_mfma16_kernel(const scalar_t *__restrict, const cache_t *__restrict, const cache_t *__restrict, const int, const float, const int *__restrict, const int *__restrict, const int *__restrict, const int, const float *__restrict, const int, const int, const int, float *__restrict, float *__restrict, scalar_t *__restrict, OUTT *__restrict, int, const float *, const float *) [scalar_t = __hip_bfloat16, cache_t = unsigned char, KV_DTYPE = vllm::Fp8KVCacheDataType::kFp8E4M3, OUTT = __hip_bfloat16, BLOCK_SIZE = 16, HEAD_SIZE = 128, NUM_THREADS = 256, ALIBI_ENABLED = true, GQA_RATIO = 1]"
	.size	__PRETTY_FUNCTION__._Z39paged_attention_ll4mi_QKV_mfma16_kernelI14__hip_bfloat16hLN4vllm18Fp8KVCacheDataTypeE1ES0_Li16ELi128ELi256ELb1ELi1EEvPKT_PKT0_S8_ifPKiSA_SA_iPKfiiiPfSD_PS3_PT2_iSC_SC_, 615

	.type	__PRETTY_FUNCTION__._Z39paged_attention_ll4mi_QKV_mfma16_kernelI14__hip_bfloat16hLN4vllm18Fp8KVCacheDataTypeE1ES0_Li16ELi128ELi256ELb1ELi2EEvPKT_PKT0_S8_ifPKiSA_SA_iPKfiiiPfSD_PS3_PT2_iSC_SC_,@object ; @__PRETTY_FUNCTION__._Z39paged_attention_ll4mi_QKV_mfma16_kernelI14__hip_bfloat16hLN4vllm18Fp8KVCacheDataTypeE1ES0_Li16ELi128ELi256ELb1ELi2EEvPKT_PKT0_S8_ifPKiSA_SA_iPKfiiiPfSD_PS3_PT2_iSC_SC_
__PRETTY_FUNCTION__._Z39paged_attention_ll4mi_QKV_mfma16_kernelI14__hip_bfloat16hLN4vllm18Fp8KVCacheDataTypeE1ES0_Li16ELi128ELi256ELb1ELi2EEvPKT_PKT0_S8_ifPKiSA_SA_iPKfiiiPfSD_PS3_PT2_iSC_SC_:
	.asciz	"void paged_attention_ll4mi_QKV_mfma16_kernel(const scalar_t *__restrict, const cache_t *__restrict, const cache_t *__restrict, const int, const float, const int *__restrict, const int *__restrict, const int *__restrict, const int, const float *__restrict, const int, const int, const int, float *__restrict, float *__restrict, scalar_t *__restrict, OUTT *__restrict, int, const float *, const float *) [scalar_t = __hip_bfloat16, cache_t = unsigned char, KV_DTYPE = vllm::Fp8KVCacheDataType::kFp8E4M3, OUTT = __hip_bfloat16, BLOCK_SIZE = 16, HEAD_SIZE = 128, NUM_THREADS = 256, ALIBI_ENABLED = true, GQA_RATIO = 2]"
	.size	__PRETTY_FUNCTION__._Z39paged_attention_ll4mi_QKV_mfma16_kernelI14__hip_bfloat16hLN4vllm18Fp8KVCacheDataTypeE1ES0_Li16ELi128ELi256ELb1ELi2EEvPKT_PKT0_S8_ifPKiSA_SA_iPKfiiiPfSD_PS3_PT2_iSC_SC_, 615

	.type	__PRETTY_FUNCTION__._Z39paged_attention_ll4mi_QKV_mfma16_kernelI14__hip_bfloat16hLN4vllm18Fp8KVCacheDataTypeE1ES0_Li16ELi128ELi256ELb1ELi3EEvPKT_PKT0_S8_ifPKiSA_SA_iPKfiiiPfSD_PS3_PT2_iSC_SC_,@object ; @__PRETTY_FUNCTION__._Z39paged_attention_ll4mi_QKV_mfma16_kernelI14__hip_bfloat16hLN4vllm18Fp8KVCacheDataTypeE1ES0_Li16ELi128ELi256ELb1ELi3EEvPKT_PKT0_S8_ifPKiSA_SA_iPKfiiiPfSD_PS3_PT2_iSC_SC_
__PRETTY_FUNCTION__._Z39paged_attention_ll4mi_QKV_mfma16_kernelI14__hip_bfloat16hLN4vllm18Fp8KVCacheDataTypeE1ES0_Li16ELi128ELi256ELb1ELi3EEvPKT_PKT0_S8_ifPKiSA_SA_iPKfiiiPfSD_PS3_PT2_iSC_SC_:
	.asciz	"void paged_attention_ll4mi_QKV_mfma16_kernel(const scalar_t *__restrict, const cache_t *__restrict, const cache_t *__restrict, const int, const float, const int *__restrict, const int *__restrict, const int *__restrict, const int, const float *__restrict, const int, const int, const int, float *__restrict, float *__restrict, scalar_t *__restrict, OUTT *__restrict, int, const float *, const float *) [scalar_t = __hip_bfloat16, cache_t = unsigned char, KV_DTYPE = vllm::Fp8KVCacheDataType::kFp8E4M3, OUTT = __hip_bfloat16, BLOCK_SIZE = 16, HEAD_SIZE = 128, NUM_THREADS = 256, ALIBI_ENABLED = true, GQA_RATIO = 3]"
	.size	__PRETTY_FUNCTION__._Z39paged_attention_ll4mi_QKV_mfma16_kernelI14__hip_bfloat16hLN4vllm18Fp8KVCacheDataTypeE1ES0_Li16ELi128ELi256ELb1ELi3EEvPKT_PKT0_S8_ifPKiSA_SA_iPKfiiiPfSD_PS3_PT2_iSC_SC_, 615

	.type	__PRETTY_FUNCTION__._Z39paged_attention_ll4mi_QKV_mfma16_kernelI14__hip_bfloat16hLN4vllm18Fp8KVCacheDataTypeE1ES0_Li16ELi128ELi256ELb1ELi4EEvPKT_PKT0_S8_ifPKiSA_SA_iPKfiiiPfSD_PS3_PT2_iSC_SC_,@object ; @__PRETTY_FUNCTION__._Z39paged_attention_ll4mi_QKV_mfma16_kernelI14__hip_bfloat16hLN4vllm18Fp8KVCacheDataTypeE1ES0_Li16ELi128ELi256ELb1ELi4EEvPKT_PKT0_S8_ifPKiSA_SA_iPKfiiiPfSD_PS3_PT2_iSC_SC_
__PRETTY_FUNCTION__._Z39paged_attention_ll4mi_QKV_mfma16_kernelI14__hip_bfloat16hLN4vllm18Fp8KVCacheDataTypeE1ES0_Li16ELi128ELi256ELb1ELi4EEvPKT_PKT0_S8_ifPKiSA_SA_iPKfiiiPfSD_PS3_PT2_iSC_SC_:
	.asciz	"void paged_attention_ll4mi_QKV_mfma16_kernel(const scalar_t *__restrict, const cache_t *__restrict, const cache_t *__restrict, const int, const float, const int *__restrict, const int *__restrict, const int *__restrict, const int, const float *__restrict, const int, const int, const int, float *__restrict, float *__restrict, scalar_t *__restrict, OUTT *__restrict, int, const float *, const float *) [scalar_t = __hip_bfloat16, cache_t = unsigned char, KV_DTYPE = vllm::Fp8KVCacheDataType::kFp8E4M3, OUTT = __hip_bfloat16, BLOCK_SIZE = 16, HEAD_SIZE = 128, NUM_THREADS = 256, ALIBI_ENABLED = true, GQA_RATIO = 4]"
	.size	__PRETTY_FUNCTION__._Z39paged_attention_ll4mi_QKV_mfma16_kernelI14__hip_bfloat16hLN4vllm18Fp8KVCacheDataTypeE1ES0_Li16ELi128ELi256ELb1ELi4EEvPKT_PKT0_S8_ifPKiSA_SA_iPKfiiiPfSD_PS3_PT2_iSC_SC_, 615

	.type	__PRETTY_FUNCTION__._Z38paged_attention_ll4mi_QKV_mfma4_kernelI14__hip_bfloat16hLN4vllm18Fp8KVCacheDataTypeE1ES0_Li16ELi128ELi256ELb0ELi1EEvPKT_PKT0_S8_ifPKiSA_SA_iPKfiiiPfSD_PS3_PT2_iSC_SC_,@object ; @__PRETTY_FUNCTION__._Z38paged_attention_ll4mi_QKV_mfma4_kernelI14__hip_bfloat16hLN4vllm18Fp8KVCacheDataTypeE1ES0_Li16ELi128ELi256ELb0ELi1EEvPKT_PKT0_S8_ifPKiSA_SA_iPKfiiiPfSD_PS3_PT2_iSC_SC_
__PRETTY_FUNCTION__._Z38paged_attention_ll4mi_QKV_mfma4_kernelI14__hip_bfloat16hLN4vllm18Fp8KVCacheDataTypeE1ES0_Li16ELi128ELi256ELb0ELi1EEvPKT_PKT0_S8_ifPKiSA_SA_iPKfiiiPfSD_PS3_PT2_iSC_SC_:
	.asciz	"void paged_attention_ll4mi_QKV_mfma4_kernel(const scalar_t *__restrict, const cache_t *__restrict, const cache_t *__restrict, const int, const float, const int *__restrict, const int *__restrict, const int *__restrict, const int, const float *__restrict, const int, const int, const int, float *__restrict, float *__restrict, scalar_t *__restrict, OUTT *__restrict, int, const float *, const float *) [scalar_t = __hip_bfloat16, cache_t = unsigned char, KV_DTYPE = vllm::Fp8KVCacheDataType::kFp8E4M3, OUTT = __hip_bfloat16, BLOCK_SIZE = 16, HEAD_SIZE = 128, NUM_THREADS = 256, ALIBI_ENABLED = false, GQA_RATIO = 1]"
	.size	__PRETTY_FUNCTION__._Z38paged_attention_ll4mi_QKV_mfma4_kernelI14__hip_bfloat16hLN4vllm18Fp8KVCacheDataTypeE1ES0_Li16ELi128ELi256ELb0ELi1EEvPKT_PKT0_S8_ifPKiSA_SA_iPKfiiiPfSD_PS3_PT2_iSC_SC_, 615

	.type	__PRETTY_FUNCTION__._Z38paged_attention_ll4mi_QKV_mfma4_kernelI14__hip_bfloat16hLN4vllm18Fp8KVCacheDataTypeE1ES0_Li16ELi128ELi256ELb0ELi2EEvPKT_PKT0_S8_ifPKiSA_SA_iPKfiiiPfSD_PS3_PT2_iSC_SC_,@object ; @__PRETTY_FUNCTION__._Z38paged_attention_ll4mi_QKV_mfma4_kernelI14__hip_bfloat16hLN4vllm18Fp8KVCacheDataTypeE1ES0_Li16ELi128ELi256ELb0ELi2EEvPKT_PKT0_S8_ifPKiSA_SA_iPKfiiiPfSD_PS3_PT2_iSC_SC_
__PRETTY_FUNCTION__._Z38paged_attention_ll4mi_QKV_mfma4_kernelI14__hip_bfloat16hLN4vllm18Fp8KVCacheDataTypeE1ES0_Li16ELi128ELi256ELb0ELi2EEvPKT_PKT0_S8_ifPKiSA_SA_iPKfiiiPfSD_PS3_PT2_iSC_SC_:
	.asciz	"void paged_attention_ll4mi_QKV_mfma4_kernel(const scalar_t *__restrict, const cache_t *__restrict, const cache_t *__restrict, const int, const float, const int *__restrict, const int *__restrict, const int *__restrict, const int, const float *__restrict, const int, const int, const int, float *__restrict, float *__restrict, scalar_t *__restrict, OUTT *__restrict, int, const float *, const float *) [scalar_t = __hip_bfloat16, cache_t = unsigned char, KV_DTYPE = vllm::Fp8KVCacheDataType::kFp8E4M3, OUTT = __hip_bfloat16, BLOCK_SIZE = 16, HEAD_SIZE = 128, NUM_THREADS = 256, ALIBI_ENABLED = false, GQA_RATIO = 2]"
	.size	__PRETTY_FUNCTION__._Z38paged_attention_ll4mi_QKV_mfma4_kernelI14__hip_bfloat16hLN4vllm18Fp8KVCacheDataTypeE1ES0_Li16ELi128ELi256ELb0ELi2EEvPKT_PKT0_S8_ifPKiSA_SA_iPKfiiiPfSD_PS3_PT2_iSC_SC_, 615

	.type	__PRETTY_FUNCTION__._Z38paged_attention_ll4mi_QKV_mfma4_kernelI14__hip_bfloat16hLN4vllm18Fp8KVCacheDataTypeE1ES0_Li16ELi128ELi256ELb0ELi3EEvPKT_PKT0_S8_ifPKiSA_SA_iPKfiiiPfSD_PS3_PT2_iSC_SC_,@object ; @__PRETTY_FUNCTION__._Z38paged_attention_ll4mi_QKV_mfma4_kernelI14__hip_bfloat16hLN4vllm18Fp8KVCacheDataTypeE1ES0_Li16ELi128ELi256ELb0ELi3EEvPKT_PKT0_S8_ifPKiSA_SA_iPKfiiiPfSD_PS3_PT2_iSC_SC_
__PRETTY_FUNCTION__._Z38paged_attention_ll4mi_QKV_mfma4_kernelI14__hip_bfloat16hLN4vllm18Fp8KVCacheDataTypeE1ES0_Li16ELi128ELi256ELb0ELi3EEvPKT_PKT0_S8_ifPKiSA_SA_iPKfiiiPfSD_PS3_PT2_iSC_SC_:
	.asciz	"void paged_attention_ll4mi_QKV_mfma4_kernel(const scalar_t *__restrict, const cache_t *__restrict, const cache_t *__restrict, const int, const float, const int *__restrict, const int *__restrict, const int *__restrict, const int, const float *__restrict, const int, const int, const int, float *__restrict, float *__restrict, scalar_t *__restrict, OUTT *__restrict, int, const float *, const float *) [scalar_t = __hip_bfloat16, cache_t = unsigned char, KV_DTYPE = vllm::Fp8KVCacheDataType::kFp8E4M3, OUTT = __hip_bfloat16, BLOCK_SIZE = 16, HEAD_SIZE = 128, NUM_THREADS = 256, ALIBI_ENABLED = false, GQA_RATIO = 3]"
	.size	__PRETTY_FUNCTION__._Z38paged_attention_ll4mi_QKV_mfma4_kernelI14__hip_bfloat16hLN4vllm18Fp8KVCacheDataTypeE1ES0_Li16ELi128ELi256ELb0ELi3EEvPKT_PKT0_S8_ifPKiSA_SA_iPKfiiiPfSD_PS3_PT2_iSC_SC_, 615

	.type	__PRETTY_FUNCTION__._Z38paged_attention_ll4mi_QKV_mfma4_kernelI14__hip_bfloat16hLN4vllm18Fp8KVCacheDataTypeE1ES0_Li16ELi128ELi256ELb0ELi4EEvPKT_PKT0_S8_ifPKiSA_SA_iPKfiiiPfSD_PS3_PT2_iSC_SC_,@object ; @__PRETTY_FUNCTION__._Z38paged_attention_ll4mi_QKV_mfma4_kernelI14__hip_bfloat16hLN4vllm18Fp8KVCacheDataTypeE1ES0_Li16ELi128ELi256ELb0ELi4EEvPKT_PKT0_S8_ifPKiSA_SA_iPKfiiiPfSD_PS3_PT2_iSC_SC_
__PRETTY_FUNCTION__._Z38paged_attention_ll4mi_QKV_mfma4_kernelI14__hip_bfloat16hLN4vllm18Fp8KVCacheDataTypeE1ES0_Li16ELi128ELi256ELb0ELi4EEvPKT_PKT0_S8_ifPKiSA_SA_iPKfiiiPfSD_PS3_PT2_iSC_SC_:
	.asciz	"void paged_attention_ll4mi_QKV_mfma4_kernel(const scalar_t *__restrict, const cache_t *__restrict, const cache_t *__restrict, const int, const float, const int *__restrict, const int *__restrict, const int *__restrict, const int, const float *__restrict, const int, const int, const int, float *__restrict, float *__restrict, scalar_t *__restrict, OUTT *__restrict, int, const float *, const float *) [scalar_t = __hip_bfloat16, cache_t = unsigned char, KV_DTYPE = vllm::Fp8KVCacheDataType::kFp8E4M3, OUTT = __hip_bfloat16, BLOCK_SIZE = 16, HEAD_SIZE = 128, NUM_THREADS = 256, ALIBI_ENABLED = false, GQA_RATIO = 4]"
	.size	__PRETTY_FUNCTION__._Z38paged_attention_ll4mi_QKV_mfma4_kernelI14__hip_bfloat16hLN4vllm18Fp8KVCacheDataTypeE1ES0_Li16ELi128ELi256ELb0ELi4EEvPKT_PKT0_S8_ifPKiSA_SA_iPKfiiiPfSD_PS3_PT2_iSC_SC_, 615

	.type	__PRETTY_FUNCTION__._Z39paged_attention_ll4mi_QKV_mfma16_kernelI14__hip_bfloat16hLN4vllm18Fp8KVCacheDataTypeE1ES0_Li16ELi128ELi256ELb0ELi5EEvPKT_PKT0_S8_ifPKiSA_SA_iPKfiiiPfSD_PS3_PT2_iSC_SC_,@object ; @__PRETTY_FUNCTION__._Z39paged_attention_ll4mi_QKV_mfma16_kernelI14__hip_bfloat16hLN4vllm18Fp8KVCacheDataTypeE1ES0_Li16ELi128ELi256ELb0ELi5EEvPKT_PKT0_S8_ifPKiSA_SA_iPKfiiiPfSD_PS3_PT2_iSC_SC_
__PRETTY_FUNCTION__._Z39paged_attention_ll4mi_QKV_mfma16_kernelI14__hip_bfloat16hLN4vllm18Fp8KVCacheDataTypeE1ES0_Li16ELi128ELi256ELb0ELi5EEvPKT_PKT0_S8_ifPKiSA_SA_iPKfiiiPfSD_PS3_PT2_iSC_SC_:
	.asciz	"void paged_attention_ll4mi_QKV_mfma16_kernel(const scalar_t *__restrict, const cache_t *__restrict, const cache_t *__restrict, const int, const float, const int *__restrict, const int *__restrict, const int *__restrict, const int, const float *__restrict, const int, const int, const int, float *__restrict, float *__restrict, scalar_t *__restrict, OUTT *__restrict, int, const float *, const float *) [scalar_t = __hip_bfloat16, cache_t = unsigned char, KV_DTYPE = vllm::Fp8KVCacheDataType::kFp8E4M3, OUTT = __hip_bfloat16, BLOCK_SIZE = 16, HEAD_SIZE = 128, NUM_THREADS = 256, ALIBI_ENABLED = false, GQA_RATIO = 5]"
	.size	__PRETTY_FUNCTION__._Z39paged_attention_ll4mi_QKV_mfma16_kernelI14__hip_bfloat16hLN4vllm18Fp8KVCacheDataTypeE1ES0_Li16ELi128ELi256ELb0ELi5EEvPKT_PKT0_S8_ifPKiSA_SA_iPKfiiiPfSD_PS3_PT2_iSC_SC_, 616

	.type	__PRETTY_FUNCTION__._Z39paged_attention_ll4mi_QKV_mfma16_kernelI14__hip_bfloat16hLN4vllm18Fp8KVCacheDataTypeE1ES0_Li16ELi128ELi256ELb0ELi6EEvPKT_PKT0_S8_ifPKiSA_SA_iPKfiiiPfSD_PS3_PT2_iSC_SC_,@object ; @__PRETTY_FUNCTION__._Z39paged_attention_ll4mi_QKV_mfma16_kernelI14__hip_bfloat16hLN4vllm18Fp8KVCacheDataTypeE1ES0_Li16ELi128ELi256ELb0ELi6EEvPKT_PKT0_S8_ifPKiSA_SA_iPKfiiiPfSD_PS3_PT2_iSC_SC_
__PRETTY_FUNCTION__._Z39paged_attention_ll4mi_QKV_mfma16_kernelI14__hip_bfloat16hLN4vllm18Fp8KVCacheDataTypeE1ES0_Li16ELi128ELi256ELb0ELi6EEvPKT_PKT0_S8_ifPKiSA_SA_iPKfiiiPfSD_PS3_PT2_iSC_SC_:
	.asciz	"void paged_attention_ll4mi_QKV_mfma16_kernel(const scalar_t *__restrict, const cache_t *__restrict, const cache_t *__restrict, const int, const float, const int *__restrict, const int *__restrict, const int *__restrict, const int, const float *__restrict, const int, const int, const int, float *__restrict, float *__restrict, scalar_t *__restrict, OUTT *__restrict, int, const float *, const float *) [scalar_t = __hip_bfloat16, cache_t = unsigned char, KV_DTYPE = vllm::Fp8KVCacheDataType::kFp8E4M3, OUTT = __hip_bfloat16, BLOCK_SIZE = 16, HEAD_SIZE = 128, NUM_THREADS = 256, ALIBI_ENABLED = false, GQA_RATIO = 6]"
	.size	__PRETTY_FUNCTION__._Z39paged_attention_ll4mi_QKV_mfma16_kernelI14__hip_bfloat16hLN4vllm18Fp8KVCacheDataTypeE1ES0_Li16ELi128ELi256ELb0ELi6EEvPKT_PKT0_S8_ifPKiSA_SA_iPKfiiiPfSD_PS3_PT2_iSC_SC_, 616

	.type	__PRETTY_FUNCTION__._Z39paged_attention_ll4mi_QKV_mfma16_kernelI14__hip_bfloat16hLN4vllm18Fp8KVCacheDataTypeE1ES0_Li16ELi128ELi256ELb0ELi7EEvPKT_PKT0_S8_ifPKiSA_SA_iPKfiiiPfSD_PS3_PT2_iSC_SC_,@object ; @__PRETTY_FUNCTION__._Z39paged_attention_ll4mi_QKV_mfma16_kernelI14__hip_bfloat16hLN4vllm18Fp8KVCacheDataTypeE1ES0_Li16ELi128ELi256ELb0ELi7EEvPKT_PKT0_S8_ifPKiSA_SA_iPKfiiiPfSD_PS3_PT2_iSC_SC_
__PRETTY_FUNCTION__._Z39paged_attention_ll4mi_QKV_mfma16_kernelI14__hip_bfloat16hLN4vllm18Fp8KVCacheDataTypeE1ES0_Li16ELi128ELi256ELb0ELi7EEvPKT_PKT0_S8_ifPKiSA_SA_iPKfiiiPfSD_PS3_PT2_iSC_SC_:
	.asciz	"void paged_attention_ll4mi_QKV_mfma16_kernel(const scalar_t *__restrict, const cache_t *__restrict, const cache_t *__restrict, const int, const float, const int *__restrict, const int *__restrict, const int *__restrict, const int, const float *__restrict, const int, const int, const int, float *__restrict, float *__restrict, scalar_t *__restrict, OUTT *__restrict, int, const float *, const float *) [scalar_t = __hip_bfloat16, cache_t = unsigned char, KV_DTYPE = vllm::Fp8KVCacheDataType::kFp8E4M3, OUTT = __hip_bfloat16, BLOCK_SIZE = 16, HEAD_SIZE = 128, NUM_THREADS = 256, ALIBI_ENABLED = false, GQA_RATIO = 7]"
	.size	__PRETTY_FUNCTION__._Z39paged_attention_ll4mi_QKV_mfma16_kernelI14__hip_bfloat16hLN4vllm18Fp8KVCacheDataTypeE1ES0_Li16ELi128ELi256ELb0ELi7EEvPKT_PKT0_S8_ifPKiSA_SA_iPKfiiiPfSD_PS3_PT2_iSC_SC_, 616

	.type	__PRETTY_FUNCTION__._Z39paged_attention_ll4mi_QKV_mfma16_kernelI14__hip_bfloat16hLN4vllm18Fp8KVCacheDataTypeE1ES0_Li16ELi128ELi256ELb0ELi8EEvPKT_PKT0_S8_ifPKiSA_SA_iPKfiiiPfSD_PS3_PT2_iSC_SC_,@object ; @__PRETTY_FUNCTION__._Z39paged_attention_ll4mi_QKV_mfma16_kernelI14__hip_bfloat16hLN4vllm18Fp8KVCacheDataTypeE1ES0_Li16ELi128ELi256ELb0ELi8EEvPKT_PKT0_S8_ifPKiSA_SA_iPKfiiiPfSD_PS3_PT2_iSC_SC_
__PRETTY_FUNCTION__._Z39paged_attention_ll4mi_QKV_mfma16_kernelI14__hip_bfloat16hLN4vllm18Fp8KVCacheDataTypeE1ES0_Li16ELi128ELi256ELb0ELi8EEvPKT_PKT0_S8_ifPKiSA_SA_iPKfiiiPfSD_PS3_PT2_iSC_SC_:
	.asciz	"void paged_attention_ll4mi_QKV_mfma16_kernel(const scalar_t *__restrict, const cache_t *__restrict, const cache_t *__restrict, const int, const float, const int *__restrict, const int *__restrict, const int *__restrict, const int, const float *__restrict, const int, const int, const int, float *__restrict, float *__restrict, scalar_t *__restrict, OUTT *__restrict, int, const float *, const float *) [scalar_t = __hip_bfloat16, cache_t = unsigned char, KV_DTYPE = vllm::Fp8KVCacheDataType::kFp8E4M3, OUTT = __hip_bfloat16, BLOCK_SIZE = 16, HEAD_SIZE = 128, NUM_THREADS = 256, ALIBI_ENABLED = false, GQA_RATIO = 8]"
	.size	__PRETTY_FUNCTION__._Z39paged_attention_ll4mi_QKV_mfma16_kernelI14__hip_bfloat16hLN4vllm18Fp8KVCacheDataTypeE1ES0_Li16ELi128ELi256ELb0ELi8EEvPKT_PKT0_S8_ifPKiSA_SA_iPKfiiiPfSD_PS3_PT2_iSC_SC_, 616

	.type	__PRETTY_FUNCTION__._Z39paged_attention_ll4mi_QKV_mfma16_kernelI14__hip_bfloat16hLN4vllm18Fp8KVCacheDataTypeE1ES0_Li16ELi128ELi256ELb0ELi9EEvPKT_PKT0_S8_ifPKiSA_SA_iPKfiiiPfSD_PS3_PT2_iSC_SC_,@object ; @__PRETTY_FUNCTION__._Z39paged_attention_ll4mi_QKV_mfma16_kernelI14__hip_bfloat16hLN4vllm18Fp8KVCacheDataTypeE1ES0_Li16ELi128ELi256ELb0ELi9EEvPKT_PKT0_S8_ifPKiSA_SA_iPKfiiiPfSD_PS3_PT2_iSC_SC_
__PRETTY_FUNCTION__._Z39paged_attention_ll4mi_QKV_mfma16_kernelI14__hip_bfloat16hLN4vllm18Fp8KVCacheDataTypeE1ES0_Li16ELi128ELi256ELb0ELi9EEvPKT_PKT0_S8_ifPKiSA_SA_iPKfiiiPfSD_PS3_PT2_iSC_SC_:
	.asciz	"void paged_attention_ll4mi_QKV_mfma16_kernel(const scalar_t *__restrict, const cache_t *__restrict, const cache_t *__restrict, const int, const float, const int *__restrict, const int *__restrict, const int *__restrict, const int, const float *__restrict, const int, const int, const int, float *__restrict, float *__restrict, scalar_t *__restrict, OUTT *__restrict, int, const float *, const float *) [scalar_t = __hip_bfloat16, cache_t = unsigned char, KV_DTYPE = vllm::Fp8KVCacheDataType::kFp8E4M3, OUTT = __hip_bfloat16, BLOCK_SIZE = 16, HEAD_SIZE = 128, NUM_THREADS = 256, ALIBI_ENABLED = false, GQA_RATIO = 9]"
	.size	__PRETTY_FUNCTION__._Z39paged_attention_ll4mi_QKV_mfma16_kernelI14__hip_bfloat16hLN4vllm18Fp8KVCacheDataTypeE1ES0_Li16ELi128ELi256ELb0ELi9EEvPKT_PKT0_S8_ifPKiSA_SA_iPKfiiiPfSD_PS3_PT2_iSC_SC_, 616

	.type	__PRETTY_FUNCTION__._Z39paged_attention_ll4mi_QKV_mfma16_kernelI14__hip_bfloat16hLN4vllm18Fp8KVCacheDataTypeE1ES0_Li16ELi128ELi256ELb0ELi10EEvPKT_PKT0_S8_ifPKiSA_SA_iPKfiiiPfSD_PS3_PT2_iSC_SC_,@object ; @__PRETTY_FUNCTION__._Z39paged_attention_ll4mi_QKV_mfma16_kernelI14__hip_bfloat16hLN4vllm18Fp8KVCacheDataTypeE1ES0_Li16ELi128ELi256ELb0ELi10EEvPKT_PKT0_S8_ifPKiSA_SA_iPKfiiiPfSD_PS3_PT2_iSC_SC_
__PRETTY_FUNCTION__._Z39paged_attention_ll4mi_QKV_mfma16_kernelI14__hip_bfloat16hLN4vllm18Fp8KVCacheDataTypeE1ES0_Li16ELi128ELi256ELb0ELi10EEvPKT_PKT0_S8_ifPKiSA_SA_iPKfiiiPfSD_PS3_PT2_iSC_SC_:
	.asciz	"void paged_attention_ll4mi_QKV_mfma16_kernel(const scalar_t *__restrict, const cache_t *__restrict, const cache_t *__restrict, const int, const float, const int *__restrict, const int *__restrict, const int *__restrict, const int, const float *__restrict, const int, const int, const int, float *__restrict, float *__restrict, scalar_t *__restrict, OUTT *__restrict, int, const float *, const float *) [scalar_t = __hip_bfloat16, cache_t = unsigned char, KV_DTYPE = vllm::Fp8KVCacheDataType::kFp8E4M3, OUTT = __hip_bfloat16, BLOCK_SIZE = 16, HEAD_SIZE = 128, NUM_THREADS = 256, ALIBI_ENABLED = false, GQA_RATIO = 10]"
	.size	__PRETTY_FUNCTION__._Z39paged_attention_ll4mi_QKV_mfma16_kernelI14__hip_bfloat16hLN4vllm18Fp8KVCacheDataTypeE1ES0_Li16ELi128ELi256ELb0ELi10EEvPKT_PKT0_S8_ifPKiSA_SA_iPKfiiiPfSD_PS3_PT2_iSC_SC_, 617

	.type	__PRETTY_FUNCTION__._Z39paged_attention_ll4mi_QKV_mfma16_kernelI14__hip_bfloat16hLN4vllm18Fp8KVCacheDataTypeE1ES0_Li16ELi128ELi256ELb0ELi11EEvPKT_PKT0_S8_ifPKiSA_SA_iPKfiiiPfSD_PS3_PT2_iSC_SC_,@object ; @__PRETTY_FUNCTION__._Z39paged_attention_ll4mi_QKV_mfma16_kernelI14__hip_bfloat16hLN4vllm18Fp8KVCacheDataTypeE1ES0_Li16ELi128ELi256ELb0ELi11EEvPKT_PKT0_S8_ifPKiSA_SA_iPKfiiiPfSD_PS3_PT2_iSC_SC_
__PRETTY_FUNCTION__._Z39paged_attention_ll4mi_QKV_mfma16_kernelI14__hip_bfloat16hLN4vllm18Fp8KVCacheDataTypeE1ES0_Li16ELi128ELi256ELb0ELi11EEvPKT_PKT0_S8_ifPKiSA_SA_iPKfiiiPfSD_PS3_PT2_iSC_SC_:
	.asciz	"void paged_attention_ll4mi_QKV_mfma16_kernel(const scalar_t *__restrict, const cache_t *__restrict, const cache_t *__restrict, const int, const float, const int *__restrict, const int *__restrict, const int *__restrict, const int, const float *__restrict, const int, const int, const int, float *__restrict, float *__restrict, scalar_t *__restrict, OUTT *__restrict, int, const float *, const float *) [scalar_t = __hip_bfloat16, cache_t = unsigned char, KV_DTYPE = vllm::Fp8KVCacheDataType::kFp8E4M3, OUTT = __hip_bfloat16, BLOCK_SIZE = 16, HEAD_SIZE = 128, NUM_THREADS = 256, ALIBI_ENABLED = false, GQA_RATIO = 11]"
	.size	__PRETTY_FUNCTION__._Z39paged_attention_ll4mi_QKV_mfma16_kernelI14__hip_bfloat16hLN4vllm18Fp8KVCacheDataTypeE1ES0_Li16ELi128ELi256ELb0ELi11EEvPKT_PKT0_S8_ifPKiSA_SA_iPKfiiiPfSD_PS3_PT2_iSC_SC_, 617

	.type	__PRETTY_FUNCTION__._Z39paged_attention_ll4mi_QKV_mfma16_kernelI14__hip_bfloat16hLN4vllm18Fp8KVCacheDataTypeE1ES0_Li16ELi128ELi256ELb0ELi12EEvPKT_PKT0_S8_ifPKiSA_SA_iPKfiiiPfSD_PS3_PT2_iSC_SC_,@object ; @__PRETTY_FUNCTION__._Z39paged_attention_ll4mi_QKV_mfma16_kernelI14__hip_bfloat16hLN4vllm18Fp8KVCacheDataTypeE1ES0_Li16ELi128ELi256ELb0ELi12EEvPKT_PKT0_S8_ifPKiSA_SA_iPKfiiiPfSD_PS3_PT2_iSC_SC_
__PRETTY_FUNCTION__._Z39paged_attention_ll4mi_QKV_mfma16_kernelI14__hip_bfloat16hLN4vllm18Fp8KVCacheDataTypeE1ES0_Li16ELi128ELi256ELb0ELi12EEvPKT_PKT0_S8_ifPKiSA_SA_iPKfiiiPfSD_PS3_PT2_iSC_SC_:
	.asciz	"void paged_attention_ll4mi_QKV_mfma16_kernel(const scalar_t *__restrict, const cache_t *__restrict, const cache_t *__restrict, const int, const float, const int *__restrict, const int *__restrict, const int *__restrict, const int, const float *__restrict, const int, const int, const int, float *__restrict, float *__restrict, scalar_t *__restrict, OUTT *__restrict, int, const float *, const float *) [scalar_t = __hip_bfloat16, cache_t = unsigned char, KV_DTYPE = vllm::Fp8KVCacheDataType::kFp8E4M3, OUTT = __hip_bfloat16, BLOCK_SIZE = 16, HEAD_SIZE = 128, NUM_THREADS = 256, ALIBI_ENABLED = false, GQA_RATIO = 12]"
	.size	__PRETTY_FUNCTION__._Z39paged_attention_ll4mi_QKV_mfma16_kernelI14__hip_bfloat16hLN4vllm18Fp8KVCacheDataTypeE1ES0_Li16ELi128ELi256ELb0ELi12EEvPKT_PKT0_S8_ifPKiSA_SA_iPKfiiiPfSD_PS3_PT2_iSC_SC_, 617

	.type	__PRETTY_FUNCTION__._Z39paged_attention_ll4mi_QKV_mfma16_kernelI14__hip_bfloat16hLN4vllm18Fp8KVCacheDataTypeE1ES0_Li16ELi128ELi256ELb0ELi13EEvPKT_PKT0_S8_ifPKiSA_SA_iPKfiiiPfSD_PS3_PT2_iSC_SC_,@object ; @__PRETTY_FUNCTION__._Z39paged_attention_ll4mi_QKV_mfma16_kernelI14__hip_bfloat16hLN4vllm18Fp8KVCacheDataTypeE1ES0_Li16ELi128ELi256ELb0ELi13EEvPKT_PKT0_S8_ifPKiSA_SA_iPKfiiiPfSD_PS3_PT2_iSC_SC_
__PRETTY_FUNCTION__._Z39paged_attention_ll4mi_QKV_mfma16_kernelI14__hip_bfloat16hLN4vllm18Fp8KVCacheDataTypeE1ES0_Li16ELi128ELi256ELb0ELi13EEvPKT_PKT0_S8_ifPKiSA_SA_iPKfiiiPfSD_PS3_PT2_iSC_SC_:
	.asciz	"void paged_attention_ll4mi_QKV_mfma16_kernel(const scalar_t *__restrict, const cache_t *__restrict, const cache_t *__restrict, const int, const float, const int *__restrict, const int *__restrict, const int *__restrict, const int, const float *__restrict, const int, const int, const int, float *__restrict, float *__restrict, scalar_t *__restrict, OUTT *__restrict, int, const float *, const float *) [scalar_t = __hip_bfloat16, cache_t = unsigned char, KV_DTYPE = vllm::Fp8KVCacheDataType::kFp8E4M3, OUTT = __hip_bfloat16, BLOCK_SIZE = 16, HEAD_SIZE = 128, NUM_THREADS = 256, ALIBI_ENABLED = false, GQA_RATIO = 13]"
	.size	__PRETTY_FUNCTION__._Z39paged_attention_ll4mi_QKV_mfma16_kernelI14__hip_bfloat16hLN4vllm18Fp8KVCacheDataTypeE1ES0_Li16ELi128ELi256ELb0ELi13EEvPKT_PKT0_S8_ifPKiSA_SA_iPKfiiiPfSD_PS3_PT2_iSC_SC_, 617

	.type	__PRETTY_FUNCTION__._Z39paged_attention_ll4mi_QKV_mfma16_kernelI14__hip_bfloat16hLN4vllm18Fp8KVCacheDataTypeE1ES0_Li16ELi128ELi256ELb0ELi14EEvPKT_PKT0_S8_ifPKiSA_SA_iPKfiiiPfSD_PS3_PT2_iSC_SC_,@object ; @__PRETTY_FUNCTION__._Z39paged_attention_ll4mi_QKV_mfma16_kernelI14__hip_bfloat16hLN4vllm18Fp8KVCacheDataTypeE1ES0_Li16ELi128ELi256ELb0ELi14EEvPKT_PKT0_S8_ifPKiSA_SA_iPKfiiiPfSD_PS3_PT2_iSC_SC_
__PRETTY_FUNCTION__._Z39paged_attention_ll4mi_QKV_mfma16_kernelI14__hip_bfloat16hLN4vllm18Fp8KVCacheDataTypeE1ES0_Li16ELi128ELi256ELb0ELi14EEvPKT_PKT0_S8_ifPKiSA_SA_iPKfiiiPfSD_PS3_PT2_iSC_SC_:
	.asciz	"void paged_attention_ll4mi_QKV_mfma16_kernel(const scalar_t *__restrict, const cache_t *__restrict, const cache_t *__restrict, const int, const float, const int *__restrict, const int *__restrict, const int *__restrict, const int, const float *__restrict, const int, const int, const int, float *__restrict, float *__restrict, scalar_t *__restrict, OUTT *__restrict, int, const float *, const float *) [scalar_t = __hip_bfloat16, cache_t = unsigned char, KV_DTYPE = vllm::Fp8KVCacheDataType::kFp8E4M3, OUTT = __hip_bfloat16, BLOCK_SIZE = 16, HEAD_SIZE = 128, NUM_THREADS = 256, ALIBI_ENABLED = false, GQA_RATIO = 14]"
	.size	__PRETTY_FUNCTION__._Z39paged_attention_ll4mi_QKV_mfma16_kernelI14__hip_bfloat16hLN4vllm18Fp8KVCacheDataTypeE1ES0_Li16ELi128ELi256ELb0ELi14EEvPKT_PKT0_S8_ifPKiSA_SA_iPKfiiiPfSD_PS3_PT2_iSC_SC_, 617

	.type	__PRETTY_FUNCTION__._Z39paged_attention_ll4mi_QKV_mfma16_kernelI14__hip_bfloat16hLN4vllm18Fp8KVCacheDataTypeE1ES0_Li16ELi128ELi256ELb0ELi15EEvPKT_PKT0_S8_ifPKiSA_SA_iPKfiiiPfSD_PS3_PT2_iSC_SC_,@object ; @__PRETTY_FUNCTION__._Z39paged_attention_ll4mi_QKV_mfma16_kernelI14__hip_bfloat16hLN4vllm18Fp8KVCacheDataTypeE1ES0_Li16ELi128ELi256ELb0ELi15EEvPKT_PKT0_S8_ifPKiSA_SA_iPKfiiiPfSD_PS3_PT2_iSC_SC_
__PRETTY_FUNCTION__._Z39paged_attention_ll4mi_QKV_mfma16_kernelI14__hip_bfloat16hLN4vllm18Fp8KVCacheDataTypeE1ES0_Li16ELi128ELi256ELb0ELi15EEvPKT_PKT0_S8_ifPKiSA_SA_iPKfiiiPfSD_PS3_PT2_iSC_SC_:
	.asciz	"void paged_attention_ll4mi_QKV_mfma16_kernel(const scalar_t *__restrict, const cache_t *__restrict, const cache_t *__restrict, const int, const float, const int *__restrict, const int *__restrict, const int *__restrict, const int, const float *__restrict, const int, const int, const int, float *__restrict, float *__restrict, scalar_t *__restrict, OUTT *__restrict, int, const float *, const float *) [scalar_t = __hip_bfloat16, cache_t = unsigned char, KV_DTYPE = vllm::Fp8KVCacheDataType::kFp8E4M3, OUTT = __hip_bfloat16, BLOCK_SIZE = 16, HEAD_SIZE = 128, NUM_THREADS = 256, ALIBI_ENABLED = false, GQA_RATIO = 15]"
	.size	__PRETTY_FUNCTION__._Z39paged_attention_ll4mi_QKV_mfma16_kernelI14__hip_bfloat16hLN4vllm18Fp8KVCacheDataTypeE1ES0_Li16ELi128ELi256ELb0ELi15EEvPKT_PKT0_S8_ifPKiSA_SA_iPKfiiiPfSD_PS3_PT2_iSC_SC_, 617

	.type	__PRETTY_FUNCTION__._Z39paged_attention_ll4mi_QKV_mfma16_kernelI14__hip_bfloat16hLN4vllm18Fp8KVCacheDataTypeE1ES0_Li16ELi128ELi256ELb0ELi16EEvPKT_PKT0_S8_ifPKiSA_SA_iPKfiiiPfSD_PS3_PT2_iSC_SC_,@object ; @__PRETTY_FUNCTION__._Z39paged_attention_ll4mi_QKV_mfma16_kernelI14__hip_bfloat16hLN4vllm18Fp8KVCacheDataTypeE1ES0_Li16ELi128ELi256ELb0ELi16EEvPKT_PKT0_S8_ifPKiSA_SA_iPKfiiiPfSD_PS3_PT2_iSC_SC_
__PRETTY_FUNCTION__._Z39paged_attention_ll4mi_QKV_mfma16_kernelI14__hip_bfloat16hLN4vllm18Fp8KVCacheDataTypeE1ES0_Li16ELi128ELi256ELb0ELi16EEvPKT_PKT0_S8_ifPKiSA_SA_iPKfiiiPfSD_PS3_PT2_iSC_SC_:
	.asciz	"void paged_attention_ll4mi_QKV_mfma16_kernel(const scalar_t *__restrict, const cache_t *__restrict, const cache_t *__restrict, const int, const float, const int *__restrict, const int *__restrict, const int *__restrict, const int, const float *__restrict, const int, const int, const int, float *__restrict, float *__restrict, scalar_t *__restrict, OUTT *__restrict, int, const float *, const float *) [scalar_t = __hip_bfloat16, cache_t = unsigned char, KV_DTYPE = vllm::Fp8KVCacheDataType::kFp8E4M3, OUTT = __hip_bfloat16, BLOCK_SIZE = 16, HEAD_SIZE = 128, NUM_THREADS = 256, ALIBI_ENABLED = false, GQA_RATIO = 16]"
	.size	__PRETTY_FUNCTION__._Z39paged_attention_ll4mi_QKV_mfma16_kernelI14__hip_bfloat16hLN4vllm18Fp8KVCacheDataTypeE1ES0_Li16ELi128ELi256ELb0ELi16EEvPKT_PKT0_S8_ifPKiSA_SA_iPKfiiiPfSD_PS3_PT2_iSC_SC_, 617

	.type	__PRETTY_FUNCTION__._Z39paged_attention_ll4mi_QKV_mfma16_kernelI14__hip_bfloat16hLN4vllm18Fp8KVCacheDataTypeE1ES0_Li16ELi128ELi256ELb0ELi1EEvPKT_PKT0_S8_ifPKiSA_SA_iPKfiiiPfSD_PS3_PT2_iSC_SC_,@object ; @__PRETTY_FUNCTION__._Z39paged_attention_ll4mi_QKV_mfma16_kernelI14__hip_bfloat16hLN4vllm18Fp8KVCacheDataTypeE1ES0_Li16ELi128ELi256ELb0ELi1EEvPKT_PKT0_S8_ifPKiSA_SA_iPKfiiiPfSD_PS3_PT2_iSC_SC_
__PRETTY_FUNCTION__._Z39paged_attention_ll4mi_QKV_mfma16_kernelI14__hip_bfloat16hLN4vllm18Fp8KVCacheDataTypeE1ES0_Li16ELi128ELi256ELb0ELi1EEvPKT_PKT0_S8_ifPKiSA_SA_iPKfiiiPfSD_PS3_PT2_iSC_SC_:
	.asciz	"void paged_attention_ll4mi_QKV_mfma16_kernel(const scalar_t *__restrict, const cache_t *__restrict, const cache_t *__restrict, const int, const float, const int *__restrict, const int *__restrict, const int *__restrict, const int, const float *__restrict, const int, const int, const int, float *__restrict, float *__restrict, scalar_t *__restrict, OUTT *__restrict, int, const float *, const float *) [scalar_t = __hip_bfloat16, cache_t = unsigned char, KV_DTYPE = vllm::Fp8KVCacheDataType::kFp8E4M3, OUTT = __hip_bfloat16, BLOCK_SIZE = 16, HEAD_SIZE = 128, NUM_THREADS = 256, ALIBI_ENABLED = false, GQA_RATIO = 1]"
	.size	__PRETTY_FUNCTION__._Z39paged_attention_ll4mi_QKV_mfma16_kernelI14__hip_bfloat16hLN4vllm18Fp8KVCacheDataTypeE1ES0_Li16ELi128ELi256ELb0ELi1EEvPKT_PKT0_S8_ifPKiSA_SA_iPKfiiiPfSD_PS3_PT2_iSC_SC_, 616

	.type	__PRETTY_FUNCTION__._Z39paged_attention_ll4mi_QKV_mfma16_kernelI14__hip_bfloat16hLN4vllm18Fp8KVCacheDataTypeE1ES0_Li16ELi128ELi256ELb0ELi2EEvPKT_PKT0_S8_ifPKiSA_SA_iPKfiiiPfSD_PS3_PT2_iSC_SC_,@object ; @__PRETTY_FUNCTION__._Z39paged_attention_ll4mi_QKV_mfma16_kernelI14__hip_bfloat16hLN4vllm18Fp8KVCacheDataTypeE1ES0_Li16ELi128ELi256ELb0ELi2EEvPKT_PKT0_S8_ifPKiSA_SA_iPKfiiiPfSD_PS3_PT2_iSC_SC_
__PRETTY_FUNCTION__._Z39paged_attention_ll4mi_QKV_mfma16_kernelI14__hip_bfloat16hLN4vllm18Fp8KVCacheDataTypeE1ES0_Li16ELi128ELi256ELb0ELi2EEvPKT_PKT0_S8_ifPKiSA_SA_iPKfiiiPfSD_PS3_PT2_iSC_SC_:
	.asciz	"void paged_attention_ll4mi_QKV_mfma16_kernel(const scalar_t *__restrict, const cache_t *__restrict, const cache_t *__restrict, const int, const float, const int *__restrict, const int *__restrict, const int *__restrict, const int, const float *__restrict, const int, const int, const int, float *__restrict, float *__restrict, scalar_t *__restrict, OUTT *__restrict, int, const float *, const float *) [scalar_t = __hip_bfloat16, cache_t = unsigned char, KV_DTYPE = vllm::Fp8KVCacheDataType::kFp8E4M3, OUTT = __hip_bfloat16, BLOCK_SIZE = 16, HEAD_SIZE = 128, NUM_THREADS = 256, ALIBI_ENABLED = false, GQA_RATIO = 2]"
	.size	__PRETTY_FUNCTION__._Z39paged_attention_ll4mi_QKV_mfma16_kernelI14__hip_bfloat16hLN4vllm18Fp8KVCacheDataTypeE1ES0_Li16ELi128ELi256ELb0ELi2EEvPKT_PKT0_S8_ifPKiSA_SA_iPKfiiiPfSD_PS3_PT2_iSC_SC_, 616

	.type	__PRETTY_FUNCTION__._Z39paged_attention_ll4mi_QKV_mfma16_kernelI14__hip_bfloat16hLN4vllm18Fp8KVCacheDataTypeE1ES0_Li16ELi128ELi256ELb0ELi3EEvPKT_PKT0_S8_ifPKiSA_SA_iPKfiiiPfSD_PS3_PT2_iSC_SC_,@object ; @__PRETTY_FUNCTION__._Z39paged_attention_ll4mi_QKV_mfma16_kernelI14__hip_bfloat16hLN4vllm18Fp8KVCacheDataTypeE1ES0_Li16ELi128ELi256ELb0ELi3EEvPKT_PKT0_S8_ifPKiSA_SA_iPKfiiiPfSD_PS3_PT2_iSC_SC_
__PRETTY_FUNCTION__._Z39paged_attention_ll4mi_QKV_mfma16_kernelI14__hip_bfloat16hLN4vllm18Fp8KVCacheDataTypeE1ES0_Li16ELi128ELi256ELb0ELi3EEvPKT_PKT0_S8_ifPKiSA_SA_iPKfiiiPfSD_PS3_PT2_iSC_SC_:
	.asciz	"void paged_attention_ll4mi_QKV_mfma16_kernel(const scalar_t *__restrict, const cache_t *__restrict, const cache_t *__restrict, const int, const float, const int *__restrict, const int *__restrict, const int *__restrict, const int, const float *__restrict, const int, const int, const int, float *__restrict, float *__restrict, scalar_t *__restrict, OUTT *__restrict, int, const float *, const float *) [scalar_t = __hip_bfloat16, cache_t = unsigned char, KV_DTYPE = vllm::Fp8KVCacheDataType::kFp8E4M3, OUTT = __hip_bfloat16, BLOCK_SIZE = 16, HEAD_SIZE = 128, NUM_THREADS = 256, ALIBI_ENABLED = false, GQA_RATIO = 3]"
	.size	__PRETTY_FUNCTION__._Z39paged_attention_ll4mi_QKV_mfma16_kernelI14__hip_bfloat16hLN4vllm18Fp8KVCacheDataTypeE1ES0_Li16ELi128ELi256ELb0ELi3EEvPKT_PKT0_S8_ifPKiSA_SA_iPKfiiiPfSD_PS3_PT2_iSC_SC_, 616

	.type	__PRETTY_FUNCTION__._Z39paged_attention_ll4mi_QKV_mfma16_kernelI14__hip_bfloat16hLN4vllm18Fp8KVCacheDataTypeE1ES0_Li16ELi128ELi256ELb0ELi4EEvPKT_PKT0_S8_ifPKiSA_SA_iPKfiiiPfSD_PS3_PT2_iSC_SC_,@object ; @__PRETTY_FUNCTION__._Z39paged_attention_ll4mi_QKV_mfma16_kernelI14__hip_bfloat16hLN4vllm18Fp8KVCacheDataTypeE1ES0_Li16ELi128ELi256ELb0ELi4EEvPKT_PKT0_S8_ifPKiSA_SA_iPKfiiiPfSD_PS3_PT2_iSC_SC_
__PRETTY_FUNCTION__._Z39paged_attention_ll4mi_QKV_mfma16_kernelI14__hip_bfloat16hLN4vllm18Fp8KVCacheDataTypeE1ES0_Li16ELi128ELi256ELb0ELi4EEvPKT_PKT0_S8_ifPKiSA_SA_iPKfiiiPfSD_PS3_PT2_iSC_SC_:
	.asciz	"void paged_attention_ll4mi_QKV_mfma16_kernel(const scalar_t *__restrict, const cache_t *__restrict, const cache_t *__restrict, const int, const float, const int *__restrict, const int *__restrict, const int *__restrict, const int, const float *__restrict, const int, const int, const int, float *__restrict, float *__restrict, scalar_t *__restrict, OUTT *__restrict, int, const float *, const float *) [scalar_t = __hip_bfloat16, cache_t = unsigned char, KV_DTYPE = vllm::Fp8KVCacheDataType::kFp8E4M3, OUTT = __hip_bfloat16, BLOCK_SIZE = 16, HEAD_SIZE = 128, NUM_THREADS = 256, ALIBI_ENABLED = false, GQA_RATIO = 4]"
	.size	__PRETTY_FUNCTION__._Z39paged_attention_ll4mi_QKV_mfma16_kernelI14__hip_bfloat16hLN4vllm18Fp8KVCacheDataTypeE1ES0_Li16ELi128ELi256ELb0ELi4EEvPKT_PKT0_S8_ifPKiSA_SA_iPKfiiiPfSD_PS3_PT2_iSC_SC_, 616

	.type	__PRETTY_FUNCTION__._Z38paged_attention_ll4mi_QKV_mfma4_kernelI14__hip_bfloat16hLN4vllm18Fp8KVCacheDataTypeE1EhLi32ELi128ELi256ELb1ELi1EEvPKT_PKT0_S8_ifPKiSA_SA_iPKfiiiPfSD_PS3_PT2_iSC_SC_,@object ; @__PRETTY_FUNCTION__._Z38paged_attention_ll4mi_QKV_mfma4_kernelI14__hip_bfloat16hLN4vllm18Fp8KVCacheDataTypeE1EhLi32ELi128ELi256ELb1ELi1EEvPKT_PKT0_S8_ifPKiSA_SA_iPKfiiiPfSD_PS3_PT2_iSC_SC_
__PRETTY_FUNCTION__._Z38paged_attention_ll4mi_QKV_mfma4_kernelI14__hip_bfloat16hLN4vllm18Fp8KVCacheDataTypeE1EhLi32ELi128ELi256ELb1ELi1EEvPKT_PKT0_S8_ifPKiSA_SA_iPKfiiiPfSD_PS3_PT2_iSC_SC_:
	.asciz	"void paged_attention_ll4mi_QKV_mfma4_kernel(const scalar_t *__restrict, const cache_t *__restrict, const cache_t *__restrict, const int, const float, const int *__restrict, const int *__restrict, const int *__restrict, const int, const float *__restrict, const int, const int, const int, float *__restrict, float *__restrict, scalar_t *__restrict, OUTT *__restrict, int, const float *, const float *) [scalar_t = __hip_bfloat16, cache_t = unsigned char, KV_DTYPE = vllm::Fp8KVCacheDataType::kFp8E4M3, OUTT = unsigned char, BLOCK_SIZE = 32, HEAD_SIZE = 128, NUM_THREADS = 256, ALIBI_ENABLED = true, GQA_RATIO = 1]"
	.size	__PRETTY_FUNCTION__._Z38paged_attention_ll4mi_QKV_mfma4_kernelI14__hip_bfloat16hLN4vllm18Fp8KVCacheDataTypeE1EhLi32ELi128ELi256ELb1ELi1EEvPKT_PKT0_S8_ifPKiSA_SA_iPKfiiiPfSD_PS3_PT2_iSC_SC_, 613

	.type	__PRETTY_FUNCTION__._Z38paged_attention_ll4mi_QKV_mfma4_kernelI14__hip_bfloat16hLN4vllm18Fp8KVCacheDataTypeE1EhLi32ELi128ELi256ELb1ELi2EEvPKT_PKT0_S8_ifPKiSA_SA_iPKfiiiPfSD_PS3_PT2_iSC_SC_,@object ; @__PRETTY_FUNCTION__._Z38paged_attention_ll4mi_QKV_mfma4_kernelI14__hip_bfloat16hLN4vllm18Fp8KVCacheDataTypeE1EhLi32ELi128ELi256ELb1ELi2EEvPKT_PKT0_S8_ifPKiSA_SA_iPKfiiiPfSD_PS3_PT2_iSC_SC_
__PRETTY_FUNCTION__._Z38paged_attention_ll4mi_QKV_mfma4_kernelI14__hip_bfloat16hLN4vllm18Fp8KVCacheDataTypeE1EhLi32ELi128ELi256ELb1ELi2EEvPKT_PKT0_S8_ifPKiSA_SA_iPKfiiiPfSD_PS3_PT2_iSC_SC_:
	.asciz	"void paged_attention_ll4mi_QKV_mfma4_kernel(const scalar_t *__restrict, const cache_t *__restrict, const cache_t *__restrict, const int, const float, const int *__restrict, const int *__restrict, const int *__restrict, const int, const float *__restrict, const int, const int, const int, float *__restrict, float *__restrict, scalar_t *__restrict, OUTT *__restrict, int, const float *, const float *) [scalar_t = __hip_bfloat16, cache_t = unsigned char, KV_DTYPE = vllm::Fp8KVCacheDataType::kFp8E4M3, OUTT = unsigned char, BLOCK_SIZE = 32, HEAD_SIZE = 128, NUM_THREADS = 256, ALIBI_ENABLED = true, GQA_RATIO = 2]"
	.size	__PRETTY_FUNCTION__._Z38paged_attention_ll4mi_QKV_mfma4_kernelI14__hip_bfloat16hLN4vllm18Fp8KVCacheDataTypeE1EhLi32ELi128ELi256ELb1ELi2EEvPKT_PKT0_S8_ifPKiSA_SA_iPKfiiiPfSD_PS3_PT2_iSC_SC_, 613

	.type	__PRETTY_FUNCTION__._Z38paged_attention_ll4mi_QKV_mfma4_kernelI14__hip_bfloat16hLN4vllm18Fp8KVCacheDataTypeE1EhLi32ELi128ELi256ELb1ELi3EEvPKT_PKT0_S8_ifPKiSA_SA_iPKfiiiPfSD_PS3_PT2_iSC_SC_,@object ; @__PRETTY_FUNCTION__._Z38paged_attention_ll4mi_QKV_mfma4_kernelI14__hip_bfloat16hLN4vllm18Fp8KVCacheDataTypeE1EhLi32ELi128ELi256ELb1ELi3EEvPKT_PKT0_S8_ifPKiSA_SA_iPKfiiiPfSD_PS3_PT2_iSC_SC_
__PRETTY_FUNCTION__._Z38paged_attention_ll4mi_QKV_mfma4_kernelI14__hip_bfloat16hLN4vllm18Fp8KVCacheDataTypeE1EhLi32ELi128ELi256ELb1ELi3EEvPKT_PKT0_S8_ifPKiSA_SA_iPKfiiiPfSD_PS3_PT2_iSC_SC_:
	.asciz	"void paged_attention_ll4mi_QKV_mfma4_kernel(const scalar_t *__restrict, const cache_t *__restrict, const cache_t *__restrict, const int, const float, const int *__restrict, const int *__restrict, const int *__restrict, const int, const float *__restrict, const int, const int, const int, float *__restrict, float *__restrict, scalar_t *__restrict, OUTT *__restrict, int, const float *, const float *) [scalar_t = __hip_bfloat16, cache_t = unsigned char, KV_DTYPE = vllm::Fp8KVCacheDataType::kFp8E4M3, OUTT = unsigned char, BLOCK_SIZE = 32, HEAD_SIZE = 128, NUM_THREADS = 256, ALIBI_ENABLED = true, GQA_RATIO = 3]"
	.size	__PRETTY_FUNCTION__._Z38paged_attention_ll4mi_QKV_mfma4_kernelI14__hip_bfloat16hLN4vllm18Fp8KVCacheDataTypeE1EhLi32ELi128ELi256ELb1ELi3EEvPKT_PKT0_S8_ifPKiSA_SA_iPKfiiiPfSD_PS3_PT2_iSC_SC_, 613

	.type	__PRETTY_FUNCTION__._Z38paged_attention_ll4mi_QKV_mfma4_kernelI14__hip_bfloat16hLN4vllm18Fp8KVCacheDataTypeE1EhLi32ELi128ELi256ELb1ELi4EEvPKT_PKT0_S8_ifPKiSA_SA_iPKfiiiPfSD_PS3_PT2_iSC_SC_,@object ; @__PRETTY_FUNCTION__._Z38paged_attention_ll4mi_QKV_mfma4_kernelI14__hip_bfloat16hLN4vllm18Fp8KVCacheDataTypeE1EhLi32ELi128ELi256ELb1ELi4EEvPKT_PKT0_S8_ifPKiSA_SA_iPKfiiiPfSD_PS3_PT2_iSC_SC_
__PRETTY_FUNCTION__._Z38paged_attention_ll4mi_QKV_mfma4_kernelI14__hip_bfloat16hLN4vllm18Fp8KVCacheDataTypeE1EhLi32ELi128ELi256ELb1ELi4EEvPKT_PKT0_S8_ifPKiSA_SA_iPKfiiiPfSD_PS3_PT2_iSC_SC_:
	.asciz	"void paged_attention_ll4mi_QKV_mfma4_kernel(const scalar_t *__restrict, const cache_t *__restrict, const cache_t *__restrict, const int, const float, const int *__restrict, const int *__restrict, const int *__restrict, const int, const float *__restrict, const int, const int, const int, float *__restrict, float *__restrict, scalar_t *__restrict, OUTT *__restrict, int, const float *, const float *) [scalar_t = __hip_bfloat16, cache_t = unsigned char, KV_DTYPE = vllm::Fp8KVCacheDataType::kFp8E4M3, OUTT = unsigned char, BLOCK_SIZE = 32, HEAD_SIZE = 128, NUM_THREADS = 256, ALIBI_ENABLED = true, GQA_RATIO = 4]"
	.size	__PRETTY_FUNCTION__._Z38paged_attention_ll4mi_QKV_mfma4_kernelI14__hip_bfloat16hLN4vllm18Fp8KVCacheDataTypeE1EhLi32ELi128ELi256ELb1ELi4EEvPKT_PKT0_S8_ifPKiSA_SA_iPKfiiiPfSD_PS3_PT2_iSC_SC_, 613

	.type	__PRETTY_FUNCTION__._Z39paged_attention_ll4mi_QKV_mfma16_kernelI14__hip_bfloat16hLN4vllm18Fp8KVCacheDataTypeE1EhLi32ELi128ELi256ELb1ELi5EEvPKT_PKT0_S8_ifPKiSA_SA_iPKfiiiPfSD_PS3_PT2_iSC_SC_,@object ; @__PRETTY_FUNCTION__._Z39paged_attention_ll4mi_QKV_mfma16_kernelI14__hip_bfloat16hLN4vllm18Fp8KVCacheDataTypeE1EhLi32ELi128ELi256ELb1ELi5EEvPKT_PKT0_S8_ifPKiSA_SA_iPKfiiiPfSD_PS3_PT2_iSC_SC_
__PRETTY_FUNCTION__._Z39paged_attention_ll4mi_QKV_mfma16_kernelI14__hip_bfloat16hLN4vllm18Fp8KVCacheDataTypeE1EhLi32ELi128ELi256ELb1ELi5EEvPKT_PKT0_S8_ifPKiSA_SA_iPKfiiiPfSD_PS3_PT2_iSC_SC_:
	.asciz	"void paged_attention_ll4mi_QKV_mfma16_kernel(const scalar_t *__restrict, const cache_t *__restrict, const cache_t *__restrict, const int, const float, const int *__restrict, const int *__restrict, const int *__restrict, const int, const float *__restrict, const int, const int, const int, float *__restrict, float *__restrict, scalar_t *__restrict, OUTT *__restrict, int, const float *, const float *) [scalar_t = __hip_bfloat16, cache_t = unsigned char, KV_DTYPE = vllm::Fp8KVCacheDataType::kFp8E4M3, OUTT = unsigned char, BLOCK_SIZE = 32, HEAD_SIZE = 128, NUM_THREADS = 256, ALIBI_ENABLED = true, GQA_RATIO = 5]"
	.size	__PRETTY_FUNCTION__._Z39paged_attention_ll4mi_QKV_mfma16_kernelI14__hip_bfloat16hLN4vllm18Fp8KVCacheDataTypeE1EhLi32ELi128ELi256ELb1ELi5EEvPKT_PKT0_S8_ifPKiSA_SA_iPKfiiiPfSD_PS3_PT2_iSC_SC_, 614

	.type	__PRETTY_FUNCTION__._Z39paged_attention_ll4mi_QKV_mfma16_kernelI14__hip_bfloat16hLN4vllm18Fp8KVCacheDataTypeE1EhLi32ELi128ELi256ELb1ELi6EEvPKT_PKT0_S8_ifPKiSA_SA_iPKfiiiPfSD_PS3_PT2_iSC_SC_,@object ; @__PRETTY_FUNCTION__._Z39paged_attention_ll4mi_QKV_mfma16_kernelI14__hip_bfloat16hLN4vllm18Fp8KVCacheDataTypeE1EhLi32ELi128ELi256ELb1ELi6EEvPKT_PKT0_S8_ifPKiSA_SA_iPKfiiiPfSD_PS3_PT2_iSC_SC_
__PRETTY_FUNCTION__._Z39paged_attention_ll4mi_QKV_mfma16_kernelI14__hip_bfloat16hLN4vllm18Fp8KVCacheDataTypeE1EhLi32ELi128ELi256ELb1ELi6EEvPKT_PKT0_S8_ifPKiSA_SA_iPKfiiiPfSD_PS3_PT2_iSC_SC_:
	.asciz	"void paged_attention_ll4mi_QKV_mfma16_kernel(const scalar_t *__restrict, const cache_t *__restrict, const cache_t *__restrict, const int, const float, const int *__restrict, const int *__restrict, const int *__restrict, const int, const float *__restrict, const int, const int, const int, float *__restrict, float *__restrict, scalar_t *__restrict, OUTT *__restrict, int, const float *, const float *) [scalar_t = __hip_bfloat16, cache_t = unsigned char, KV_DTYPE = vllm::Fp8KVCacheDataType::kFp8E4M3, OUTT = unsigned char, BLOCK_SIZE = 32, HEAD_SIZE = 128, NUM_THREADS = 256, ALIBI_ENABLED = true, GQA_RATIO = 6]"
	.size	__PRETTY_FUNCTION__._Z39paged_attention_ll4mi_QKV_mfma16_kernelI14__hip_bfloat16hLN4vllm18Fp8KVCacheDataTypeE1EhLi32ELi128ELi256ELb1ELi6EEvPKT_PKT0_S8_ifPKiSA_SA_iPKfiiiPfSD_PS3_PT2_iSC_SC_, 614

	.type	__PRETTY_FUNCTION__._Z39paged_attention_ll4mi_QKV_mfma16_kernelI14__hip_bfloat16hLN4vllm18Fp8KVCacheDataTypeE1EhLi32ELi128ELi256ELb1ELi7EEvPKT_PKT0_S8_ifPKiSA_SA_iPKfiiiPfSD_PS3_PT2_iSC_SC_,@object ; @__PRETTY_FUNCTION__._Z39paged_attention_ll4mi_QKV_mfma16_kernelI14__hip_bfloat16hLN4vllm18Fp8KVCacheDataTypeE1EhLi32ELi128ELi256ELb1ELi7EEvPKT_PKT0_S8_ifPKiSA_SA_iPKfiiiPfSD_PS3_PT2_iSC_SC_
__PRETTY_FUNCTION__._Z39paged_attention_ll4mi_QKV_mfma16_kernelI14__hip_bfloat16hLN4vllm18Fp8KVCacheDataTypeE1EhLi32ELi128ELi256ELb1ELi7EEvPKT_PKT0_S8_ifPKiSA_SA_iPKfiiiPfSD_PS3_PT2_iSC_SC_:
	.asciz	"void paged_attention_ll4mi_QKV_mfma16_kernel(const scalar_t *__restrict, const cache_t *__restrict, const cache_t *__restrict, const int, const float, const int *__restrict, const int *__restrict, const int *__restrict, const int, const float *__restrict, const int, const int, const int, float *__restrict, float *__restrict, scalar_t *__restrict, OUTT *__restrict, int, const float *, const float *) [scalar_t = __hip_bfloat16, cache_t = unsigned char, KV_DTYPE = vllm::Fp8KVCacheDataType::kFp8E4M3, OUTT = unsigned char, BLOCK_SIZE = 32, HEAD_SIZE = 128, NUM_THREADS = 256, ALIBI_ENABLED = true, GQA_RATIO = 7]"
	.size	__PRETTY_FUNCTION__._Z39paged_attention_ll4mi_QKV_mfma16_kernelI14__hip_bfloat16hLN4vllm18Fp8KVCacheDataTypeE1EhLi32ELi128ELi256ELb1ELi7EEvPKT_PKT0_S8_ifPKiSA_SA_iPKfiiiPfSD_PS3_PT2_iSC_SC_, 614

	.type	__PRETTY_FUNCTION__._Z39paged_attention_ll4mi_QKV_mfma16_kernelI14__hip_bfloat16hLN4vllm18Fp8KVCacheDataTypeE1EhLi32ELi128ELi256ELb1ELi8EEvPKT_PKT0_S8_ifPKiSA_SA_iPKfiiiPfSD_PS3_PT2_iSC_SC_,@object ; @__PRETTY_FUNCTION__._Z39paged_attention_ll4mi_QKV_mfma16_kernelI14__hip_bfloat16hLN4vllm18Fp8KVCacheDataTypeE1EhLi32ELi128ELi256ELb1ELi8EEvPKT_PKT0_S8_ifPKiSA_SA_iPKfiiiPfSD_PS3_PT2_iSC_SC_
__PRETTY_FUNCTION__._Z39paged_attention_ll4mi_QKV_mfma16_kernelI14__hip_bfloat16hLN4vllm18Fp8KVCacheDataTypeE1EhLi32ELi128ELi256ELb1ELi8EEvPKT_PKT0_S8_ifPKiSA_SA_iPKfiiiPfSD_PS3_PT2_iSC_SC_:
	.asciz	"void paged_attention_ll4mi_QKV_mfma16_kernel(const scalar_t *__restrict, const cache_t *__restrict, const cache_t *__restrict, const int, const float, const int *__restrict, const int *__restrict, const int *__restrict, const int, const float *__restrict, const int, const int, const int, float *__restrict, float *__restrict, scalar_t *__restrict, OUTT *__restrict, int, const float *, const float *) [scalar_t = __hip_bfloat16, cache_t = unsigned char, KV_DTYPE = vllm::Fp8KVCacheDataType::kFp8E4M3, OUTT = unsigned char, BLOCK_SIZE = 32, HEAD_SIZE = 128, NUM_THREADS = 256, ALIBI_ENABLED = true, GQA_RATIO = 8]"
	.size	__PRETTY_FUNCTION__._Z39paged_attention_ll4mi_QKV_mfma16_kernelI14__hip_bfloat16hLN4vllm18Fp8KVCacheDataTypeE1EhLi32ELi128ELi256ELb1ELi8EEvPKT_PKT0_S8_ifPKiSA_SA_iPKfiiiPfSD_PS3_PT2_iSC_SC_, 614

	.type	__PRETTY_FUNCTION__._Z39paged_attention_ll4mi_QKV_mfma16_kernelI14__hip_bfloat16hLN4vllm18Fp8KVCacheDataTypeE1EhLi32ELi128ELi256ELb1ELi9EEvPKT_PKT0_S8_ifPKiSA_SA_iPKfiiiPfSD_PS3_PT2_iSC_SC_,@object ; @__PRETTY_FUNCTION__._Z39paged_attention_ll4mi_QKV_mfma16_kernelI14__hip_bfloat16hLN4vllm18Fp8KVCacheDataTypeE1EhLi32ELi128ELi256ELb1ELi9EEvPKT_PKT0_S8_ifPKiSA_SA_iPKfiiiPfSD_PS3_PT2_iSC_SC_
__PRETTY_FUNCTION__._Z39paged_attention_ll4mi_QKV_mfma16_kernelI14__hip_bfloat16hLN4vllm18Fp8KVCacheDataTypeE1EhLi32ELi128ELi256ELb1ELi9EEvPKT_PKT0_S8_ifPKiSA_SA_iPKfiiiPfSD_PS3_PT2_iSC_SC_:
	.asciz	"void paged_attention_ll4mi_QKV_mfma16_kernel(const scalar_t *__restrict, const cache_t *__restrict, const cache_t *__restrict, const int, const float, const int *__restrict, const int *__restrict, const int *__restrict, const int, const float *__restrict, const int, const int, const int, float *__restrict, float *__restrict, scalar_t *__restrict, OUTT *__restrict, int, const float *, const float *) [scalar_t = __hip_bfloat16, cache_t = unsigned char, KV_DTYPE = vllm::Fp8KVCacheDataType::kFp8E4M3, OUTT = unsigned char, BLOCK_SIZE = 32, HEAD_SIZE = 128, NUM_THREADS = 256, ALIBI_ENABLED = true, GQA_RATIO = 9]"
	.size	__PRETTY_FUNCTION__._Z39paged_attention_ll4mi_QKV_mfma16_kernelI14__hip_bfloat16hLN4vllm18Fp8KVCacheDataTypeE1EhLi32ELi128ELi256ELb1ELi9EEvPKT_PKT0_S8_ifPKiSA_SA_iPKfiiiPfSD_PS3_PT2_iSC_SC_, 614

	.type	__PRETTY_FUNCTION__._Z39paged_attention_ll4mi_QKV_mfma16_kernelI14__hip_bfloat16hLN4vllm18Fp8KVCacheDataTypeE1EhLi32ELi128ELi256ELb1ELi10EEvPKT_PKT0_S8_ifPKiSA_SA_iPKfiiiPfSD_PS3_PT2_iSC_SC_,@object ; @__PRETTY_FUNCTION__._Z39paged_attention_ll4mi_QKV_mfma16_kernelI14__hip_bfloat16hLN4vllm18Fp8KVCacheDataTypeE1EhLi32ELi128ELi256ELb1ELi10EEvPKT_PKT0_S8_ifPKiSA_SA_iPKfiiiPfSD_PS3_PT2_iSC_SC_
__PRETTY_FUNCTION__._Z39paged_attention_ll4mi_QKV_mfma16_kernelI14__hip_bfloat16hLN4vllm18Fp8KVCacheDataTypeE1EhLi32ELi128ELi256ELb1ELi10EEvPKT_PKT0_S8_ifPKiSA_SA_iPKfiiiPfSD_PS3_PT2_iSC_SC_:
	.asciz	"void paged_attention_ll4mi_QKV_mfma16_kernel(const scalar_t *__restrict, const cache_t *__restrict, const cache_t *__restrict, const int, const float, const int *__restrict, const int *__restrict, const int *__restrict, const int, const float *__restrict, const int, const int, const int, float *__restrict, float *__restrict, scalar_t *__restrict, OUTT *__restrict, int, const float *, const float *) [scalar_t = __hip_bfloat16, cache_t = unsigned char, KV_DTYPE = vllm::Fp8KVCacheDataType::kFp8E4M3, OUTT = unsigned char, BLOCK_SIZE = 32, HEAD_SIZE = 128, NUM_THREADS = 256, ALIBI_ENABLED = true, GQA_RATIO = 10]"
	.size	__PRETTY_FUNCTION__._Z39paged_attention_ll4mi_QKV_mfma16_kernelI14__hip_bfloat16hLN4vllm18Fp8KVCacheDataTypeE1EhLi32ELi128ELi256ELb1ELi10EEvPKT_PKT0_S8_ifPKiSA_SA_iPKfiiiPfSD_PS3_PT2_iSC_SC_, 615

	.type	__PRETTY_FUNCTION__._Z39paged_attention_ll4mi_QKV_mfma16_kernelI14__hip_bfloat16hLN4vllm18Fp8KVCacheDataTypeE1EhLi32ELi128ELi256ELb1ELi11EEvPKT_PKT0_S8_ifPKiSA_SA_iPKfiiiPfSD_PS3_PT2_iSC_SC_,@object ; @__PRETTY_FUNCTION__._Z39paged_attention_ll4mi_QKV_mfma16_kernelI14__hip_bfloat16hLN4vllm18Fp8KVCacheDataTypeE1EhLi32ELi128ELi256ELb1ELi11EEvPKT_PKT0_S8_ifPKiSA_SA_iPKfiiiPfSD_PS3_PT2_iSC_SC_
__PRETTY_FUNCTION__._Z39paged_attention_ll4mi_QKV_mfma16_kernelI14__hip_bfloat16hLN4vllm18Fp8KVCacheDataTypeE1EhLi32ELi128ELi256ELb1ELi11EEvPKT_PKT0_S8_ifPKiSA_SA_iPKfiiiPfSD_PS3_PT2_iSC_SC_:
	.asciz	"void paged_attention_ll4mi_QKV_mfma16_kernel(const scalar_t *__restrict, const cache_t *__restrict, const cache_t *__restrict, const int, const float, const int *__restrict, const int *__restrict, const int *__restrict, const int, const float *__restrict, const int, const int, const int, float *__restrict, float *__restrict, scalar_t *__restrict, OUTT *__restrict, int, const float *, const float *) [scalar_t = __hip_bfloat16, cache_t = unsigned char, KV_DTYPE = vllm::Fp8KVCacheDataType::kFp8E4M3, OUTT = unsigned char, BLOCK_SIZE = 32, HEAD_SIZE = 128, NUM_THREADS = 256, ALIBI_ENABLED = true, GQA_RATIO = 11]"
	.size	__PRETTY_FUNCTION__._Z39paged_attention_ll4mi_QKV_mfma16_kernelI14__hip_bfloat16hLN4vllm18Fp8KVCacheDataTypeE1EhLi32ELi128ELi256ELb1ELi11EEvPKT_PKT0_S8_ifPKiSA_SA_iPKfiiiPfSD_PS3_PT2_iSC_SC_, 615

	.type	__PRETTY_FUNCTION__._Z39paged_attention_ll4mi_QKV_mfma16_kernelI14__hip_bfloat16hLN4vllm18Fp8KVCacheDataTypeE1EhLi32ELi128ELi256ELb1ELi12EEvPKT_PKT0_S8_ifPKiSA_SA_iPKfiiiPfSD_PS3_PT2_iSC_SC_,@object ; @__PRETTY_FUNCTION__._Z39paged_attention_ll4mi_QKV_mfma16_kernelI14__hip_bfloat16hLN4vllm18Fp8KVCacheDataTypeE1EhLi32ELi128ELi256ELb1ELi12EEvPKT_PKT0_S8_ifPKiSA_SA_iPKfiiiPfSD_PS3_PT2_iSC_SC_
__PRETTY_FUNCTION__._Z39paged_attention_ll4mi_QKV_mfma16_kernelI14__hip_bfloat16hLN4vllm18Fp8KVCacheDataTypeE1EhLi32ELi128ELi256ELb1ELi12EEvPKT_PKT0_S8_ifPKiSA_SA_iPKfiiiPfSD_PS3_PT2_iSC_SC_:
	.asciz	"void paged_attention_ll4mi_QKV_mfma16_kernel(const scalar_t *__restrict, const cache_t *__restrict, const cache_t *__restrict, const int, const float, const int *__restrict, const int *__restrict, const int *__restrict, const int, const float *__restrict, const int, const int, const int, float *__restrict, float *__restrict, scalar_t *__restrict, OUTT *__restrict, int, const float *, const float *) [scalar_t = __hip_bfloat16, cache_t = unsigned char, KV_DTYPE = vllm::Fp8KVCacheDataType::kFp8E4M3, OUTT = unsigned char, BLOCK_SIZE = 32, HEAD_SIZE = 128, NUM_THREADS = 256, ALIBI_ENABLED = true, GQA_RATIO = 12]"
	.size	__PRETTY_FUNCTION__._Z39paged_attention_ll4mi_QKV_mfma16_kernelI14__hip_bfloat16hLN4vllm18Fp8KVCacheDataTypeE1EhLi32ELi128ELi256ELb1ELi12EEvPKT_PKT0_S8_ifPKiSA_SA_iPKfiiiPfSD_PS3_PT2_iSC_SC_, 615

	.type	__PRETTY_FUNCTION__._Z39paged_attention_ll4mi_QKV_mfma16_kernelI14__hip_bfloat16hLN4vllm18Fp8KVCacheDataTypeE1EhLi32ELi128ELi256ELb1ELi13EEvPKT_PKT0_S8_ifPKiSA_SA_iPKfiiiPfSD_PS3_PT2_iSC_SC_,@object ; @__PRETTY_FUNCTION__._Z39paged_attention_ll4mi_QKV_mfma16_kernelI14__hip_bfloat16hLN4vllm18Fp8KVCacheDataTypeE1EhLi32ELi128ELi256ELb1ELi13EEvPKT_PKT0_S8_ifPKiSA_SA_iPKfiiiPfSD_PS3_PT2_iSC_SC_
__PRETTY_FUNCTION__._Z39paged_attention_ll4mi_QKV_mfma16_kernelI14__hip_bfloat16hLN4vllm18Fp8KVCacheDataTypeE1EhLi32ELi128ELi256ELb1ELi13EEvPKT_PKT0_S8_ifPKiSA_SA_iPKfiiiPfSD_PS3_PT2_iSC_SC_:
	.asciz	"void paged_attention_ll4mi_QKV_mfma16_kernel(const scalar_t *__restrict, const cache_t *__restrict, const cache_t *__restrict, const int, const float, const int *__restrict, const int *__restrict, const int *__restrict, const int, const float *__restrict, const int, const int, const int, float *__restrict, float *__restrict, scalar_t *__restrict, OUTT *__restrict, int, const float *, const float *) [scalar_t = __hip_bfloat16, cache_t = unsigned char, KV_DTYPE = vllm::Fp8KVCacheDataType::kFp8E4M3, OUTT = unsigned char, BLOCK_SIZE = 32, HEAD_SIZE = 128, NUM_THREADS = 256, ALIBI_ENABLED = true, GQA_RATIO = 13]"
	.size	__PRETTY_FUNCTION__._Z39paged_attention_ll4mi_QKV_mfma16_kernelI14__hip_bfloat16hLN4vllm18Fp8KVCacheDataTypeE1EhLi32ELi128ELi256ELb1ELi13EEvPKT_PKT0_S8_ifPKiSA_SA_iPKfiiiPfSD_PS3_PT2_iSC_SC_, 615

	.type	__PRETTY_FUNCTION__._Z39paged_attention_ll4mi_QKV_mfma16_kernelI14__hip_bfloat16hLN4vllm18Fp8KVCacheDataTypeE1EhLi32ELi128ELi256ELb1ELi14EEvPKT_PKT0_S8_ifPKiSA_SA_iPKfiiiPfSD_PS3_PT2_iSC_SC_,@object ; @__PRETTY_FUNCTION__._Z39paged_attention_ll4mi_QKV_mfma16_kernelI14__hip_bfloat16hLN4vllm18Fp8KVCacheDataTypeE1EhLi32ELi128ELi256ELb1ELi14EEvPKT_PKT0_S8_ifPKiSA_SA_iPKfiiiPfSD_PS3_PT2_iSC_SC_
__PRETTY_FUNCTION__._Z39paged_attention_ll4mi_QKV_mfma16_kernelI14__hip_bfloat16hLN4vllm18Fp8KVCacheDataTypeE1EhLi32ELi128ELi256ELb1ELi14EEvPKT_PKT0_S8_ifPKiSA_SA_iPKfiiiPfSD_PS3_PT2_iSC_SC_:
	.asciz	"void paged_attention_ll4mi_QKV_mfma16_kernel(const scalar_t *__restrict, const cache_t *__restrict, const cache_t *__restrict, const int, const float, const int *__restrict, const int *__restrict, const int *__restrict, const int, const float *__restrict, const int, const int, const int, float *__restrict, float *__restrict, scalar_t *__restrict, OUTT *__restrict, int, const float *, const float *) [scalar_t = __hip_bfloat16, cache_t = unsigned char, KV_DTYPE = vllm::Fp8KVCacheDataType::kFp8E4M3, OUTT = unsigned char, BLOCK_SIZE = 32, HEAD_SIZE = 128, NUM_THREADS = 256, ALIBI_ENABLED = true, GQA_RATIO = 14]"
	.size	__PRETTY_FUNCTION__._Z39paged_attention_ll4mi_QKV_mfma16_kernelI14__hip_bfloat16hLN4vllm18Fp8KVCacheDataTypeE1EhLi32ELi128ELi256ELb1ELi14EEvPKT_PKT0_S8_ifPKiSA_SA_iPKfiiiPfSD_PS3_PT2_iSC_SC_, 615

	.type	__PRETTY_FUNCTION__._Z39paged_attention_ll4mi_QKV_mfma16_kernelI14__hip_bfloat16hLN4vllm18Fp8KVCacheDataTypeE1EhLi32ELi128ELi256ELb1ELi15EEvPKT_PKT0_S8_ifPKiSA_SA_iPKfiiiPfSD_PS3_PT2_iSC_SC_,@object ; @__PRETTY_FUNCTION__._Z39paged_attention_ll4mi_QKV_mfma16_kernelI14__hip_bfloat16hLN4vllm18Fp8KVCacheDataTypeE1EhLi32ELi128ELi256ELb1ELi15EEvPKT_PKT0_S8_ifPKiSA_SA_iPKfiiiPfSD_PS3_PT2_iSC_SC_
__PRETTY_FUNCTION__._Z39paged_attention_ll4mi_QKV_mfma16_kernelI14__hip_bfloat16hLN4vllm18Fp8KVCacheDataTypeE1EhLi32ELi128ELi256ELb1ELi15EEvPKT_PKT0_S8_ifPKiSA_SA_iPKfiiiPfSD_PS3_PT2_iSC_SC_:
	.asciz	"void paged_attention_ll4mi_QKV_mfma16_kernel(const scalar_t *__restrict, const cache_t *__restrict, const cache_t *__restrict, const int, const float, const int *__restrict, const int *__restrict, const int *__restrict, const int, const float *__restrict, const int, const int, const int, float *__restrict, float *__restrict, scalar_t *__restrict, OUTT *__restrict, int, const float *, const float *) [scalar_t = __hip_bfloat16, cache_t = unsigned char, KV_DTYPE = vllm::Fp8KVCacheDataType::kFp8E4M3, OUTT = unsigned char, BLOCK_SIZE = 32, HEAD_SIZE = 128, NUM_THREADS = 256, ALIBI_ENABLED = true, GQA_RATIO = 15]"
	.size	__PRETTY_FUNCTION__._Z39paged_attention_ll4mi_QKV_mfma16_kernelI14__hip_bfloat16hLN4vllm18Fp8KVCacheDataTypeE1EhLi32ELi128ELi256ELb1ELi15EEvPKT_PKT0_S8_ifPKiSA_SA_iPKfiiiPfSD_PS3_PT2_iSC_SC_, 615

	.type	__PRETTY_FUNCTION__._Z39paged_attention_ll4mi_QKV_mfma16_kernelI14__hip_bfloat16hLN4vllm18Fp8KVCacheDataTypeE1EhLi32ELi128ELi256ELb1ELi16EEvPKT_PKT0_S8_ifPKiSA_SA_iPKfiiiPfSD_PS3_PT2_iSC_SC_,@object ; @__PRETTY_FUNCTION__._Z39paged_attention_ll4mi_QKV_mfma16_kernelI14__hip_bfloat16hLN4vllm18Fp8KVCacheDataTypeE1EhLi32ELi128ELi256ELb1ELi16EEvPKT_PKT0_S8_ifPKiSA_SA_iPKfiiiPfSD_PS3_PT2_iSC_SC_
__PRETTY_FUNCTION__._Z39paged_attention_ll4mi_QKV_mfma16_kernelI14__hip_bfloat16hLN4vllm18Fp8KVCacheDataTypeE1EhLi32ELi128ELi256ELb1ELi16EEvPKT_PKT0_S8_ifPKiSA_SA_iPKfiiiPfSD_PS3_PT2_iSC_SC_:
	.asciz	"void paged_attention_ll4mi_QKV_mfma16_kernel(const scalar_t *__restrict, const cache_t *__restrict, const cache_t *__restrict, const int, const float, const int *__restrict, const int *__restrict, const int *__restrict, const int, const float *__restrict, const int, const int, const int, float *__restrict, float *__restrict, scalar_t *__restrict, OUTT *__restrict, int, const float *, const float *) [scalar_t = __hip_bfloat16, cache_t = unsigned char, KV_DTYPE = vllm::Fp8KVCacheDataType::kFp8E4M3, OUTT = unsigned char, BLOCK_SIZE = 32, HEAD_SIZE = 128, NUM_THREADS = 256, ALIBI_ENABLED = true, GQA_RATIO = 16]"
	.size	__PRETTY_FUNCTION__._Z39paged_attention_ll4mi_QKV_mfma16_kernelI14__hip_bfloat16hLN4vllm18Fp8KVCacheDataTypeE1EhLi32ELi128ELi256ELb1ELi16EEvPKT_PKT0_S8_ifPKiSA_SA_iPKfiiiPfSD_PS3_PT2_iSC_SC_, 615

	.type	__PRETTY_FUNCTION__._Z39paged_attention_ll4mi_QKV_mfma16_kernelI14__hip_bfloat16hLN4vllm18Fp8KVCacheDataTypeE1EhLi32ELi128ELi256ELb1ELi1EEvPKT_PKT0_S8_ifPKiSA_SA_iPKfiiiPfSD_PS3_PT2_iSC_SC_,@object ; @__PRETTY_FUNCTION__._Z39paged_attention_ll4mi_QKV_mfma16_kernelI14__hip_bfloat16hLN4vllm18Fp8KVCacheDataTypeE1EhLi32ELi128ELi256ELb1ELi1EEvPKT_PKT0_S8_ifPKiSA_SA_iPKfiiiPfSD_PS3_PT2_iSC_SC_
__PRETTY_FUNCTION__._Z39paged_attention_ll4mi_QKV_mfma16_kernelI14__hip_bfloat16hLN4vllm18Fp8KVCacheDataTypeE1EhLi32ELi128ELi256ELb1ELi1EEvPKT_PKT0_S8_ifPKiSA_SA_iPKfiiiPfSD_PS3_PT2_iSC_SC_:
	.asciz	"void paged_attention_ll4mi_QKV_mfma16_kernel(const scalar_t *__restrict, const cache_t *__restrict, const cache_t *__restrict, const int, const float, const int *__restrict, const int *__restrict, const int *__restrict, const int, const float *__restrict, const int, const int, const int, float *__restrict, float *__restrict, scalar_t *__restrict, OUTT *__restrict, int, const float *, const float *) [scalar_t = __hip_bfloat16, cache_t = unsigned char, KV_DTYPE = vllm::Fp8KVCacheDataType::kFp8E4M3, OUTT = unsigned char, BLOCK_SIZE = 32, HEAD_SIZE = 128, NUM_THREADS = 256, ALIBI_ENABLED = true, GQA_RATIO = 1]"
	.size	__PRETTY_FUNCTION__._Z39paged_attention_ll4mi_QKV_mfma16_kernelI14__hip_bfloat16hLN4vllm18Fp8KVCacheDataTypeE1EhLi32ELi128ELi256ELb1ELi1EEvPKT_PKT0_S8_ifPKiSA_SA_iPKfiiiPfSD_PS3_PT2_iSC_SC_, 614

	.type	__PRETTY_FUNCTION__._Z39paged_attention_ll4mi_QKV_mfma16_kernelI14__hip_bfloat16hLN4vllm18Fp8KVCacheDataTypeE1EhLi32ELi128ELi256ELb1ELi2EEvPKT_PKT0_S8_ifPKiSA_SA_iPKfiiiPfSD_PS3_PT2_iSC_SC_,@object ; @__PRETTY_FUNCTION__._Z39paged_attention_ll4mi_QKV_mfma16_kernelI14__hip_bfloat16hLN4vllm18Fp8KVCacheDataTypeE1EhLi32ELi128ELi256ELb1ELi2EEvPKT_PKT0_S8_ifPKiSA_SA_iPKfiiiPfSD_PS3_PT2_iSC_SC_
__PRETTY_FUNCTION__._Z39paged_attention_ll4mi_QKV_mfma16_kernelI14__hip_bfloat16hLN4vllm18Fp8KVCacheDataTypeE1EhLi32ELi128ELi256ELb1ELi2EEvPKT_PKT0_S8_ifPKiSA_SA_iPKfiiiPfSD_PS3_PT2_iSC_SC_:
	.asciz	"void paged_attention_ll4mi_QKV_mfma16_kernel(const scalar_t *__restrict, const cache_t *__restrict, const cache_t *__restrict, const int, const float, const int *__restrict, const int *__restrict, const int *__restrict, const int, const float *__restrict, const int, const int, const int, float *__restrict, float *__restrict, scalar_t *__restrict, OUTT *__restrict, int, const float *, const float *) [scalar_t = __hip_bfloat16, cache_t = unsigned char, KV_DTYPE = vllm::Fp8KVCacheDataType::kFp8E4M3, OUTT = unsigned char, BLOCK_SIZE = 32, HEAD_SIZE = 128, NUM_THREADS = 256, ALIBI_ENABLED = true, GQA_RATIO = 2]"
	.size	__PRETTY_FUNCTION__._Z39paged_attention_ll4mi_QKV_mfma16_kernelI14__hip_bfloat16hLN4vllm18Fp8KVCacheDataTypeE1EhLi32ELi128ELi256ELb1ELi2EEvPKT_PKT0_S8_ifPKiSA_SA_iPKfiiiPfSD_PS3_PT2_iSC_SC_, 614

	.type	__PRETTY_FUNCTION__._Z39paged_attention_ll4mi_QKV_mfma16_kernelI14__hip_bfloat16hLN4vllm18Fp8KVCacheDataTypeE1EhLi32ELi128ELi256ELb1ELi3EEvPKT_PKT0_S8_ifPKiSA_SA_iPKfiiiPfSD_PS3_PT2_iSC_SC_,@object ; @__PRETTY_FUNCTION__._Z39paged_attention_ll4mi_QKV_mfma16_kernelI14__hip_bfloat16hLN4vllm18Fp8KVCacheDataTypeE1EhLi32ELi128ELi256ELb1ELi3EEvPKT_PKT0_S8_ifPKiSA_SA_iPKfiiiPfSD_PS3_PT2_iSC_SC_
__PRETTY_FUNCTION__._Z39paged_attention_ll4mi_QKV_mfma16_kernelI14__hip_bfloat16hLN4vllm18Fp8KVCacheDataTypeE1EhLi32ELi128ELi256ELb1ELi3EEvPKT_PKT0_S8_ifPKiSA_SA_iPKfiiiPfSD_PS3_PT2_iSC_SC_:
	.asciz	"void paged_attention_ll4mi_QKV_mfma16_kernel(const scalar_t *__restrict, const cache_t *__restrict, const cache_t *__restrict, const int, const float, const int *__restrict, const int *__restrict, const int *__restrict, const int, const float *__restrict, const int, const int, const int, float *__restrict, float *__restrict, scalar_t *__restrict, OUTT *__restrict, int, const float *, const float *) [scalar_t = __hip_bfloat16, cache_t = unsigned char, KV_DTYPE = vllm::Fp8KVCacheDataType::kFp8E4M3, OUTT = unsigned char, BLOCK_SIZE = 32, HEAD_SIZE = 128, NUM_THREADS = 256, ALIBI_ENABLED = true, GQA_RATIO = 3]"
	.size	__PRETTY_FUNCTION__._Z39paged_attention_ll4mi_QKV_mfma16_kernelI14__hip_bfloat16hLN4vllm18Fp8KVCacheDataTypeE1EhLi32ELi128ELi256ELb1ELi3EEvPKT_PKT0_S8_ifPKiSA_SA_iPKfiiiPfSD_PS3_PT2_iSC_SC_, 614

	.type	__PRETTY_FUNCTION__._Z39paged_attention_ll4mi_QKV_mfma16_kernelI14__hip_bfloat16hLN4vllm18Fp8KVCacheDataTypeE1EhLi32ELi128ELi256ELb1ELi4EEvPKT_PKT0_S8_ifPKiSA_SA_iPKfiiiPfSD_PS3_PT2_iSC_SC_,@object ; @__PRETTY_FUNCTION__._Z39paged_attention_ll4mi_QKV_mfma16_kernelI14__hip_bfloat16hLN4vllm18Fp8KVCacheDataTypeE1EhLi32ELi128ELi256ELb1ELi4EEvPKT_PKT0_S8_ifPKiSA_SA_iPKfiiiPfSD_PS3_PT2_iSC_SC_
__PRETTY_FUNCTION__._Z39paged_attention_ll4mi_QKV_mfma16_kernelI14__hip_bfloat16hLN4vllm18Fp8KVCacheDataTypeE1EhLi32ELi128ELi256ELb1ELi4EEvPKT_PKT0_S8_ifPKiSA_SA_iPKfiiiPfSD_PS3_PT2_iSC_SC_:
	.asciz	"void paged_attention_ll4mi_QKV_mfma16_kernel(const scalar_t *__restrict, const cache_t *__restrict, const cache_t *__restrict, const int, const float, const int *__restrict, const int *__restrict, const int *__restrict, const int, const float *__restrict, const int, const int, const int, float *__restrict, float *__restrict, scalar_t *__restrict, OUTT *__restrict, int, const float *, const float *) [scalar_t = __hip_bfloat16, cache_t = unsigned char, KV_DTYPE = vllm::Fp8KVCacheDataType::kFp8E4M3, OUTT = unsigned char, BLOCK_SIZE = 32, HEAD_SIZE = 128, NUM_THREADS = 256, ALIBI_ENABLED = true, GQA_RATIO = 4]"
	.size	__PRETTY_FUNCTION__._Z39paged_attention_ll4mi_QKV_mfma16_kernelI14__hip_bfloat16hLN4vllm18Fp8KVCacheDataTypeE1EhLi32ELi128ELi256ELb1ELi4EEvPKT_PKT0_S8_ifPKiSA_SA_iPKfiiiPfSD_PS3_PT2_iSC_SC_, 614

	.type	__PRETTY_FUNCTION__._Z38paged_attention_ll4mi_QKV_mfma4_kernelI14__hip_bfloat16hLN4vllm18Fp8KVCacheDataTypeE1EhLi32ELi128ELi256ELb0ELi1EEvPKT_PKT0_S8_ifPKiSA_SA_iPKfiiiPfSD_PS3_PT2_iSC_SC_,@object ; @__PRETTY_FUNCTION__._Z38paged_attention_ll4mi_QKV_mfma4_kernelI14__hip_bfloat16hLN4vllm18Fp8KVCacheDataTypeE1EhLi32ELi128ELi256ELb0ELi1EEvPKT_PKT0_S8_ifPKiSA_SA_iPKfiiiPfSD_PS3_PT2_iSC_SC_
__PRETTY_FUNCTION__._Z38paged_attention_ll4mi_QKV_mfma4_kernelI14__hip_bfloat16hLN4vllm18Fp8KVCacheDataTypeE1EhLi32ELi128ELi256ELb0ELi1EEvPKT_PKT0_S8_ifPKiSA_SA_iPKfiiiPfSD_PS3_PT2_iSC_SC_:
	.asciz	"void paged_attention_ll4mi_QKV_mfma4_kernel(const scalar_t *__restrict, const cache_t *__restrict, const cache_t *__restrict, const int, const float, const int *__restrict, const int *__restrict, const int *__restrict, const int, const float *__restrict, const int, const int, const int, float *__restrict, float *__restrict, scalar_t *__restrict, OUTT *__restrict, int, const float *, const float *) [scalar_t = __hip_bfloat16, cache_t = unsigned char, KV_DTYPE = vllm::Fp8KVCacheDataType::kFp8E4M3, OUTT = unsigned char, BLOCK_SIZE = 32, HEAD_SIZE = 128, NUM_THREADS = 256, ALIBI_ENABLED = false, GQA_RATIO = 1]"
	.size	__PRETTY_FUNCTION__._Z38paged_attention_ll4mi_QKV_mfma4_kernelI14__hip_bfloat16hLN4vllm18Fp8KVCacheDataTypeE1EhLi32ELi128ELi256ELb0ELi1EEvPKT_PKT0_S8_ifPKiSA_SA_iPKfiiiPfSD_PS3_PT2_iSC_SC_, 614

	.type	__PRETTY_FUNCTION__._Z38paged_attention_ll4mi_QKV_mfma4_kernelI14__hip_bfloat16hLN4vllm18Fp8KVCacheDataTypeE1EhLi32ELi128ELi256ELb0ELi2EEvPKT_PKT0_S8_ifPKiSA_SA_iPKfiiiPfSD_PS3_PT2_iSC_SC_,@object ; @__PRETTY_FUNCTION__._Z38paged_attention_ll4mi_QKV_mfma4_kernelI14__hip_bfloat16hLN4vllm18Fp8KVCacheDataTypeE1EhLi32ELi128ELi256ELb0ELi2EEvPKT_PKT0_S8_ifPKiSA_SA_iPKfiiiPfSD_PS3_PT2_iSC_SC_
__PRETTY_FUNCTION__._Z38paged_attention_ll4mi_QKV_mfma4_kernelI14__hip_bfloat16hLN4vllm18Fp8KVCacheDataTypeE1EhLi32ELi128ELi256ELb0ELi2EEvPKT_PKT0_S8_ifPKiSA_SA_iPKfiiiPfSD_PS3_PT2_iSC_SC_:
	.asciz	"void paged_attention_ll4mi_QKV_mfma4_kernel(const scalar_t *__restrict, const cache_t *__restrict, const cache_t *__restrict, const int, const float, const int *__restrict, const int *__restrict, const int *__restrict, const int, const float *__restrict, const int, const int, const int, float *__restrict, float *__restrict, scalar_t *__restrict, OUTT *__restrict, int, const float *, const float *) [scalar_t = __hip_bfloat16, cache_t = unsigned char, KV_DTYPE = vllm::Fp8KVCacheDataType::kFp8E4M3, OUTT = unsigned char, BLOCK_SIZE = 32, HEAD_SIZE = 128, NUM_THREADS = 256, ALIBI_ENABLED = false, GQA_RATIO = 2]"
	.size	__PRETTY_FUNCTION__._Z38paged_attention_ll4mi_QKV_mfma4_kernelI14__hip_bfloat16hLN4vllm18Fp8KVCacheDataTypeE1EhLi32ELi128ELi256ELb0ELi2EEvPKT_PKT0_S8_ifPKiSA_SA_iPKfiiiPfSD_PS3_PT2_iSC_SC_, 614

	.type	__PRETTY_FUNCTION__._Z38paged_attention_ll4mi_QKV_mfma4_kernelI14__hip_bfloat16hLN4vllm18Fp8KVCacheDataTypeE1EhLi32ELi128ELi256ELb0ELi3EEvPKT_PKT0_S8_ifPKiSA_SA_iPKfiiiPfSD_PS3_PT2_iSC_SC_,@object ; @__PRETTY_FUNCTION__._Z38paged_attention_ll4mi_QKV_mfma4_kernelI14__hip_bfloat16hLN4vllm18Fp8KVCacheDataTypeE1EhLi32ELi128ELi256ELb0ELi3EEvPKT_PKT0_S8_ifPKiSA_SA_iPKfiiiPfSD_PS3_PT2_iSC_SC_
__PRETTY_FUNCTION__._Z38paged_attention_ll4mi_QKV_mfma4_kernelI14__hip_bfloat16hLN4vllm18Fp8KVCacheDataTypeE1EhLi32ELi128ELi256ELb0ELi3EEvPKT_PKT0_S8_ifPKiSA_SA_iPKfiiiPfSD_PS3_PT2_iSC_SC_:
	.asciz	"void paged_attention_ll4mi_QKV_mfma4_kernel(const scalar_t *__restrict, const cache_t *__restrict, const cache_t *__restrict, const int, const float, const int *__restrict, const int *__restrict, const int *__restrict, const int, const float *__restrict, const int, const int, const int, float *__restrict, float *__restrict, scalar_t *__restrict, OUTT *__restrict, int, const float *, const float *) [scalar_t = __hip_bfloat16, cache_t = unsigned char, KV_DTYPE = vllm::Fp8KVCacheDataType::kFp8E4M3, OUTT = unsigned char, BLOCK_SIZE = 32, HEAD_SIZE = 128, NUM_THREADS = 256, ALIBI_ENABLED = false, GQA_RATIO = 3]"
	.size	__PRETTY_FUNCTION__._Z38paged_attention_ll4mi_QKV_mfma4_kernelI14__hip_bfloat16hLN4vllm18Fp8KVCacheDataTypeE1EhLi32ELi128ELi256ELb0ELi3EEvPKT_PKT0_S8_ifPKiSA_SA_iPKfiiiPfSD_PS3_PT2_iSC_SC_, 614

	.type	__PRETTY_FUNCTION__._Z38paged_attention_ll4mi_QKV_mfma4_kernelI14__hip_bfloat16hLN4vllm18Fp8KVCacheDataTypeE1EhLi32ELi128ELi256ELb0ELi4EEvPKT_PKT0_S8_ifPKiSA_SA_iPKfiiiPfSD_PS3_PT2_iSC_SC_,@object ; @__PRETTY_FUNCTION__._Z38paged_attention_ll4mi_QKV_mfma4_kernelI14__hip_bfloat16hLN4vllm18Fp8KVCacheDataTypeE1EhLi32ELi128ELi256ELb0ELi4EEvPKT_PKT0_S8_ifPKiSA_SA_iPKfiiiPfSD_PS3_PT2_iSC_SC_
__PRETTY_FUNCTION__._Z38paged_attention_ll4mi_QKV_mfma4_kernelI14__hip_bfloat16hLN4vllm18Fp8KVCacheDataTypeE1EhLi32ELi128ELi256ELb0ELi4EEvPKT_PKT0_S8_ifPKiSA_SA_iPKfiiiPfSD_PS3_PT2_iSC_SC_:
	.asciz	"void paged_attention_ll4mi_QKV_mfma4_kernel(const scalar_t *__restrict, const cache_t *__restrict, const cache_t *__restrict, const int, const float, const int *__restrict, const int *__restrict, const int *__restrict, const int, const float *__restrict, const int, const int, const int, float *__restrict, float *__restrict, scalar_t *__restrict, OUTT *__restrict, int, const float *, const float *) [scalar_t = __hip_bfloat16, cache_t = unsigned char, KV_DTYPE = vllm::Fp8KVCacheDataType::kFp8E4M3, OUTT = unsigned char, BLOCK_SIZE = 32, HEAD_SIZE = 128, NUM_THREADS = 256, ALIBI_ENABLED = false, GQA_RATIO = 4]"
	.size	__PRETTY_FUNCTION__._Z38paged_attention_ll4mi_QKV_mfma4_kernelI14__hip_bfloat16hLN4vllm18Fp8KVCacheDataTypeE1EhLi32ELi128ELi256ELb0ELi4EEvPKT_PKT0_S8_ifPKiSA_SA_iPKfiiiPfSD_PS3_PT2_iSC_SC_, 614

	.type	__PRETTY_FUNCTION__._Z39paged_attention_ll4mi_QKV_mfma16_kernelI14__hip_bfloat16hLN4vllm18Fp8KVCacheDataTypeE1EhLi32ELi128ELi256ELb0ELi5EEvPKT_PKT0_S8_ifPKiSA_SA_iPKfiiiPfSD_PS3_PT2_iSC_SC_,@object ; @__PRETTY_FUNCTION__._Z39paged_attention_ll4mi_QKV_mfma16_kernelI14__hip_bfloat16hLN4vllm18Fp8KVCacheDataTypeE1EhLi32ELi128ELi256ELb0ELi5EEvPKT_PKT0_S8_ifPKiSA_SA_iPKfiiiPfSD_PS3_PT2_iSC_SC_
__PRETTY_FUNCTION__._Z39paged_attention_ll4mi_QKV_mfma16_kernelI14__hip_bfloat16hLN4vllm18Fp8KVCacheDataTypeE1EhLi32ELi128ELi256ELb0ELi5EEvPKT_PKT0_S8_ifPKiSA_SA_iPKfiiiPfSD_PS3_PT2_iSC_SC_:
	.asciz	"void paged_attention_ll4mi_QKV_mfma16_kernel(const scalar_t *__restrict, const cache_t *__restrict, const cache_t *__restrict, const int, const float, const int *__restrict, const int *__restrict, const int *__restrict, const int, const float *__restrict, const int, const int, const int, float *__restrict, float *__restrict, scalar_t *__restrict, OUTT *__restrict, int, const float *, const float *) [scalar_t = __hip_bfloat16, cache_t = unsigned char, KV_DTYPE = vllm::Fp8KVCacheDataType::kFp8E4M3, OUTT = unsigned char, BLOCK_SIZE = 32, HEAD_SIZE = 128, NUM_THREADS = 256, ALIBI_ENABLED = false, GQA_RATIO = 5]"
	.size	__PRETTY_FUNCTION__._Z39paged_attention_ll4mi_QKV_mfma16_kernelI14__hip_bfloat16hLN4vllm18Fp8KVCacheDataTypeE1EhLi32ELi128ELi256ELb0ELi5EEvPKT_PKT0_S8_ifPKiSA_SA_iPKfiiiPfSD_PS3_PT2_iSC_SC_, 615

	.type	__PRETTY_FUNCTION__._Z39paged_attention_ll4mi_QKV_mfma16_kernelI14__hip_bfloat16hLN4vllm18Fp8KVCacheDataTypeE1EhLi32ELi128ELi256ELb0ELi6EEvPKT_PKT0_S8_ifPKiSA_SA_iPKfiiiPfSD_PS3_PT2_iSC_SC_,@object ; @__PRETTY_FUNCTION__._Z39paged_attention_ll4mi_QKV_mfma16_kernelI14__hip_bfloat16hLN4vllm18Fp8KVCacheDataTypeE1EhLi32ELi128ELi256ELb0ELi6EEvPKT_PKT0_S8_ifPKiSA_SA_iPKfiiiPfSD_PS3_PT2_iSC_SC_
__PRETTY_FUNCTION__._Z39paged_attention_ll4mi_QKV_mfma16_kernelI14__hip_bfloat16hLN4vllm18Fp8KVCacheDataTypeE1EhLi32ELi128ELi256ELb0ELi6EEvPKT_PKT0_S8_ifPKiSA_SA_iPKfiiiPfSD_PS3_PT2_iSC_SC_:
	.asciz	"void paged_attention_ll4mi_QKV_mfma16_kernel(const scalar_t *__restrict, const cache_t *__restrict, const cache_t *__restrict, const int, const float, const int *__restrict, const int *__restrict, const int *__restrict, const int, const float *__restrict, const int, const int, const int, float *__restrict, float *__restrict, scalar_t *__restrict, OUTT *__restrict, int, const float *, const float *) [scalar_t = __hip_bfloat16, cache_t = unsigned char, KV_DTYPE = vllm::Fp8KVCacheDataType::kFp8E4M3, OUTT = unsigned char, BLOCK_SIZE = 32, HEAD_SIZE = 128, NUM_THREADS = 256, ALIBI_ENABLED = false, GQA_RATIO = 6]"
	.size	__PRETTY_FUNCTION__._Z39paged_attention_ll4mi_QKV_mfma16_kernelI14__hip_bfloat16hLN4vllm18Fp8KVCacheDataTypeE1EhLi32ELi128ELi256ELb0ELi6EEvPKT_PKT0_S8_ifPKiSA_SA_iPKfiiiPfSD_PS3_PT2_iSC_SC_, 615

	.type	__PRETTY_FUNCTION__._Z39paged_attention_ll4mi_QKV_mfma16_kernelI14__hip_bfloat16hLN4vllm18Fp8KVCacheDataTypeE1EhLi32ELi128ELi256ELb0ELi7EEvPKT_PKT0_S8_ifPKiSA_SA_iPKfiiiPfSD_PS3_PT2_iSC_SC_,@object ; @__PRETTY_FUNCTION__._Z39paged_attention_ll4mi_QKV_mfma16_kernelI14__hip_bfloat16hLN4vllm18Fp8KVCacheDataTypeE1EhLi32ELi128ELi256ELb0ELi7EEvPKT_PKT0_S8_ifPKiSA_SA_iPKfiiiPfSD_PS3_PT2_iSC_SC_
__PRETTY_FUNCTION__._Z39paged_attention_ll4mi_QKV_mfma16_kernelI14__hip_bfloat16hLN4vllm18Fp8KVCacheDataTypeE1EhLi32ELi128ELi256ELb0ELi7EEvPKT_PKT0_S8_ifPKiSA_SA_iPKfiiiPfSD_PS3_PT2_iSC_SC_:
	.asciz	"void paged_attention_ll4mi_QKV_mfma16_kernel(const scalar_t *__restrict, const cache_t *__restrict, const cache_t *__restrict, const int, const float, const int *__restrict, const int *__restrict, const int *__restrict, const int, const float *__restrict, const int, const int, const int, float *__restrict, float *__restrict, scalar_t *__restrict, OUTT *__restrict, int, const float *, const float *) [scalar_t = __hip_bfloat16, cache_t = unsigned char, KV_DTYPE = vllm::Fp8KVCacheDataType::kFp8E4M3, OUTT = unsigned char, BLOCK_SIZE = 32, HEAD_SIZE = 128, NUM_THREADS = 256, ALIBI_ENABLED = false, GQA_RATIO = 7]"
	.size	__PRETTY_FUNCTION__._Z39paged_attention_ll4mi_QKV_mfma16_kernelI14__hip_bfloat16hLN4vllm18Fp8KVCacheDataTypeE1EhLi32ELi128ELi256ELb0ELi7EEvPKT_PKT0_S8_ifPKiSA_SA_iPKfiiiPfSD_PS3_PT2_iSC_SC_, 615

	.type	__PRETTY_FUNCTION__._Z39paged_attention_ll4mi_QKV_mfma16_kernelI14__hip_bfloat16hLN4vllm18Fp8KVCacheDataTypeE1EhLi32ELi128ELi256ELb0ELi8EEvPKT_PKT0_S8_ifPKiSA_SA_iPKfiiiPfSD_PS3_PT2_iSC_SC_,@object ; @__PRETTY_FUNCTION__._Z39paged_attention_ll4mi_QKV_mfma16_kernelI14__hip_bfloat16hLN4vllm18Fp8KVCacheDataTypeE1EhLi32ELi128ELi256ELb0ELi8EEvPKT_PKT0_S8_ifPKiSA_SA_iPKfiiiPfSD_PS3_PT2_iSC_SC_
__PRETTY_FUNCTION__._Z39paged_attention_ll4mi_QKV_mfma16_kernelI14__hip_bfloat16hLN4vllm18Fp8KVCacheDataTypeE1EhLi32ELi128ELi256ELb0ELi8EEvPKT_PKT0_S8_ifPKiSA_SA_iPKfiiiPfSD_PS3_PT2_iSC_SC_:
	.asciz	"void paged_attention_ll4mi_QKV_mfma16_kernel(const scalar_t *__restrict, const cache_t *__restrict, const cache_t *__restrict, const int, const float, const int *__restrict, const int *__restrict, const int *__restrict, const int, const float *__restrict, const int, const int, const int, float *__restrict, float *__restrict, scalar_t *__restrict, OUTT *__restrict, int, const float *, const float *) [scalar_t = __hip_bfloat16, cache_t = unsigned char, KV_DTYPE = vllm::Fp8KVCacheDataType::kFp8E4M3, OUTT = unsigned char, BLOCK_SIZE = 32, HEAD_SIZE = 128, NUM_THREADS = 256, ALIBI_ENABLED = false, GQA_RATIO = 8]"
	.size	__PRETTY_FUNCTION__._Z39paged_attention_ll4mi_QKV_mfma16_kernelI14__hip_bfloat16hLN4vllm18Fp8KVCacheDataTypeE1EhLi32ELi128ELi256ELb0ELi8EEvPKT_PKT0_S8_ifPKiSA_SA_iPKfiiiPfSD_PS3_PT2_iSC_SC_, 615

	.type	__PRETTY_FUNCTION__._Z39paged_attention_ll4mi_QKV_mfma16_kernelI14__hip_bfloat16hLN4vllm18Fp8KVCacheDataTypeE1EhLi32ELi128ELi256ELb0ELi9EEvPKT_PKT0_S8_ifPKiSA_SA_iPKfiiiPfSD_PS3_PT2_iSC_SC_,@object ; @__PRETTY_FUNCTION__._Z39paged_attention_ll4mi_QKV_mfma16_kernelI14__hip_bfloat16hLN4vllm18Fp8KVCacheDataTypeE1EhLi32ELi128ELi256ELb0ELi9EEvPKT_PKT0_S8_ifPKiSA_SA_iPKfiiiPfSD_PS3_PT2_iSC_SC_
__PRETTY_FUNCTION__._Z39paged_attention_ll4mi_QKV_mfma16_kernelI14__hip_bfloat16hLN4vllm18Fp8KVCacheDataTypeE1EhLi32ELi128ELi256ELb0ELi9EEvPKT_PKT0_S8_ifPKiSA_SA_iPKfiiiPfSD_PS3_PT2_iSC_SC_:
	.asciz	"void paged_attention_ll4mi_QKV_mfma16_kernel(const scalar_t *__restrict, const cache_t *__restrict, const cache_t *__restrict, const int, const float, const int *__restrict, const int *__restrict, const int *__restrict, const int, const float *__restrict, const int, const int, const int, float *__restrict, float *__restrict, scalar_t *__restrict, OUTT *__restrict, int, const float *, const float *) [scalar_t = __hip_bfloat16, cache_t = unsigned char, KV_DTYPE = vllm::Fp8KVCacheDataType::kFp8E4M3, OUTT = unsigned char, BLOCK_SIZE = 32, HEAD_SIZE = 128, NUM_THREADS = 256, ALIBI_ENABLED = false, GQA_RATIO = 9]"
	.size	__PRETTY_FUNCTION__._Z39paged_attention_ll4mi_QKV_mfma16_kernelI14__hip_bfloat16hLN4vllm18Fp8KVCacheDataTypeE1EhLi32ELi128ELi256ELb0ELi9EEvPKT_PKT0_S8_ifPKiSA_SA_iPKfiiiPfSD_PS3_PT2_iSC_SC_, 615

	.type	__PRETTY_FUNCTION__._Z39paged_attention_ll4mi_QKV_mfma16_kernelI14__hip_bfloat16hLN4vllm18Fp8KVCacheDataTypeE1EhLi32ELi128ELi256ELb0ELi10EEvPKT_PKT0_S8_ifPKiSA_SA_iPKfiiiPfSD_PS3_PT2_iSC_SC_,@object ; @__PRETTY_FUNCTION__._Z39paged_attention_ll4mi_QKV_mfma16_kernelI14__hip_bfloat16hLN4vllm18Fp8KVCacheDataTypeE1EhLi32ELi128ELi256ELb0ELi10EEvPKT_PKT0_S8_ifPKiSA_SA_iPKfiiiPfSD_PS3_PT2_iSC_SC_
__PRETTY_FUNCTION__._Z39paged_attention_ll4mi_QKV_mfma16_kernelI14__hip_bfloat16hLN4vllm18Fp8KVCacheDataTypeE1EhLi32ELi128ELi256ELb0ELi10EEvPKT_PKT0_S8_ifPKiSA_SA_iPKfiiiPfSD_PS3_PT2_iSC_SC_:
	.asciz	"void paged_attention_ll4mi_QKV_mfma16_kernel(const scalar_t *__restrict, const cache_t *__restrict, const cache_t *__restrict, const int, const float, const int *__restrict, const int *__restrict, const int *__restrict, const int, const float *__restrict, const int, const int, const int, float *__restrict, float *__restrict, scalar_t *__restrict, OUTT *__restrict, int, const float *, const float *) [scalar_t = __hip_bfloat16, cache_t = unsigned char, KV_DTYPE = vllm::Fp8KVCacheDataType::kFp8E4M3, OUTT = unsigned char, BLOCK_SIZE = 32, HEAD_SIZE = 128, NUM_THREADS = 256, ALIBI_ENABLED = false, GQA_RATIO = 10]"
	.size	__PRETTY_FUNCTION__._Z39paged_attention_ll4mi_QKV_mfma16_kernelI14__hip_bfloat16hLN4vllm18Fp8KVCacheDataTypeE1EhLi32ELi128ELi256ELb0ELi10EEvPKT_PKT0_S8_ifPKiSA_SA_iPKfiiiPfSD_PS3_PT2_iSC_SC_, 616

	.type	__PRETTY_FUNCTION__._Z39paged_attention_ll4mi_QKV_mfma16_kernelI14__hip_bfloat16hLN4vllm18Fp8KVCacheDataTypeE1EhLi32ELi128ELi256ELb0ELi11EEvPKT_PKT0_S8_ifPKiSA_SA_iPKfiiiPfSD_PS3_PT2_iSC_SC_,@object ; @__PRETTY_FUNCTION__._Z39paged_attention_ll4mi_QKV_mfma16_kernelI14__hip_bfloat16hLN4vllm18Fp8KVCacheDataTypeE1EhLi32ELi128ELi256ELb0ELi11EEvPKT_PKT0_S8_ifPKiSA_SA_iPKfiiiPfSD_PS3_PT2_iSC_SC_
__PRETTY_FUNCTION__._Z39paged_attention_ll4mi_QKV_mfma16_kernelI14__hip_bfloat16hLN4vllm18Fp8KVCacheDataTypeE1EhLi32ELi128ELi256ELb0ELi11EEvPKT_PKT0_S8_ifPKiSA_SA_iPKfiiiPfSD_PS3_PT2_iSC_SC_:
	.asciz	"void paged_attention_ll4mi_QKV_mfma16_kernel(const scalar_t *__restrict, const cache_t *__restrict, const cache_t *__restrict, const int, const float, const int *__restrict, const int *__restrict, const int *__restrict, const int, const float *__restrict, const int, const int, const int, float *__restrict, float *__restrict, scalar_t *__restrict, OUTT *__restrict, int, const float *, const float *) [scalar_t = __hip_bfloat16, cache_t = unsigned char, KV_DTYPE = vllm::Fp8KVCacheDataType::kFp8E4M3, OUTT = unsigned char, BLOCK_SIZE = 32, HEAD_SIZE = 128, NUM_THREADS = 256, ALIBI_ENABLED = false, GQA_RATIO = 11]"
	.size	__PRETTY_FUNCTION__._Z39paged_attention_ll4mi_QKV_mfma16_kernelI14__hip_bfloat16hLN4vllm18Fp8KVCacheDataTypeE1EhLi32ELi128ELi256ELb0ELi11EEvPKT_PKT0_S8_ifPKiSA_SA_iPKfiiiPfSD_PS3_PT2_iSC_SC_, 616

	.type	__PRETTY_FUNCTION__._Z39paged_attention_ll4mi_QKV_mfma16_kernelI14__hip_bfloat16hLN4vllm18Fp8KVCacheDataTypeE1EhLi32ELi128ELi256ELb0ELi12EEvPKT_PKT0_S8_ifPKiSA_SA_iPKfiiiPfSD_PS3_PT2_iSC_SC_,@object ; @__PRETTY_FUNCTION__._Z39paged_attention_ll4mi_QKV_mfma16_kernelI14__hip_bfloat16hLN4vllm18Fp8KVCacheDataTypeE1EhLi32ELi128ELi256ELb0ELi12EEvPKT_PKT0_S8_ifPKiSA_SA_iPKfiiiPfSD_PS3_PT2_iSC_SC_
__PRETTY_FUNCTION__._Z39paged_attention_ll4mi_QKV_mfma16_kernelI14__hip_bfloat16hLN4vllm18Fp8KVCacheDataTypeE1EhLi32ELi128ELi256ELb0ELi12EEvPKT_PKT0_S8_ifPKiSA_SA_iPKfiiiPfSD_PS3_PT2_iSC_SC_:
	.asciz	"void paged_attention_ll4mi_QKV_mfma16_kernel(const scalar_t *__restrict, const cache_t *__restrict, const cache_t *__restrict, const int, const float, const int *__restrict, const int *__restrict, const int *__restrict, const int, const float *__restrict, const int, const int, const int, float *__restrict, float *__restrict, scalar_t *__restrict, OUTT *__restrict, int, const float *, const float *) [scalar_t = __hip_bfloat16, cache_t = unsigned char, KV_DTYPE = vllm::Fp8KVCacheDataType::kFp8E4M3, OUTT = unsigned char, BLOCK_SIZE = 32, HEAD_SIZE = 128, NUM_THREADS = 256, ALIBI_ENABLED = false, GQA_RATIO = 12]"
	.size	__PRETTY_FUNCTION__._Z39paged_attention_ll4mi_QKV_mfma16_kernelI14__hip_bfloat16hLN4vllm18Fp8KVCacheDataTypeE1EhLi32ELi128ELi256ELb0ELi12EEvPKT_PKT0_S8_ifPKiSA_SA_iPKfiiiPfSD_PS3_PT2_iSC_SC_, 616

	.type	__PRETTY_FUNCTION__._Z39paged_attention_ll4mi_QKV_mfma16_kernelI14__hip_bfloat16hLN4vllm18Fp8KVCacheDataTypeE1EhLi32ELi128ELi256ELb0ELi13EEvPKT_PKT0_S8_ifPKiSA_SA_iPKfiiiPfSD_PS3_PT2_iSC_SC_,@object ; @__PRETTY_FUNCTION__._Z39paged_attention_ll4mi_QKV_mfma16_kernelI14__hip_bfloat16hLN4vllm18Fp8KVCacheDataTypeE1EhLi32ELi128ELi256ELb0ELi13EEvPKT_PKT0_S8_ifPKiSA_SA_iPKfiiiPfSD_PS3_PT2_iSC_SC_
__PRETTY_FUNCTION__._Z39paged_attention_ll4mi_QKV_mfma16_kernelI14__hip_bfloat16hLN4vllm18Fp8KVCacheDataTypeE1EhLi32ELi128ELi256ELb0ELi13EEvPKT_PKT0_S8_ifPKiSA_SA_iPKfiiiPfSD_PS3_PT2_iSC_SC_:
	.asciz	"void paged_attention_ll4mi_QKV_mfma16_kernel(const scalar_t *__restrict, const cache_t *__restrict, const cache_t *__restrict, const int, const float, const int *__restrict, const int *__restrict, const int *__restrict, const int, const float *__restrict, const int, const int, const int, float *__restrict, float *__restrict, scalar_t *__restrict, OUTT *__restrict, int, const float *, const float *) [scalar_t = __hip_bfloat16, cache_t = unsigned char, KV_DTYPE = vllm::Fp8KVCacheDataType::kFp8E4M3, OUTT = unsigned char, BLOCK_SIZE = 32, HEAD_SIZE = 128, NUM_THREADS = 256, ALIBI_ENABLED = false, GQA_RATIO = 13]"
	.size	__PRETTY_FUNCTION__._Z39paged_attention_ll4mi_QKV_mfma16_kernelI14__hip_bfloat16hLN4vllm18Fp8KVCacheDataTypeE1EhLi32ELi128ELi256ELb0ELi13EEvPKT_PKT0_S8_ifPKiSA_SA_iPKfiiiPfSD_PS3_PT2_iSC_SC_, 616

	.type	__PRETTY_FUNCTION__._Z39paged_attention_ll4mi_QKV_mfma16_kernelI14__hip_bfloat16hLN4vllm18Fp8KVCacheDataTypeE1EhLi32ELi128ELi256ELb0ELi14EEvPKT_PKT0_S8_ifPKiSA_SA_iPKfiiiPfSD_PS3_PT2_iSC_SC_,@object ; @__PRETTY_FUNCTION__._Z39paged_attention_ll4mi_QKV_mfma16_kernelI14__hip_bfloat16hLN4vllm18Fp8KVCacheDataTypeE1EhLi32ELi128ELi256ELb0ELi14EEvPKT_PKT0_S8_ifPKiSA_SA_iPKfiiiPfSD_PS3_PT2_iSC_SC_
__PRETTY_FUNCTION__._Z39paged_attention_ll4mi_QKV_mfma16_kernelI14__hip_bfloat16hLN4vllm18Fp8KVCacheDataTypeE1EhLi32ELi128ELi256ELb0ELi14EEvPKT_PKT0_S8_ifPKiSA_SA_iPKfiiiPfSD_PS3_PT2_iSC_SC_:
	.asciz	"void paged_attention_ll4mi_QKV_mfma16_kernel(const scalar_t *__restrict, const cache_t *__restrict, const cache_t *__restrict, const int, const float, const int *__restrict, const int *__restrict, const int *__restrict, const int, const float *__restrict, const int, const int, const int, float *__restrict, float *__restrict, scalar_t *__restrict, OUTT *__restrict, int, const float *, const float *) [scalar_t = __hip_bfloat16, cache_t = unsigned char, KV_DTYPE = vllm::Fp8KVCacheDataType::kFp8E4M3, OUTT = unsigned char, BLOCK_SIZE = 32, HEAD_SIZE = 128, NUM_THREADS = 256, ALIBI_ENABLED = false, GQA_RATIO = 14]"
	.size	__PRETTY_FUNCTION__._Z39paged_attention_ll4mi_QKV_mfma16_kernelI14__hip_bfloat16hLN4vllm18Fp8KVCacheDataTypeE1EhLi32ELi128ELi256ELb0ELi14EEvPKT_PKT0_S8_ifPKiSA_SA_iPKfiiiPfSD_PS3_PT2_iSC_SC_, 616

	.type	__PRETTY_FUNCTION__._Z39paged_attention_ll4mi_QKV_mfma16_kernelI14__hip_bfloat16hLN4vllm18Fp8KVCacheDataTypeE1EhLi32ELi128ELi256ELb0ELi15EEvPKT_PKT0_S8_ifPKiSA_SA_iPKfiiiPfSD_PS3_PT2_iSC_SC_,@object ; @__PRETTY_FUNCTION__._Z39paged_attention_ll4mi_QKV_mfma16_kernelI14__hip_bfloat16hLN4vllm18Fp8KVCacheDataTypeE1EhLi32ELi128ELi256ELb0ELi15EEvPKT_PKT0_S8_ifPKiSA_SA_iPKfiiiPfSD_PS3_PT2_iSC_SC_
__PRETTY_FUNCTION__._Z39paged_attention_ll4mi_QKV_mfma16_kernelI14__hip_bfloat16hLN4vllm18Fp8KVCacheDataTypeE1EhLi32ELi128ELi256ELb0ELi15EEvPKT_PKT0_S8_ifPKiSA_SA_iPKfiiiPfSD_PS3_PT2_iSC_SC_:
	.asciz	"void paged_attention_ll4mi_QKV_mfma16_kernel(const scalar_t *__restrict, const cache_t *__restrict, const cache_t *__restrict, const int, const float, const int *__restrict, const int *__restrict, const int *__restrict, const int, const float *__restrict, const int, const int, const int, float *__restrict, float *__restrict, scalar_t *__restrict, OUTT *__restrict, int, const float *, const float *) [scalar_t = __hip_bfloat16, cache_t = unsigned char, KV_DTYPE = vllm::Fp8KVCacheDataType::kFp8E4M3, OUTT = unsigned char, BLOCK_SIZE = 32, HEAD_SIZE = 128, NUM_THREADS = 256, ALIBI_ENABLED = false, GQA_RATIO = 15]"
	.size	__PRETTY_FUNCTION__._Z39paged_attention_ll4mi_QKV_mfma16_kernelI14__hip_bfloat16hLN4vllm18Fp8KVCacheDataTypeE1EhLi32ELi128ELi256ELb0ELi15EEvPKT_PKT0_S8_ifPKiSA_SA_iPKfiiiPfSD_PS3_PT2_iSC_SC_, 616

	.type	__PRETTY_FUNCTION__._Z39paged_attention_ll4mi_QKV_mfma16_kernelI14__hip_bfloat16hLN4vllm18Fp8KVCacheDataTypeE1EhLi32ELi128ELi256ELb0ELi16EEvPKT_PKT0_S8_ifPKiSA_SA_iPKfiiiPfSD_PS3_PT2_iSC_SC_,@object ; @__PRETTY_FUNCTION__._Z39paged_attention_ll4mi_QKV_mfma16_kernelI14__hip_bfloat16hLN4vllm18Fp8KVCacheDataTypeE1EhLi32ELi128ELi256ELb0ELi16EEvPKT_PKT0_S8_ifPKiSA_SA_iPKfiiiPfSD_PS3_PT2_iSC_SC_
__PRETTY_FUNCTION__._Z39paged_attention_ll4mi_QKV_mfma16_kernelI14__hip_bfloat16hLN4vllm18Fp8KVCacheDataTypeE1EhLi32ELi128ELi256ELb0ELi16EEvPKT_PKT0_S8_ifPKiSA_SA_iPKfiiiPfSD_PS3_PT2_iSC_SC_:
	.asciz	"void paged_attention_ll4mi_QKV_mfma16_kernel(const scalar_t *__restrict, const cache_t *__restrict, const cache_t *__restrict, const int, const float, const int *__restrict, const int *__restrict, const int *__restrict, const int, const float *__restrict, const int, const int, const int, float *__restrict, float *__restrict, scalar_t *__restrict, OUTT *__restrict, int, const float *, const float *) [scalar_t = __hip_bfloat16, cache_t = unsigned char, KV_DTYPE = vllm::Fp8KVCacheDataType::kFp8E4M3, OUTT = unsigned char, BLOCK_SIZE = 32, HEAD_SIZE = 128, NUM_THREADS = 256, ALIBI_ENABLED = false, GQA_RATIO = 16]"
	.size	__PRETTY_FUNCTION__._Z39paged_attention_ll4mi_QKV_mfma16_kernelI14__hip_bfloat16hLN4vllm18Fp8KVCacheDataTypeE1EhLi32ELi128ELi256ELb0ELi16EEvPKT_PKT0_S8_ifPKiSA_SA_iPKfiiiPfSD_PS3_PT2_iSC_SC_, 616

	.type	__PRETTY_FUNCTION__._Z39paged_attention_ll4mi_QKV_mfma16_kernelI14__hip_bfloat16hLN4vllm18Fp8KVCacheDataTypeE1EhLi32ELi128ELi256ELb0ELi1EEvPKT_PKT0_S8_ifPKiSA_SA_iPKfiiiPfSD_PS3_PT2_iSC_SC_,@object ; @__PRETTY_FUNCTION__._Z39paged_attention_ll4mi_QKV_mfma16_kernelI14__hip_bfloat16hLN4vllm18Fp8KVCacheDataTypeE1EhLi32ELi128ELi256ELb0ELi1EEvPKT_PKT0_S8_ifPKiSA_SA_iPKfiiiPfSD_PS3_PT2_iSC_SC_
__PRETTY_FUNCTION__._Z39paged_attention_ll4mi_QKV_mfma16_kernelI14__hip_bfloat16hLN4vllm18Fp8KVCacheDataTypeE1EhLi32ELi128ELi256ELb0ELi1EEvPKT_PKT0_S8_ifPKiSA_SA_iPKfiiiPfSD_PS3_PT2_iSC_SC_:
	.asciz	"void paged_attention_ll4mi_QKV_mfma16_kernel(const scalar_t *__restrict, const cache_t *__restrict, const cache_t *__restrict, const int, const float, const int *__restrict, const int *__restrict, const int *__restrict, const int, const float *__restrict, const int, const int, const int, float *__restrict, float *__restrict, scalar_t *__restrict, OUTT *__restrict, int, const float *, const float *) [scalar_t = __hip_bfloat16, cache_t = unsigned char, KV_DTYPE = vllm::Fp8KVCacheDataType::kFp8E4M3, OUTT = unsigned char, BLOCK_SIZE = 32, HEAD_SIZE = 128, NUM_THREADS = 256, ALIBI_ENABLED = false, GQA_RATIO = 1]"
	.size	__PRETTY_FUNCTION__._Z39paged_attention_ll4mi_QKV_mfma16_kernelI14__hip_bfloat16hLN4vllm18Fp8KVCacheDataTypeE1EhLi32ELi128ELi256ELb0ELi1EEvPKT_PKT0_S8_ifPKiSA_SA_iPKfiiiPfSD_PS3_PT2_iSC_SC_, 615

	.type	__PRETTY_FUNCTION__._Z39paged_attention_ll4mi_QKV_mfma16_kernelI14__hip_bfloat16hLN4vllm18Fp8KVCacheDataTypeE1EhLi32ELi128ELi256ELb0ELi2EEvPKT_PKT0_S8_ifPKiSA_SA_iPKfiiiPfSD_PS3_PT2_iSC_SC_,@object ; @__PRETTY_FUNCTION__._Z39paged_attention_ll4mi_QKV_mfma16_kernelI14__hip_bfloat16hLN4vllm18Fp8KVCacheDataTypeE1EhLi32ELi128ELi256ELb0ELi2EEvPKT_PKT0_S8_ifPKiSA_SA_iPKfiiiPfSD_PS3_PT2_iSC_SC_
__PRETTY_FUNCTION__._Z39paged_attention_ll4mi_QKV_mfma16_kernelI14__hip_bfloat16hLN4vllm18Fp8KVCacheDataTypeE1EhLi32ELi128ELi256ELb0ELi2EEvPKT_PKT0_S8_ifPKiSA_SA_iPKfiiiPfSD_PS3_PT2_iSC_SC_:
	.asciz	"void paged_attention_ll4mi_QKV_mfma16_kernel(const scalar_t *__restrict, const cache_t *__restrict, const cache_t *__restrict, const int, const float, const int *__restrict, const int *__restrict, const int *__restrict, const int, const float *__restrict, const int, const int, const int, float *__restrict, float *__restrict, scalar_t *__restrict, OUTT *__restrict, int, const float *, const float *) [scalar_t = __hip_bfloat16, cache_t = unsigned char, KV_DTYPE = vllm::Fp8KVCacheDataType::kFp8E4M3, OUTT = unsigned char, BLOCK_SIZE = 32, HEAD_SIZE = 128, NUM_THREADS = 256, ALIBI_ENABLED = false, GQA_RATIO = 2]"
	.size	__PRETTY_FUNCTION__._Z39paged_attention_ll4mi_QKV_mfma16_kernelI14__hip_bfloat16hLN4vllm18Fp8KVCacheDataTypeE1EhLi32ELi128ELi256ELb0ELi2EEvPKT_PKT0_S8_ifPKiSA_SA_iPKfiiiPfSD_PS3_PT2_iSC_SC_, 615

	.type	__PRETTY_FUNCTION__._Z39paged_attention_ll4mi_QKV_mfma16_kernelI14__hip_bfloat16hLN4vllm18Fp8KVCacheDataTypeE1EhLi32ELi128ELi256ELb0ELi3EEvPKT_PKT0_S8_ifPKiSA_SA_iPKfiiiPfSD_PS3_PT2_iSC_SC_,@object ; @__PRETTY_FUNCTION__._Z39paged_attention_ll4mi_QKV_mfma16_kernelI14__hip_bfloat16hLN4vllm18Fp8KVCacheDataTypeE1EhLi32ELi128ELi256ELb0ELi3EEvPKT_PKT0_S8_ifPKiSA_SA_iPKfiiiPfSD_PS3_PT2_iSC_SC_
__PRETTY_FUNCTION__._Z39paged_attention_ll4mi_QKV_mfma16_kernelI14__hip_bfloat16hLN4vllm18Fp8KVCacheDataTypeE1EhLi32ELi128ELi256ELb0ELi3EEvPKT_PKT0_S8_ifPKiSA_SA_iPKfiiiPfSD_PS3_PT2_iSC_SC_:
	.asciz	"void paged_attention_ll4mi_QKV_mfma16_kernel(const scalar_t *__restrict, const cache_t *__restrict, const cache_t *__restrict, const int, const float, const int *__restrict, const int *__restrict, const int *__restrict, const int, const float *__restrict, const int, const int, const int, float *__restrict, float *__restrict, scalar_t *__restrict, OUTT *__restrict, int, const float *, const float *) [scalar_t = __hip_bfloat16, cache_t = unsigned char, KV_DTYPE = vllm::Fp8KVCacheDataType::kFp8E4M3, OUTT = unsigned char, BLOCK_SIZE = 32, HEAD_SIZE = 128, NUM_THREADS = 256, ALIBI_ENABLED = false, GQA_RATIO = 3]"
	.size	__PRETTY_FUNCTION__._Z39paged_attention_ll4mi_QKV_mfma16_kernelI14__hip_bfloat16hLN4vllm18Fp8KVCacheDataTypeE1EhLi32ELi128ELi256ELb0ELi3EEvPKT_PKT0_S8_ifPKiSA_SA_iPKfiiiPfSD_PS3_PT2_iSC_SC_, 615

	.type	__PRETTY_FUNCTION__._Z39paged_attention_ll4mi_QKV_mfma16_kernelI14__hip_bfloat16hLN4vllm18Fp8KVCacheDataTypeE1EhLi32ELi128ELi256ELb0ELi4EEvPKT_PKT0_S8_ifPKiSA_SA_iPKfiiiPfSD_PS3_PT2_iSC_SC_,@object ; @__PRETTY_FUNCTION__._Z39paged_attention_ll4mi_QKV_mfma16_kernelI14__hip_bfloat16hLN4vllm18Fp8KVCacheDataTypeE1EhLi32ELi128ELi256ELb0ELi4EEvPKT_PKT0_S8_ifPKiSA_SA_iPKfiiiPfSD_PS3_PT2_iSC_SC_
__PRETTY_FUNCTION__._Z39paged_attention_ll4mi_QKV_mfma16_kernelI14__hip_bfloat16hLN4vllm18Fp8KVCacheDataTypeE1EhLi32ELi128ELi256ELb0ELi4EEvPKT_PKT0_S8_ifPKiSA_SA_iPKfiiiPfSD_PS3_PT2_iSC_SC_:
	.asciz	"void paged_attention_ll4mi_QKV_mfma16_kernel(const scalar_t *__restrict, const cache_t *__restrict, const cache_t *__restrict, const int, const float, const int *__restrict, const int *__restrict, const int *__restrict, const int, const float *__restrict, const int, const int, const int, float *__restrict, float *__restrict, scalar_t *__restrict, OUTT *__restrict, int, const float *, const float *) [scalar_t = __hip_bfloat16, cache_t = unsigned char, KV_DTYPE = vllm::Fp8KVCacheDataType::kFp8E4M3, OUTT = unsigned char, BLOCK_SIZE = 32, HEAD_SIZE = 128, NUM_THREADS = 256, ALIBI_ENABLED = false, GQA_RATIO = 4]"
	.size	__PRETTY_FUNCTION__._Z39paged_attention_ll4mi_QKV_mfma16_kernelI14__hip_bfloat16hLN4vllm18Fp8KVCacheDataTypeE1EhLi32ELi128ELi256ELb0ELi4EEvPKT_PKT0_S8_ifPKiSA_SA_iPKfiiiPfSD_PS3_PT2_iSC_SC_, 615

	.type	__PRETTY_FUNCTION__._Z38paged_attention_ll4mi_QKV_mfma4_kernelI14__hip_bfloat16hLN4vllm18Fp8KVCacheDataTypeE1ES0_Li32ELi128ELi256ELb1ELi1EEvPKT_PKT0_S8_ifPKiSA_SA_iPKfiiiPfSD_PS3_PT2_iSC_SC_,@object ; @__PRETTY_FUNCTION__._Z38paged_attention_ll4mi_QKV_mfma4_kernelI14__hip_bfloat16hLN4vllm18Fp8KVCacheDataTypeE1ES0_Li32ELi128ELi256ELb1ELi1EEvPKT_PKT0_S8_ifPKiSA_SA_iPKfiiiPfSD_PS3_PT2_iSC_SC_
__PRETTY_FUNCTION__._Z38paged_attention_ll4mi_QKV_mfma4_kernelI14__hip_bfloat16hLN4vllm18Fp8KVCacheDataTypeE1ES0_Li32ELi128ELi256ELb1ELi1EEvPKT_PKT0_S8_ifPKiSA_SA_iPKfiiiPfSD_PS3_PT2_iSC_SC_:
	.asciz	"void paged_attention_ll4mi_QKV_mfma4_kernel(const scalar_t *__restrict, const cache_t *__restrict, const cache_t *__restrict, const int, const float, const int *__restrict, const int *__restrict, const int *__restrict, const int, const float *__restrict, const int, const int, const int, float *__restrict, float *__restrict, scalar_t *__restrict, OUTT *__restrict, int, const float *, const float *) [scalar_t = __hip_bfloat16, cache_t = unsigned char, KV_DTYPE = vllm::Fp8KVCacheDataType::kFp8E4M3, OUTT = __hip_bfloat16, BLOCK_SIZE = 32, HEAD_SIZE = 128, NUM_THREADS = 256, ALIBI_ENABLED = true, GQA_RATIO = 1]"
	.size	__PRETTY_FUNCTION__._Z38paged_attention_ll4mi_QKV_mfma4_kernelI14__hip_bfloat16hLN4vllm18Fp8KVCacheDataTypeE1ES0_Li32ELi128ELi256ELb1ELi1EEvPKT_PKT0_S8_ifPKiSA_SA_iPKfiiiPfSD_PS3_PT2_iSC_SC_, 614

	.type	__PRETTY_FUNCTION__._Z38paged_attention_ll4mi_QKV_mfma4_kernelI14__hip_bfloat16hLN4vllm18Fp8KVCacheDataTypeE1ES0_Li32ELi128ELi256ELb1ELi2EEvPKT_PKT0_S8_ifPKiSA_SA_iPKfiiiPfSD_PS3_PT2_iSC_SC_,@object ; @__PRETTY_FUNCTION__._Z38paged_attention_ll4mi_QKV_mfma4_kernelI14__hip_bfloat16hLN4vllm18Fp8KVCacheDataTypeE1ES0_Li32ELi128ELi256ELb1ELi2EEvPKT_PKT0_S8_ifPKiSA_SA_iPKfiiiPfSD_PS3_PT2_iSC_SC_
__PRETTY_FUNCTION__._Z38paged_attention_ll4mi_QKV_mfma4_kernelI14__hip_bfloat16hLN4vllm18Fp8KVCacheDataTypeE1ES0_Li32ELi128ELi256ELb1ELi2EEvPKT_PKT0_S8_ifPKiSA_SA_iPKfiiiPfSD_PS3_PT2_iSC_SC_:
	.asciz	"void paged_attention_ll4mi_QKV_mfma4_kernel(const scalar_t *__restrict, const cache_t *__restrict, const cache_t *__restrict, const int, const float, const int *__restrict, const int *__restrict, const int *__restrict, const int, const float *__restrict, const int, const int, const int, float *__restrict, float *__restrict, scalar_t *__restrict, OUTT *__restrict, int, const float *, const float *) [scalar_t = __hip_bfloat16, cache_t = unsigned char, KV_DTYPE = vllm::Fp8KVCacheDataType::kFp8E4M3, OUTT = __hip_bfloat16, BLOCK_SIZE = 32, HEAD_SIZE = 128, NUM_THREADS = 256, ALIBI_ENABLED = true, GQA_RATIO = 2]"
	.size	__PRETTY_FUNCTION__._Z38paged_attention_ll4mi_QKV_mfma4_kernelI14__hip_bfloat16hLN4vllm18Fp8KVCacheDataTypeE1ES0_Li32ELi128ELi256ELb1ELi2EEvPKT_PKT0_S8_ifPKiSA_SA_iPKfiiiPfSD_PS3_PT2_iSC_SC_, 614

	.type	__PRETTY_FUNCTION__._Z38paged_attention_ll4mi_QKV_mfma4_kernelI14__hip_bfloat16hLN4vllm18Fp8KVCacheDataTypeE1ES0_Li32ELi128ELi256ELb1ELi3EEvPKT_PKT0_S8_ifPKiSA_SA_iPKfiiiPfSD_PS3_PT2_iSC_SC_,@object ; @__PRETTY_FUNCTION__._Z38paged_attention_ll4mi_QKV_mfma4_kernelI14__hip_bfloat16hLN4vllm18Fp8KVCacheDataTypeE1ES0_Li32ELi128ELi256ELb1ELi3EEvPKT_PKT0_S8_ifPKiSA_SA_iPKfiiiPfSD_PS3_PT2_iSC_SC_
__PRETTY_FUNCTION__._Z38paged_attention_ll4mi_QKV_mfma4_kernelI14__hip_bfloat16hLN4vllm18Fp8KVCacheDataTypeE1ES0_Li32ELi128ELi256ELb1ELi3EEvPKT_PKT0_S8_ifPKiSA_SA_iPKfiiiPfSD_PS3_PT2_iSC_SC_:
	.asciz	"void paged_attention_ll4mi_QKV_mfma4_kernel(const scalar_t *__restrict, const cache_t *__restrict, const cache_t *__restrict, const int, const float, const int *__restrict, const int *__restrict, const int *__restrict, const int, const float *__restrict, const int, const int, const int, float *__restrict, float *__restrict, scalar_t *__restrict, OUTT *__restrict, int, const float *, const float *) [scalar_t = __hip_bfloat16, cache_t = unsigned char, KV_DTYPE = vllm::Fp8KVCacheDataType::kFp8E4M3, OUTT = __hip_bfloat16, BLOCK_SIZE = 32, HEAD_SIZE = 128, NUM_THREADS = 256, ALIBI_ENABLED = true, GQA_RATIO = 3]"
	.size	__PRETTY_FUNCTION__._Z38paged_attention_ll4mi_QKV_mfma4_kernelI14__hip_bfloat16hLN4vllm18Fp8KVCacheDataTypeE1ES0_Li32ELi128ELi256ELb1ELi3EEvPKT_PKT0_S8_ifPKiSA_SA_iPKfiiiPfSD_PS3_PT2_iSC_SC_, 614

	.type	__PRETTY_FUNCTION__._Z38paged_attention_ll4mi_QKV_mfma4_kernelI14__hip_bfloat16hLN4vllm18Fp8KVCacheDataTypeE1ES0_Li32ELi128ELi256ELb1ELi4EEvPKT_PKT0_S8_ifPKiSA_SA_iPKfiiiPfSD_PS3_PT2_iSC_SC_,@object ; @__PRETTY_FUNCTION__._Z38paged_attention_ll4mi_QKV_mfma4_kernelI14__hip_bfloat16hLN4vllm18Fp8KVCacheDataTypeE1ES0_Li32ELi128ELi256ELb1ELi4EEvPKT_PKT0_S8_ifPKiSA_SA_iPKfiiiPfSD_PS3_PT2_iSC_SC_
__PRETTY_FUNCTION__._Z38paged_attention_ll4mi_QKV_mfma4_kernelI14__hip_bfloat16hLN4vllm18Fp8KVCacheDataTypeE1ES0_Li32ELi128ELi256ELb1ELi4EEvPKT_PKT0_S8_ifPKiSA_SA_iPKfiiiPfSD_PS3_PT2_iSC_SC_:
	.asciz	"void paged_attention_ll4mi_QKV_mfma4_kernel(const scalar_t *__restrict, const cache_t *__restrict, const cache_t *__restrict, const int, const float, const int *__restrict, const int *__restrict, const int *__restrict, const int, const float *__restrict, const int, const int, const int, float *__restrict, float *__restrict, scalar_t *__restrict, OUTT *__restrict, int, const float *, const float *) [scalar_t = __hip_bfloat16, cache_t = unsigned char, KV_DTYPE = vllm::Fp8KVCacheDataType::kFp8E4M3, OUTT = __hip_bfloat16, BLOCK_SIZE = 32, HEAD_SIZE = 128, NUM_THREADS = 256, ALIBI_ENABLED = true, GQA_RATIO = 4]"
	.size	__PRETTY_FUNCTION__._Z38paged_attention_ll4mi_QKV_mfma4_kernelI14__hip_bfloat16hLN4vllm18Fp8KVCacheDataTypeE1ES0_Li32ELi128ELi256ELb1ELi4EEvPKT_PKT0_S8_ifPKiSA_SA_iPKfiiiPfSD_PS3_PT2_iSC_SC_, 614

	.type	__PRETTY_FUNCTION__._Z39paged_attention_ll4mi_QKV_mfma16_kernelI14__hip_bfloat16hLN4vllm18Fp8KVCacheDataTypeE1ES0_Li32ELi128ELi256ELb1ELi5EEvPKT_PKT0_S8_ifPKiSA_SA_iPKfiiiPfSD_PS3_PT2_iSC_SC_,@object ; @__PRETTY_FUNCTION__._Z39paged_attention_ll4mi_QKV_mfma16_kernelI14__hip_bfloat16hLN4vllm18Fp8KVCacheDataTypeE1ES0_Li32ELi128ELi256ELb1ELi5EEvPKT_PKT0_S8_ifPKiSA_SA_iPKfiiiPfSD_PS3_PT2_iSC_SC_
__PRETTY_FUNCTION__._Z39paged_attention_ll4mi_QKV_mfma16_kernelI14__hip_bfloat16hLN4vllm18Fp8KVCacheDataTypeE1ES0_Li32ELi128ELi256ELb1ELi5EEvPKT_PKT0_S8_ifPKiSA_SA_iPKfiiiPfSD_PS3_PT2_iSC_SC_:
	.asciz	"void paged_attention_ll4mi_QKV_mfma16_kernel(const scalar_t *__restrict, const cache_t *__restrict, const cache_t *__restrict, const int, const float, const int *__restrict, const int *__restrict, const int *__restrict, const int, const float *__restrict, const int, const int, const int, float *__restrict, float *__restrict, scalar_t *__restrict, OUTT *__restrict, int, const float *, const float *) [scalar_t = __hip_bfloat16, cache_t = unsigned char, KV_DTYPE = vllm::Fp8KVCacheDataType::kFp8E4M3, OUTT = __hip_bfloat16, BLOCK_SIZE = 32, HEAD_SIZE = 128, NUM_THREADS = 256, ALIBI_ENABLED = true, GQA_RATIO = 5]"
	.size	__PRETTY_FUNCTION__._Z39paged_attention_ll4mi_QKV_mfma16_kernelI14__hip_bfloat16hLN4vllm18Fp8KVCacheDataTypeE1ES0_Li32ELi128ELi256ELb1ELi5EEvPKT_PKT0_S8_ifPKiSA_SA_iPKfiiiPfSD_PS3_PT2_iSC_SC_, 615

	.type	__PRETTY_FUNCTION__._Z39paged_attention_ll4mi_QKV_mfma16_kernelI14__hip_bfloat16hLN4vllm18Fp8KVCacheDataTypeE1ES0_Li32ELi128ELi256ELb1ELi6EEvPKT_PKT0_S8_ifPKiSA_SA_iPKfiiiPfSD_PS3_PT2_iSC_SC_,@object ; @__PRETTY_FUNCTION__._Z39paged_attention_ll4mi_QKV_mfma16_kernelI14__hip_bfloat16hLN4vllm18Fp8KVCacheDataTypeE1ES0_Li32ELi128ELi256ELb1ELi6EEvPKT_PKT0_S8_ifPKiSA_SA_iPKfiiiPfSD_PS3_PT2_iSC_SC_
__PRETTY_FUNCTION__._Z39paged_attention_ll4mi_QKV_mfma16_kernelI14__hip_bfloat16hLN4vllm18Fp8KVCacheDataTypeE1ES0_Li32ELi128ELi256ELb1ELi6EEvPKT_PKT0_S8_ifPKiSA_SA_iPKfiiiPfSD_PS3_PT2_iSC_SC_:
	.asciz	"void paged_attention_ll4mi_QKV_mfma16_kernel(const scalar_t *__restrict, const cache_t *__restrict, const cache_t *__restrict, const int, const float, const int *__restrict, const int *__restrict, const int *__restrict, const int, const float *__restrict, const int, const int, const int, float *__restrict, float *__restrict, scalar_t *__restrict, OUTT *__restrict, int, const float *, const float *) [scalar_t = __hip_bfloat16, cache_t = unsigned char, KV_DTYPE = vllm::Fp8KVCacheDataType::kFp8E4M3, OUTT = __hip_bfloat16, BLOCK_SIZE = 32, HEAD_SIZE = 128, NUM_THREADS = 256, ALIBI_ENABLED = true, GQA_RATIO = 6]"
	.size	__PRETTY_FUNCTION__._Z39paged_attention_ll4mi_QKV_mfma16_kernelI14__hip_bfloat16hLN4vllm18Fp8KVCacheDataTypeE1ES0_Li32ELi128ELi256ELb1ELi6EEvPKT_PKT0_S8_ifPKiSA_SA_iPKfiiiPfSD_PS3_PT2_iSC_SC_, 615

	.type	__PRETTY_FUNCTION__._Z39paged_attention_ll4mi_QKV_mfma16_kernelI14__hip_bfloat16hLN4vllm18Fp8KVCacheDataTypeE1ES0_Li32ELi128ELi256ELb1ELi7EEvPKT_PKT0_S8_ifPKiSA_SA_iPKfiiiPfSD_PS3_PT2_iSC_SC_,@object ; @__PRETTY_FUNCTION__._Z39paged_attention_ll4mi_QKV_mfma16_kernelI14__hip_bfloat16hLN4vllm18Fp8KVCacheDataTypeE1ES0_Li32ELi128ELi256ELb1ELi7EEvPKT_PKT0_S8_ifPKiSA_SA_iPKfiiiPfSD_PS3_PT2_iSC_SC_
__PRETTY_FUNCTION__._Z39paged_attention_ll4mi_QKV_mfma16_kernelI14__hip_bfloat16hLN4vllm18Fp8KVCacheDataTypeE1ES0_Li32ELi128ELi256ELb1ELi7EEvPKT_PKT0_S8_ifPKiSA_SA_iPKfiiiPfSD_PS3_PT2_iSC_SC_:
	.asciz	"void paged_attention_ll4mi_QKV_mfma16_kernel(const scalar_t *__restrict, const cache_t *__restrict, const cache_t *__restrict, const int, const float, const int *__restrict, const int *__restrict, const int *__restrict, const int, const float *__restrict, const int, const int, const int, float *__restrict, float *__restrict, scalar_t *__restrict, OUTT *__restrict, int, const float *, const float *) [scalar_t = __hip_bfloat16, cache_t = unsigned char, KV_DTYPE = vllm::Fp8KVCacheDataType::kFp8E4M3, OUTT = __hip_bfloat16, BLOCK_SIZE = 32, HEAD_SIZE = 128, NUM_THREADS = 256, ALIBI_ENABLED = true, GQA_RATIO = 7]"
	.size	__PRETTY_FUNCTION__._Z39paged_attention_ll4mi_QKV_mfma16_kernelI14__hip_bfloat16hLN4vllm18Fp8KVCacheDataTypeE1ES0_Li32ELi128ELi256ELb1ELi7EEvPKT_PKT0_S8_ifPKiSA_SA_iPKfiiiPfSD_PS3_PT2_iSC_SC_, 615

	.type	__PRETTY_FUNCTION__._Z39paged_attention_ll4mi_QKV_mfma16_kernelI14__hip_bfloat16hLN4vllm18Fp8KVCacheDataTypeE1ES0_Li32ELi128ELi256ELb1ELi8EEvPKT_PKT0_S8_ifPKiSA_SA_iPKfiiiPfSD_PS3_PT2_iSC_SC_,@object ; @__PRETTY_FUNCTION__._Z39paged_attention_ll4mi_QKV_mfma16_kernelI14__hip_bfloat16hLN4vllm18Fp8KVCacheDataTypeE1ES0_Li32ELi128ELi256ELb1ELi8EEvPKT_PKT0_S8_ifPKiSA_SA_iPKfiiiPfSD_PS3_PT2_iSC_SC_
__PRETTY_FUNCTION__._Z39paged_attention_ll4mi_QKV_mfma16_kernelI14__hip_bfloat16hLN4vllm18Fp8KVCacheDataTypeE1ES0_Li32ELi128ELi256ELb1ELi8EEvPKT_PKT0_S8_ifPKiSA_SA_iPKfiiiPfSD_PS3_PT2_iSC_SC_:
	.asciz	"void paged_attention_ll4mi_QKV_mfma16_kernel(const scalar_t *__restrict, const cache_t *__restrict, const cache_t *__restrict, const int, const float, const int *__restrict, const int *__restrict, const int *__restrict, const int, const float *__restrict, const int, const int, const int, float *__restrict, float *__restrict, scalar_t *__restrict, OUTT *__restrict, int, const float *, const float *) [scalar_t = __hip_bfloat16, cache_t = unsigned char, KV_DTYPE = vllm::Fp8KVCacheDataType::kFp8E4M3, OUTT = __hip_bfloat16, BLOCK_SIZE = 32, HEAD_SIZE = 128, NUM_THREADS = 256, ALIBI_ENABLED = true, GQA_RATIO = 8]"
	.size	__PRETTY_FUNCTION__._Z39paged_attention_ll4mi_QKV_mfma16_kernelI14__hip_bfloat16hLN4vllm18Fp8KVCacheDataTypeE1ES0_Li32ELi128ELi256ELb1ELi8EEvPKT_PKT0_S8_ifPKiSA_SA_iPKfiiiPfSD_PS3_PT2_iSC_SC_, 615

	.type	__PRETTY_FUNCTION__._Z39paged_attention_ll4mi_QKV_mfma16_kernelI14__hip_bfloat16hLN4vllm18Fp8KVCacheDataTypeE1ES0_Li32ELi128ELi256ELb1ELi9EEvPKT_PKT0_S8_ifPKiSA_SA_iPKfiiiPfSD_PS3_PT2_iSC_SC_,@object ; @__PRETTY_FUNCTION__._Z39paged_attention_ll4mi_QKV_mfma16_kernelI14__hip_bfloat16hLN4vllm18Fp8KVCacheDataTypeE1ES0_Li32ELi128ELi256ELb1ELi9EEvPKT_PKT0_S8_ifPKiSA_SA_iPKfiiiPfSD_PS3_PT2_iSC_SC_
__PRETTY_FUNCTION__._Z39paged_attention_ll4mi_QKV_mfma16_kernelI14__hip_bfloat16hLN4vllm18Fp8KVCacheDataTypeE1ES0_Li32ELi128ELi256ELb1ELi9EEvPKT_PKT0_S8_ifPKiSA_SA_iPKfiiiPfSD_PS3_PT2_iSC_SC_:
	.asciz	"void paged_attention_ll4mi_QKV_mfma16_kernel(const scalar_t *__restrict, const cache_t *__restrict, const cache_t *__restrict, const int, const float, const int *__restrict, const int *__restrict, const int *__restrict, const int, const float *__restrict, const int, const int, const int, float *__restrict, float *__restrict, scalar_t *__restrict, OUTT *__restrict, int, const float *, const float *) [scalar_t = __hip_bfloat16, cache_t = unsigned char, KV_DTYPE = vllm::Fp8KVCacheDataType::kFp8E4M3, OUTT = __hip_bfloat16, BLOCK_SIZE = 32, HEAD_SIZE = 128, NUM_THREADS = 256, ALIBI_ENABLED = true, GQA_RATIO = 9]"
	.size	__PRETTY_FUNCTION__._Z39paged_attention_ll4mi_QKV_mfma16_kernelI14__hip_bfloat16hLN4vllm18Fp8KVCacheDataTypeE1ES0_Li32ELi128ELi256ELb1ELi9EEvPKT_PKT0_S8_ifPKiSA_SA_iPKfiiiPfSD_PS3_PT2_iSC_SC_, 615

	.type	__PRETTY_FUNCTION__._Z39paged_attention_ll4mi_QKV_mfma16_kernelI14__hip_bfloat16hLN4vllm18Fp8KVCacheDataTypeE1ES0_Li32ELi128ELi256ELb1ELi10EEvPKT_PKT0_S8_ifPKiSA_SA_iPKfiiiPfSD_PS3_PT2_iSC_SC_,@object ; @__PRETTY_FUNCTION__._Z39paged_attention_ll4mi_QKV_mfma16_kernelI14__hip_bfloat16hLN4vllm18Fp8KVCacheDataTypeE1ES0_Li32ELi128ELi256ELb1ELi10EEvPKT_PKT0_S8_ifPKiSA_SA_iPKfiiiPfSD_PS3_PT2_iSC_SC_
__PRETTY_FUNCTION__._Z39paged_attention_ll4mi_QKV_mfma16_kernelI14__hip_bfloat16hLN4vllm18Fp8KVCacheDataTypeE1ES0_Li32ELi128ELi256ELb1ELi10EEvPKT_PKT0_S8_ifPKiSA_SA_iPKfiiiPfSD_PS3_PT2_iSC_SC_:
	.asciz	"void paged_attention_ll4mi_QKV_mfma16_kernel(const scalar_t *__restrict, const cache_t *__restrict, const cache_t *__restrict, const int, const float, const int *__restrict, const int *__restrict, const int *__restrict, const int, const float *__restrict, const int, const int, const int, float *__restrict, float *__restrict, scalar_t *__restrict, OUTT *__restrict, int, const float *, const float *) [scalar_t = __hip_bfloat16, cache_t = unsigned char, KV_DTYPE = vllm::Fp8KVCacheDataType::kFp8E4M3, OUTT = __hip_bfloat16, BLOCK_SIZE = 32, HEAD_SIZE = 128, NUM_THREADS = 256, ALIBI_ENABLED = true, GQA_RATIO = 10]"
	.size	__PRETTY_FUNCTION__._Z39paged_attention_ll4mi_QKV_mfma16_kernelI14__hip_bfloat16hLN4vllm18Fp8KVCacheDataTypeE1ES0_Li32ELi128ELi256ELb1ELi10EEvPKT_PKT0_S8_ifPKiSA_SA_iPKfiiiPfSD_PS3_PT2_iSC_SC_, 616

	.type	__PRETTY_FUNCTION__._Z39paged_attention_ll4mi_QKV_mfma16_kernelI14__hip_bfloat16hLN4vllm18Fp8KVCacheDataTypeE1ES0_Li32ELi128ELi256ELb1ELi11EEvPKT_PKT0_S8_ifPKiSA_SA_iPKfiiiPfSD_PS3_PT2_iSC_SC_,@object ; @__PRETTY_FUNCTION__._Z39paged_attention_ll4mi_QKV_mfma16_kernelI14__hip_bfloat16hLN4vllm18Fp8KVCacheDataTypeE1ES0_Li32ELi128ELi256ELb1ELi11EEvPKT_PKT0_S8_ifPKiSA_SA_iPKfiiiPfSD_PS3_PT2_iSC_SC_
__PRETTY_FUNCTION__._Z39paged_attention_ll4mi_QKV_mfma16_kernelI14__hip_bfloat16hLN4vllm18Fp8KVCacheDataTypeE1ES0_Li32ELi128ELi256ELb1ELi11EEvPKT_PKT0_S8_ifPKiSA_SA_iPKfiiiPfSD_PS3_PT2_iSC_SC_:
	.asciz	"void paged_attention_ll4mi_QKV_mfma16_kernel(const scalar_t *__restrict, const cache_t *__restrict, const cache_t *__restrict, const int, const float, const int *__restrict, const int *__restrict, const int *__restrict, const int, const float *__restrict, const int, const int, const int, float *__restrict, float *__restrict, scalar_t *__restrict, OUTT *__restrict, int, const float *, const float *) [scalar_t = __hip_bfloat16, cache_t = unsigned char, KV_DTYPE = vllm::Fp8KVCacheDataType::kFp8E4M3, OUTT = __hip_bfloat16, BLOCK_SIZE = 32, HEAD_SIZE = 128, NUM_THREADS = 256, ALIBI_ENABLED = true, GQA_RATIO = 11]"
	.size	__PRETTY_FUNCTION__._Z39paged_attention_ll4mi_QKV_mfma16_kernelI14__hip_bfloat16hLN4vllm18Fp8KVCacheDataTypeE1ES0_Li32ELi128ELi256ELb1ELi11EEvPKT_PKT0_S8_ifPKiSA_SA_iPKfiiiPfSD_PS3_PT2_iSC_SC_, 616

	.type	__PRETTY_FUNCTION__._Z39paged_attention_ll4mi_QKV_mfma16_kernelI14__hip_bfloat16hLN4vllm18Fp8KVCacheDataTypeE1ES0_Li32ELi128ELi256ELb1ELi12EEvPKT_PKT0_S8_ifPKiSA_SA_iPKfiiiPfSD_PS3_PT2_iSC_SC_,@object ; @__PRETTY_FUNCTION__._Z39paged_attention_ll4mi_QKV_mfma16_kernelI14__hip_bfloat16hLN4vllm18Fp8KVCacheDataTypeE1ES0_Li32ELi128ELi256ELb1ELi12EEvPKT_PKT0_S8_ifPKiSA_SA_iPKfiiiPfSD_PS3_PT2_iSC_SC_
__PRETTY_FUNCTION__._Z39paged_attention_ll4mi_QKV_mfma16_kernelI14__hip_bfloat16hLN4vllm18Fp8KVCacheDataTypeE1ES0_Li32ELi128ELi256ELb1ELi12EEvPKT_PKT0_S8_ifPKiSA_SA_iPKfiiiPfSD_PS3_PT2_iSC_SC_:
	.asciz	"void paged_attention_ll4mi_QKV_mfma16_kernel(const scalar_t *__restrict, const cache_t *__restrict, const cache_t *__restrict, const int, const float, const int *__restrict, const int *__restrict, const int *__restrict, const int, const float *__restrict, const int, const int, const int, float *__restrict, float *__restrict, scalar_t *__restrict, OUTT *__restrict, int, const float *, const float *) [scalar_t = __hip_bfloat16, cache_t = unsigned char, KV_DTYPE = vllm::Fp8KVCacheDataType::kFp8E4M3, OUTT = __hip_bfloat16, BLOCK_SIZE = 32, HEAD_SIZE = 128, NUM_THREADS = 256, ALIBI_ENABLED = true, GQA_RATIO = 12]"
	.size	__PRETTY_FUNCTION__._Z39paged_attention_ll4mi_QKV_mfma16_kernelI14__hip_bfloat16hLN4vllm18Fp8KVCacheDataTypeE1ES0_Li32ELi128ELi256ELb1ELi12EEvPKT_PKT0_S8_ifPKiSA_SA_iPKfiiiPfSD_PS3_PT2_iSC_SC_, 616

	.type	__PRETTY_FUNCTION__._Z39paged_attention_ll4mi_QKV_mfma16_kernelI14__hip_bfloat16hLN4vllm18Fp8KVCacheDataTypeE1ES0_Li32ELi128ELi256ELb1ELi13EEvPKT_PKT0_S8_ifPKiSA_SA_iPKfiiiPfSD_PS3_PT2_iSC_SC_,@object ; @__PRETTY_FUNCTION__._Z39paged_attention_ll4mi_QKV_mfma16_kernelI14__hip_bfloat16hLN4vllm18Fp8KVCacheDataTypeE1ES0_Li32ELi128ELi256ELb1ELi13EEvPKT_PKT0_S8_ifPKiSA_SA_iPKfiiiPfSD_PS3_PT2_iSC_SC_
__PRETTY_FUNCTION__._Z39paged_attention_ll4mi_QKV_mfma16_kernelI14__hip_bfloat16hLN4vllm18Fp8KVCacheDataTypeE1ES0_Li32ELi128ELi256ELb1ELi13EEvPKT_PKT0_S8_ifPKiSA_SA_iPKfiiiPfSD_PS3_PT2_iSC_SC_:
	.asciz	"void paged_attention_ll4mi_QKV_mfma16_kernel(const scalar_t *__restrict, const cache_t *__restrict, const cache_t *__restrict, const int, const float, const int *__restrict, const int *__restrict, const int *__restrict, const int, const float *__restrict, const int, const int, const int, float *__restrict, float *__restrict, scalar_t *__restrict, OUTT *__restrict, int, const float *, const float *) [scalar_t = __hip_bfloat16, cache_t = unsigned char, KV_DTYPE = vllm::Fp8KVCacheDataType::kFp8E4M3, OUTT = __hip_bfloat16, BLOCK_SIZE = 32, HEAD_SIZE = 128, NUM_THREADS = 256, ALIBI_ENABLED = true, GQA_RATIO = 13]"
	.size	__PRETTY_FUNCTION__._Z39paged_attention_ll4mi_QKV_mfma16_kernelI14__hip_bfloat16hLN4vllm18Fp8KVCacheDataTypeE1ES0_Li32ELi128ELi256ELb1ELi13EEvPKT_PKT0_S8_ifPKiSA_SA_iPKfiiiPfSD_PS3_PT2_iSC_SC_, 616

	.type	__PRETTY_FUNCTION__._Z39paged_attention_ll4mi_QKV_mfma16_kernelI14__hip_bfloat16hLN4vllm18Fp8KVCacheDataTypeE1ES0_Li32ELi128ELi256ELb1ELi14EEvPKT_PKT0_S8_ifPKiSA_SA_iPKfiiiPfSD_PS3_PT2_iSC_SC_,@object ; @__PRETTY_FUNCTION__._Z39paged_attention_ll4mi_QKV_mfma16_kernelI14__hip_bfloat16hLN4vllm18Fp8KVCacheDataTypeE1ES0_Li32ELi128ELi256ELb1ELi14EEvPKT_PKT0_S8_ifPKiSA_SA_iPKfiiiPfSD_PS3_PT2_iSC_SC_
__PRETTY_FUNCTION__._Z39paged_attention_ll4mi_QKV_mfma16_kernelI14__hip_bfloat16hLN4vllm18Fp8KVCacheDataTypeE1ES0_Li32ELi128ELi256ELb1ELi14EEvPKT_PKT0_S8_ifPKiSA_SA_iPKfiiiPfSD_PS3_PT2_iSC_SC_:
	.asciz	"void paged_attention_ll4mi_QKV_mfma16_kernel(const scalar_t *__restrict, const cache_t *__restrict, const cache_t *__restrict, const int, const float, const int *__restrict, const int *__restrict, const int *__restrict, const int, const float *__restrict, const int, const int, const int, float *__restrict, float *__restrict, scalar_t *__restrict, OUTT *__restrict, int, const float *, const float *) [scalar_t = __hip_bfloat16, cache_t = unsigned char, KV_DTYPE = vllm::Fp8KVCacheDataType::kFp8E4M3, OUTT = __hip_bfloat16, BLOCK_SIZE = 32, HEAD_SIZE = 128, NUM_THREADS = 256, ALIBI_ENABLED = true, GQA_RATIO = 14]"
	.size	__PRETTY_FUNCTION__._Z39paged_attention_ll4mi_QKV_mfma16_kernelI14__hip_bfloat16hLN4vllm18Fp8KVCacheDataTypeE1ES0_Li32ELi128ELi256ELb1ELi14EEvPKT_PKT0_S8_ifPKiSA_SA_iPKfiiiPfSD_PS3_PT2_iSC_SC_, 616

	.type	__PRETTY_FUNCTION__._Z39paged_attention_ll4mi_QKV_mfma16_kernelI14__hip_bfloat16hLN4vllm18Fp8KVCacheDataTypeE1ES0_Li32ELi128ELi256ELb1ELi15EEvPKT_PKT0_S8_ifPKiSA_SA_iPKfiiiPfSD_PS3_PT2_iSC_SC_,@object ; @__PRETTY_FUNCTION__._Z39paged_attention_ll4mi_QKV_mfma16_kernelI14__hip_bfloat16hLN4vllm18Fp8KVCacheDataTypeE1ES0_Li32ELi128ELi256ELb1ELi15EEvPKT_PKT0_S8_ifPKiSA_SA_iPKfiiiPfSD_PS3_PT2_iSC_SC_
__PRETTY_FUNCTION__._Z39paged_attention_ll4mi_QKV_mfma16_kernelI14__hip_bfloat16hLN4vllm18Fp8KVCacheDataTypeE1ES0_Li32ELi128ELi256ELb1ELi15EEvPKT_PKT0_S8_ifPKiSA_SA_iPKfiiiPfSD_PS3_PT2_iSC_SC_:
	.asciz	"void paged_attention_ll4mi_QKV_mfma16_kernel(const scalar_t *__restrict, const cache_t *__restrict, const cache_t *__restrict, const int, const float, const int *__restrict, const int *__restrict, const int *__restrict, const int, const float *__restrict, const int, const int, const int, float *__restrict, float *__restrict, scalar_t *__restrict, OUTT *__restrict, int, const float *, const float *) [scalar_t = __hip_bfloat16, cache_t = unsigned char, KV_DTYPE = vllm::Fp8KVCacheDataType::kFp8E4M3, OUTT = __hip_bfloat16, BLOCK_SIZE = 32, HEAD_SIZE = 128, NUM_THREADS = 256, ALIBI_ENABLED = true, GQA_RATIO = 15]"
	.size	__PRETTY_FUNCTION__._Z39paged_attention_ll4mi_QKV_mfma16_kernelI14__hip_bfloat16hLN4vllm18Fp8KVCacheDataTypeE1ES0_Li32ELi128ELi256ELb1ELi15EEvPKT_PKT0_S8_ifPKiSA_SA_iPKfiiiPfSD_PS3_PT2_iSC_SC_, 616

	.type	__PRETTY_FUNCTION__._Z39paged_attention_ll4mi_QKV_mfma16_kernelI14__hip_bfloat16hLN4vllm18Fp8KVCacheDataTypeE1ES0_Li32ELi128ELi256ELb1ELi16EEvPKT_PKT0_S8_ifPKiSA_SA_iPKfiiiPfSD_PS3_PT2_iSC_SC_,@object ; @__PRETTY_FUNCTION__._Z39paged_attention_ll4mi_QKV_mfma16_kernelI14__hip_bfloat16hLN4vllm18Fp8KVCacheDataTypeE1ES0_Li32ELi128ELi256ELb1ELi16EEvPKT_PKT0_S8_ifPKiSA_SA_iPKfiiiPfSD_PS3_PT2_iSC_SC_
__PRETTY_FUNCTION__._Z39paged_attention_ll4mi_QKV_mfma16_kernelI14__hip_bfloat16hLN4vllm18Fp8KVCacheDataTypeE1ES0_Li32ELi128ELi256ELb1ELi16EEvPKT_PKT0_S8_ifPKiSA_SA_iPKfiiiPfSD_PS3_PT2_iSC_SC_:
	.asciz	"void paged_attention_ll4mi_QKV_mfma16_kernel(const scalar_t *__restrict, const cache_t *__restrict, const cache_t *__restrict, const int, const float, const int *__restrict, const int *__restrict, const int *__restrict, const int, const float *__restrict, const int, const int, const int, float *__restrict, float *__restrict, scalar_t *__restrict, OUTT *__restrict, int, const float *, const float *) [scalar_t = __hip_bfloat16, cache_t = unsigned char, KV_DTYPE = vllm::Fp8KVCacheDataType::kFp8E4M3, OUTT = __hip_bfloat16, BLOCK_SIZE = 32, HEAD_SIZE = 128, NUM_THREADS = 256, ALIBI_ENABLED = true, GQA_RATIO = 16]"
	.size	__PRETTY_FUNCTION__._Z39paged_attention_ll4mi_QKV_mfma16_kernelI14__hip_bfloat16hLN4vllm18Fp8KVCacheDataTypeE1ES0_Li32ELi128ELi256ELb1ELi16EEvPKT_PKT0_S8_ifPKiSA_SA_iPKfiiiPfSD_PS3_PT2_iSC_SC_, 616

	.type	__PRETTY_FUNCTION__._Z39paged_attention_ll4mi_QKV_mfma16_kernelI14__hip_bfloat16hLN4vllm18Fp8KVCacheDataTypeE1ES0_Li32ELi128ELi256ELb1ELi1EEvPKT_PKT0_S8_ifPKiSA_SA_iPKfiiiPfSD_PS3_PT2_iSC_SC_,@object ; @__PRETTY_FUNCTION__._Z39paged_attention_ll4mi_QKV_mfma16_kernelI14__hip_bfloat16hLN4vllm18Fp8KVCacheDataTypeE1ES0_Li32ELi128ELi256ELb1ELi1EEvPKT_PKT0_S8_ifPKiSA_SA_iPKfiiiPfSD_PS3_PT2_iSC_SC_
__PRETTY_FUNCTION__._Z39paged_attention_ll4mi_QKV_mfma16_kernelI14__hip_bfloat16hLN4vllm18Fp8KVCacheDataTypeE1ES0_Li32ELi128ELi256ELb1ELi1EEvPKT_PKT0_S8_ifPKiSA_SA_iPKfiiiPfSD_PS3_PT2_iSC_SC_:
	.asciz	"void paged_attention_ll4mi_QKV_mfma16_kernel(const scalar_t *__restrict, const cache_t *__restrict, const cache_t *__restrict, const int, const float, const int *__restrict, const int *__restrict, const int *__restrict, const int, const float *__restrict, const int, const int, const int, float *__restrict, float *__restrict, scalar_t *__restrict, OUTT *__restrict, int, const float *, const float *) [scalar_t = __hip_bfloat16, cache_t = unsigned char, KV_DTYPE = vllm::Fp8KVCacheDataType::kFp8E4M3, OUTT = __hip_bfloat16, BLOCK_SIZE = 32, HEAD_SIZE = 128, NUM_THREADS = 256, ALIBI_ENABLED = true, GQA_RATIO = 1]"
	.size	__PRETTY_FUNCTION__._Z39paged_attention_ll4mi_QKV_mfma16_kernelI14__hip_bfloat16hLN4vllm18Fp8KVCacheDataTypeE1ES0_Li32ELi128ELi256ELb1ELi1EEvPKT_PKT0_S8_ifPKiSA_SA_iPKfiiiPfSD_PS3_PT2_iSC_SC_, 615

	.type	__PRETTY_FUNCTION__._Z39paged_attention_ll4mi_QKV_mfma16_kernelI14__hip_bfloat16hLN4vllm18Fp8KVCacheDataTypeE1ES0_Li32ELi128ELi256ELb1ELi2EEvPKT_PKT0_S8_ifPKiSA_SA_iPKfiiiPfSD_PS3_PT2_iSC_SC_,@object ; @__PRETTY_FUNCTION__._Z39paged_attention_ll4mi_QKV_mfma16_kernelI14__hip_bfloat16hLN4vllm18Fp8KVCacheDataTypeE1ES0_Li32ELi128ELi256ELb1ELi2EEvPKT_PKT0_S8_ifPKiSA_SA_iPKfiiiPfSD_PS3_PT2_iSC_SC_
__PRETTY_FUNCTION__._Z39paged_attention_ll4mi_QKV_mfma16_kernelI14__hip_bfloat16hLN4vllm18Fp8KVCacheDataTypeE1ES0_Li32ELi128ELi256ELb1ELi2EEvPKT_PKT0_S8_ifPKiSA_SA_iPKfiiiPfSD_PS3_PT2_iSC_SC_:
	.asciz	"void paged_attention_ll4mi_QKV_mfma16_kernel(const scalar_t *__restrict, const cache_t *__restrict, const cache_t *__restrict, const int, const float, const int *__restrict, const int *__restrict, const int *__restrict, const int, const float *__restrict, const int, const int, const int, float *__restrict, float *__restrict, scalar_t *__restrict, OUTT *__restrict, int, const float *, const float *) [scalar_t = __hip_bfloat16, cache_t = unsigned char, KV_DTYPE = vllm::Fp8KVCacheDataType::kFp8E4M3, OUTT = __hip_bfloat16, BLOCK_SIZE = 32, HEAD_SIZE = 128, NUM_THREADS = 256, ALIBI_ENABLED = true, GQA_RATIO = 2]"
	.size	__PRETTY_FUNCTION__._Z39paged_attention_ll4mi_QKV_mfma16_kernelI14__hip_bfloat16hLN4vllm18Fp8KVCacheDataTypeE1ES0_Li32ELi128ELi256ELb1ELi2EEvPKT_PKT0_S8_ifPKiSA_SA_iPKfiiiPfSD_PS3_PT2_iSC_SC_, 615

	.type	__PRETTY_FUNCTION__._Z39paged_attention_ll4mi_QKV_mfma16_kernelI14__hip_bfloat16hLN4vllm18Fp8KVCacheDataTypeE1ES0_Li32ELi128ELi256ELb1ELi3EEvPKT_PKT0_S8_ifPKiSA_SA_iPKfiiiPfSD_PS3_PT2_iSC_SC_,@object ; @__PRETTY_FUNCTION__._Z39paged_attention_ll4mi_QKV_mfma16_kernelI14__hip_bfloat16hLN4vllm18Fp8KVCacheDataTypeE1ES0_Li32ELi128ELi256ELb1ELi3EEvPKT_PKT0_S8_ifPKiSA_SA_iPKfiiiPfSD_PS3_PT2_iSC_SC_
__PRETTY_FUNCTION__._Z39paged_attention_ll4mi_QKV_mfma16_kernelI14__hip_bfloat16hLN4vllm18Fp8KVCacheDataTypeE1ES0_Li32ELi128ELi256ELb1ELi3EEvPKT_PKT0_S8_ifPKiSA_SA_iPKfiiiPfSD_PS3_PT2_iSC_SC_:
	.asciz	"void paged_attention_ll4mi_QKV_mfma16_kernel(const scalar_t *__restrict, const cache_t *__restrict, const cache_t *__restrict, const int, const float, const int *__restrict, const int *__restrict, const int *__restrict, const int, const float *__restrict, const int, const int, const int, float *__restrict, float *__restrict, scalar_t *__restrict, OUTT *__restrict, int, const float *, const float *) [scalar_t = __hip_bfloat16, cache_t = unsigned char, KV_DTYPE = vllm::Fp8KVCacheDataType::kFp8E4M3, OUTT = __hip_bfloat16, BLOCK_SIZE = 32, HEAD_SIZE = 128, NUM_THREADS = 256, ALIBI_ENABLED = true, GQA_RATIO = 3]"
	.size	__PRETTY_FUNCTION__._Z39paged_attention_ll4mi_QKV_mfma16_kernelI14__hip_bfloat16hLN4vllm18Fp8KVCacheDataTypeE1ES0_Li32ELi128ELi256ELb1ELi3EEvPKT_PKT0_S8_ifPKiSA_SA_iPKfiiiPfSD_PS3_PT2_iSC_SC_, 615

	.type	__PRETTY_FUNCTION__._Z39paged_attention_ll4mi_QKV_mfma16_kernelI14__hip_bfloat16hLN4vllm18Fp8KVCacheDataTypeE1ES0_Li32ELi128ELi256ELb1ELi4EEvPKT_PKT0_S8_ifPKiSA_SA_iPKfiiiPfSD_PS3_PT2_iSC_SC_,@object ; @__PRETTY_FUNCTION__._Z39paged_attention_ll4mi_QKV_mfma16_kernelI14__hip_bfloat16hLN4vllm18Fp8KVCacheDataTypeE1ES0_Li32ELi128ELi256ELb1ELi4EEvPKT_PKT0_S8_ifPKiSA_SA_iPKfiiiPfSD_PS3_PT2_iSC_SC_
__PRETTY_FUNCTION__._Z39paged_attention_ll4mi_QKV_mfma16_kernelI14__hip_bfloat16hLN4vllm18Fp8KVCacheDataTypeE1ES0_Li32ELi128ELi256ELb1ELi4EEvPKT_PKT0_S8_ifPKiSA_SA_iPKfiiiPfSD_PS3_PT2_iSC_SC_:
	.asciz	"void paged_attention_ll4mi_QKV_mfma16_kernel(const scalar_t *__restrict, const cache_t *__restrict, const cache_t *__restrict, const int, const float, const int *__restrict, const int *__restrict, const int *__restrict, const int, const float *__restrict, const int, const int, const int, float *__restrict, float *__restrict, scalar_t *__restrict, OUTT *__restrict, int, const float *, const float *) [scalar_t = __hip_bfloat16, cache_t = unsigned char, KV_DTYPE = vllm::Fp8KVCacheDataType::kFp8E4M3, OUTT = __hip_bfloat16, BLOCK_SIZE = 32, HEAD_SIZE = 128, NUM_THREADS = 256, ALIBI_ENABLED = true, GQA_RATIO = 4]"
	.size	__PRETTY_FUNCTION__._Z39paged_attention_ll4mi_QKV_mfma16_kernelI14__hip_bfloat16hLN4vllm18Fp8KVCacheDataTypeE1ES0_Li32ELi128ELi256ELb1ELi4EEvPKT_PKT0_S8_ifPKiSA_SA_iPKfiiiPfSD_PS3_PT2_iSC_SC_, 615

	.type	__PRETTY_FUNCTION__._Z38paged_attention_ll4mi_QKV_mfma4_kernelI14__hip_bfloat16hLN4vllm18Fp8KVCacheDataTypeE1ES0_Li32ELi128ELi256ELb0ELi1EEvPKT_PKT0_S8_ifPKiSA_SA_iPKfiiiPfSD_PS3_PT2_iSC_SC_,@object ; @__PRETTY_FUNCTION__._Z38paged_attention_ll4mi_QKV_mfma4_kernelI14__hip_bfloat16hLN4vllm18Fp8KVCacheDataTypeE1ES0_Li32ELi128ELi256ELb0ELi1EEvPKT_PKT0_S8_ifPKiSA_SA_iPKfiiiPfSD_PS3_PT2_iSC_SC_
__PRETTY_FUNCTION__._Z38paged_attention_ll4mi_QKV_mfma4_kernelI14__hip_bfloat16hLN4vllm18Fp8KVCacheDataTypeE1ES0_Li32ELi128ELi256ELb0ELi1EEvPKT_PKT0_S8_ifPKiSA_SA_iPKfiiiPfSD_PS3_PT2_iSC_SC_:
	.asciz	"void paged_attention_ll4mi_QKV_mfma4_kernel(const scalar_t *__restrict, const cache_t *__restrict, const cache_t *__restrict, const int, const float, const int *__restrict, const int *__restrict, const int *__restrict, const int, const float *__restrict, const int, const int, const int, float *__restrict, float *__restrict, scalar_t *__restrict, OUTT *__restrict, int, const float *, const float *) [scalar_t = __hip_bfloat16, cache_t = unsigned char, KV_DTYPE = vllm::Fp8KVCacheDataType::kFp8E4M3, OUTT = __hip_bfloat16, BLOCK_SIZE = 32, HEAD_SIZE = 128, NUM_THREADS = 256, ALIBI_ENABLED = false, GQA_RATIO = 1]"
	.size	__PRETTY_FUNCTION__._Z38paged_attention_ll4mi_QKV_mfma4_kernelI14__hip_bfloat16hLN4vllm18Fp8KVCacheDataTypeE1ES0_Li32ELi128ELi256ELb0ELi1EEvPKT_PKT0_S8_ifPKiSA_SA_iPKfiiiPfSD_PS3_PT2_iSC_SC_, 615

	.type	__PRETTY_FUNCTION__._Z38paged_attention_ll4mi_QKV_mfma4_kernelI14__hip_bfloat16hLN4vllm18Fp8KVCacheDataTypeE1ES0_Li32ELi128ELi256ELb0ELi2EEvPKT_PKT0_S8_ifPKiSA_SA_iPKfiiiPfSD_PS3_PT2_iSC_SC_,@object ; @__PRETTY_FUNCTION__._Z38paged_attention_ll4mi_QKV_mfma4_kernelI14__hip_bfloat16hLN4vllm18Fp8KVCacheDataTypeE1ES0_Li32ELi128ELi256ELb0ELi2EEvPKT_PKT0_S8_ifPKiSA_SA_iPKfiiiPfSD_PS3_PT2_iSC_SC_
__PRETTY_FUNCTION__._Z38paged_attention_ll4mi_QKV_mfma4_kernelI14__hip_bfloat16hLN4vllm18Fp8KVCacheDataTypeE1ES0_Li32ELi128ELi256ELb0ELi2EEvPKT_PKT0_S8_ifPKiSA_SA_iPKfiiiPfSD_PS3_PT2_iSC_SC_:
	.asciz	"void paged_attention_ll4mi_QKV_mfma4_kernel(const scalar_t *__restrict, const cache_t *__restrict, const cache_t *__restrict, const int, const float, const int *__restrict, const int *__restrict, const int *__restrict, const int, const float *__restrict, const int, const int, const int, float *__restrict, float *__restrict, scalar_t *__restrict, OUTT *__restrict, int, const float *, const float *) [scalar_t = __hip_bfloat16, cache_t = unsigned char, KV_DTYPE = vllm::Fp8KVCacheDataType::kFp8E4M3, OUTT = __hip_bfloat16, BLOCK_SIZE = 32, HEAD_SIZE = 128, NUM_THREADS = 256, ALIBI_ENABLED = false, GQA_RATIO = 2]"
	.size	__PRETTY_FUNCTION__._Z38paged_attention_ll4mi_QKV_mfma4_kernelI14__hip_bfloat16hLN4vllm18Fp8KVCacheDataTypeE1ES0_Li32ELi128ELi256ELb0ELi2EEvPKT_PKT0_S8_ifPKiSA_SA_iPKfiiiPfSD_PS3_PT2_iSC_SC_, 615

	.type	__PRETTY_FUNCTION__._Z38paged_attention_ll4mi_QKV_mfma4_kernelI14__hip_bfloat16hLN4vllm18Fp8KVCacheDataTypeE1ES0_Li32ELi128ELi256ELb0ELi3EEvPKT_PKT0_S8_ifPKiSA_SA_iPKfiiiPfSD_PS3_PT2_iSC_SC_,@object ; @__PRETTY_FUNCTION__._Z38paged_attention_ll4mi_QKV_mfma4_kernelI14__hip_bfloat16hLN4vllm18Fp8KVCacheDataTypeE1ES0_Li32ELi128ELi256ELb0ELi3EEvPKT_PKT0_S8_ifPKiSA_SA_iPKfiiiPfSD_PS3_PT2_iSC_SC_
__PRETTY_FUNCTION__._Z38paged_attention_ll4mi_QKV_mfma4_kernelI14__hip_bfloat16hLN4vllm18Fp8KVCacheDataTypeE1ES0_Li32ELi128ELi256ELb0ELi3EEvPKT_PKT0_S8_ifPKiSA_SA_iPKfiiiPfSD_PS3_PT2_iSC_SC_:
	.asciz	"void paged_attention_ll4mi_QKV_mfma4_kernel(const scalar_t *__restrict, const cache_t *__restrict, const cache_t *__restrict, const int, const float, const int *__restrict, const int *__restrict, const int *__restrict, const int, const float *__restrict, const int, const int, const int, float *__restrict, float *__restrict, scalar_t *__restrict, OUTT *__restrict, int, const float *, const float *) [scalar_t = __hip_bfloat16, cache_t = unsigned char, KV_DTYPE = vllm::Fp8KVCacheDataType::kFp8E4M3, OUTT = __hip_bfloat16, BLOCK_SIZE = 32, HEAD_SIZE = 128, NUM_THREADS = 256, ALIBI_ENABLED = false, GQA_RATIO = 3]"
	.size	__PRETTY_FUNCTION__._Z38paged_attention_ll4mi_QKV_mfma4_kernelI14__hip_bfloat16hLN4vllm18Fp8KVCacheDataTypeE1ES0_Li32ELi128ELi256ELb0ELi3EEvPKT_PKT0_S8_ifPKiSA_SA_iPKfiiiPfSD_PS3_PT2_iSC_SC_, 615

	.type	__PRETTY_FUNCTION__._Z38paged_attention_ll4mi_QKV_mfma4_kernelI14__hip_bfloat16hLN4vllm18Fp8KVCacheDataTypeE1ES0_Li32ELi128ELi256ELb0ELi4EEvPKT_PKT0_S8_ifPKiSA_SA_iPKfiiiPfSD_PS3_PT2_iSC_SC_,@object ; @__PRETTY_FUNCTION__._Z38paged_attention_ll4mi_QKV_mfma4_kernelI14__hip_bfloat16hLN4vllm18Fp8KVCacheDataTypeE1ES0_Li32ELi128ELi256ELb0ELi4EEvPKT_PKT0_S8_ifPKiSA_SA_iPKfiiiPfSD_PS3_PT2_iSC_SC_
__PRETTY_FUNCTION__._Z38paged_attention_ll4mi_QKV_mfma4_kernelI14__hip_bfloat16hLN4vllm18Fp8KVCacheDataTypeE1ES0_Li32ELi128ELi256ELb0ELi4EEvPKT_PKT0_S8_ifPKiSA_SA_iPKfiiiPfSD_PS3_PT2_iSC_SC_:
	.asciz	"void paged_attention_ll4mi_QKV_mfma4_kernel(const scalar_t *__restrict, const cache_t *__restrict, const cache_t *__restrict, const int, const float, const int *__restrict, const int *__restrict, const int *__restrict, const int, const float *__restrict, const int, const int, const int, float *__restrict, float *__restrict, scalar_t *__restrict, OUTT *__restrict, int, const float *, const float *) [scalar_t = __hip_bfloat16, cache_t = unsigned char, KV_DTYPE = vllm::Fp8KVCacheDataType::kFp8E4M3, OUTT = __hip_bfloat16, BLOCK_SIZE = 32, HEAD_SIZE = 128, NUM_THREADS = 256, ALIBI_ENABLED = false, GQA_RATIO = 4]"
	.size	__PRETTY_FUNCTION__._Z38paged_attention_ll4mi_QKV_mfma4_kernelI14__hip_bfloat16hLN4vllm18Fp8KVCacheDataTypeE1ES0_Li32ELi128ELi256ELb0ELi4EEvPKT_PKT0_S8_ifPKiSA_SA_iPKfiiiPfSD_PS3_PT2_iSC_SC_, 615

	.type	__PRETTY_FUNCTION__._Z39paged_attention_ll4mi_QKV_mfma16_kernelI14__hip_bfloat16hLN4vllm18Fp8KVCacheDataTypeE1ES0_Li32ELi128ELi256ELb0ELi5EEvPKT_PKT0_S8_ifPKiSA_SA_iPKfiiiPfSD_PS3_PT2_iSC_SC_,@object ; @__PRETTY_FUNCTION__._Z39paged_attention_ll4mi_QKV_mfma16_kernelI14__hip_bfloat16hLN4vllm18Fp8KVCacheDataTypeE1ES0_Li32ELi128ELi256ELb0ELi5EEvPKT_PKT0_S8_ifPKiSA_SA_iPKfiiiPfSD_PS3_PT2_iSC_SC_
__PRETTY_FUNCTION__._Z39paged_attention_ll4mi_QKV_mfma16_kernelI14__hip_bfloat16hLN4vllm18Fp8KVCacheDataTypeE1ES0_Li32ELi128ELi256ELb0ELi5EEvPKT_PKT0_S8_ifPKiSA_SA_iPKfiiiPfSD_PS3_PT2_iSC_SC_:
	.asciz	"void paged_attention_ll4mi_QKV_mfma16_kernel(const scalar_t *__restrict, const cache_t *__restrict, const cache_t *__restrict, const int, const float, const int *__restrict, const int *__restrict, const int *__restrict, const int, const float *__restrict, const int, const int, const int, float *__restrict, float *__restrict, scalar_t *__restrict, OUTT *__restrict, int, const float *, const float *) [scalar_t = __hip_bfloat16, cache_t = unsigned char, KV_DTYPE = vllm::Fp8KVCacheDataType::kFp8E4M3, OUTT = __hip_bfloat16, BLOCK_SIZE = 32, HEAD_SIZE = 128, NUM_THREADS = 256, ALIBI_ENABLED = false, GQA_RATIO = 5]"
	.size	__PRETTY_FUNCTION__._Z39paged_attention_ll4mi_QKV_mfma16_kernelI14__hip_bfloat16hLN4vllm18Fp8KVCacheDataTypeE1ES0_Li32ELi128ELi256ELb0ELi5EEvPKT_PKT0_S8_ifPKiSA_SA_iPKfiiiPfSD_PS3_PT2_iSC_SC_, 616

	.type	__PRETTY_FUNCTION__._Z39paged_attention_ll4mi_QKV_mfma16_kernelI14__hip_bfloat16hLN4vllm18Fp8KVCacheDataTypeE1ES0_Li32ELi128ELi256ELb0ELi6EEvPKT_PKT0_S8_ifPKiSA_SA_iPKfiiiPfSD_PS3_PT2_iSC_SC_,@object ; @__PRETTY_FUNCTION__._Z39paged_attention_ll4mi_QKV_mfma16_kernelI14__hip_bfloat16hLN4vllm18Fp8KVCacheDataTypeE1ES0_Li32ELi128ELi256ELb0ELi6EEvPKT_PKT0_S8_ifPKiSA_SA_iPKfiiiPfSD_PS3_PT2_iSC_SC_
__PRETTY_FUNCTION__._Z39paged_attention_ll4mi_QKV_mfma16_kernelI14__hip_bfloat16hLN4vllm18Fp8KVCacheDataTypeE1ES0_Li32ELi128ELi256ELb0ELi6EEvPKT_PKT0_S8_ifPKiSA_SA_iPKfiiiPfSD_PS3_PT2_iSC_SC_:
	.asciz	"void paged_attention_ll4mi_QKV_mfma16_kernel(const scalar_t *__restrict, const cache_t *__restrict, const cache_t *__restrict, const int, const float, const int *__restrict, const int *__restrict, const int *__restrict, const int, const float *__restrict, const int, const int, const int, float *__restrict, float *__restrict, scalar_t *__restrict, OUTT *__restrict, int, const float *, const float *) [scalar_t = __hip_bfloat16, cache_t = unsigned char, KV_DTYPE = vllm::Fp8KVCacheDataType::kFp8E4M3, OUTT = __hip_bfloat16, BLOCK_SIZE = 32, HEAD_SIZE = 128, NUM_THREADS = 256, ALIBI_ENABLED = false, GQA_RATIO = 6]"
	.size	__PRETTY_FUNCTION__._Z39paged_attention_ll4mi_QKV_mfma16_kernelI14__hip_bfloat16hLN4vllm18Fp8KVCacheDataTypeE1ES0_Li32ELi128ELi256ELb0ELi6EEvPKT_PKT0_S8_ifPKiSA_SA_iPKfiiiPfSD_PS3_PT2_iSC_SC_, 616

	.type	__PRETTY_FUNCTION__._Z39paged_attention_ll4mi_QKV_mfma16_kernelI14__hip_bfloat16hLN4vllm18Fp8KVCacheDataTypeE1ES0_Li32ELi128ELi256ELb0ELi7EEvPKT_PKT0_S8_ifPKiSA_SA_iPKfiiiPfSD_PS3_PT2_iSC_SC_,@object ; @__PRETTY_FUNCTION__._Z39paged_attention_ll4mi_QKV_mfma16_kernelI14__hip_bfloat16hLN4vllm18Fp8KVCacheDataTypeE1ES0_Li32ELi128ELi256ELb0ELi7EEvPKT_PKT0_S8_ifPKiSA_SA_iPKfiiiPfSD_PS3_PT2_iSC_SC_
__PRETTY_FUNCTION__._Z39paged_attention_ll4mi_QKV_mfma16_kernelI14__hip_bfloat16hLN4vllm18Fp8KVCacheDataTypeE1ES0_Li32ELi128ELi256ELb0ELi7EEvPKT_PKT0_S8_ifPKiSA_SA_iPKfiiiPfSD_PS3_PT2_iSC_SC_:
	.asciz	"void paged_attention_ll4mi_QKV_mfma16_kernel(const scalar_t *__restrict, const cache_t *__restrict, const cache_t *__restrict, const int, const float, const int *__restrict, const int *__restrict, const int *__restrict, const int, const float *__restrict, const int, const int, const int, float *__restrict, float *__restrict, scalar_t *__restrict, OUTT *__restrict, int, const float *, const float *) [scalar_t = __hip_bfloat16, cache_t = unsigned char, KV_DTYPE = vllm::Fp8KVCacheDataType::kFp8E4M3, OUTT = __hip_bfloat16, BLOCK_SIZE = 32, HEAD_SIZE = 128, NUM_THREADS = 256, ALIBI_ENABLED = false, GQA_RATIO = 7]"
	.size	__PRETTY_FUNCTION__._Z39paged_attention_ll4mi_QKV_mfma16_kernelI14__hip_bfloat16hLN4vllm18Fp8KVCacheDataTypeE1ES0_Li32ELi128ELi256ELb0ELi7EEvPKT_PKT0_S8_ifPKiSA_SA_iPKfiiiPfSD_PS3_PT2_iSC_SC_, 616

	.type	__PRETTY_FUNCTION__._Z39paged_attention_ll4mi_QKV_mfma16_kernelI14__hip_bfloat16hLN4vllm18Fp8KVCacheDataTypeE1ES0_Li32ELi128ELi256ELb0ELi8EEvPKT_PKT0_S8_ifPKiSA_SA_iPKfiiiPfSD_PS3_PT2_iSC_SC_,@object ; @__PRETTY_FUNCTION__._Z39paged_attention_ll4mi_QKV_mfma16_kernelI14__hip_bfloat16hLN4vllm18Fp8KVCacheDataTypeE1ES0_Li32ELi128ELi256ELb0ELi8EEvPKT_PKT0_S8_ifPKiSA_SA_iPKfiiiPfSD_PS3_PT2_iSC_SC_
__PRETTY_FUNCTION__._Z39paged_attention_ll4mi_QKV_mfma16_kernelI14__hip_bfloat16hLN4vllm18Fp8KVCacheDataTypeE1ES0_Li32ELi128ELi256ELb0ELi8EEvPKT_PKT0_S8_ifPKiSA_SA_iPKfiiiPfSD_PS3_PT2_iSC_SC_:
	.asciz	"void paged_attention_ll4mi_QKV_mfma16_kernel(const scalar_t *__restrict, const cache_t *__restrict, const cache_t *__restrict, const int, const float, const int *__restrict, const int *__restrict, const int *__restrict, const int, const float *__restrict, const int, const int, const int, float *__restrict, float *__restrict, scalar_t *__restrict, OUTT *__restrict, int, const float *, const float *) [scalar_t = __hip_bfloat16, cache_t = unsigned char, KV_DTYPE = vllm::Fp8KVCacheDataType::kFp8E4M3, OUTT = __hip_bfloat16, BLOCK_SIZE = 32, HEAD_SIZE = 128, NUM_THREADS = 256, ALIBI_ENABLED = false, GQA_RATIO = 8]"
	.size	__PRETTY_FUNCTION__._Z39paged_attention_ll4mi_QKV_mfma16_kernelI14__hip_bfloat16hLN4vllm18Fp8KVCacheDataTypeE1ES0_Li32ELi128ELi256ELb0ELi8EEvPKT_PKT0_S8_ifPKiSA_SA_iPKfiiiPfSD_PS3_PT2_iSC_SC_, 616

	.type	__PRETTY_FUNCTION__._Z39paged_attention_ll4mi_QKV_mfma16_kernelI14__hip_bfloat16hLN4vllm18Fp8KVCacheDataTypeE1ES0_Li32ELi128ELi256ELb0ELi9EEvPKT_PKT0_S8_ifPKiSA_SA_iPKfiiiPfSD_PS3_PT2_iSC_SC_,@object ; @__PRETTY_FUNCTION__._Z39paged_attention_ll4mi_QKV_mfma16_kernelI14__hip_bfloat16hLN4vllm18Fp8KVCacheDataTypeE1ES0_Li32ELi128ELi256ELb0ELi9EEvPKT_PKT0_S8_ifPKiSA_SA_iPKfiiiPfSD_PS3_PT2_iSC_SC_
__PRETTY_FUNCTION__._Z39paged_attention_ll4mi_QKV_mfma16_kernelI14__hip_bfloat16hLN4vllm18Fp8KVCacheDataTypeE1ES0_Li32ELi128ELi256ELb0ELi9EEvPKT_PKT0_S8_ifPKiSA_SA_iPKfiiiPfSD_PS3_PT2_iSC_SC_:
	.asciz	"void paged_attention_ll4mi_QKV_mfma16_kernel(const scalar_t *__restrict, const cache_t *__restrict, const cache_t *__restrict, const int, const float, const int *__restrict, const int *__restrict, const int *__restrict, const int, const float *__restrict, const int, const int, const int, float *__restrict, float *__restrict, scalar_t *__restrict, OUTT *__restrict, int, const float *, const float *) [scalar_t = __hip_bfloat16, cache_t = unsigned char, KV_DTYPE = vllm::Fp8KVCacheDataType::kFp8E4M3, OUTT = __hip_bfloat16, BLOCK_SIZE = 32, HEAD_SIZE = 128, NUM_THREADS = 256, ALIBI_ENABLED = false, GQA_RATIO = 9]"
	.size	__PRETTY_FUNCTION__._Z39paged_attention_ll4mi_QKV_mfma16_kernelI14__hip_bfloat16hLN4vllm18Fp8KVCacheDataTypeE1ES0_Li32ELi128ELi256ELb0ELi9EEvPKT_PKT0_S8_ifPKiSA_SA_iPKfiiiPfSD_PS3_PT2_iSC_SC_, 616

	.type	__PRETTY_FUNCTION__._Z39paged_attention_ll4mi_QKV_mfma16_kernelI14__hip_bfloat16hLN4vllm18Fp8KVCacheDataTypeE1ES0_Li32ELi128ELi256ELb0ELi10EEvPKT_PKT0_S8_ifPKiSA_SA_iPKfiiiPfSD_PS3_PT2_iSC_SC_,@object ; @__PRETTY_FUNCTION__._Z39paged_attention_ll4mi_QKV_mfma16_kernelI14__hip_bfloat16hLN4vllm18Fp8KVCacheDataTypeE1ES0_Li32ELi128ELi256ELb0ELi10EEvPKT_PKT0_S8_ifPKiSA_SA_iPKfiiiPfSD_PS3_PT2_iSC_SC_
__PRETTY_FUNCTION__._Z39paged_attention_ll4mi_QKV_mfma16_kernelI14__hip_bfloat16hLN4vllm18Fp8KVCacheDataTypeE1ES0_Li32ELi128ELi256ELb0ELi10EEvPKT_PKT0_S8_ifPKiSA_SA_iPKfiiiPfSD_PS3_PT2_iSC_SC_:
	.asciz	"void paged_attention_ll4mi_QKV_mfma16_kernel(const scalar_t *__restrict, const cache_t *__restrict, const cache_t *__restrict, const int, const float, const int *__restrict, const int *__restrict, const int *__restrict, const int, const float *__restrict, const int, const int, const int, float *__restrict, float *__restrict, scalar_t *__restrict, OUTT *__restrict, int, const float *, const float *) [scalar_t = __hip_bfloat16, cache_t = unsigned char, KV_DTYPE = vllm::Fp8KVCacheDataType::kFp8E4M3, OUTT = __hip_bfloat16, BLOCK_SIZE = 32, HEAD_SIZE = 128, NUM_THREADS = 256, ALIBI_ENABLED = false, GQA_RATIO = 10]"
	.size	__PRETTY_FUNCTION__._Z39paged_attention_ll4mi_QKV_mfma16_kernelI14__hip_bfloat16hLN4vllm18Fp8KVCacheDataTypeE1ES0_Li32ELi128ELi256ELb0ELi10EEvPKT_PKT0_S8_ifPKiSA_SA_iPKfiiiPfSD_PS3_PT2_iSC_SC_, 617

	.type	__PRETTY_FUNCTION__._Z39paged_attention_ll4mi_QKV_mfma16_kernelI14__hip_bfloat16hLN4vllm18Fp8KVCacheDataTypeE1ES0_Li32ELi128ELi256ELb0ELi11EEvPKT_PKT0_S8_ifPKiSA_SA_iPKfiiiPfSD_PS3_PT2_iSC_SC_,@object ; @__PRETTY_FUNCTION__._Z39paged_attention_ll4mi_QKV_mfma16_kernelI14__hip_bfloat16hLN4vllm18Fp8KVCacheDataTypeE1ES0_Li32ELi128ELi256ELb0ELi11EEvPKT_PKT0_S8_ifPKiSA_SA_iPKfiiiPfSD_PS3_PT2_iSC_SC_
__PRETTY_FUNCTION__._Z39paged_attention_ll4mi_QKV_mfma16_kernelI14__hip_bfloat16hLN4vllm18Fp8KVCacheDataTypeE1ES0_Li32ELi128ELi256ELb0ELi11EEvPKT_PKT0_S8_ifPKiSA_SA_iPKfiiiPfSD_PS3_PT2_iSC_SC_:
	.asciz	"void paged_attention_ll4mi_QKV_mfma16_kernel(const scalar_t *__restrict, const cache_t *__restrict, const cache_t *__restrict, const int, const float, const int *__restrict, const int *__restrict, const int *__restrict, const int, const float *__restrict, const int, const int, const int, float *__restrict, float *__restrict, scalar_t *__restrict, OUTT *__restrict, int, const float *, const float *) [scalar_t = __hip_bfloat16, cache_t = unsigned char, KV_DTYPE = vllm::Fp8KVCacheDataType::kFp8E4M3, OUTT = __hip_bfloat16, BLOCK_SIZE = 32, HEAD_SIZE = 128, NUM_THREADS = 256, ALIBI_ENABLED = false, GQA_RATIO = 11]"
	.size	__PRETTY_FUNCTION__._Z39paged_attention_ll4mi_QKV_mfma16_kernelI14__hip_bfloat16hLN4vllm18Fp8KVCacheDataTypeE1ES0_Li32ELi128ELi256ELb0ELi11EEvPKT_PKT0_S8_ifPKiSA_SA_iPKfiiiPfSD_PS3_PT2_iSC_SC_, 617

	.type	__PRETTY_FUNCTION__._Z39paged_attention_ll4mi_QKV_mfma16_kernelI14__hip_bfloat16hLN4vllm18Fp8KVCacheDataTypeE1ES0_Li32ELi128ELi256ELb0ELi12EEvPKT_PKT0_S8_ifPKiSA_SA_iPKfiiiPfSD_PS3_PT2_iSC_SC_,@object ; @__PRETTY_FUNCTION__._Z39paged_attention_ll4mi_QKV_mfma16_kernelI14__hip_bfloat16hLN4vllm18Fp8KVCacheDataTypeE1ES0_Li32ELi128ELi256ELb0ELi12EEvPKT_PKT0_S8_ifPKiSA_SA_iPKfiiiPfSD_PS3_PT2_iSC_SC_
__PRETTY_FUNCTION__._Z39paged_attention_ll4mi_QKV_mfma16_kernelI14__hip_bfloat16hLN4vllm18Fp8KVCacheDataTypeE1ES0_Li32ELi128ELi256ELb0ELi12EEvPKT_PKT0_S8_ifPKiSA_SA_iPKfiiiPfSD_PS3_PT2_iSC_SC_:
	.asciz	"void paged_attention_ll4mi_QKV_mfma16_kernel(const scalar_t *__restrict, const cache_t *__restrict, const cache_t *__restrict, const int, const float, const int *__restrict, const int *__restrict, const int *__restrict, const int, const float *__restrict, const int, const int, const int, float *__restrict, float *__restrict, scalar_t *__restrict, OUTT *__restrict, int, const float *, const float *) [scalar_t = __hip_bfloat16, cache_t = unsigned char, KV_DTYPE = vllm::Fp8KVCacheDataType::kFp8E4M3, OUTT = __hip_bfloat16, BLOCK_SIZE = 32, HEAD_SIZE = 128, NUM_THREADS = 256, ALIBI_ENABLED = false, GQA_RATIO = 12]"
	.size	__PRETTY_FUNCTION__._Z39paged_attention_ll4mi_QKV_mfma16_kernelI14__hip_bfloat16hLN4vllm18Fp8KVCacheDataTypeE1ES0_Li32ELi128ELi256ELb0ELi12EEvPKT_PKT0_S8_ifPKiSA_SA_iPKfiiiPfSD_PS3_PT2_iSC_SC_, 617

	.type	__PRETTY_FUNCTION__._Z39paged_attention_ll4mi_QKV_mfma16_kernelI14__hip_bfloat16hLN4vllm18Fp8KVCacheDataTypeE1ES0_Li32ELi128ELi256ELb0ELi13EEvPKT_PKT0_S8_ifPKiSA_SA_iPKfiiiPfSD_PS3_PT2_iSC_SC_,@object ; @__PRETTY_FUNCTION__._Z39paged_attention_ll4mi_QKV_mfma16_kernelI14__hip_bfloat16hLN4vllm18Fp8KVCacheDataTypeE1ES0_Li32ELi128ELi256ELb0ELi13EEvPKT_PKT0_S8_ifPKiSA_SA_iPKfiiiPfSD_PS3_PT2_iSC_SC_
__PRETTY_FUNCTION__._Z39paged_attention_ll4mi_QKV_mfma16_kernelI14__hip_bfloat16hLN4vllm18Fp8KVCacheDataTypeE1ES0_Li32ELi128ELi256ELb0ELi13EEvPKT_PKT0_S8_ifPKiSA_SA_iPKfiiiPfSD_PS3_PT2_iSC_SC_:
	.asciz	"void paged_attention_ll4mi_QKV_mfma16_kernel(const scalar_t *__restrict, const cache_t *__restrict, const cache_t *__restrict, const int, const float, const int *__restrict, const int *__restrict, const int *__restrict, const int, const float *__restrict, const int, const int, const int, float *__restrict, float *__restrict, scalar_t *__restrict, OUTT *__restrict, int, const float *, const float *) [scalar_t = __hip_bfloat16, cache_t = unsigned char, KV_DTYPE = vllm::Fp8KVCacheDataType::kFp8E4M3, OUTT = __hip_bfloat16, BLOCK_SIZE = 32, HEAD_SIZE = 128, NUM_THREADS = 256, ALIBI_ENABLED = false, GQA_RATIO = 13]"
	.size	__PRETTY_FUNCTION__._Z39paged_attention_ll4mi_QKV_mfma16_kernelI14__hip_bfloat16hLN4vllm18Fp8KVCacheDataTypeE1ES0_Li32ELi128ELi256ELb0ELi13EEvPKT_PKT0_S8_ifPKiSA_SA_iPKfiiiPfSD_PS3_PT2_iSC_SC_, 617

	.type	__PRETTY_FUNCTION__._Z39paged_attention_ll4mi_QKV_mfma16_kernelI14__hip_bfloat16hLN4vllm18Fp8KVCacheDataTypeE1ES0_Li32ELi128ELi256ELb0ELi14EEvPKT_PKT0_S8_ifPKiSA_SA_iPKfiiiPfSD_PS3_PT2_iSC_SC_,@object ; @__PRETTY_FUNCTION__._Z39paged_attention_ll4mi_QKV_mfma16_kernelI14__hip_bfloat16hLN4vllm18Fp8KVCacheDataTypeE1ES0_Li32ELi128ELi256ELb0ELi14EEvPKT_PKT0_S8_ifPKiSA_SA_iPKfiiiPfSD_PS3_PT2_iSC_SC_
__PRETTY_FUNCTION__._Z39paged_attention_ll4mi_QKV_mfma16_kernelI14__hip_bfloat16hLN4vllm18Fp8KVCacheDataTypeE1ES0_Li32ELi128ELi256ELb0ELi14EEvPKT_PKT0_S8_ifPKiSA_SA_iPKfiiiPfSD_PS3_PT2_iSC_SC_:
	.asciz	"void paged_attention_ll4mi_QKV_mfma16_kernel(const scalar_t *__restrict, const cache_t *__restrict, const cache_t *__restrict, const int, const float, const int *__restrict, const int *__restrict, const int *__restrict, const int, const float *__restrict, const int, const int, const int, float *__restrict, float *__restrict, scalar_t *__restrict, OUTT *__restrict, int, const float *, const float *) [scalar_t = __hip_bfloat16, cache_t = unsigned char, KV_DTYPE = vllm::Fp8KVCacheDataType::kFp8E4M3, OUTT = __hip_bfloat16, BLOCK_SIZE = 32, HEAD_SIZE = 128, NUM_THREADS = 256, ALIBI_ENABLED = false, GQA_RATIO = 14]"
	.size	__PRETTY_FUNCTION__._Z39paged_attention_ll4mi_QKV_mfma16_kernelI14__hip_bfloat16hLN4vllm18Fp8KVCacheDataTypeE1ES0_Li32ELi128ELi256ELb0ELi14EEvPKT_PKT0_S8_ifPKiSA_SA_iPKfiiiPfSD_PS3_PT2_iSC_SC_, 617

	.type	__PRETTY_FUNCTION__._Z39paged_attention_ll4mi_QKV_mfma16_kernelI14__hip_bfloat16hLN4vllm18Fp8KVCacheDataTypeE1ES0_Li32ELi128ELi256ELb0ELi15EEvPKT_PKT0_S8_ifPKiSA_SA_iPKfiiiPfSD_PS3_PT2_iSC_SC_,@object ; @__PRETTY_FUNCTION__._Z39paged_attention_ll4mi_QKV_mfma16_kernelI14__hip_bfloat16hLN4vllm18Fp8KVCacheDataTypeE1ES0_Li32ELi128ELi256ELb0ELi15EEvPKT_PKT0_S8_ifPKiSA_SA_iPKfiiiPfSD_PS3_PT2_iSC_SC_
__PRETTY_FUNCTION__._Z39paged_attention_ll4mi_QKV_mfma16_kernelI14__hip_bfloat16hLN4vllm18Fp8KVCacheDataTypeE1ES0_Li32ELi128ELi256ELb0ELi15EEvPKT_PKT0_S8_ifPKiSA_SA_iPKfiiiPfSD_PS3_PT2_iSC_SC_:
	.asciz	"void paged_attention_ll4mi_QKV_mfma16_kernel(const scalar_t *__restrict, const cache_t *__restrict, const cache_t *__restrict, const int, const float, const int *__restrict, const int *__restrict, const int *__restrict, const int, const float *__restrict, const int, const int, const int, float *__restrict, float *__restrict, scalar_t *__restrict, OUTT *__restrict, int, const float *, const float *) [scalar_t = __hip_bfloat16, cache_t = unsigned char, KV_DTYPE = vllm::Fp8KVCacheDataType::kFp8E4M3, OUTT = __hip_bfloat16, BLOCK_SIZE = 32, HEAD_SIZE = 128, NUM_THREADS = 256, ALIBI_ENABLED = false, GQA_RATIO = 15]"
	.size	__PRETTY_FUNCTION__._Z39paged_attention_ll4mi_QKV_mfma16_kernelI14__hip_bfloat16hLN4vllm18Fp8KVCacheDataTypeE1ES0_Li32ELi128ELi256ELb0ELi15EEvPKT_PKT0_S8_ifPKiSA_SA_iPKfiiiPfSD_PS3_PT2_iSC_SC_, 617

	.type	__PRETTY_FUNCTION__._Z39paged_attention_ll4mi_QKV_mfma16_kernelI14__hip_bfloat16hLN4vllm18Fp8KVCacheDataTypeE1ES0_Li32ELi128ELi256ELb0ELi16EEvPKT_PKT0_S8_ifPKiSA_SA_iPKfiiiPfSD_PS3_PT2_iSC_SC_,@object ; @__PRETTY_FUNCTION__._Z39paged_attention_ll4mi_QKV_mfma16_kernelI14__hip_bfloat16hLN4vllm18Fp8KVCacheDataTypeE1ES0_Li32ELi128ELi256ELb0ELi16EEvPKT_PKT0_S8_ifPKiSA_SA_iPKfiiiPfSD_PS3_PT2_iSC_SC_
__PRETTY_FUNCTION__._Z39paged_attention_ll4mi_QKV_mfma16_kernelI14__hip_bfloat16hLN4vllm18Fp8KVCacheDataTypeE1ES0_Li32ELi128ELi256ELb0ELi16EEvPKT_PKT0_S8_ifPKiSA_SA_iPKfiiiPfSD_PS3_PT2_iSC_SC_:
	.asciz	"void paged_attention_ll4mi_QKV_mfma16_kernel(const scalar_t *__restrict, const cache_t *__restrict, const cache_t *__restrict, const int, const float, const int *__restrict, const int *__restrict, const int *__restrict, const int, const float *__restrict, const int, const int, const int, float *__restrict, float *__restrict, scalar_t *__restrict, OUTT *__restrict, int, const float *, const float *) [scalar_t = __hip_bfloat16, cache_t = unsigned char, KV_DTYPE = vllm::Fp8KVCacheDataType::kFp8E4M3, OUTT = __hip_bfloat16, BLOCK_SIZE = 32, HEAD_SIZE = 128, NUM_THREADS = 256, ALIBI_ENABLED = false, GQA_RATIO = 16]"
	.size	__PRETTY_FUNCTION__._Z39paged_attention_ll4mi_QKV_mfma16_kernelI14__hip_bfloat16hLN4vllm18Fp8KVCacheDataTypeE1ES0_Li32ELi128ELi256ELb0ELi16EEvPKT_PKT0_S8_ifPKiSA_SA_iPKfiiiPfSD_PS3_PT2_iSC_SC_, 617

	.type	__PRETTY_FUNCTION__._Z39paged_attention_ll4mi_QKV_mfma16_kernelI14__hip_bfloat16hLN4vllm18Fp8KVCacheDataTypeE1ES0_Li32ELi128ELi256ELb0ELi1EEvPKT_PKT0_S8_ifPKiSA_SA_iPKfiiiPfSD_PS3_PT2_iSC_SC_,@object ; @__PRETTY_FUNCTION__._Z39paged_attention_ll4mi_QKV_mfma16_kernelI14__hip_bfloat16hLN4vllm18Fp8KVCacheDataTypeE1ES0_Li32ELi128ELi256ELb0ELi1EEvPKT_PKT0_S8_ifPKiSA_SA_iPKfiiiPfSD_PS3_PT2_iSC_SC_
__PRETTY_FUNCTION__._Z39paged_attention_ll4mi_QKV_mfma16_kernelI14__hip_bfloat16hLN4vllm18Fp8KVCacheDataTypeE1ES0_Li32ELi128ELi256ELb0ELi1EEvPKT_PKT0_S8_ifPKiSA_SA_iPKfiiiPfSD_PS3_PT2_iSC_SC_:
	.asciz	"void paged_attention_ll4mi_QKV_mfma16_kernel(const scalar_t *__restrict, const cache_t *__restrict, const cache_t *__restrict, const int, const float, const int *__restrict, const int *__restrict, const int *__restrict, const int, const float *__restrict, const int, const int, const int, float *__restrict, float *__restrict, scalar_t *__restrict, OUTT *__restrict, int, const float *, const float *) [scalar_t = __hip_bfloat16, cache_t = unsigned char, KV_DTYPE = vllm::Fp8KVCacheDataType::kFp8E4M3, OUTT = __hip_bfloat16, BLOCK_SIZE = 32, HEAD_SIZE = 128, NUM_THREADS = 256, ALIBI_ENABLED = false, GQA_RATIO = 1]"
	.size	__PRETTY_FUNCTION__._Z39paged_attention_ll4mi_QKV_mfma16_kernelI14__hip_bfloat16hLN4vllm18Fp8KVCacheDataTypeE1ES0_Li32ELi128ELi256ELb0ELi1EEvPKT_PKT0_S8_ifPKiSA_SA_iPKfiiiPfSD_PS3_PT2_iSC_SC_, 616

	.type	__PRETTY_FUNCTION__._Z39paged_attention_ll4mi_QKV_mfma16_kernelI14__hip_bfloat16hLN4vllm18Fp8KVCacheDataTypeE1ES0_Li32ELi128ELi256ELb0ELi2EEvPKT_PKT0_S8_ifPKiSA_SA_iPKfiiiPfSD_PS3_PT2_iSC_SC_,@object ; @__PRETTY_FUNCTION__._Z39paged_attention_ll4mi_QKV_mfma16_kernelI14__hip_bfloat16hLN4vllm18Fp8KVCacheDataTypeE1ES0_Li32ELi128ELi256ELb0ELi2EEvPKT_PKT0_S8_ifPKiSA_SA_iPKfiiiPfSD_PS3_PT2_iSC_SC_
__PRETTY_FUNCTION__._Z39paged_attention_ll4mi_QKV_mfma16_kernelI14__hip_bfloat16hLN4vllm18Fp8KVCacheDataTypeE1ES0_Li32ELi128ELi256ELb0ELi2EEvPKT_PKT0_S8_ifPKiSA_SA_iPKfiiiPfSD_PS3_PT2_iSC_SC_:
	.asciz	"void paged_attention_ll4mi_QKV_mfma16_kernel(const scalar_t *__restrict, const cache_t *__restrict, const cache_t *__restrict, const int, const float, const int *__restrict, const int *__restrict, const int *__restrict, const int, const float *__restrict, const int, const int, const int, float *__restrict, float *__restrict, scalar_t *__restrict, OUTT *__restrict, int, const float *, const float *) [scalar_t = __hip_bfloat16, cache_t = unsigned char, KV_DTYPE = vllm::Fp8KVCacheDataType::kFp8E4M3, OUTT = __hip_bfloat16, BLOCK_SIZE = 32, HEAD_SIZE = 128, NUM_THREADS = 256, ALIBI_ENABLED = false, GQA_RATIO = 2]"
	.size	__PRETTY_FUNCTION__._Z39paged_attention_ll4mi_QKV_mfma16_kernelI14__hip_bfloat16hLN4vllm18Fp8KVCacheDataTypeE1ES0_Li32ELi128ELi256ELb0ELi2EEvPKT_PKT0_S8_ifPKiSA_SA_iPKfiiiPfSD_PS3_PT2_iSC_SC_, 616

	.type	__PRETTY_FUNCTION__._Z39paged_attention_ll4mi_QKV_mfma16_kernelI14__hip_bfloat16hLN4vllm18Fp8KVCacheDataTypeE1ES0_Li32ELi128ELi256ELb0ELi3EEvPKT_PKT0_S8_ifPKiSA_SA_iPKfiiiPfSD_PS3_PT2_iSC_SC_,@object ; @__PRETTY_FUNCTION__._Z39paged_attention_ll4mi_QKV_mfma16_kernelI14__hip_bfloat16hLN4vllm18Fp8KVCacheDataTypeE1ES0_Li32ELi128ELi256ELb0ELi3EEvPKT_PKT0_S8_ifPKiSA_SA_iPKfiiiPfSD_PS3_PT2_iSC_SC_
__PRETTY_FUNCTION__._Z39paged_attention_ll4mi_QKV_mfma16_kernelI14__hip_bfloat16hLN4vllm18Fp8KVCacheDataTypeE1ES0_Li32ELi128ELi256ELb0ELi3EEvPKT_PKT0_S8_ifPKiSA_SA_iPKfiiiPfSD_PS3_PT2_iSC_SC_:
	.asciz	"void paged_attention_ll4mi_QKV_mfma16_kernel(const scalar_t *__restrict, const cache_t *__restrict, const cache_t *__restrict, const int, const float, const int *__restrict, const int *__restrict, const int *__restrict, const int, const float *__restrict, const int, const int, const int, float *__restrict, float *__restrict, scalar_t *__restrict, OUTT *__restrict, int, const float *, const float *) [scalar_t = __hip_bfloat16, cache_t = unsigned char, KV_DTYPE = vllm::Fp8KVCacheDataType::kFp8E4M3, OUTT = __hip_bfloat16, BLOCK_SIZE = 32, HEAD_SIZE = 128, NUM_THREADS = 256, ALIBI_ENABLED = false, GQA_RATIO = 3]"
	.size	__PRETTY_FUNCTION__._Z39paged_attention_ll4mi_QKV_mfma16_kernelI14__hip_bfloat16hLN4vllm18Fp8KVCacheDataTypeE1ES0_Li32ELi128ELi256ELb0ELi3EEvPKT_PKT0_S8_ifPKiSA_SA_iPKfiiiPfSD_PS3_PT2_iSC_SC_, 616

	.type	__PRETTY_FUNCTION__._Z39paged_attention_ll4mi_QKV_mfma16_kernelI14__hip_bfloat16hLN4vllm18Fp8KVCacheDataTypeE1ES0_Li32ELi128ELi256ELb0ELi4EEvPKT_PKT0_S8_ifPKiSA_SA_iPKfiiiPfSD_PS3_PT2_iSC_SC_,@object ; @__PRETTY_FUNCTION__._Z39paged_attention_ll4mi_QKV_mfma16_kernelI14__hip_bfloat16hLN4vllm18Fp8KVCacheDataTypeE1ES0_Li32ELi128ELi256ELb0ELi4EEvPKT_PKT0_S8_ifPKiSA_SA_iPKfiiiPfSD_PS3_PT2_iSC_SC_
__PRETTY_FUNCTION__._Z39paged_attention_ll4mi_QKV_mfma16_kernelI14__hip_bfloat16hLN4vllm18Fp8KVCacheDataTypeE1ES0_Li32ELi128ELi256ELb0ELi4EEvPKT_PKT0_S8_ifPKiSA_SA_iPKfiiiPfSD_PS3_PT2_iSC_SC_:
	.asciz	"void paged_attention_ll4mi_QKV_mfma16_kernel(const scalar_t *__restrict, const cache_t *__restrict, const cache_t *__restrict, const int, const float, const int *__restrict, const int *__restrict, const int *__restrict, const int, const float *__restrict, const int, const int, const int, float *__restrict, float *__restrict, scalar_t *__restrict, OUTT *__restrict, int, const float *, const float *) [scalar_t = __hip_bfloat16, cache_t = unsigned char, KV_DTYPE = vllm::Fp8KVCacheDataType::kFp8E4M3, OUTT = __hip_bfloat16, BLOCK_SIZE = 32, HEAD_SIZE = 128, NUM_THREADS = 256, ALIBI_ENABLED = false, GQA_RATIO = 4]"
	.size	__PRETTY_FUNCTION__._Z39paged_attention_ll4mi_QKV_mfma16_kernelI14__hip_bfloat16hLN4vllm18Fp8KVCacheDataTypeE1ES0_Li32ELi128ELi256ELb0ELi4EEvPKT_PKT0_S8_ifPKiSA_SA_iPKfiiiPfSD_PS3_PT2_iSC_SC_, 616

	.type	__hip_cuid_bb4d47d5fecc1ded,@object ; @__hip_cuid_bb4d47d5fecc1ded
	.section	.bss,"aw",@nobits
	.globl	__hip_cuid_bb4d47d5fecc1ded
__hip_cuid_bb4d47d5fecc1ded:
	.byte	0                               ; 0x0
	.size	__hip_cuid_bb4d47d5fecc1ded, 1

	.ident	"AMD clang version 22.0.0git (https://github.com/RadeonOpenCompute/llvm-project roc-7.2.4 26084 f58b06dce1f9c15707c5f808fd002e18c2accf7e)"
	.section	".note.GNU-stack","",@progbits
	.addrsig
	.addrsig_sym __hip_cuid_bb4d47d5fecc1ded
	.amdgpu_metadata
---
amdhsa.kernels:
  - .args:
      - .actual_access:  read_only
        .address_space:  global
        .offset:         0
        .size:           8
        .value_kind:     global_buffer
      - .actual_access:  read_only
        .address_space:  global
        .offset:         8
        .size:           8
        .value_kind:     global_buffer
      - .actual_access:  read_only
        .address_space:  global
        .offset:         16
        .size:           8
        .value_kind:     global_buffer
      - .offset:         24
        .size:           4
        .value_kind:     by_value
      - .offset:         28
        .size:           4
        .value_kind:     by_value
      - .actual_access:  read_only
        .address_space:  global
        .offset:         32
        .size:           8
        .value_kind:     global_buffer
      - .actual_access:  read_only
        .address_space:  global
        .offset:         40
        .size:           8
        .value_kind:     global_buffer
      - .actual_access:  read_only
        .address_space:  global
        .offset:         48
        .size:           8
        .value_kind:     global_buffer
      - .offset:         56
        .size:           4
        .value_kind:     by_value
      - .actual_access:  read_only
        .address_space:  global
        .offset:         64
        .size:           8
        .value_kind:     global_buffer
      - .offset:         72
        .size:           4
        .value_kind:     by_value
      - .offset:         76
        .size:           4
        .value_kind:     by_value
      - .offset:         80
        .size:           4
        .value_kind:     by_value
      - .actual_access:  read_only
        .address_space:  global
        .offset:         88
        .size:           8
        .value_kind:     global_buffer
      - .actual_access:  read_only
        .address_space:  global
        .offset:         96
        .size:           8
        .value_kind:     global_buffer
      - .actual_access:  read_only
        .address_space:  global
        .offset:         104
        .size:           8
        .value_kind:     global_buffer
      - .actual_access:  read_only
        .address_space:  global
        .offset:         112
        .size:           8
        .value_kind:     global_buffer
      - .offset:         120
        .size:           4
        .value_kind:     by_value
      - .address_space:  global
        .offset:         128
        .size:           8
        .value_kind:     global_buffer
      - .address_space:  global
        .offset:         136
        .size:           8
        .value_kind:     global_buffer
      - .offset:         144
        .size:           4
        .value_kind:     hidden_block_count_x
      - .offset:         148
        .size:           4
        .value_kind:     hidden_block_count_y
      - .offset:         152
        .size:           4
        .value_kind:     hidden_block_count_z
      - .offset:         156
        .size:           2
        .value_kind:     hidden_group_size_x
      - .offset:         158
        .size:           2
        .value_kind:     hidden_group_size_y
      - .offset:         160
        .size:           2
        .value_kind:     hidden_group_size_z
      - .offset:         162
        .size:           2
        .value_kind:     hidden_remainder_x
      - .offset:         164
        .size:           2
        .value_kind:     hidden_remainder_y
      - .offset:         166
        .size:           2
        .value_kind:     hidden_remainder_z
      - .offset:         184
        .size:           8
        .value_kind:     hidden_global_offset_x
      - .offset:         192
        .size:           8
        .value_kind:     hidden_global_offset_y
      - .offset:         200
        .size:           8
        .value_kind:     hidden_global_offset_z
      - .offset:         208
        .size:           2
        .value_kind:     hidden_grid_dims
      - .offset:         224
        .size:           8
        .value_kind:     hidden_hostcall_buffer
    .group_segment_fixed_size: 0
    .kernarg_segment_align: 8
    .kernarg_segment_size: 400
    .language:       OpenCL C
    .language_version:
      - 2
      - 0
    .max_flat_workgroup_size: 256
    .name:           _Z38paged_attention_ll4mi_QKV_mfma4_kernelIDF16_DF16_LN4vllm18Fp8KVCacheDataTypeE0EhLi16ELi64ELi256ELb1ELi1EEvPKT_PKT0_S7_ifPKiS9_S9_iPKfiiiPfSC_PS2_PT2_iSB_SB_
    .private_segment_fixed_size: 64
    .sgpr_count:     36
    .sgpr_spill_count: 0
    .symbol:         _Z38paged_attention_ll4mi_QKV_mfma4_kernelIDF16_DF16_LN4vllm18Fp8KVCacheDataTypeE0EhLi16ELi64ELi256ELb1ELi1EEvPKT_PKT0_S7_ifPKiS9_S9_iPKfiiiPfSC_PS2_PT2_iSB_SB_.kd
    .uniform_work_group_size: 1
    .uses_dynamic_stack: false
    .vgpr_count:     51
    .vgpr_spill_count: 0
    .wavefront_size: 32
  - .args:
      - .actual_access:  read_only
        .address_space:  global
        .offset:         0
        .size:           8
        .value_kind:     global_buffer
      - .actual_access:  read_only
        .address_space:  global
        .offset:         8
        .size:           8
        .value_kind:     global_buffer
      - .actual_access:  read_only
        .address_space:  global
        .offset:         16
        .size:           8
        .value_kind:     global_buffer
      - .offset:         24
        .size:           4
        .value_kind:     by_value
      - .offset:         28
        .size:           4
        .value_kind:     by_value
      - .actual_access:  read_only
        .address_space:  global
        .offset:         32
        .size:           8
        .value_kind:     global_buffer
      - .actual_access:  read_only
        .address_space:  global
        .offset:         40
        .size:           8
        .value_kind:     global_buffer
      - .actual_access:  read_only
        .address_space:  global
        .offset:         48
        .size:           8
        .value_kind:     global_buffer
      - .offset:         56
        .size:           4
        .value_kind:     by_value
      - .actual_access:  read_only
        .address_space:  global
        .offset:         64
        .size:           8
        .value_kind:     global_buffer
      - .offset:         72
        .size:           4
        .value_kind:     by_value
      - .offset:         76
        .size:           4
        .value_kind:     by_value
      - .offset:         80
        .size:           4
        .value_kind:     by_value
      - .actual_access:  read_only
        .address_space:  global
        .offset:         88
        .size:           8
        .value_kind:     global_buffer
      - .actual_access:  read_only
        .address_space:  global
        .offset:         96
        .size:           8
        .value_kind:     global_buffer
      - .actual_access:  read_only
        .address_space:  global
        .offset:         104
        .size:           8
        .value_kind:     global_buffer
      - .actual_access:  read_only
        .address_space:  global
        .offset:         112
        .size:           8
        .value_kind:     global_buffer
      - .offset:         120
        .size:           4
        .value_kind:     by_value
      - .address_space:  global
        .offset:         128
        .size:           8
        .value_kind:     global_buffer
      - .address_space:  global
        .offset:         136
        .size:           8
        .value_kind:     global_buffer
      - .offset:         144
        .size:           4
        .value_kind:     hidden_block_count_x
      - .offset:         148
        .size:           4
        .value_kind:     hidden_block_count_y
      - .offset:         152
        .size:           4
        .value_kind:     hidden_block_count_z
      - .offset:         156
        .size:           2
        .value_kind:     hidden_group_size_x
      - .offset:         158
        .size:           2
        .value_kind:     hidden_group_size_y
      - .offset:         160
        .size:           2
        .value_kind:     hidden_group_size_z
      - .offset:         162
        .size:           2
        .value_kind:     hidden_remainder_x
      - .offset:         164
        .size:           2
        .value_kind:     hidden_remainder_y
      - .offset:         166
        .size:           2
        .value_kind:     hidden_remainder_z
      - .offset:         184
        .size:           8
        .value_kind:     hidden_global_offset_x
      - .offset:         192
        .size:           8
        .value_kind:     hidden_global_offset_y
      - .offset:         200
        .size:           8
        .value_kind:     hidden_global_offset_z
      - .offset:         208
        .size:           2
        .value_kind:     hidden_grid_dims
      - .offset:         224
        .size:           8
        .value_kind:     hidden_hostcall_buffer
    .group_segment_fixed_size: 0
    .kernarg_segment_align: 8
    .kernarg_segment_size: 400
    .language:       OpenCL C
    .language_version:
      - 2
      - 0
    .max_flat_workgroup_size: 256
    .name:           _Z38paged_attention_ll4mi_QKV_mfma4_kernelIDF16_DF16_LN4vllm18Fp8KVCacheDataTypeE0EhLi16ELi64ELi256ELb1ELi2EEvPKT_PKT0_S7_ifPKiS9_S9_iPKfiiiPfSC_PS2_PT2_iSB_SB_
    .private_segment_fixed_size: 64
    .sgpr_count:     36
    .sgpr_spill_count: 0
    .symbol:         _Z38paged_attention_ll4mi_QKV_mfma4_kernelIDF16_DF16_LN4vllm18Fp8KVCacheDataTypeE0EhLi16ELi64ELi256ELb1ELi2EEvPKT_PKT0_S7_ifPKiS9_S9_iPKfiiiPfSC_PS2_PT2_iSB_SB_.kd
    .uniform_work_group_size: 1
    .uses_dynamic_stack: false
    .vgpr_count:     51
    .vgpr_spill_count: 0
    .wavefront_size: 32
  - .args:
      - .actual_access:  read_only
        .address_space:  global
        .offset:         0
        .size:           8
        .value_kind:     global_buffer
      - .actual_access:  read_only
        .address_space:  global
        .offset:         8
        .size:           8
        .value_kind:     global_buffer
      - .actual_access:  read_only
        .address_space:  global
        .offset:         16
        .size:           8
        .value_kind:     global_buffer
      - .offset:         24
        .size:           4
        .value_kind:     by_value
      - .offset:         28
        .size:           4
        .value_kind:     by_value
      - .actual_access:  read_only
        .address_space:  global
        .offset:         32
        .size:           8
        .value_kind:     global_buffer
      - .actual_access:  read_only
        .address_space:  global
        .offset:         40
        .size:           8
        .value_kind:     global_buffer
      - .actual_access:  read_only
        .address_space:  global
        .offset:         48
        .size:           8
        .value_kind:     global_buffer
      - .offset:         56
        .size:           4
        .value_kind:     by_value
      - .actual_access:  read_only
        .address_space:  global
        .offset:         64
        .size:           8
        .value_kind:     global_buffer
      - .offset:         72
        .size:           4
        .value_kind:     by_value
      - .offset:         76
        .size:           4
        .value_kind:     by_value
      - .offset:         80
        .size:           4
        .value_kind:     by_value
      - .actual_access:  read_only
        .address_space:  global
        .offset:         88
        .size:           8
        .value_kind:     global_buffer
      - .actual_access:  read_only
        .address_space:  global
        .offset:         96
        .size:           8
        .value_kind:     global_buffer
      - .actual_access:  read_only
        .address_space:  global
        .offset:         104
        .size:           8
        .value_kind:     global_buffer
      - .actual_access:  read_only
        .address_space:  global
        .offset:         112
        .size:           8
        .value_kind:     global_buffer
      - .offset:         120
        .size:           4
        .value_kind:     by_value
      - .address_space:  global
        .offset:         128
        .size:           8
        .value_kind:     global_buffer
      - .address_space:  global
        .offset:         136
        .size:           8
        .value_kind:     global_buffer
      - .offset:         144
        .size:           4
        .value_kind:     hidden_block_count_x
      - .offset:         148
        .size:           4
        .value_kind:     hidden_block_count_y
      - .offset:         152
        .size:           4
        .value_kind:     hidden_block_count_z
      - .offset:         156
        .size:           2
        .value_kind:     hidden_group_size_x
      - .offset:         158
        .size:           2
        .value_kind:     hidden_group_size_y
      - .offset:         160
        .size:           2
        .value_kind:     hidden_group_size_z
      - .offset:         162
        .size:           2
        .value_kind:     hidden_remainder_x
      - .offset:         164
        .size:           2
        .value_kind:     hidden_remainder_y
      - .offset:         166
        .size:           2
        .value_kind:     hidden_remainder_z
      - .offset:         184
        .size:           8
        .value_kind:     hidden_global_offset_x
      - .offset:         192
        .size:           8
        .value_kind:     hidden_global_offset_y
      - .offset:         200
        .size:           8
        .value_kind:     hidden_global_offset_z
      - .offset:         208
        .size:           2
        .value_kind:     hidden_grid_dims
      - .offset:         224
        .size:           8
        .value_kind:     hidden_hostcall_buffer
    .group_segment_fixed_size: 0
    .kernarg_segment_align: 8
    .kernarg_segment_size: 400
    .language:       OpenCL C
    .language_version:
      - 2
      - 0
    .max_flat_workgroup_size: 256
    .name:           _Z38paged_attention_ll4mi_QKV_mfma4_kernelIDF16_DF16_LN4vllm18Fp8KVCacheDataTypeE0EhLi16ELi64ELi256ELb1ELi3EEvPKT_PKT0_S7_ifPKiS9_S9_iPKfiiiPfSC_PS2_PT2_iSB_SB_
    .private_segment_fixed_size: 64
    .sgpr_count:     36
    .sgpr_spill_count: 0
    .symbol:         _Z38paged_attention_ll4mi_QKV_mfma4_kernelIDF16_DF16_LN4vllm18Fp8KVCacheDataTypeE0EhLi16ELi64ELi256ELb1ELi3EEvPKT_PKT0_S7_ifPKiS9_S9_iPKfiiiPfSC_PS2_PT2_iSB_SB_.kd
    .uniform_work_group_size: 1
    .uses_dynamic_stack: false
    .vgpr_count:     51
    .vgpr_spill_count: 0
    .wavefront_size: 32
  - .args:
      - .actual_access:  read_only
        .address_space:  global
        .offset:         0
        .size:           8
        .value_kind:     global_buffer
      - .actual_access:  read_only
        .address_space:  global
        .offset:         8
        .size:           8
        .value_kind:     global_buffer
      - .actual_access:  read_only
        .address_space:  global
        .offset:         16
        .size:           8
        .value_kind:     global_buffer
      - .offset:         24
        .size:           4
        .value_kind:     by_value
      - .offset:         28
        .size:           4
        .value_kind:     by_value
      - .actual_access:  read_only
        .address_space:  global
        .offset:         32
        .size:           8
        .value_kind:     global_buffer
      - .actual_access:  read_only
        .address_space:  global
        .offset:         40
        .size:           8
        .value_kind:     global_buffer
      - .actual_access:  read_only
        .address_space:  global
        .offset:         48
        .size:           8
        .value_kind:     global_buffer
      - .offset:         56
        .size:           4
        .value_kind:     by_value
      - .actual_access:  read_only
        .address_space:  global
        .offset:         64
        .size:           8
        .value_kind:     global_buffer
      - .offset:         72
        .size:           4
        .value_kind:     by_value
      - .offset:         76
        .size:           4
        .value_kind:     by_value
      - .offset:         80
        .size:           4
        .value_kind:     by_value
      - .actual_access:  read_only
        .address_space:  global
        .offset:         88
        .size:           8
        .value_kind:     global_buffer
      - .actual_access:  read_only
        .address_space:  global
        .offset:         96
        .size:           8
        .value_kind:     global_buffer
      - .actual_access:  read_only
        .address_space:  global
        .offset:         104
        .size:           8
        .value_kind:     global_buffer
      - .actual_access:  read_only
        .address_space:  global
        .offset:         112
        .size:           8
        .value_kind:     global_buffer
      - .offset:         120
        .size:           4
        .value_kind:     by_value
      - .address_space:  global
        .offset:         128
        .size:           8
        .value_kind:     global_buffer
      - .address_space:  global
        .offset:         136
        .size:           8
        .value_kind:     global_buffer
      - .offset:         144
        .size:           4
        .value_kind:     hidden_block_count_x
      - .offset:         148
        .size:           4
        .value_kind:     hidden_block_count_y
      - .offset:         152
        .size:           4
        .value_kind:     hidden_block_count_z
      - .offset:         156
        .size:           2
        .value_kind:     hidden_group_size_x
      - .offset:         158
        .size:           2
        .value_kind:     hidden_group_size_y
      - .offset:         160
        .size:           2
        .value_kind:     hidden_group_size_z
      - .offset:         162
        .size:           2
        .value_kind:     hidden_remainder_x
      - .offset:         164
        .size:           2
        .value_kind:     hidden_remainder_y
      - .offset:         166
        .size:           2
        .value_kind:     hidden_remainder_z
      - .offset:         184
        .size:           8
        .value_kind:     hidden_global_offset_x
      - .offset:         192
        .size:           8
        .value_kind:     hidden_global_offset_y
      - .offset:         200
        .size:           8
        .value_kind:     hidden_global_offset_z
      - .offset:         208
        .size:           2
        .value_kind:     hidden_grid_dims
      - .offset:         224
        .size:           8
        .value_kind:     hidden_hostcall_buffer
    .group_segment_fixed_size: 0
    .kernarg_segment_align: 8
    .kernarg_segment_size: 400
    .language:       OpenCL C
    .language_version:
      - 2
      - 0
    .max_flat_workgroup_size: 256
    .name:           _Z38paged_attention_ll4mi_QKV_mfma4_kernelIDF16_DF16_LN4vllm18Fp8KVCacheDataTypeE0EhLi16ELi64ELi256ELb1ELi4EEvPKT_PKT0_S7_ifPKiS9_S9_iPKfiiiPfSC_PS2_PT2_iSB_SB_
    .private_segment_fixed_size: 64
    .sgpr_count:     36
    .sgpr_spill_count: 0
    .symbol:         _Z38paged_attention_ll4mi_QKV_mfma4_kernelIDF16_DF16_LN4vllm18Fp8KVCacheDataTypeE0EhLi16ELi64ELi256ELb1ELi4EEvPKT_PKT0_S7_ifPKiS9_S9_iPKfiiiPfSC_PS2_PT2_iSB_SB_.kd
    .uniform_work_group_size: 1
    .uses_dynamic_stack: false
    .vgpr_count:     51
    .vgpr_spill_count: 0
    .wavefront_size: 32
  - .args:
      - .actual_access:  read_only
        .address_space:  global
        .offset:         0
        .size:           8
        .value_kind:     global_buffer
      - .actual_access:  read_only
        .address_space:  global
        .offset:         8
        .size:           8
        .value_kind:     global_buffer
      - .actual_access:  read_only
        .address_space:  global
        .offset:         16
        .size:           8
        .value_kind:     global_buffer
      - .offset:         24
        .size:           4
        .value_kind:     by_value
      - .offset:         28
        .size:           4
        .value_kind:     by_value
      - .actual_access:  read_only
        .address_space:  global
        .offset:         32
        .size:           8
        .value_kind:     global_buffer
      - .actual_access:  read_only
        .address_space:  global
        .offset:         40
        .size:           8
        .value_kind:     global_buffer
      - .actual_access:  read_only
        .address_space:  global
        .offset:         48
        .size:           8
        .value_kind:     global_buffer
      - .offset:         56
        .size:           4
        .value_kind:     by_value
      - .actual_access:  read_only
        .address_space:  global
        .offset:         64
        .size:           8
        .value_kind:     global_buffer
      - .offset:         72
        .size:           4
        .value_kind:     by_value
      - .offset:         76
        .size:           4
        .value_kind:     by_value
      - .offset:         80
        .size:           4
        .value_kind:     by_value
      - .actual_access:  read_only
        .address_space:  global
        .offset:         88
        .size:           8
        .value_kind:     global_buffer
      - .actual_access:  read_only
        .address_space:  global
        .offset:         96
        .size:           8
        .value_kind:     global_buffer
      - .actual_access:  read_only
        .address_space:  global
        .offset:         104
        .size:           8
        .value_kind:     global_buffer
      - .actual_access:  read_only
        .address_space:  global
        .offset:         112
        .size:           8
        .value_kind:     global_buffer
      - .offset:         120
        .size:           4
        .value_kind:     by_value
      - .address_space:  global
        .offset:         128
        .size:           8
        .value_kind:     global_buffer
      - .address_space:  global
        .offset:         136
        .size:           8
        .value_kind:     global_buffer
      - .offset:         144
        .size:           4
        .value_kind:     hidden_block_count_x
      - .offset:         148
        .size:           4
        .value_kind:     hidden_block_count_y
      - .offset:         152
        .size:           4
        .value_kind:     hidden_block_count_z
      - .offset:         156
        .size:           2
        .value_kind:     hidden_group_size_x
      - .offset:         158
        .size:           2
        .value_kind:     hidden_group_size_y
      - .offset:         160
        .size:           2
        .value_kind:     hidden_group_size_z
      - .offset:         162
        .size:           2
        .value_kind:     hidden_remainder_x
      - .offset:         164
        .size:           2
        .value_kind:     hidden_remainder_y
      - .offset:         166
        .size:           2
        .value_kind:     hidden_remainder_z
      - .offset:         184
        .size:           8
        .value_kind:     hidden_global_offset_x
      - .offset:         192
        .size:           8
        .value_kind:     hidden_global_offset_y
      - .offset:         200
        .size:           8
        .value_kind:     hidden_global_offset_z
      - .offset:         208
        .size:           2
        .value_kind:     hidden_grid_dims
      - .offset:         224
        .size:           8
        .value_kind:     hidden_hostcall_buffer
    .group_segment_fixed_size: 0
    .kernarg_segment_align: 8
    .kernarg_segment_size: 400
    .language:       OpenCL C
    .language_version:
      - 2
      - 0
    .max_flat_workgroup_size: 256
    .name:           _Z39paged_attention_ll4mi_QKV_mfma16_kernelIDF16_DF16_LN4vllm18Fp8KVCacheDataTypeE0EhLi16ELi64ELi256ELb1ELi5EEvPKT_PKT0_S7_ifPKiS9_S9_iPKfiiiPfSC_PS2_PT2_iSB_SB_
    .private_segment_fixed_size: 64
    .sgpr_count:     36
    .sgpr_spill_count: 0
    .symbol:         _Z39paged_attention_ll4mi_QKV_mfma16_kernelIDF16_DF16_LN4vllm18Fp8KVCacheDataTypeE0EhLi16ELi64ELi256ELb1ELi5EEvPKT_PKT0_S7_ifPKiS9_S9_iPKfiiiPfSC_PS2_PT2_iSB_SB_.kd
    .uniform_work_group_size: 1
    .uses_dynamic_stack: false
    .vgpr_count:     51
    .vgpr_spill_count: 0
    .wavefront_size: 32
  - .args:
      - .actual_access:  read_only
        .address_space:  global
        .offset:         0
        .size:           8
        .value_kind:     global_buffer
      - .actual_access:  read_only
        .address_space:  global
        .offset:         8
        .size:           8
        .value_kind:     global_buffer
      - .actual_access:  read_only
        .address_space:  global
        .offset:         16
        .size:           8
        .value_kind:     global_buffer
      - .offset:         24
        .size:           4
        .value_kind:     by_value
      - .offset:         28
        .size:           4
        .value_kind:     by_value
      - .actual_access:  read_only
        .address_space:  global
        .offset:         32
        .size:           8
        .value_kind:     global_buffer
      - .actual_access:  read_only
        .address_space:  global
        .offset:         40
        .size:           8
        .value_kind:     global_buffer
      - .actual_access:  read_only
        .address_space:  global
        .offset:         48
        .size:           8
        .value_kind:     global_buffer
      - .offset:         56
        .size:           4
        .value_kind:     by_value
      - .actual_access:  read_only
        .address_space:  global
        .offset:         64
        .size:           8
        .value_kind:     global_buffer
      - .offset:         72
        .size:           4
        .value_kind:     by_value
      - .offset:         76
        .size:           4
        .value_kind:     by_value
      - .offset:         80
        .size:           4
        .value_kind:     by_value
      - .actual_access:  read_only
        .address_space:  global
        .offset:         88
        .size:           8
        .value_kind:     global_buffer
      - .actual_access:  read_only
        .address_space:  global
        .offset:         96
        .size:           8
        .value_kind:     global_buffer
      - .actual_access:  read_only
        .address_space:  global
        .offset:         104
        .size:           8
        .value_kind:     global_buffer
      - .actual_access:  read_only
        .address_space:  global
        .offset:         112
        .size:           8
        .value_kind:     global_buffer
      - .offset:         120
        .size:           4
        .value_kind:     by_value
      - .address_space:  global
        .offset:         128
        .size:           8
        .value_kind:     global_buffer
      - .address_space:  global
        .offset:         136
        .size:           8
        .value_kind:     global_buffer
      - .offset:         144
        .size:           4
        .value_kind:     hidden_block_count_x
      - .offset:         148
        .size:           4
        .value_kind:     hidden_block_count_y
      - .offset:         152
        .size:           4
        .value_kind:     hidden_block_count_z
      - .offset:         156
        .size:           2
        .value_kind:     hidden_group_size_x
      - .offset:         158
        .size:           2
        .value_kind:     hidden_group_size_y
      - .offset:         160
        .size:           2
        .value_kind:     hidden_group_size_z
      - .offset:         162
        .size:           2
        .value_kind:     hidden_remainder_x
      - .offset:         164
        .size:           2
        .value_kind:     hidden_remainder_y
      - .offset:         166
        .size:           2
        .value_kind:     hidden_remainder_z
      - .offset:         184
        .size:           8
        .value_kind:     hidden_global_offset_x
      - .offset:         192
        .size:           8
        .value_kind:     hidden_global_offset_y
      - .offset:         200
        .size:           8
        .value_kind:     hidden_global_offset_z
      - .offset:         208
        .size:           2
        .value_kind:     hidden_grid_dims
      - .offset:         224
        .size:           8
        .value_kind:     hidden_hostcall_buffer
    .group_segment_fixed_size: 0
    .kernarg_segment_align: 8
    .kernarg_segment_size: 400
    .language:       OpenCL C
    .language_version:
      - 2
      - 0
    .max_flat_workgroup_size: 256
    .name:           _Z39paged_attention_ll4mi_QKV_mfma16_kernelIDF16_DF16_LN4vllm18Fp8KVCacheDataTypeE0EhLi16ELi64ELi256ELb1ELi6EEvPKT_PKT0_S7_ifPKiS9_S9_iPKfiiiPfSC_PS2_PT2_iSB_SB_
    .private_segment_fixed_size: 64
    .sgpr_count:     36
    .sgpr_spill_count: 0
    .symbol:         _Z39paged_attention_ll4mi_QKV_mfma16_kernelIDF16_DF16_LN4vllm18Fp8KVCacheDataTypeE0EhLi16ELi64ELi256ELb1ELi6EEvPKT_PKT0_S7_ifPKiS9_S9_iPKfiiiPfSC_PS2_PT2_iSB_SB_.kd
    .uniform_work_group_size: 1
    .uses_dynamic_stack: false
    .vgpr_count:     51
    .vgpr_spill_count: 0
    .wavefront_size: 32
  - .args:
      - .actual_access:  read_only
        .address_space:  global
        .offset:         0
        .size:           8
        .value_kind:     global_buffer
      - .actual_access:  read_only
        .address_space:  global
        .offset:         8
        .size:           8
        .value_kind:     global_buffer
      - .actual_access:  read_only
        .address_space:  global
        .offset:         16
        .size:           8
        .value_kind:     global_buffer
      - .offset:         24
        .size:           4
        .value_kind:     by_value
      - .offset:         28
        .size:           4
        .value_kind:     by_value
      - .actual_access:  read_only
        .address_space:  global
        .offset:         32
        .size:           8
        .value_kind:     global_buffer
      - .actual_access:  read_only
        .address_space:  global
        .offset:         40
        .size:           8
        .value_kind:     global_buffer
      - .actual_access:  read_only
        .address_space:  global
        .offset:         48
        .size:           8
        .value_kind:     global_buffer
      - .offset:         56
        .size:           4
        .value_kind:     by_value
      - .actual_access:  read_only
        .address_space:  global
        .offset:         64
        .size:           8
        .value_kind:     global_buffer
      - .offset:         72
        .size:           4
        .value_kind:     by_value
      - .offset:         76
        .size:           4
        .value_kind:     by_value
      - .offset:         80
        .size:           4
        .value_kind:     by_value
      - .actual_access:  read_only
        .address_space:  global
        .offset:         88
        .size:           8
        .value_kind:     global_buffer
      - .actual_access:  read_only
        .address_space:  global
        .offset:         96
        .size:           8
        .value_kind:     global_buffer
      - .actual_access:  read_only
        .address_space:  global
        .offset:         104
        .size:           8
        .value_kind:     global_buffer
      - .actual_access:  read_only
        .address_space:  global
        .offset:         112
        .size:           8
        .value_kind:     global_buffer
      - .offset:         120
        .size:           4
        .value_kind:     by_value
      - .address_space:  global
        .offset:         128
        .size:           8
        .value_kind:     global_buffer
      - .address_space:  global
        .offset:         136
        .size:           8
        .value_kind:     global_buffer
      - .offset:         144
        .size:           4
        .value_kind:     hidden_block_count_x
      - .offset:         148
        .size:           4
        .value_kind:     hidden_block_count_y
      - .offset:         152
        .size:           4
        .value_kind:     hidden_block_count_z
      - .offset:         156
        .size:           2
        .value_kind:     hidden_group_size_x
      - .offset:         158
        .size:           2
        .value_kind:     hidden_group_size_y
      - .offset:         160
        .size:           2
        .value_kind:     hidden_group_size_z
      - .offset:         162
        .size:           2
        .value_kind:     hidden_remainder_x
      - .offset:         164
        .size:           2
        .value_kind:     hidden_remainder_y
      - .offset:         166
        .size:           2
        .value_kind:     hidden_remainder_z
      - .offset:         184
        .size:           8
        .value_kind:     hidden_global_offset_x
      - .offset:         192
        .size:           8
        .value_kind:     hidden_global_offset_y
      - .offset:         200
        .size:           8
        .value_kind:     hidden_global_offset_z
      - .offset:         208
        .size:           2
        .value_kind:     hidden_grid_dims
      - .offset:         224
        .size:           8
        .value_kind:     hidden_hostcall_buffer
    .group_segment_fixed_size: 0
    .kernarg_segment_align: 8
    .kernarg_segment_size: 400
    .language:       OpenCL C
    .language_version:
      - 2
      - 0
    .max_flat_workgroup_size: 256
    .name:           _Z39paged_attention_ll4mi_QKV_mfma16_kernelIDF16_DF16_LN4vllm18Fp8KVCacheDataTypeE0EhLi16ELi64ELi256ELb1ELi7EEvPKT_PKT0_S7_ifPKiS9_S9_iPKfiiiPfSC_PS2_PT2_iSB_SB_
    .private_segment_fixed_size: 64
    .sgpr_count:     36
    .sgpr_spill_count: 0
    .symbol:         _Z39paged_attention_ll4mi_QKV_mfma16_kernelIDF16_DF16_LN4vllm18Fp8KVCacheDataTypeE0EhLi16ELi64ELi256ELb1ELi7EEvPKT_PKT0_S7_ifPKiS9_S9_iPKfiiiPfSC_PS2_PT2_iSB_SB_.kd
    .uniform_work_group_size: 1
    .uses_dynamic_stack: false
    .vgpr_count:     51
    .vgpr_spill_count: 0
    .wavefront_size: 32
  - .args:
      - .actual_access:  read_only
        .address_space:  global
        .offset:         0
        .size:           8
        .value_kind:     global_buffer
      - .actual_access:  read_only
        .address_space:  global
        .offset:         8
        .size:           8
        .value_kind:     global_buffer
      - .actual_access:  read_only
        .address_space:  global
        .offset:         16
        .size:           8
        .value_kind:     global_buffer
      - .offset:         24
        .size:           4
        .value_kind:     by_value
      - .offset:         28
        .size:           4
        .value_kind:     by_value
      - .actual_access:  read_only
        .address_space:  global
        .offset:         32
        .size:           8
        .value_kind:     global_buffer
      - .actual_access:  read_only
        .address_space:  global
        .offset:         40
        .size:           8
        .value_kind:     global_buffer
      - .actual_access:  read_only
        .address_space:  global
        .offset:         48
        .size:           8
        .value_kind:     global_buffer
      - .offset:         56
        .size:           4
        .value_kind:     by_value
      - .actual_access:  read_only
        .address_space:  global
        .offset:         64
        .size:           8
        .value_kind:     global_buffer
      - .offset:         72
        .size:           4
        .value_kind:     by_value
      - .offset:         76
        .size:           4
        .value_kind:     by_value
      - .offset:         80
        .size:           4
        .value_kind:     by_value
      - .actual_access:  read_only
        .address_space:  global
        .offset:         88
        .size:           8
        .value_kind:     global_buffer
      - .actual_access:  read_only
        .address_space:  global
        .offset:         96
        .size:           8
        .value_kind:     global_buffer
      - .actual_access:  read_only
        .address_space:  global
        .offset:         104
        .size:           8
        .value_kind:     global_buffer
      - .actual_access:  read_only
        .address_space:  global
        .offset:         112
        .size:           8
        .value_kind:     global_buffer
      - .offset:         120
        .size:           4
        .value_kind:     by_value
      - .address_space:  global
        .offset:         128
        .size:           8
        .value_kind:     global_buffer
      - .address_space:  global
        .offset:         136
        .size:           8
        .value_kind:     global_buffer
      - .offset:         144
        .size:           4
        .value_kind:     hidden_block_count_x
      - .offset:         148
        .size:           4
        .value_kind:     hidden_block_count_y
      - .offset:         152
        .size:           4
        .value_kind:     hidden_block_count_z
      - .offset:         156
        .size:           2
        .value_kind:     hidden_group_size_x
      - .offset:         158
        .size:           2
        .value_kind:     hidden_group_size_y
      - .offset:         160
        .size:           2
        .value_kind:     hidden_group_size_z
      - .offset:         162
        .size:           2
        .value_kind:     hidden_remainder_x
      - .offset:         164
        .size:           2
        .value_kind:     hidden_remainder_y
      - .offset:         166
        .size:           2
        .value_kind:     hidden_remainder_z
      - .offset:         184
        .size:           8
        .value_kind:     hidden_global_offset_x
      - .offset:         192
        .size:           8
        .value_kind:     hidden_global_offset_y
      - .offset:         200
        .size:           8
        .value_kind:     hidden_global_offset_z
      - .offset:         208
        .size:           2
        .value_kind:     hidden_grid_dims
      - .offset:         224
        .size:           8
        .value_kind:     hidden_hostcall_buffer
    .group_segment_fixed_size: 0
    .kernarg_segment_align: 8
    .kernarg_segment_size: 400
    .language:       OpenCL C
    .language_version:
      - 2
      - 0
    .max_flat_workgroup_size: 256
    .name:           _Z39paged_attention_ll4mi_QKV_mfma16_kernelIDF16_DF16_LN4vllm18Fp8KVCacheDataTypeE0EhLi16ELi64ELi256ELb1ELi8EEvPKT_PKT0_S7_ifPKiS9_S9_iPKfiiiPfSC_PS2_PT2_iSB_SB_
    .private_segment_fixed_size: 64
    .sgpr_count:     36
    .sgpr_spill_count: 0
    .symbol:         _Z39paged_attention_ll4mi_QKV_mfma16_kernelIDF16_DF16_LN4vllm18Fp8KVCacheDataTypeE0EhLi16ELi64ELi256ELb1ELi8EEvPKT_PKT0_S7_ifPKiS9_S9_iPKfiiiPfSC_PS2_PT2_iSB_SB_.kd
    .uniform_work_group_size: 1
    .uses_dynamic_stack: false
    .vgpr_count:     51
    .vgpr_spill_count: 0
    .wavefront_size: 32
  - .args:
      - .actual_access:  read_only
        .address_space:  global
        .offset:         0
        .size:           8
        .value_kind:     global_buffer
      - .actual_access:  read_only
        .address_space:  global
        .offset:         8
        .size:           8
        .value_kind:     global_buffer
      - .actual_access:  read_only
        .address_space:  global
        .offset:         16
        .size:           8
        .value_kind:     global_buffer
      - .offset:         24
        .size:           4
        .value_kind:     by_value
      - .offset:         28
        .size:           4
        .value_kind:     by_value
      - .actual_access:  read_only
        .address_space:  global
        .offset:         32
        .size:           8
        .value_kind:     global_buffer
      - .actual_access:  read_only
        .address_space:  global
        .offset:         40
        .size:           8
        .value_kind:     global_buffer
      - .actual_access:  read_only
        .address_space:  global
        .offset:         48
        .size:           8
        .value_kind:     global_buffer
      - .offset:         56
        .size:           4
        .value_kind:     by_value
      - .actual_access:  read_only
        .address_space:  global
        .offset:         64
        .size:           8
        .value_kind:     global_buffer
      - .offset:         72
        .size:           4
        .value_kind:     by_value
      - .offset:         76
        .size:           4
        .value_kind:     by_value
      - .offset:         80
        .size:           4
        .value_kind:     by_value
      - .actual_access:  read_only
        .address_space:  global
        .offset:         88
        .size:           8
        .value_kind:     global_buffer
      - .actual_access:  read_only
        .address_space:  global
        .offset:         96
        .size:           8
        .value_kind:     global_buffer
      - .actual_access:  read_only
        .address_space:  global
        .offset:         104
        .size:           8
        .value_kind:     global_buffer
      - .actual_access:  read_only
        .address_space:  global
        .offset:         112
        .size:           8
        .value_kind:     global_buffer
      - .offset:         120
        .size:           4
        .value_kind:     by_value
      - .address_space:  global
        .offset:         128
        .size:           8
        .value_kind:     global_buffer
      - .address_space:  global
        .offset:         136
        .size:           8
        .value_kind:     global_buffer
      - .offset:         144
        .size:           4
        .value_kind:     hidden_block_count_x
      - .offset:         148
        .size:           4
        .value_kind:     hidden_block_count_y
      - .offset:         152
        .size:           4
        .value_kind:     hidden_block_count_z
      - .offset:         156
        .size:           2
        .value_kind:     hidden_group_size_x
      - .offset:         158
        .size:           2
        .value_kind:     hidden_group_size_y
      - .offset:         160
        .size:           2
        .value_kind:     hidden_group_size_z
      - .offset:         162
        .size:           2
        .value_kind:     hidden_remainder_x
      - .offset:         164
        .size:           2
        .value_kind:     hidden_remainder_y
      - .offset:         166
        .size:           2
        .value_kind:     hidden_remainder_z
      - .offset:         184
        .size:           8
        .value_kind:     hidden_global_offset_x
      - .offset:         192
        .size:           8
        .value_kind:     hidden_global_offset_y
      - .offset:         200
        .size:           8
        .value_kind:     hidden_global_offset_z
      - .offset:         208
        .size:           2
        .value_kind:     hidden_grid_dims
      - .offset:         224
        .size:           8
        .value_kind:     hidden_hostcall_buffer
    .group_segment_fixed_size: 0
    .kernarg_segment_align: 8
    .kernarg_segment_size: 400
    .language:       OpenCL C
    .language_version:
      - 2
      - 0
    .max_flat_workgroup_size: 256
    .name:           _Z39paged_attention_ll4mi_QKV_mfma16_kernelIDF16_DF16_LN4vllm18Fp8KVCacheDataTypeE0EhLi16ELi64ELi256ELb1ELi9EEvPKT_PKT0_S7_ifPKiS9_S9_iPKfiiiPfSC_PS2_PT2_iSB_SB_
    .private_segment_fixed_size: 64
    .sgpr_count:     36
    .sgpr_spill_count: 0
    .symbol:         _Z39paged_attention_ll4mi_QKV_mfma16_kernelIDF16_DF16_LN4vllm18Fp8KVCacheDataTypeE0EhLi16ELi64ELi256ELb1ELi9EEvPKT_PKT0_S7_ifPKiS9_S9_iPKfiiiPfSC_PS2_PT2_iSB_SB_.kd
    .uniform_work_group_size: 1
    .uses_dynamic_stack: false
    .vgpr_count:     51
    .vgpr_spill_count: 0
    .wavefront_size: 32
  - .args:
      - .actual_access:  read_only
        .address_space:  global
        .offset:         0
        .size:           8
        .value_kind:     global_buffer
      - .actual_access:  read_only
        .address_space:  global
        .offset:         8
        .size:           8
        .value_kind:     global_buffer
      - .actual_access:  read_only
        .address_space:  global
        .offset:         16
        .size:           8
        .value_kind:     global_buffer
      - .offset:         24
        .size:           4
        .value_kind:     by_value
      - .offset:         28
        .size:           4
        .value_kind:     by_value
      - .actual_access:  read_only
        .address_space:  global
        .offset:         32
        .size:           8
        .value_kind:     global_buffer
      - .actual_access:  read_only
        .address_space:  global
        .offset:         40
        .size:           8
        .value_kind:     global_buffer
      - .actual_access:  read_only
        .address_space:  global
        .offset:         48
        .size:           8
        .value_kind:     global_buffer
      - .offset:         56
        .size:           4
        .value_kind:     by_value
      - .actual_access:  read_only
        .address_space:  global
        .offset:         64
        .size:           8
        .value_kind:     global_buffer
      - .offset:         72
        .size:           4
        .value_kind:     by_value
      - .offset:         76
        .size:           4
        .value_kind:     by_value
      - .offset:         80
        .size:           4
        .value_kind:     by_value
      - .actual_access:  read_only
        .address_space:  global
        .offset:         88
        .size:           8
        .value_kind:     global_buffer
      - .actual_access:  read_only
        .address_space:  global
        .offset:         96
        .size:           8
        .value_kind:     global_buffer
      - .actual_access:  read_only
        .address_space:  global
        .offset:         104
        .size:           8
        .value_kind:     global_buffer
      - .actual_access:  read_only
        .address_space:  global
        .offset:         112
        .size:           8
        .value_kind:     global_buffer
      - .offset:         120
        .size:           4
        .value_kind:     by_value
      - .address_space:  global
        .offset:         128
        .size:           8
        .value_kind:     global_buffer
      - .address_space:  global
        .offset:         136
        .size:           8
        .value_kind:     global_buffer
      - .offset:         144
        .size:           4
        .value_kind:     hidden_block_count_x
      - .offset:         148
        .size:           4
        .value_kind:     hidden_block_count_y
      - .offset:         152
        .size:           4
        .value_kind:     hidden_block_count_z
      - .offset:         156
        .size:           2
        .value_kind:     hidden_group_size_x
      - .offset:         158
        .size:           2
        .value_kind:     hidden_group_size_y
      - .offset:         160
        .size:           2
        .value_kind:     hidden_group_size_z
      - .offset:         162
        .size:           2
        .value_kind:     hidden_remainder_x
      - .offset:         164
        .size:           2
        .value_kind:     hidden_remainder_y
      - .offset:         166
        .size:           2
        .value_kind:     hidden_remainder_z
      - .offset:         184
        .size:           8
        .value_kind:     hidden_global_offset_x
      - .offset:         192
        .size:           8
        .value_kind:     hidden_global_offset_y
      - .offset:         200
        .size:           8
        .value_kind:     hidden_global_offset_z
      - .offset:         208
        .size:           2
        .value_kind:     hidden_grid_dims
      - .offset:         224
        .size:           8
        .value_kind:     hidden_hostcall_buffer
    .group_segment_fixed_size: 0
    .kernarg_segment_align: 8
    .kernarg_segment_size: 400
    .language:       OpenCL C
    .language_version:
      - 2
      - 0
    .max_flat_workgroup_size: 256
    .name:           _Z39paged_attention_ll4mi_QKV_mfma16_kernelIDF16_DF16_LN4vllm18Fp8KVCacheDataTypeE0EhLi16ELi64ELi256ELb1ELi10EEvPKT_PKT0_S7_ifPKiS9_S9_iPKfiiiPfSC_PS2_PT2_iSB_SB_
    .private_segment_fixed_size: 64
    .sgpr_count:     36
    .sgpr_spill_count: 0
    .symbol:         _Z39paged_attention_ll4mi_QKV_mfma16_kernelIDF16_DF16_LN4vllm18Fp8KVCacheDataTypeE0EhLi16ELi64ELi256ELb1ELi10EEvPKT_PKT0_S7_ifPKiS9_S9_iPKfiiiPfSC_PS2_PT2_iSB_SB_.kd
    .uniform_work_group_size: 1
    .uses_dynamic_stack: false
    .vgpr_count:     51
    .vgpr_spill_count: 0
    .wavefront_size: 32
  - .args:
      - .actual_access:  read_only
        .address_space:  global
        .offset:         0
        .size:           8
        .value_kind:     global_buffer
      - .actual_access:  read_only
        .address_space:  global
        .offset:         8
        .size:           8
        .value_kind:     global_buffer
      - .actual_access:  read_only
        .address_space:  global
        .offset:         16
        .size:           8
        .value_kind:     global_buffer
      - .offset:         24
        .size:           4
        .value_kind:     by_value
      - .offset:         28
        .size:           4
        .value_kind:     by_value
      - .actual_access:  read_only
        .address_space:  global
        .offset:         32
        .size:           8
        .value_kind:     global_buffer
      - .actual_access:  read_only
        .address_space:  global
        .offset:         40
        .size:           8
        .value_kind:     global_buffer
      - .actual_access:  read_only
        .address_space:  global
        .offset:         48
        .size:           8
        .value_kind:     global_buffer
      - .offset:         56
        .size:           4
        .value_kind:     by_value
      - .actual_access:  read_only
        .address_space:  global
        .offset:         64
        .size:           8
        .value_kind:     global_buffer
      - .offset:         72
        .size:           4
        .value_kind:     by_value
      - .offset:         76
        .size:           4
        .value_kind:     by_value
      - .offset:         80
        .size:           4
        .value_kind:     by_value
      - .actual_access:  read_only
        .address_space:  global
        .offset:         88
        .size:           8
        .value_kind:     global_buffer
      - .actual_access:  read_only
        .address_space:  global
        .offset:         96
        .size:           8
        .value_kind:     global_buffer
      - .actual_access:  read_only
        .address_space:  global
        .offset:         104
        .size:           8
        .value_kind:     global_buffer
      - .actual_access:  read_only
        .address_space:  global
        .offset:         112
        .size:           8
        .value_kind:     global_buffer
      - .offset:         120
        .size:           4
        .value_kind:     by_value
      - .address_space:  global
        .offset:         128
        .size:           8
        .value_kind:     global_buffer
      - .address_space:  global
        .offset:         136
        .size:           8
        .value_kind:     global_buffer
      - .offset:         144
        .size:           4
        .value_kind:     hidden_block_count_x
      - .offset:         148
        .size:           4
        .value_kind:     hidden_block_count_y
      - .offset:         152
        .size:           4
        .value_kind:     hidden_block_count_z
      - .offset:         156
        .size:           2
        .value_kind:     hidden_group_size_x
      - .offset:         158
        .size:           2
        .value_kind:     hidden_group_size_y
      - .offset:         160
        .size:           2
        .value_kind:     hidden_group_size_z
      - .offset:         162
        .size:           2
        .value_kind:     hidden_remainder_x
      - .offset:         164
        .size:           2
        .value_kind:     hidden_remainder_y
      - .offset:         166
        .size:           2
        .value_kind:     hidden_remainder_z
      - .offset:         184
        .size:           8
        .value_kind:     hidden_global_offset_x
      - .offset:         192
        .size:           8
        .value_kind:     hidden_global_offset_y
      - .offset:         200
        .size:           8
        .value_kind:     hidden_global_offset_z
      - .offset:         208
        .size:           2
        .value_kind:     hidden_grid_dims
      - .offset:         224
        .size:           8
        .value_kind:     hidden_hostcall_buffer
    .group_segment_fixed_size: 0
    .kernarg_segment_align: 8
    .kernarg_segment_size: 400
    .language:       OpenCL C
    .language_version:
      - 2
      - 0
    .max_flat_workgroup_size: 256
    .name:           _Z39paged_attention_ll4mi_QKV_mfma16_kernelIDF16_DF16_LN4vllm18Fp8KVCacheDataTypeE0EhLi16ELi64ELi256ELb1ELi11EEvPKT_PKT0_S7_ifPKiS9_S9_iPKfiiiPfSC_PS2_PT2_iSB_SB_
    .private_segment_fixed_size: 64
    .sgpr_count:     36
    .sgpr_spill_count: 0
    .symbol:         _Z39paged_attention_ll4mi_QKV_mfma16_kernelIDF16_DF16_LN4vllm18Fp8KVCacheDataTypeE0EhLi16ELi64ELi256ELb1ELi11EEvPKT_PKT0_S7_ifPKiS9_S9_iPKfiiiPfSC_PS2_PT2_iSB_SB_.kd
    .uniform_work_group_size: 1
    .uses_dynamic_stack: false
    .vgpr_count:     51
    .vgpr_spill_count: 0
    .wavefront_size: 32
  - .args:
      - .actual_access:  read_only
        .address_space:  global
        .offset:         0
        .size:           8
        .value_kind:     global_buffer
      - .actual_access:  read_only
        .address_space:  global
        .offset:         8
        .size:           8
        .value_kind:     global_buffer
      - .actual_access:  read_only
        .address_space:  global
        .offset:         16
        .size:           8
        .value_kind:     global_buffer
      - .offset:         24
        .size:           4
        .value_kind:     by_value
      - .offset:         28
        .size:           4
        .value_kind:     by_value
      - .actual_access:  read_only
        .address_space:  global
        .offset:         32
        .size:           8
        .value_kind:     global_buffer
      - .actual_access:  read_only
        .address_space:  global
        .offset:         40
        .size:           8
        .value_kind:     global_buffer
      - .actual_access:  read_only
        .address_space:  global
        .offset:         48
        .size:           8
        .value_kind:     global_buffer
      - .offset:         56
        .size:           4
        .value_kind:     by_value
      - .actual_access:  read_only
        .address_space:  global
        .offset:         64
        .size:           8
        .value_kind:     global_buffer
      - .offset:         72
        .size:           4
        .value_kind:     by_value
      - .offset:         76
        .size:           4
        .value_kind:     by_value
      - .offset:         80
        .size:           4
        .value_kind:     by_value
      - .actual_access:  read_only
        .address_space:  global
        .offset:         88
        .size:           8
        .value_kind:     global_buffer
      - .actual_access:  read_only
        .address_space:  global
        .offset:         96
        .size:           8
        .value_kind:     global_buffer
      - .actual_access:  read_only
        .address_space:  global
        .offset:         104
        .size:           8
        .value_kind:     global_buffer
      - .actual_access:  read_only
        .address_space:  global
        .offset:         112
        .size:           8
        .value_kind:     global_buffer
      - .offset:         120
        .size:           4
        .value_kind:     by_value
      - .address_space:  global
        .offset:         128
        .size:           8
        .value_kind:     global_buffer
      - .address_space:  global
        .offset:         136
        .size:           8
        .value_kind:     global_buffer
      - .offset:         144
        .size:           4
        .value_kind:     hidden_block_count_x
      - .offset:         148
        .size:           4
        .value_kind:     hidden_block_count_y
      - .offset:         152
        .size:           4
        .value_kind:     hidden_block_count_z
      - .offset:         156
        .size:           2
        .value_kind:     hidden_group_size_x
      - .offset:         158
        .size:           2
        .value_kind:     hidden_group_size_y
      - .offset:         160
        .size:           2
        .value_kind:     hidden_group_size_z
      - .offset:         162
        .size:           2
        .value_kind:     hidden_remainder_x
      - .offset:         164
        .size:           2
        .value_kind:     hidden_remainder_y
      - .offset:         166
        .size:           2
        .value_kind:     hidden_remainder_z
      - .offset:         184
        .size:           8
        .value_kind:     hidden_global_offset_x
      - .offset:         192
        .size:           8
        .value_kind:     hidden_global_offset_y
      - .offset:         200
        .size:           8
        .value_kind:     hidden_global_offset_z
      - .offset:         208
        .size:           2
        .value_kind:     hidden_grid_dims
      - .offset:         224
        .size:           8
        .value_kind:     hidden_hostcall_buffer
    .group_segment_fixed_size: 0
    .kernarg_segment_align: 8
    .kernarg_segment_size: 400
    .language:       OpenCL C
    .language_version:
      - 2
      - 0
    .max_flat_workgroup_size: 256
    .name:           _Z39paged_attention_ll4mi_QKV_mfma16_kernelIDF16_DF16_LN4vllm18Fp8KVCacheDataTypeE0EhLi16ELi64ELi256ELb1ELi12EEvPKT_PKT0_S7_ifPKiS9_S9_iPKfiiiPfSC_PS2_PT2_iSB_SB_
    .private_segment_fixed_size: 64
    .sgpr_count:     36
    .sgpr_spill_count: 0
    .symbol:         _Z39paged_attention_ll4mi_QKV_mfma16_kernelIDF16_DF16_LN4vllm18Fp8KVCacheDataTypeE0EhLi16ELi64ELi256ELb1ELi12EEvPKT_PKT0_S7_ifPKiS9_S9_iPKfiiiPfSC_PS2_PT2_iSB_SB_.kd
    .uniform_work_group_size: 1
    .uses_dynamic_stack: false
    .vgpr_count:     51
    .vgpr_spill_count: 0
    .wavefront_size: 32
  - .args:
      - .actual_access:  read_only
        .address_space:  global
        .offset:         0
        .size:           8
        .value_kind:     global_buffer
      - .actual_access:  read_only
        .address_space:  global
        .offset:         8
        .size:           8
        .value_kind:     global_buffer
      - .actual_access:  read_only
        .address_space:  global
        .offset:         16
        .size:           8
        .value_kind:     global_buffer
      - .offset:         24
        .size:           4
        .value_kind:     by_value
      - .offset:         28
        .size:           4
        .value_kind:     by_value
      - .actual_access:  read_only
        .address_space:  global
        .offset:         32
        .size:           8
        .value_kind:     global_buffer
      - .actual_access:  read_only
        .address_space:  global
        .offset:         40
        .size:           8
        .value_kind:     global_buffer
      - .actual_access:  read_only
        .address_space:  global
        .offset:         48
        .size:           8
        .value_kind:     global_buffer
      - .offset:         56
        .size:           4
        .value_kind:     by_value
      - .actual_access:  read_only
        .address_space:  global
        .offset:         64
        .size:           8
        .value_kind:     global_buffer
      - .offset:         72
        .size:           4
        .value_kind:     by_value
      - .offset:         76
        .size:           4
        .value_kind:     by_value
      - .offset:         80
        .size:           4
        .value_kind:     by_value
      - .actual_access:  read_only
        .address_space:  global
        .offset:         88
        .size:           8
        .value_kind:     global_buffer
      - .actual_access:  read_only
        .address_space:  global
        .offset:         96
        .size:           8
        .value_kind:     global_buffer
      - .actual_access:  read_only
        .address_space:  global
        .offset:         104
        .size:           8
        .value_kind:     global_buffer
      - .actual_access:  read_only
        .address_space:  global
        .offset:         112
        .size:           8
        .value_kind:     global_buffer
      - .offset:         120
        .size:           4
        .value_kind:     by_value
      - .address_space:  global
        .offset:         128
        .size:           8
        .value_kind:     global_buffer
      - .address_space:  global
        .offset:         136
        .size:           8
        .value_kind:     global_buffer
      - .offset:         144
        .size:           4
        .value_kind:     hidden_block_count_x
      - .offset:         148
        .size:           4
        .value_kind:     hidden_block_count_y
      - .offset:         152
        .size:           4
        .value_kind:     hidden_block_count_z
      - .offset:         156
        .size:           2
        .value_kind:     hidden_group_size_x
      - .offset:         158
        .size:           2
        .value_kind:     hidden_group_size_y
      - .offset:         160
        .size:           2
        .value_kind:     hidden_group_size_z
      - .offset:         162
        .size:           2
        .value_kind:     hidden_remainder_x
      - .offset:         164
        .size:           2
        .value_kind:     hidden_remainder_y
      - .offset:         166
        .size:           2
        .value_kind:     hidden_remainder_z
      - .offset:         184
        .size:           8
        .value_kind:     hidden_global_offset_x
      - .offset:         192
        .size:           8
        .value_kind:     hidden_global_offset_y
      - .offset:         200
        .size:           8
        .value_kind:     hidden_global_offset_z
      - .offset:         208
        .size:           2
        .value_kind:     hidden_grid_dims
      - .offset:         224
        .size:           8
        .value_kind:     hidden_hostcall_buffer
    .group_segment_fixed_size: 0
    .kernarg_segment_align: 8
    .kernarg_segment_size: 400
    .language:       OpenCL C
    .language_version:
      - 2
      - 0
    .max_flat_workgroup_size: 256
    .name:           _Z39paged_attention_ll4mi_QKV_mfma16_kernelIDF16_DF16_LN4vllm18Fp8KVCacheDataTypeE0EhLi16ELi64ELi256ELb1ELi13EEvPKT_PKT0_S7_ifPKiS9_S9_iPKfiiiPfSC_PS2_PT2_iSB_SB_
    .private_segment_fixed_size: 64
    .sgpr_count:     36
    .sgpr_spill_count: 0
    .symbol:         _Z39paged_attention_ll4mi_QKV_mfma16_kernelIDF16_DF16_LN4vllm18Fp8KVCacheDataTypeE0EhLi16ELi64ELi256ELb1ELi13EEvPKT_PKT0_S7_ifPKiS9_S9_iPKfiiiPfSC_PS2_PT2_iSB_SB_.kd
    .uniform_work_group_size: 1
    .uses_dynamic_stack: false
    .vgpr_count:     51
    .vgpr_spill_count: 0
    .wavefront_size: 32
  - .args:
      - .actual_access:  read_only
        .address_space:  global
        .offset:         0
        .size:           8
        .value_kind:     global_buffer
      - .actual_access:  read_only
        .address_space:  global
        .offset:         8
        .size:           8
        .value_kind:     global_buffer
      - .actual_access:  read_only
        .address_space:  global
        .offset:         16
        .size:           8
        .value_kind:     global_buffer
      - .offset:         24
        .size:           4
        .value_kind:     by_value
      - .offset:         28
        .size:           4
        .value_kind:     by_value
      - .actual_access:  read_only
        .address_space:  global
        .offset:         32
        .size:           8
        .value_kind:     global_buffer
      - .actual_access:  read_only
        .address_space:  global
        .offset:         40
        .size:           8
        .value_kind:     global_buffer
      - .actual_access:  read_only
        .address_space:  global
        .offset:         48
        .size:           8
        .value_kind:     global_buffer
      - .offset:         56
        .size:           4
        .value_kind:     by_value
      - .actual_access:  read_only
        .address_space:  global
        .offset:         64
        .size:           8
        .value_kind:     global_buffer
      - .offset:         72
        .size:           4
        .value_kind:     by_value
      - .offset:         76
        .size:           4
        .value_kind:     by_value
      - .offset:         80
        .size:           4
        .value_kind:     by_value
      - .actual_access:  read_only
        .address_space:  global
        .offset:         88
        .size:           8
        .value_kind:     global_buffer
      - .actual_access:  read_only
        .address_space:  global
        .offset:         96
        .size:           8
        .value_kind:     global_buffer
      - .actual_access:  read_only
        .address_space:  global
        .offset:         104
        .size:           8
        .value_kind:     global_buffer
      - .actual_access:  read_only
        .address_space:  global
        .offset:         112
        .size:           8
        .value_kind:     global_buffer
      - .offset:         120
        .size:           4
        .value_kind:     by_value
      - .address_space:  global
        .offset:         128
        .size:           8
        .value_kind:     global_buffer
      - .address_space:  global
        .offset:         136
        .size:           8
        .value_kind:     global_buffer
      - .offset:         144
        .size:           4
        .value_kind:     hidden_block_count_x
      - .offset:         148
        .size:           4
        .value_kind:     hidden_block_count_y
      - .offset:         152
        .size:           4
        .value_kind:     hidden_block_count_z
      - .offset:         156
        .size:           2
        .value_kind:     hidden_group_size_x
      - .offset:         158
        .size:           2
        .value_kind:     hidden_group_size_y
      - .offset:         160
        .size:           2
        .value_kind:     hidden_group_size_z
      - .offset:         162
        .size:           2
        .value_kind:     hidden_remainder_x
      - .offset:         164
        .size:           2
        .value_kind:     hidden_remainder_y
      - .offset:         166
        .size:           2
        .value_kind:     hidden_remainder_z
      - .offset:         184
        .size:           8
        .value_kind:     hidden_global_offset_x
      - .offset:         192
        .size:           8
        .value_kind:     hidden_global_offset_y
      - .offset:         200
        .size:           8
        .value_kind:     hidden_global_offset_z
      - .offset:         208
        .size:           2
        .value_kind:     hidden_grid_dims
      - .offset:         224
        .size:           8
        .value_kind:     hidden_hostcall_buffer
    .group_segment_fixed_size: 0
    .kernarg_segment_align: 8
    .kernarg_segment_size: 400
    .language:       OpenCL C
    .language_version:
      - 2
      - 0
    .max_flat_workgroup_size: 256
    .name:           _Z39paged_attention_ll4mi_QKV_mfma16_kernelIDF16_DF16_LN4vllm18Fp8KVCacheDataTypeE0EhLi16ELi64ELi256ELb1ELi14EEvPKT_PKT0_S7_ifPKiS9_S9_iPKfiiiPfSC_PS2_PT2_iSB_SB_
    .private_segment_fixed_size: 64
    .sgpr_count:     36
    .sgpr_spill_count: 0
    .symbol:         _Z39paged_attention_ll4mi_QKV_mfma16_kernelIDF16_DF16_LN4vllm18Fp8KVCacheDataTypeE0EhLi16ELi64ELi256ELb1ELi14EEvPKT_PKT0_S7_ifPKiS9_S9_iPKfiiiPfSC_PS2_PT2_iSB_SB_.kd
    .uniform_work_group_size: 1
    .uses_dynamic_stack: false
    .vgpr_count:     51
    .vgpr_spill_count: 0
    .wavefront_size: 32
  - .args:
      - .actual_access:  read_only
        .address_space:  global
        .offset:         0
        .size:           8
        .value_kind:     global_buffer
      - .actual_access:  read_only
        .address_space:  global
        .offset:         8
        .size:           8
        .value_kind:     global_buffer
      - .actual_access:  read_only
        .address_space:  global
        .offset:         16
        .size:           8
        .value_kind:     global_buffer
      - .offset:         24
        .size:           4
        .value_kind:     by_value
      - .offset:         28
        .size:           4
        .value_kind:     by_value
      - .actual_access:  read_only
        .address_space:  global
        .offset:         32
        .size:           8
        .value_kind:     global_buffer
      - .actual_access:  read_only
        .address_space:  global
        .offset:         40
        .size:           8
        .value_kind:     global_buffer
      - .actual_access:  read_only
        .address_space:  global
        .offset:         48
        .size:           8
        .value_kind:     global_buffer
      - .offset:         56
        .size:           4
        .value_kind:     by_value
      - .actual_access:  read_only
        .address_space:  global
        .offset:         64
        .size:           8
        .value_kind:     global_buffer
      - .offset:         72
        .size:           4
        .value_kind:     by_value
      - .offset:         76
        .size:           4
        .value_kind:     by_value
      - .offset:         80
        .size:           4
        .value_kind:     by_value
      - .actual_access:  read_only
        .address_space:  global
        .offset:         88
        .size:           8
        .value_kind:     global_buffer
      - .actual_access:  read_only
        .address_space:  global
        .offset:         96
        .size:           8
        .value_kind:     global_buffer
      - .actual_access:  read_only
        .address_space:  global
        .offset:         104
        .size:           8
        .value_kind:     global_buffer
      - .actual_access:  read_only
        .address_space:  global
        .offset:         112
        .size:           8
        .value_kind:     global_buffer
      - .offset:         120
        .size:           4
        .value_kind:     by_value
      - .address_space:  global
        .offset:         128
        .size:           8
        .value_kind:     global_buffer
      - .address_space:  global
        .offset:         136
        .size:           8
        .value_kind:     global_buffer
      - .offset:         144
        .size:           4
        .value_kind:     hidden_block_count_x
      - .offset:         148
        .size:           4
        .value_kind:     hidden_block_count_y
      - .offset:         152
        .size:           4
        .value_kind:     hidden_block_count_z
      - .offset:         156
        .size:           2
        .value_kind:     hidden_group_size_x
      - .offset:         158
        .size:           2
        .value_kind:     hidden_group_size_y
      - .offset:         160
        .size:           2
        .value_kind:     hidden_group_size_z
      - .offset:         162
        .size:           2
        .value_kind:     hidden_remainder_x
      - .offset:         164
        .size:           2
        .value_kind:     hidden_remainder_y
      - .offset:         166
        .size:           2
        .value_kind:     hidden_remainder_z
      - .offset:         184
        .size:           8
        .value_kind:     hidden_global_offset_x
      - .offset:         192
        .size:           8
        .value_kind:     hidden_global_offset_y
      - .offset:         200
        .size:           8
        .value_kind:     hidden_global_offset_z
      - .offset:         208
        .size:           2
        .value_kind:     hidden_grid_dims
      - .offset:         224
        .size:           8
        .value_kind:     hidden_hostcall_buffer
    .group_segment_fixed_size: 0
    .kernarg_segment_align: 8
    .kernarg_segment_size: 400
    .language:       OpenCL C
    .language_version:
      - 2
      - 0
    .max_flat_workgroup_size: 256
    .name:           _Z39paged_attention_ll4mi_QKV_mfma16_kernelIDF16_DF16_LN4vllm18Fp8KVCacheDataTypeE0EhLi16ELi64ELi256ELb1ELi15EEvPKT_PKT0_S7_ifPKiS9_S9_iPKfiiiPfSC_PS2_PT2_iSB_SB_
    .private_segment_fixed_size: 64
    .sgpr_count:     36
    .sgpr_spill_count: 0
    .symbol:         _Z39paged_attention_ll4mi_QKV_mfma16_kernelIDF16_DF16_LN4vllm18Fp8KVCacheDataTypeE0EhLi16ELi64ELi256ELb1ELi15EEvPKT_PKT0_S7_ifPKiS9_S9_iPKfiiiPfSC_PS2_PT2_iSB_SB_.kd
    .uniform_work_group_size: 1
    .uses_dynamic_stack: false
    .vgpr_count:     51
    .vgpr_spill_count: 0
    .wavefront_size: 32
  - .args:
      - .actual_access:  read_only
        .address_space:  global
        .offset:         0
        .size:           8
        .value_kind:     global_buffer
      - .actual_access:  read_only
        .address_space:  global
        .offset:         8
        .size:           8
        .value_kind:     global_buffer
      - .actual_access:  read_only
        .address_space:  global
        .offset:         16
        .size:           8
        .value_kind:     global_buffer
      - .offset:         24
        .size:           4
        .value_kind:     by_value
      - .offset:         28
        .size:           4
        .value_kind:     by_value
      - .actual_access:  read_only
        .address_space:  global
        .offset:         32
        .size:           8
        .value_kind:     global_buffer
      - .actual_access:  read_only
        .address_space:  global
        .offset:         40
        .size:           8
        .value_kind:     global_buffer
      - .actual_access:  read_only
        .address_space:  global
        .offset:         48
        .size:           8
        .value_kind:     global_buffer
      - .offset:         56
        .size:           4
        .value_kind:     by_value
      - .actual_access:  read_only
        .address_space:  global
        .offset:         64
        .size:           8
        .value_kind:     global_buffer
      - .offset:         72
        .size:           4
        .value_kind:     by_value
      - .offset:         76
        .size:           4
        .value_kind:     by_value
      - .offset:         80
        .size:           4
        .value_kind:     by_value
      - .actual_access:  read_only
        .address_space:  global
        .offset:         88
        .size:           8
        .value_kind:     global_buffer
      - .actual_access:  read_only
        .address_space:  global
        .offset:         96
        .size:           8
        .value_kind:     global_buffer
      - .actual_access:  read_only
        .address_space:  global
        .offset:         104
        .size:           8
        .value_kind:     global_buffer
      - .actual_access:  read_only
        .address_space:  global
        .offset:         112
        .size:           8
        .value_kind:     global_buffer
      - .offset:         120
        .size:           4
        .value_kind:     by_value
      - .address_space:  global
        .offset:         128
        .size:           8
        .value_kind:     global_buffer
      - .address_space:  global
        .offset:         136
        .size:           8
        .value_kind:     global_buffer
      - .offset:         144
        .size:           4
        .value_kind:     hidden_block_count_x
      - .offset:         148
        .size:           4
        .value_kind:     hidden_block_count_y
      - .offset:         152
        .size:           4
        .value_kind:     hidden_block_count_z
      - .offset:         156
        .size:           2
        .value_kind:     hidden_group_size_x
      - .offset:         158
        .size:           2
        .value_kind:     hidden_group_size_y
      - .offset:         160
        .size:           2
        .value_kind:     hidden_group_size_z
      - .offset:         162
        .size:           2
        .value_kind:     hidden_remainder_x
      - .offset:         164
        .size:           2
        .value_kind:     hidden_remainder_y
      - .offset:         166
        .size:           2
        .value_kind:     hidden_remainder_z
      - .offset:         184
        .size:           8
        .value_kind:     hidden_global_offset_x
      - .offset:         192
        .size:           8
        .value_kind:     hidden_global_offset_y
      - .offset:         200
        .size:           8
        .value_kind:     hidden_global_offset_z
      - .offset:         208
        .size:           2
        .value_kind:     hidden_grid_dims
      - .offset:         224
        .size:           8
        .value_kind:     hidden_hostcall_buffer
    .group_segment_fixed_size: 0
    .kernarg_segment_align: 8
    .kernarg_segment_size: 400
    .language:       OpenCL C
    .language_version:
      - 2
      - 0
    .max_flat_workgroup_size: 256
    .name:           _Z39paged_attention_ll4mi_QKV_mfma16_kernelIDF16_DF16_LN4vllm18Fp8KVCacheDataTypeE0EhLi16ELi64ELi256ELb1ELi16EEvPKT_PKT0_S7_ifPKiS9_S9_iPKfiiiPfSC_PS2_PT2_iSB_SB_
    .private_segment_fixed_size: 64
    .sgpr_count:     36
    .sgpr_spill_count: 0
    .symbol:         _Z39paged_attention_ll4mi_QKV_mfma16_kernelIDF16_DF16_LN4vllm18Fp8KVCacheDataTypeE0EhLi16ELi64ELi256ELb1ELi16EEvPKT_PKT0_S7_ifPKiS9_S9_iPKfiiiPfSC_PS2_PT2_iSB_SB_.kd
    .uniform_work_group_size: 1
    .uses_dynamic_stack: false
    .vgpr_count:     51
    .vgpr_spill_count: 0
    .wavefront_size: 32
  - .args:
      - .actual_access:  read_only
        .address_space:  global
        .offset:         0
        .size:           8
        .value_kind:     global_buffer
      - .actual_access:  read_only
        .address_space:  global
        .offset:         8
        .size:           8
        .value_kind:     global_buffer
      - .actual_access:  read_only
        .address_space:  global
        .offset:         16
        .size:           8
        .value_kind:     global_buffer
      - .actual_access:  read_only
        .address_space:  global
        .offset:         24
        .size:           8
        .value_kind:     global_buffer
      - .actual_access:  read_only
        .address_space:  global
        .offset:         32
        .size:           8
        .value_kind:     global_buffer
      - .actual_access:  read_only
        .address_space:  global
        .offset:         40
        .size:           8
        .value_kind:     global_buffer
      - .offset:         48
        .size:           4
        .value_kind:     by_value
      - .actual_access:  read_only
        .address_space:  global
        .offset:         56
        .size:           8
        .value_kind:     global_buffer
      - .offset:         64
        .size:           4
        .value_kind:     hidden_block_count_x
      - .offset:         68
        .size:           4
        .value_kind:     hidden_block_count_y
      - .offset:         72
        .size:           4
        .value_kind:     hidden_block_count_z
      - .offset:         76
        .size:           2
        .value_kind:     hidden_group_size_x
      - .offset:         78
        .size:           2
        .value_kind:     hidden_group_size_y
      - .offset:         80
        .size:           2
        .value_kind:     hidden_group_size_z
      - .offset:         82
        .size:           2
        .value_kind:     hidden_remainder_x
      - .offset:         84
        .size:           2
        .value_kind:     hidden_remainder_y
      - .offset:         86
        .size:           2
        .value_kind:     hidden_remainder_z
      - .offset:         104
        .size:           8
        .value_kind:     hidden_global_offset_x
      - .offset:         112
        .size:           8
        .value_kind:     hidden_global_offset_y
      - .offset:         120
        .size:           8
        .value_kind:     hidden_global_offset_z
      - .offset:         128
        .size:           2
        .value_kind:     hidden_grid_dims
      - .offset:         144
        .size:           8
        .value_kind:     hidden_hostcall_buffer
    .group_segment_fixed_size: 0
    .kernarg_segment_align: 8
    .kernarg_segment_size: 320
    .language:       OpenCL C
    .language_version:
      - 2
      - 0
    .max_flat_workgroup_size: 64
    .name:           _Z35paged_attention_ll4mi_reduce_kernelIDF16_hLi64ELi64ELi256ELi1EEvPT0_PKfS3_PKT_PKiS8_iS3_
    .private_segment_fixed_size: 64
    .sgpr_count:     36
    .sgpr_spill_count: 0
    .symbol:         _Z35paged_attention_ll4mi_reduce_kernelIDF16_hLi64ELi64ELi256ELi1EEvPT0_PKfS3_PKT_PKiS8_iS3_.kd
    .uniform_work_group_size: 1
    .uses_dynamic_stack: false
    .vgpr_count:     51
    .vgpr_spill_count: 0
    .wavefront_size: 32
  - .args:
      - .actual_access:  read_only
        .address_space:  global
        .offset:         0
        .size:           8
        .value_kind:     global_buffer
      - .actual_access:  read_only
        .address_space:  global
        .offset:         8
        .size:           8
        .value_kind:     global_buffer
      - .actual_access:  read_only
        .address_space:  global
        .offset:         16
        .size:           8
        .value_kind:     global_buffer
      - .actual_access:  read_only
        .address_space:  global
        .offset:         24
        .size:           8
        .value_kind:     global_buffer
      - .actual_access:  read_only
        .address_space:  global
        .offset:         32
        .size:           8
        .value_kind:     global_buffer
      - .actual_access:  read_only
        .address_space:  global
        .offset:         40
        .size:           8
        .value_kind:     global_buffer
      - .offset:         48
        .size:           4
        .value_kind:     by_value
      - .actual_access:  read_only
        .address_space:  global
        .offset:         56
        .size:           8
        .value_kind:     global_buffer
      - .offset:         64
        .size:           4
        .value_kind:     hidden_block_count_x
      - .offset:         68
        .size:           4
        .value_kind:     hidden_block_count_y
      - .offset:         72
        .size:           4
        .value_kind:     hidden_block_count_z
      - .offset:         76
        .size:           2
        .value_kind:     hidden_group_size_x
      - .offset:         78
        .size:           2
        .value_kind:     hidden_group_size_y
      - .offset:         80
        .size:           2
        .value_kind:     hidden_group_size_z
      - .offset:         82
        .size:           2
        .value_kind:     hidden_remainder_x
      - .offset:         84
        .size:           2
        .value_kind:     hidden_remainder_y
      - .offset:         86
        .size:           2
        .value_kind:     hidden_remainder_z
      - .offset:         104
        .size:           8
        .value_kind:     hidden_global_offset_x
      - .offset:         112
        .size:           8
        .value_kind:     hidden_global_offset_y
      - .offset:         120
        .size:           8
        .value_kind:     hidden_global_offset_z
      - .offset:         128
        .size:           2
        .value_kind:     hidden_grid_dims
      - .offset:         144
        .size:           8
        .value_kind:     hidden_hostcall_buffer
    .group_segment_fixed_size: 0
    .kernarg_segment_align: 8
    .kernarg_segment_size: 320
    .language:       OpenCL C
    .language_version:
      - 2
      - 0
    .max_flat_workgroup_size: 64
    .name:           _Z35paged_attention_ll4mi_reduce_kernelIDF16_hLi64ELi64ELi256ELi2EEvPT0_PKfS3_PKT_PKiS8_iS3_
    .private_segment_fixed_size: 64
    .sgpr_count:     36
    .sgpr_spill_count: 0
    .symbol:         _Z35paged_attention_ll4mi_reduce_kernelIDF16_hLi64ELi64ELi256ELi2EEvPT0_PKfS3_PKT_PKiS8_iS3_.kd
    .uniform_work_group_size: 1
    .uses_dynamic_stack: false
    .vgpr_count:     51
    .vgpr_spill_count: 0
    .wavefront_size: 32
  - .args:
      - .actual_access:  read_only
        .address_space:  global
        .offset:         0
        .size:           8
        .value_kind:     global_buffer
      - .actual_access:  read_only
        .address_space:  global
        .offset:         8
        .size:           8
        .value_kind:     global_buffer
      - .actual_access:  read_only
        .address_space:  global
        .offset:         16
        .size:           8
        .value_kind:     global_buffer
      - .actual_access:  read_only
        .address_space:  global
        .offset:         24
        .size:           8
        .value_kind:     global_buffer
      - .actual_access:  read_only
        .address_space:  global
        .offset:         32
        .size:           8
        .value_kind:     global_buffer
      - .actual_access:  read_only
        .address_space:  global
        .offset:         40
        .size:           8
        .value_kind:     global_buffer
      - .offset:         48
        .size:           4
        .value_kind:     by_value
      - .actual_access:  read_only
        .address_space:  global
        .offset:         56
        .size:           8
        .value_kind:     global_buffer
      - .offset:         64
        .size:           4
        .value_kind:     hidden_block_count_x
      - .offset:         68
        .size:           4
        .value_kind:     hidden_block_count_y
      - .offset:         72
        .size:           4
        .value_kind:     hidden_block_count_z
      - .offset:         76
        .size:           2
        .value_kind:     hidden_group_size_x
      - .offset:         78
        .size:           2
        .value_kind:     hidden_group_size_y
      - .offset:         80
        .size:           2
        .value_kind:     hidden_group_size_z
      - .offset:         82
        .size:           2
        .value_kind:     hidden_remainder_x
      - .offset:         84
        .size:           2
        .value_kind:     hidden_remainder_y
      - .offset:         86
        .size:           2
        .value_kind:     hidden_remainder_z
      - .offset:         104
        .size:           8
        .value_kind:     hidden_global_offset_x
      - .offset:         112
        .size:           8
        .value_kind:     hidden_global_offset_y
      - .offset:         120
        .size:           8
        .value_kind:     hidden_global_offset_z
      - .offset:         128
        .size:           2
        .value_kind:     hidden_grid_dims
      - .offset:         144
        .size:           8
        .value_kind:     hidden_hostcall_buffer
    .group_segment_fixed_size: 0
    .kernarg_segment_align: 8
    .kernarg_segment_size: 320
    .language:       OpenCL C
    .language_version:
      - 2
      - 0
    .max_flat_workgroup_size: 64
    .name:           _Z35paged_attention_ll4mi_reduce_kernelIDF16_hLi64ELi64ELi256ELi3EEvPT0_PKfS3_PKT_PKiS8_iS3_
    .private_segment_fixed_size: 64
    .sgpr_count:     36
    .sgpr_spill_count: 0
    .symbol:         _Z35paged_attention_ll4mi_reduce_kernelIDF16_hLi64ELi64ELi256ELi3EEvPT0_PKfS3_PKT_PKiS8_iS3_.kd
    .uniform_work_group_size: 1
    .uses_dynamic_stack: false
    .vgpr_count:     51
    .vgpr_spill_count: 0
    .wavefront_size: 32
  - .args:
      - .actual_access:  read_only
        .address_space:  global
        .offset:         0
        .size:           8
        .value_kind:     global_buffer
      - .actual_access:  read_only
        .address_space:  global
        .offset:         8
        .size:           8
        .value_kind:     global_buffer
      - .actual_access:  read_only
        .address_space:  global
        .offset:         16
        .size:           8
        .value_kind:     global_buffer
      - .actual_access:  read_only
        .address_space:  global
        .offset:         24
        .size:           8
        .value_kind:     global_buffer
      - .actual_access:  read_only
        .address_space:  global
        .offset:         32
        .size:           8
        .value_kind:     global_buffer
      - .actual_access:  read_only
        .address_space:  global
        .offset:         40
        .size:           8
        .value_kind:     global_buffer
      - .offset:         48
        .size:           4
        .value_kind:     by_value
      - .actual_access:  read_only
        .address_space:  global
        .offset:         56
        .size:           8
        .value_kind:     global_buffer
      - .offset:         64
        .size:           4
        .value_kind:     hidden_block_count_x
      - .offset:         68
        .size:           4
        .value_kind:     hidden_block_count_y
      - .offset:         72
        .size:           4
        .value_kind:     hidden_block_count_z
      - .offset:         76
        .size:           2
        .value_kind:     hidden_group_size_x
      - .offset:         78
        .size:           2
        .value_kind:     hidden_group_size_y
      - .offset:         80
        .size:           2
        .value_kind:     hidden_group_size_z
      - .offset:         82
        .size:           2
        .value_kind:     hidden_remainder_x
      - .offset:         84
        .size:           2
        .value_kind:     hidden_remainder_y
      - .offset:         86
        .size:           2
        .value_kind:     hidden_remainder_z
      - .offset:         104
        .size:           8
        .value_kind:     hidden_global_offset_x
      - .offset:         112
        .size:           8
        .value_kind:     hidden_global_offset_y
      - .offset:         120
        .size:           8
        .value_kind:     hidden_global_offset_z
      - .offset:         128
        .size:           2
        .value_kind:     hidden_grid_dims
      - .offset:         144
        .size:           8
        .value_kind:     hidden_hostcall_buffer
    .group_segment_fixed_size: 0
    .kernarg_segment_align: 8
    .kernarg_segment_size: 320
    .language:       OpenCL C
    .language_version:
      - 2
      - 0
    .max_flat_workgroup_size: 64
    .name:           _Z35paged_attention_ll4mi_reduce_kernelIDF16_hLi64ELi64ELi256ELi4EEvPT0_PKfS3_PKT_PKiS8_iS3_
    .private_segment_fixed_size: 64
    .sgpr_count:     36
    .sgpr_spill_count: 0
    .symbol:         _Z35paged_attention_ll4mi_reduce_kernelIDF16_hLi64ELi64ELi256ELi4EEvPT0_PKfS3_PKT_PKiS8_iS3_.kd
    .uniform_work_group_size: 1
    .uses_dynamic_stack: false
    .vgpr_count:     51
    .vgpr_spill_count: 0
    .wavefront_size: 32
  - .args:
      - .actual_access:  read_only
        .address_space:  global
        .offset:         0
        .size:           8
        .value_kind:     global_buffer
      - .actual_access:  read_only
        .address_space:  global
        .offset:         8
        .size:           8
        .value_kind:     global_buffer
      - .actual_access:  read_only
        .address_space:  global
        .offset:         16
        .size:           8
        .value_kind:     global_buffer
      - .actual_access:  read_only
        .address_space:  global
        .offset:         24
        .size:           8
        .value_kind:     global_buffer
      - .actual_access:  read_only
        .address_space:  global
        .offset:         32
        .size:           8
        .value_kind:     global_buffer
      - .actual_access:  read_only
        .address_space:  global
        .offset:         40
        .size:           8
        .value_kind:     global_buffer
      - .offset:         48
        .size:           4
        .value_kind:     by_value
      - .actual_access:  read_only
        .address_space:  global
        .offset:         56
        .size:           8
        .value_kind:     global_buffer
      - .offset:         64
        .size:           4
        .value_kind:     hidden_block_count_x
      - .offset:         68
        .size:           4
        .value_kind:     hidden_block_count_y
      - .offset:         72
        .size:           4
        .value_kind:     hidden_block_count_z
      - .offset:         76
        .size:           2
        .value_kind:     hidden_group_size_x
      - .offset:         78
        .size:           2
        .value_kind:     hidden_group_size_y
      - .offset:         80
        .size:           2
        .value_kind:     hidden_group_size_z
      - .offset:         82
        .size:           2
        .value_kind:     hidden_remainder_x
      - .offset:         84
        .size:           2
        .value_kind:     hidden_remainder_y
      - .offset:         86
        .size:           2
        .value_kind:     hidden_remainder_z
      - .offset:         104
        .size:           8
        .value_kind:     hidden_global_offset_x
      - .offset:         112
        .size:           8
        .value_kind:     hidden_global_offset_y
      - .offset:         120
        .size:           8
        .value_kind:     hidden_global_offset_z
      - .offset:         128
        .size:           2
        .value_kind:     hidden_grid_dims
      - .offset:         144
        .size:           8
        .value_kind:     hidden_hostcall_buffer
    .group_segment_fixed_size: 0
    .kernarg_segment_align: 8
    .kernarg_segment_size: 320
    .language:       OpenCL C
    .language_version:
      - 2
      - 0
    .max_flat_workgroup_size: 64
    .name:           _Z35paged_attention_ll4mi_reduce_kernelIDF16_hLi64ELi64ELi256ELi5EEvPT0_PKfS3_PKT_PKiS8_iS3_
    .private_segment_fixed_size: 64
    .sgpr_count:     36
    .sgpr_spill_count: 0
    .symbol:         _Z35paged_attention_ll4mi_reduce_kernelIDF16_hLi64ELi64ELi256ELi5EEvPT0_PKfS3_PKT_PKiS8_iS3_.kd
    .uniform_work_group_size: 1
    .uses_dynamic_stack: false
    .vgpr_count:     51
    .vgpr_spill_count: 0
    .wavefront_size: 32
  - .args:
      - .actual_access:  read_only
        .address_space:  global
        .offset:         0
        .size:           8
        .value_kind:     global_buffer
      - .actual_access:  read_only
        .address_space:  global
        .offset:         8
        .size:           8
        .value_kind:     global_buffer
      - .actual_access:  read_only
        .address_space:  global
        .offset:         16
        .size:           8
        .value_kind:     global_buffer
      - .actual_access:  read_only
        .address_space:  global
        .offset:         24
        .size:           8
        .value_kind:     global_buffer
      - .actual_access:  read_only
        .address_space:  global
        .offset:         32
        .size:           8
        .value_kind:     global_buffer
      - .actual_access:  read_only
        .address_space:  global
        .offset:         40
        .size:           8
        .value_kind:     global_buffer
      - .offset:         48
        .size:           4
        .value_kind:     by_value
      - .actual_access:  read_only
        .address_space:  global
        .offset:         56
        .size:           8
        .value_kind:     global_buffer
      - .offset:         64
        .size:           4
        .value_kind:     hidden_block_count_x
      - .offset:         68
        .size:           4
        .value_kind:     hidden_block_count_y
      - .offset:         72
        .size:           4
        .value_kind:     hidden_block_count_z
      - .offset:         76
        .size:           2
        .value_kind:     hidden_group_size_x
      - .offset:         78
        .size:           2
        .value_kind:     hidden_group_size_y
      - .offset:         80
        .size:           2
        .value_kind:     hidden_group_size_z
      - .offset:         82
        .size:           2
        .value_kind:     hidden_remainder_x
      - .offset:         84
        .size:           2
        .value_kind:     hidden_remainder_y
      - .offset:         86
        .size:           2
        .value_kind:     hidden_remainder_z
      - .offset:         104
        .size:           8
        .value_kind:     hidden_global_offset_x
      - .offset:         112
        .size:           8
        .value_kind:     hidden_global_offset_y
      - .offset:         120
        .size:           8
        .value_kind:     hidden_global_offset_z
      - .offset:         128
        .size:           2
        .value_kind:     hidden_grid_dims
      - .offset:         144
        .size:           8
        .value_kind:     hidden_hostcall_buffer
    .group_segment_fixed_size: 0
    .kernarg_segment_align: 8
    .kernarg_segment_size: 320
    .language:       OpenCL C
    .language_version:
      - 2
      - 0
    .max_flat_workgroup_size: 64
    .name:           _Z35paged_attention_ll4mi_reduce_kernelIDF16_hLi64ELi64ELi256ELi6EEvPT0_PKfS3_PKT_PKiS8_iS3_
    .private_segment_fixed_size: 64
    .sgpr_count:     36
    .sgpr_spill_count: 0
    .symbol:         _Z35paged_attention_ll4mi_reduce_kernelIDF16_hLi64ELi64ELi256ELi6EEvPT0_PKfS3_PKT_PKiS8_iS3_.kd
    .uniform_work_group_size: 1
    .uses_dynamic_stack: false
    .vgpr_count:     51
    .vgpr_spill_count: 0
    .wavefront_size: 32
  - .args:
      - .actual_access:  read_only
        .address_space:  global
        .offset:         0
        .size:           8
        .value_kind:     global_buffer
      - .actual_access:  read_only
        .address_space:  global
        .offset:         8
        .size:           8
        .value_kind:     global_buffer
      - .actual_access:  read_only
        .address_space:  global
        .offset:         16
        .size:           8
        .value_kind:     global_buffer
      - .actual_access:  read_only
        .address_space:  global
        .offset:         24
        .size:           8
        .value_kind:     global_buffer
      - .actual_access:  read_only
        .address_space:  global
        .offset:         32
        .size:           8
        .value_kind:     global_buffer
      - .actual_access:  read_only
        .address_space:  global
        .offset:         40
        .size:           8
        .value_kind:     global_buffer
      - .offset:         48
        .size:           4
        .value_kind:     by_value
      - .actual_access:  read_only
        .address_space:  global
        .offset:         56
        .size:           8
        .value_kind:     global_buffer
      - .offset:         64
        .size:           4
        .value_kind:     hidden_block_count_x
      - .offset:         68
        .size:           4
        .value_kind:     hidden_block_count_y
      - .offset:         72
        .size:           4
        .value_kind:     hidden_block_count_z
      - .offset:         76
        .size:           2
        .value_kind:     hidden_group_size_x
      - .offset:         78
        .size:           2
        .value_kind:     hidden_group_size_y
      - .offset:         80
        .size:           2
        .value_kind:     hidden_group_size_z
      - .offset:         82
        .size:           2
        .value_kind:     hidden_remainder_x
      - .offset:         84
        .size:           2
        .value_kind:     hidden_remainder_y
      - .offset:         86
        .size:           2
        .value_kind:     hidden_remainder_z
      - .offset:         104
        .size:           8
        .value_kind:     hidden_global_offset_x
      - .offset:         112
        .size:           8
        .value_kind:     hidden_global_offset_y
      - .offset:         120
        .size:           8
        .value_kind:     hidden_global_offset_z
      - .offset:         128
        .size:           2
        .value_kind:     hidden_grid_dims
      - .offset:         144
        .size:           8
        .value_kind:     hidden_hostcall_buffer
    .group_segment_fixed_size: 0
    .kernarg_segment_align: 8
    .kernarg_segment_size: 320
    .language:       OpenCL C
    .language_version:
      - 2
      - 0
    .max_flat_workgroup_size: 64
    .name:           _Z35paged_attention_ll4mi_reduce_kernelIDF16_hLi64ELi64ELi256ELi7EEvPT0_PKfS3_PKT_PKiS8_iS3_
    .private_segment_fixed_size: 64
    .sgpr_count:     36
    .sgpr_spill_count: 0
    .symbol:         _Z35paged_attention_ll4mi_reduce_kernelIDF16_hLi64ELi64ELi256ELi7EEvPT0_PKfS3_PKT_PKiS8_iS3_.kd
    .uniform_work_group_size: 1
    .uses_dynamic_stack: false
    .vgpr_count:     51
    .vgpr_spill_count: 0
    .wavefront_size: 32
  - .args:
      - .actual_access:  read_only
        .address_space:  global
        .offset:         0
        .size:           8
        .value_kind:     global_buffer
      - .actual_access:  read_only
        .address_space:  global
        .offset:         8
        .size:           8
        .value_kind:     global_buffer
      - .actual_access:  read_only
        .address_space:  global
        .offset:         16
        .size:           8
        .value_kind:     global_buffer
      - .actual_access:  read_only
        .address_space:  global
        .offset:         24
        .size:           8
        .value_kind:     global_buffer
      - .actual_access:  read_only
        .address_space:  global
        .offset:         32
        .size:           8
        .value_kind:     global_buffer
      - .actual_access:  read_only
        .address_space:  global
        .offset:         40
        .size:           8
        .value_kind:     global_buffer
      - .offset:         48
        .size:           4
        .value_kind:     by_value
      - .actual_access:  read_only
        .address_space:  global
        .offset:         56
        .size:           8
        .value_kind:     global_buffer
      - .offset:         64
        .size:           4
        .value_kind:     hidden_block_count_x
      - .offset:         68
        .size:           4
        .value_kind:     hidden_block_count_y
      - .offset:         72
        .size:           4
        .value_kind:     hidden_block_count_z
      - .offset:         76
        .size:           2
        .value_kind:     hidden_group_size_x
      - .offset:         78
        .size:           2
        .value_kind:     hidden_group_size_y
      - .offset:         80
        .size:           2
        .value_kind:     hidden_group_size_z
      - .offset:         82
        .size:           2
        .value_kind:     hidden_remainder_x
      - .offset:         84
        .size:           2
        .value_kind:     hidden_remainder_y
      - .offset:         86
        .size:           2
        .value_kind:     hidden_remainder_z
      - .offset:         104
        .size:           8
        .value_kind:     hidden_global_offset_x
      - .offset:         112
        .size:           8
        .value_kind:     hidden_global_offset_y
      - .offset:         120
        .size:           8
        .value_kind:     hidden_global_offset_z
      - .offset:         128
        .size:           2
        .value_kind:     hidden_grid_dims
      - .offset:         144
        .size:           8
        .value_kind:     hidden_hostcall_buffer
    .group_segment_fixed_size: 0
    .kernarg_segment_align: 8
    .kernarg_segment_size: 320
    .language:       OpenCL C
    .language_version:
      - 2
      - 0
    .max_flat_workgroup_size: 64
    .name:           _Z35paged_attention_ll4mi_reduce_kernelIDF16_hLi64ELi64ELi256ELi8EEvPT0_PKfS3_PKT_PKiS8_iS3_
    .private_segment_fixed_size: 64
    .sgpr_count:     36
    .sgpr_spill_count: 0
    .symbol:         _Z35paged_attention_ll4mi_reduce_kernelIDF16_hLi64ELi64ELi256ELi8EEvPT0_PKfS3_PKT_PKiS8_iS3_.kd
    .uniform_work_group_size: 1
    .uses_dynamic_stack: false
    .vgpr_count:     51
    .vgpr_spill_count: 0
    .wavefront_size: 32
  - .args:
      - .actual_access:  read_only
        .address_space:  global
        .offset:         0
        .size:           8
        .value_kind:     global_buffer
      - .actual_access:  read_only
        .address_space:  global
        .offset:         8
        .size:           8
        .value_kind:     global_buffer
      - .actual_access:  read_only
        .address_space:  global
        .offset:         16
        .size:           8
        .value_kind:     global_buffer
      - .offset:         24
        .size:           4
        .value_kind:     by_value
      - .offset:         28
        .size:           4
        .value_kind:     by_value
      - .actual_access:  read_only
        .address_space:  global
        .offset:         32
        .size:           8
        .value_kind:     global_buffer
      - .actual_access:  read_only
        .address_space:  global
        .offset:         40
        .size:           8
        .value_kind:     global_buffer
      - .actual_access:  read_only
        .address_space:  global
        .offset:         48
        .size:           8
        .value_kind:     global_buffer
      - .offset:         56
        .size:           4
        .value_kind:     by_value
      - .actual_access:  read_only
        .address_space:  global
        .offset:         64
        .size:           8
        .value_kind:     global_buffer
      - .offset:         72
        .size:           4
        .value_kind:     by_value
      - .offset:         76
        .size:           4
        .value_kind:     by_value
      - .offset:         80
        .size:           4
        .value_kind:     by_value
      - .actual_access:  read_only
        .address_space:  global
        .offset:         88
        .size:           8
        .value_kind:     global_buffer
      - .actual_access:  read_only
        .address_space:  global
        .offset:         96
        .size:           8
        .value_kind:     global_buffer
      - .actual_access:  read_only
        .address_space:  global
        .offset:         104
        .size:           8
        .value_kind:     global_buffer
      - .actual_access:  read_only
        .address_space:  global
        .offset:         112
        .size:           8
        .value_kind:     global_buffer
      - .offset:         120
        .size:           4
        .value_kind:     by_value
      - .address_space:  global
        .offset:         128
        .size:           8
        .value_kind:     global_buffer
      - .address_space:  global
        .offset:         136
        .size:           8
        .value_kind:     global_buffer
      - .offset:         144
        .size:           4
        .value_kind:     hidden_block_count_x
      - .offset:         148
        .size:           4
        .value_kind:     hidden_block_count_y
      - .offset:         152
        .size:           4
        .value_kind:     hidden_block_count_z
      - .offset:         156
        .size:           2
        .value_kind:     hidden_group_size_x
      - .offset:         158
        .size:           2
        .value_kind:     hidden_group_size_y
      - .offset:         160
        .size:           2
        .value_kind:     hidden_group_size_z
      - .offset:         162
        .size:           2
        .value_kind:     hidden_remainder_x
      - .offset:         164
        .size:           2
        .value_kind:     hidden_remainder_y
      - .offset:         166
        .size:           2
        .value_kind:     hidden_remainder_z
      - .offset:         184
        .size:           8
        .value_kind:     hidden_global_offset_x
      - .offset:         192
        .size:           8
        .value_kind:     hidden_global_offset_y
      - .offset:         200
        .size:           8
        .value_kind:     hidden_global_offset_z
      - .offset:         208
        .size:           2
        .value_kind:     hidden_grid_dims
      - .offset:         224
        .size:           8
        .value_kind:     hidden_hostcall_buffer
    .group_segment_fixed_size: 0
    .kernarg_segment_align: 8
    .kernarg_segment_size: 400
    .language:       OpenCL C
    .language_version:
      - 2
      - 0
    .max_flat_workgroup_size: 256
    .name:           _Z39paged_attention_ll4mi_QKV_mfma16_kernelIDF16_DF16_LN4vllm18Fp8KVCacheDataTypeE0EhLi16ELi64ELi256ELb1ELi1EEvPKT_PKT0_S7_ifPKiS9_S9_iPKfiiiPfSC_PS2_PT2_iSB_SB_
    .private_segment_fixed_size: 64
    .sgpr_count:     36
    .sgpr_spill_count: 0
    .symbol:         _Z39paged_attention_ll4mi_QKV_mfma16_kernelIDF16_DF16_LN4vllm18Fp8KVCacheDataTypeE0EhLi16ELi64ELi256ELb1ELi1EEvPKT_PKT0_S7_ifPKiS9_S9_iPKfiiiPfSC_PS2_PT2_iSB_SB_.kd
    .uniform_work_group_size: 1
    .uses_dynamic_stack: false
    .vgpr_count:     51
    .vgpr_spill_count: 0
    .wavefront_size: 32
  - .args:
      - .actual_access:  read_only
        .address_space:  global
        .offset:         0
        .size:           8
        .value_kind:     global_buffer
      - .actual_access:  read_only
        .address_space:  global
        .offset:         8
        .size:           8
        .value_kind:     global_buffer
      - .actual_access:  read_only
        .address_space:  global
        .offset:         16
        .size:           8
        .value_kind:     global_buffer
      - .offset:         24
        .size:           4
        .value_kind:     by_value
      - .offset:         28
        .size:           4
        .value_kind:     by_value
      - .actual_access:  read_only
        .address_space:  global
        .offset:         32
        .size:           8
        .value_kind:     global_buffer
      - .actual_access:  read_only
        .address_space:  global
        .offset:         40
        .size:           8
        .value_kind:     global_buffer
      - .actual_access:  read_only
        .address_space:  global
        .offset:         48
        .size:           8
        .value_kind:     global_buffer
      - .offset:         56
        .size:           4
        .value_kind:     by_value
      - .actual_access:  read_only
        .address_space:  global
        .offset:         64
        .size:           8
        .value_kind:     global_buffer
      - .offset:         72
        .size:           4
        .value_kind:     by_value
      - .offset:         76
        .size:           4
        .value_kind:     by_value
      - .offset:         80
        .size:           4
        .value_kind:     by_value
      - .actual_access:  read_only
        .address_space:  global
        .offset:         88
        .size:           8
        .value_kind:     global_buffer
      - .actual_access:  read_only
        .address_space:  global
        .offset:         96
        .size:           8
        .value_kind:     global_buffer
      - .actual_access:  read_only
        .address_space:  global
        .offset:         104
        .size:           8
        .value_kind:     global_buffer
      - .actual_access:  read_only
        .address_space:  global
        .offset:         112
        .size:           8
        .value_kind:     global_buffer
      - .offset:         120
        .size:           4
        .value_kind:     by_value
      - .address_space:  global
        .offset:         128
        .size:           8
        .value_kind:     global_buffer
      - .address_space:  global
        .offset:         136
        .size:           8
        .value_kind:     global_buffer
      - .offset:         144
        .size:           4
        .value_kind:     hidden_block_count_x
      - .offset:         148
        .size:           4
        .value_kind:     hidden_block_count_y
      - .offset:         152
        .size:           4
        .value_kind:     hidden_block_count_z
      - .offset:         156
        .size:           2
        .value_kind:     hidden_group_size_x
      - .offset:         158
        .size:           2
        .value_kind:     hidden_group_size_y
      - .offset:         160
        .size:           2
        .value_kind:     hidden_group_size_z
      - .offset:         162
        .size:           2
        .value_kind:     hidden_remainder_x
      - .offset:         164
        .size:           2
        .value_kind:     hidden_remainder_y
      - .offset:         166
        .size:           2
        .value_kind:     hidden_remainder_z
      - .offset:         184
        .size:           8
        .value_kind:     hidden_global_offset_x
      - .offset:         192
        .size:           8
        .value_kind:     hidden_global_offset_y
      - .offset:         200
        .size:           8
        .value_kind:     hidden_global_offset_z
      - .offset:         208
        .size:           2
        .value_kind:     hidden_grid_dims
      - .offset:         224
        .size:           8
        .value_kind:     hidden_hostcall_buffer
    .group_segment_fixed_size: 0
    .kernarg_segment_align: 8
    .kernarg_segment_size: 400
    .language:       OpenCL C
    .language_version:
      - 2
      - 0
    .max_flat_workgroup_size: 256
    .name:           _Z39paged_attention_ll4mi_QKV_mfma16_kernelIDF16_DF16_LN4vllm18Fp8KVCacheDataTypeE0EhLi16ELi64ELi256ELb1ELi2EEvPKT_PKT0_S7_ifPKiS9_S9_iPKfiiiPfSC_PS2_PT2_iSB_SB_
    .private_segment_fixed_size: 64
    .sgpr_count:     36
    .sgpr_spill_count: 0
    .symbol:         _Z39paged_attention_ll4mi_QKV_mfma16_kernelIDF16_DF16_LN4vllm18Fp8KVCacheDataTypeE0EhLi16ELi64ELi256ELb1ELi2EEvPKT_PKT0_S7_ifPKiS9_S9_iPKfiiiPfSC_PS2_PT2_iSB_SB_.kd
    .uniform_work_group_size: 1
    .uses_dynamic_stack: false
    .vgpr_count:     51
    .vgpr_spill_count: 0
    .wavefront_size: 32
  - .args:
      - .actual_access:  read_only
        .address_space:  global
        .offset:         0
        .size:           8
        .value_kind:     global_buffer
      - .actual_access:  read_only
        .address_space:  global
        .offset:         8
        .size:           8
        .value_kind:     global_buffer
      - .actual_access:  read_only
        .address_space:  global
        .offset:         16
        .size:           8
        .value_kind:     global_buffer
      - .offset:         24
        .size:           4
        .value_kind:     by_value
      - .offset:         28
        .size:           4
        .value_kind:     by_value
      - .actual_access:  read_only
        .address_space:  global
        .offset:         32
        .size:           8
        .value_kind:     global_buffer
      - .actual_access:  read_only
        .address_space:  global
        .offset:         40
        .size:           8
        .value_kind:     global_buffer
      - .actual_access:  read_only
        .address_space:  global
        .offset:         48
        .size:           8
        .value_kind:     global_buffer
      - .offset:         56
        .size:           4
        .value_kind:     by_value
      - .actual_access:  read_only
        .address_space:  global
        .offset:         64
        .size:           8
        .value_kind:     global_buffer
      - .offset:         72
        .size:           4
        .value_kind:     by_value
      - .offset:         76
        .size:           4
        .value_kind:     by_value
      - .offset:         80
        .size:           4
        .value_kind:     by_value
      - .actual_access:  read_only
        .address_space:  global
        .offset:         88
        .size:           8
        .value_kind:     global_buffer
      - .actual_access:  read_only
        .address_space:  global
        .offset:         96
        .size:           8
        .value_kind:     global_buffer
      - .actual_access:  read_only
        .address_space:  global
        .offset:         104
        .size:           8
        .value_kind:     global_buffer
      - .actual_access:  read_only
        .address_space:  global
        .offset:         112
        .size:           8
        .value_kind:     global_buffer
      - .offset:         120
        .size:           4
        .value_kind:     by_value
      - .address_space:  global
        .offset:         128
        .size:           8
        .value_kind:     global_buffer
      - .address_space:  global
        .offset:         136
        .size:           8
        .value_kind:     global_buffer
      - .offset:         144
        .size:           4
        .value_kind:     hidden_block_count_x
      - .offset:         148
        .size:           4
        .value_kind:     hidden_block_count_y
      - .offset:         152
        .size:           4
        .value_kind:     hidden_block_count_z
      - .offset:         156
        .size:           2
        .value_kind:     hidden_group_size_x
      - .offset:         158
        .size:           2
        .value_kind:     hidden_group_size_y
      - .offset:         160
        .size:           2
        .value_kind:     hidden_group_size_z
      - .offset:         162
        .size:           2
        .value_kind:     hidden_remainder_x
      - .offset:         164
        .size:           2
        .value_kind:     hidden_remainder_y
      - .offset:         166
        .size:           2
        .value_kind:     hidden_remainder_z
      - .offset:         184
        .size:           8
        .value_kind:     hidden_global_offset_x
      - .offset:         192
        .size:           8
        .value_kind:     hidden_global_offset_y
      - .offset:         200
        .size:           8
        .value_kind:     hidden_global_offset_z
      - .offset:         208
        .size:           2
        .value_kind:     hidden_grid_dims
      - .offset:         224
        .size:           8
        .value_kind:     hidden_hostcall_buffer
    .group_segment_fixed_size: 0
    .kernarg_segment_align: 8
    .kernarg_segment_size: 400
    .language:       OpenCL C
    .language_version:
      - 2
      - 0
    .max_flat_workgroup_size: 256
    .name:           _Z39paged_attention_ll4mi_QKV_mfma16_kernelIDF16_DF16_LN4vllm18Fp8KVCacheDataTypeE0EhLi16ELi64ELi256ELb1ELi3EEvPKT_PKT0_S7_ifPKiS9_S9_iPKfiiiPfSC_PS2_PT2_iSB_SB_
    .private_segment_fixed_size: 64
    .sgpr_count:     36
    .sgpr_spill_count: 0
    .symbol:         _Z39paged_attention_ll4mi_QKV_mfma16_kernelIDF16_DF16_LN4vllm18Fp8KVCacheDataTypeE0EhLi16ELi64ELi256ELb1ELi3EEvPKT_PKT0_S7_ifPKiS9_S9_iPKfiiiPfSC_PS2_PT2_iSB_SB_.kd
    .uniform_work_group_size: 1
    .uses_dynamic_stack: false
    .vgpr_count:     51
    .vgpr_spill_count: 0
    .wavefront_size: 32
  - .args:
      - .actual_access:  read_only
        .address_space:  global
        .offset:         0
        .size:           8
        .value_kind:     global_buffer
      - .actual_access:  read_only
        .address_space:  global
        .offset:         8
        .size:           8
        .value_kind:     global_buffer
      - .actual_access:  read_only
        .address_space:  global
        .offset:         16
        .size:           8
        .value_kind:     global_buffer
      - .offset:         24
        .size:           4
        .value_kind:     by_value
      - .offset:         28
        .size:           4
        .value_kind:     by_value
      - .actual_access:  read_only
        .address_space:  global
        .offset:         32
        .size:           8
        .value_kind:     global_buffer
      - .actual_access:  read_only
        .address_space:  global
        .offset:         40
        .size:           8
        .value_kind:     global_buffer
      - .actual_access:  read_only
        .address_space:  global
        .offset:         48
        .size:           8
        .value_kind:     global_buffer
      - .offset:         56
        .size:           4
        .value_kind:     by_value
      - .actual_access:  read_only
        .address_space:  global
        .offset:         64
        .size:           8
        .value_kind:     global_buffer
      - .offset:         72
        .size:           4
        .value_kind:     by_value
      - .offset:         76
        .size:           4
        .value_kind:     by_value
      - .offset:         80
        .size:           4
        .value_kind:     by_value
      - .actual_access:  read_only
        .address_space:  global
        .offset:         88
        .size:           8
        .value_kind:     global_buffer
      - .actual_access:  read_only
        .address_space:  global
        .offset:         96
        .size:           8
        .value_kind:     global_buffer
      - .actual_access:  read_only
        .address_space:  global
        .offset:         104
        .size:           8
        .value_kind:     global_buffer
      - .actual_access:  read_only
        .address_space:  global
        .offset:         112
        .size:           8
        .value_kind:     global_buffer
      - .offset:         120
        .size:           4
        .value_kind:     by_value
      - .address_space:  global
        .offset:         128
        .size:           8
        .value_kind:     global_buffer
      - .address_space:  global
        .offset:         136
        .size:           8
        .value_kind:     global_buffer
      - .offset:         144
        .size:           4
        .value_kind:     hidden_block_count_x
      - .offset:         148
        .size:           4
        .value_kind:     hidden_block_count_y
      - .offset:         152
        .size:           4
        .value_kind:     hidden_block_count_z
      - .offset:         156
        .size:           2
        .value_kind:     hidden_group_size_x
      - .offset:         158
        .size:           2
        .value_kind:     hidden_group_size_y
      - .offset:         160
        .size:           2
        .value_kind:     hidden_group_size_z
      - .offset:         162
        .size:           2
        .value_kind:     hidden_remainder_x
      - .offset:         164
        .size:           2
        .value_kind:     hidden_remainder_y
      - .offset:         166
        .size:           2
        .value_kind:     hidden_remainder_z
      - .offset:         184
        .size:           8
        .value_kind:     hidden_global_offset_x
      - .offset:         192
        .size:           8
        .value_kind:     hidden_global_offset_y
      - .offset:         200
        .size:           8
        .value_kind:     hidden_global_offset_z
      - .offset:         208
        .size:           2
        .value_kind:     hidden_grid_dims
      - .offset:         224
        .size:           8
        .value_kind:     hidden_hostcall_buffer
    .group_segment_fixed_size: 0
    .kernarg_segment_align: 8
    .kernarg_segment_size: 400
    .language:       OpenCL C
    .language_version:
      - 2
      - 0
    .max_flat_workgroup_size: 256
    .name:           _Z39paged_attention_ll4mi_QKV_mfma16_kernelIDF16_DF16_LN4vllm18Fp8KVCacheDataTypeE0EhLi16ELi64ELi256ELb1ELi4EEvPKT_PKT0_S7_ifPKiS9_S9_iPKfiiiPfSC_PS2_PT2_iSB_SB_
    .private_segment_fixed_size: 64
    .sgpr_count:     36
    .sgpr_spill_count: 0
    .symbol:         _Z39paged_attention_ll4mi_QKV_mfma16_kernelIDF16_DF16_LN4vllm18Fp8KVCacheDataTypeE0EhLi16ELi64ELi256ELb1ELi4EEvPKT_PKT0_S7_ifPKiS9_S9_iPKfiiiPfSC_PS2_PT2_iSB_SB_.kd
    .uniform_work_group_size: 1
    .uses_dynamic_stack: false
    .vgpr_count:     51
    .vgpr_spill_count: 0
    .wavefront_size: 32
  - .args:
      - .actual_access:  read_only
        .address_space:  global
        .offset:         0
        .size:           8
        .value_kind:     global_buffer
      - .actual_access:  read_only
        .address_space:  global
        .offset:         8
        .size:           8
        .value_kind:     global_buffer
      - .actual_access:  read_only
        .address_space:  global
        .offset:         16
        .size:           8
        .value_kind:     global_buffer
      - .actual_access:  read_only
        .address_space:  global
        .offset:         24
        .size:           8
        .value_kind:     global_buffer
      - .actual_access:  read_only
        .address_space:  global
        .offset:         32
        .size:           8
        .value_kind:     global_buffer
      - .actual_access:  read_only
        .address_space:  global
        .offset:         40
        .size:           8
        .value_kind:     global_buffer
      - .offset:         48
        .size:           4
        .value_kind:     by_value
      - .actual_access:  read_only
        .address_space:  global
        .offset:         56
        .size:           8
        .value_kind:     global_buffer
      - .offset:         64
        .size:           4
        .value_kind:     hidden_block_count_x
      - .offset:         68
        .size:           4
        .value_kind:     hidden_block_count_y
      - .offset:         72
        .size:           4
        .value_kind:     hidden_block_count_z
      - .offset:         76
        .size:           2
        .value_kind:     hidden_group_size_x
      - .offset:         78
        .size:           2
        .value_kind:     hidden_group_size_y
      - .offset:         80
        .size:           2
        .value_kind:     hidden_group_size_z
      - .offset:         82
        .size:           2
        .value_kind:     hidden_remainder_x
      - .offset:         84
        .size:           2
        .value_kind:     hidden_remainder_y
      - .offset:         86
        .size:           2
        .value_kind:     hidden_remainder_z
      - .offset:         104
        .size:           8
        .value_kind:     hidden_global_offset_x
      - .offset:         112
        .size:           8
        .value_kind:     hidden_global_offset_y
      - .offset:         120
        .size:           8
        .value_kind:     hidden_global_offset_z
      - .offset:         128
        .size:           2
        .value_kind:     hidden_grid_dims
      - .offset:         144
        .size:           8
        .value_kind:     hidden_hostcall_buffer
    .group_segment_fixed_size: 0
    .kernarg_segment_align: 8
    .kernarg_segment_size: 320
    .language:       OpenCL C
    .language_version:
      - 2
      - 0
    .max_flat_workgroup_size: 64
    .name:           _Z35paged_attention_ll4mi_reduce_kernelIDF16_hLi64ELi64ELi256ELi9EEvPT0_PKfS3_PKT_PKiS8_iS3_
    .private_segment_fixed_size: 64
    .sgpr_count:     36
    .sgpr_spill_count: 0
    .symbol:         _Z35paged_attention_ll4mi_reduce_kernelIDF16_hLi64ELi64ELi256ELi9EEvPT0_PKfS3_PKT_PKiS8_iS3_.kd
    .uniform_work_group_size: 1
    .uses_dynamic_stack: false
    .vgpr_count:     51
    .vgpr_spill_count: 0
    .wavefront_size: 32
  - .args:
      - .actual_access:  read_only
        .address_space:  global
        .offset:         0
        .size:           8
        .value_kind:     global_buffer
      - .actual_access:  read_only
        .address_space:  global
        .offset:         8
        .size:           8
        .value_kind:     global_buffer
      - .actual_access:  read_only
        .address_space:  global
        .offset:         16
        .size:           8
        .value_kind:     global_buffer
      - .actual_access:  read_only
        .address_space:  global
        .offset:         24
        .size:           8
        .value_kind:     global_buffer
      - .actual_access:  read_only
        .address_space:  global
        .offset:         32
        .size:           8
        .value_kind:     global_buffer
      - .actual_access:  read_only
        .address_space:  global
        .offset:         40
        .size:           8
        .value_kind:     global_buffer
      - .offset:         48
        .size:           4
        .value_kind:     by_value
      - .actual_access:  read_only
        .address_space:  global
        .offset:         56
        .size:           8
        .value_kind:     global_buffer
      - .offset:         64
        .size:           4
        .value_kind:     hidden_block_count_x
      - .offset:         68
        .size:           4
        .value_kind:     hidden_block_count_y
      - .offset:         72
        .size:           4
        .value_kind:     hidden_block_count_z
      - .offset:         76
        .size:           2
        .value_kind:     hidden_group_size_x
      - .offset:         78
        .size:           2
        .value_kind:     hidden_group_size_y
      - .offset:         80
        .size:           2
        .value_kind:     hidden_group_size_z
      - .offset:         82
        .size:           2
        .value_kind:     hidden_remainder_x
      - .offset:         84
        .size:           2
        .value_kind:     hidden_remainder_y
      - .offset:         86
        .size:           2
        .value_kind:     hidden_remainder_z
      - .offset:         104
        .size:           8
        .value_kind:     hidden_global_offset_x
      - .offset:         112
        .size:           8
        .value_kind:     hidden_global_offset_y
      - .offset:         120
        .size:           8
        .value_kind:     hidden_global_offset_z
      - .offset:         128
        .size:           2
        .value_kind:     hidden_grid_dims
      - .offset:         144
        .size:           8
        .value_kind:     hidden_hostcall_buffer
    .group_segment_fixed_size: 0
    .kernarg_segment_align: 8
    .kernarg_segment_size: 320
    .language:       OpenCL C
    .language_version:
      - 2
      - 0
    .max_flat_workgroup_size: 64
    .name:           _Z35paged_attention_ll4mi_reduce_kernelIDF16_hLi64ELi64ELi256ELi10EEvPT0_PKfS3_PKT_PKiS8_iS3_
    .private_segment_fixed_size: 64
    .sgpr_count:     36
    .sgpr_spill_count: 0
    .symbol:         _Z35paged_attention_ll4mi_reduce_kernelIDF16_hLi64ELi64ELi256ELi10EEvPT0_PKfS3_PKT_PKiS8_iS3_.kd
    .uniform_work_group_size: 1
    .uses_dynamic_stack: false
    .vgpr_count:     51
    .vgpr_spill_count: 0
    .wavefront_size: 32
  - .args:
      - .actual_access:  read_only
        .address_space:  global
        .offset:         0
        .size:           8
        .value_kind:     global_buffer
      - .actual_access:  read_only
        .address_space:  global
        .offset:         8
        .size:           8
        .value_kind:     global_buffer
      - .actual_access:  read_only
        .address_space:  global
        .offset:         16
        .size:           8
        .value_kind:     global_buffer
      - .actual_access:  read_only
        .address_space:  global
        .offset:         24
        .size:           8
        .value_kind:     global_buffer
      - .actual_access:  read_only
        .address_space:  global
        .offset:         32
        .size:           8
        .value_kind:     global_buffer
      - .actual_access:  read_only
        .address_space:  global
        .offset:         40
        .size:           8
        .value_kind:     global_buffer
      - .offset:         48
        .size:           4
        .value_kind:     by_value
      - .actual_access:  read_only
        .address_space:  global
        .offset:         56
        .size:           8
        .value_kind:     global_buffer
      - .offset:         64
        .size:           4
        .value_kind:     hidden_block_count_x
      - .offset:         68
        .size:           4
        .value_kind:     hidden_block_count_y
      - .offset:         72
        .size:           4
        .value_kind:     hidden_block_count_z
      - .offset:         76
        .size:           2
        .value_kind:     hidden_group_size_x
      - .offset:         78
        .size:           2
        .value_kind:     hidden_group_size_y
      - .offset:         80
        .size:           2
        .value_kind:     hidden_group_size_z
      - .offset:         82
        .size:           2
        .value_kind:     hidden_remainder_x
      - .offset:         84
        .size:           2
        .value_kind:     hidden_remainder_y
      - .offset:         86
        .size:           2
        .value_kind:     hidden_remainder_z
      - .offset:         104
        .size:           8
        .value_kind:     hidden_global_offset_x
      - .offset:         112
        .size:           8
        .value_kind:     hidden_global_offset_y
      - .offset:         120
        .size:           8
        .value_kind:     hidden_global_offset_z
      - .offset:         128
        .size:           2
        .value_kind:     hidden_grid_dims
      - .offset:         144
        .size:           8
        .value_kind:     hidden_hostcall_buffer
    .group_segment_fixed_size: 0
    .kernarg_segment_align: 8
    .kernarg_segment_size: 320
    .language:       OpenCL C
    .language_version:
      - 2
      - 0
    .max_flat_workgroup_size: 64
    .name:           _Z35paged_attention_ll4mi_reduce_kernelIDF16_hLi64ELi64ELi256ELi11EEvPT0_PKfS3_PKT_PKiS8_iS3_
    .private_segment_fixed_size: 64
    .sgpr_count:     36
    .sgpr_spill_count: 0
    .symbol:         _Z35paged_attention_ll4mi_reduce_kernelIDF16_hLi64ELi64ELi256ELi11EEvPT0_PKfS3_PKT_PKiS8_iS3_.kd
    .uniform_work_group_size: 1
    .uses_dynamic_stack: false
    .vgpr_count:     51
    .vgpr_spill_count: 0
    .wavefront_size: 32
  - .args:
      - .actual_access:  read_only
        .address_space:  global
        .offset:         0
        .size:           8
        .value_kind:     global_buffer
      - .actual_access:  read_only
        .address_space:  global
        .offset:         8
        .size:           8
        .value_kind:     global_buffer
      - .actual_access:  read_only
        .address_space:  global
        .offset:         16
        .size:           8
        .value_kind:     global_buffer
      - .actual_access:  read_only
        .address_space:  global
        .offset:         24
        .size:           8
        .value_kind:     global_buffer
      - .actual_access:  read_only
        .address_space:  global
        .offset:         32
        .size:           8
        .value_kind:     global_buffer
      - .actual_access:  read_only
        .address_space:  global
        .offset:         40
        .size:           8
        .value_kind:     global_buffer
      - .offset:         48
        .size:           4
        .value_kind:     by_value
      - .actual_access:  read_only
        .address_space:  global
        .offset:         56
        .size:           8
        .value_kind:     global_buffer
      - .offset:         64
        .size:           4
        .value_kind:     hidden_block_count_x
      - .offset:         68
        .size:           4
        .value_kind:     hidden_block_count_y
      - .offset:         72
        .size:           4
        .value_kind:     hidden_block_count_z
      - .offset:         76
        .size:           2
        .value_kind:     hidden_group_size_x
      - .offset:         78
        .size:           2
        .value_kind:     hidden_group_size_y
      - .offset:         80
        .size:           2
        .value_kind:     hidden_group_size_z
      - .offset:         82
        .size:           2
        .value_kind:     hidden_remainder_x
      - .offset:         84
        .size:           2
        .value_kind:     hidden_remainder_y
      - .offset:         86
        .size:           2
        .value_kind:     hidden_remainder_z
      - .offset:         104
        .size:           8
        .value_kind:     hidden_global_offset_x
      - .offset:         112
        .size:           8
        .value_kind:     hidden_global_offset_y
      - .offset:         120
        .size:           8
        .value_kind:     hidden_global_offset_z
      - .offset:         128
        .size:           2
        .value_kind:     hidden_grid_dims
      - .offset:         144
        .size:           8
        .value_kind:     hidden_hostcall_buffer
    .group_segment_fixed_size: 0
    .kernarg_segment_align: 8
    .kernarg_segment_size: 320
    .language:       OpenCL C
    .language_version:
      - 2
      - 0
    .max_flat_workgroup_size: 64
    .name:           _Z35paged_attention_ll4mi_reduce_kernelIDF16_hLi64ELi64ELi256ELi12EEvPT0_PKfS3_PKT_PKiS8_iS3_
    .private_segment_fixed_size: 64
    .sgpr_count:     36
    .sgpr_spill_count: 0
    .symbol:         _Z35paged_attention_ll4mi_reduce_kernelIDF16_hLi64ELi64ELi256ELi12EEvPT0_PKfS3_PKT_PKiS8_iS3_.kd
    .uniform_work_group_size: 1
    .uses_dynamic_stack: false
    .vgpr_count:     51
    .vgpr_spill_count: 0
    .wavefront_size: 32
  - .args:
      - .actual_access:  read_only
        .address_space:  global
        .offset:         0
        .size:           8
        .value_kind:     global_buffer
      - .actual_access:  read_only
        .address_space:  global
        .offset:         8
        .size:           8
        .value_kind:     global_buffer
      - .actual_access:  read_only
        .address_space:  global
        .offset:         16
        .size:           8
        .value_kind:     global_buffer
      - .actual_access:  read_only
        .address_space:  global
        .offset:         24
        .size:           8
        .value_kind:     global_buffer
      - .actual_access:  read_only
        .address_space:  global
        .offset:         32
        .size:           8
        .value_kind:     global_buffer
      - .actual_access:  read_only
        .address_space:  global
        .offset:         40
        .size:           8
        .value_kind:     global_buffer
      - .offset:         48
        .size:           4
        .value_kind:     by_value
      - .actual_access:  read_only
        .address_space:  global
        .offset:         56
        .size:           8
        .value_kind:     global_buffer
      - .offset:         64
        .size:           4
        .value_kind:     hidden_block_count_x
      - .offset:         68
        .size:           4
        .value_kind:     hidden_block_count_y
      - .offset:         72
        .size:           4
        .value_kind:     hidden_block_count_z
      - .offset:         76
        .size:           2
        .value_kind:     hidden_group_size_x
      - .offset:         78
        .size:           2
        .value_kind:     hidden_group_size_y
      - .offset:         80
        .size:           2
        .value_kind:     hidden_group_size_z
      - .offset:         82
        .size:           2
        .value_kind:     hidden_remainder_x
      - .offset:         84
        .size:           2
        .value_kind:     hidden_remainder_y
      - .offset:         86
        .size:           2
        .value_kind:     hidden_remainder_z
      - .offset:         104
        .size:           8
        .value_kind:     hidden_global_offset_x
      - .offset:         112
        .size:           8
        .value_kind:     hidden_global_offset_y
      - .offset:         120
        .size:           8
        .value_kind:     hidden_global_offset_z
      - .offset:         128
        .size:           2
        .value_kind:     hidden_grid_dims
      - .offset:         144
        .size:           8
        .value_kind:     hidden_hostcall_buffer
    .group_segment_fixed_size: 0
    .kernarg_segment_align: 8
    .kernarg_segment_size: 320
    .language:       OpenCL C
    .language_version:
      - 2
      - 0
    .max_flat_workgroup_size: 64
    .name:           _Z35paged_attention_ll4mi_reduce_kernelIDF16_hLi64ELi64ELi256ELi13EEvPT0_PKfS3_PKT_PKiS8_iS3_
    .private_segment_fixed_size: 64
    .sgpr_count:     36
    .sgpr_spill_count: 0
    .symbol:         _Z35paged_attention_ll4mi_reduce_kernelIDF16_hLi64ELi64ELi256ELi13EEvPT0_PKfS3_PKT_PKiS8_iS3_.kd
    .uniform_work_group_size: 1
    .uses_dynamic_stack: false
    .vgpr_count:     51
    .vgpr_spill_count: 0
    .wavefront_size: 32
  - .args:
      - .actual_access:  read_only
        .address_space:  global
        .offset:         0
        .size:           8
        .value_kind:     global_buffer
      - .actual_access:  read_only
        .address_space:  global
        .offset:         8
        .size:           8
        .value_kind:     global_buffer
      - .actual_access:  read_only
        .address_space:  global
        .offset:         16
        .size:           8
        .value_kind:     global_buffer
      - .actual_access:  read_only
        .address_space:  global
        .offset:         24
        .size:           8
        .value_kind:     global_buffer
      - .actual_access:  read_only
        .address_space:  global
        .offset:         32
        .size:           8
        .value_kind:     global_buffer
      - .actual_access:  read_only
        .address_space:  global
        .offset:         40
        .size:           8
        .value_kind:     global_buffer
      - .offset:         48
        .size:           4
        .value_kind:     by_value
      - .actual_access:  read_only
        .address_space:  global
        .offset:         56
        .size:           8
        .value_kind:     global_buffer
      - .offset:         64
        .size:           4
        .value_kind:     hidden_block_count_x
      - .offset:         68
        .size:           4
        .value_kind:     hidden_block_count_y
      - .offset:         72
        .size:           4
        .value_kind:     hidden_block_count_z
      - .offset:         76
        .size:           2
        .value_kind:     hidden_group_size_x
      - .offset:         78
        .size:           2
        .value_kind:     hidden_group_size_y
      - .offset:         80
        .size:           2
        .value_kind:     hidden_group_size_z
      - .offset:         82
        .size:           2
        .value_kind:     hidden_remainder_x
      - .offset:         84
        .size:           2
        .value_kind:     hidden_remainder_y
      - .offset:         86
        .size:           2
        .value_kind:     hidden_remainder_z
      - .offset:         104
        .size:           8
        .value_kind:     hidden_global_offset_x
      - .offset:         112
        .size:           8
        .value_kind:     hidden_global_offset_y
      - .offset:         120
        .size:           8
        .value_kind:     hidden_global_offset_z
      - .offset:         128
        .size:           2
        .value_kind:     hidden_grid_dims
      - .offset:         144
        .size:           8
        .value_kind:     hidden_hostcall_buffer
    .group_segment_fixed_size: 0
    .kernarg_segment_align: 8
    .kernarg_segment_size: 320
    .language:       OpenCL C
    .language_version:
      - 2
      - 0
    .max_flat_workgroup_size: 64
    .name:           _Z35paged_attention_ll4mi_reduce_kernelIDF16_hLi64ELi64ELi256ELi14EEvPT0_PKfS3_PKT_PKiS8_iS3_
    .private_segment_fixed_size: 64
    .sgpr_count:     36
    .sgpr_spill_count: 0
    .symbol:         _Z35paged_attention_ll4mi_reduce_kernelIDF16_hLi64ELi64ELi256ELi14EEvPT0_PKfS3_PKT_PKiS8_iS3_.kd
    .uniform_work_group_size: 1
    .uses_dynamic_stack: false
    .vgpr_count:     51
    .vgpr_spill_count: 0
    .wavefront_size: 32
  - .args:
      - .actual_access:  read_only
        .address_space:  global
        .offset:         0
        .size:           8
        .value_kind:     global_buffer
      - .actual_access:  read_only
        .address_space:  global
        .offset:         8
        .size:           8
        .value_kind:     global_buffer
      - .actual_access:  read_only
        .address_space:  global
        .offset:         16
        .size:           8
        .value_kind:     global_buffer
      - .actual_access:  read_only
        .address_space:  global
        .offset:         24
        .size:           8
        .value_kind:     global_buffer
      - .actual_access:  read_only
        .address_space:  global
        .offset:         32
        .size:           8
        .value_kind:     global_buffer
      - .actual_access:  read_only
        .address_space:  global
        .offset:         40
        .size:           8
        .value_kind:     global_buffer
      - .offset:         48
        .size:           4
        .value_kind:     by_value
      - .actual_access:  read_only
        .address_space:  global
        .offset:         56
        .size:           8
        .value_kind:     global_buffer
      - .offset:         64
        .size:           4
        .value_kind:     hidden_block_count_x
      - .offset:         68
        .size:           4
        .value_kind:     hidden_block_count_y
      - .offset:         72
        .size:           4
        .value_kind:     hidden_block_count_z
      - .offset:         76
        .size:           2
        .value_kind:     hidden_group_size_x
      - .offset:         78
        .size:           2
        .value_kind:     hidden_group_size_y
      - .offset:         80
        .size:           2
        .value_kind:     hidden_group_size_z
      - .offset:         82
        .size:           2
        .value_kind:     hidden_remainder_x
      - .offset:         84
        .size:           2
        .value_kind:     hidden_remainder_y
      - .offset:         86
        .size:           2
        .value_kind:     hidden_remainder_z
      - .offset:         104
        .size:           8
        .value_kind:     hidden_global_offset_x
      - .offset:         112
        .size:           8
        .value_kind:     hidden_global_offset_y
      - .offset:         120
        .size:           8
        .value_kind:     hidden_global_offset_z
      - .offset:         128
        .size:           2
        .value_kind:     hidden_grid_dims
      - .offset:         144
        .size:           8
        .value_kind:     hidden_hostcall_buffer
    .group_segment_fixed_size: 0
    .kernarg_segment_align: 8
    .kernarg_segment_size: 320
    .language:       OpenCL C
    .language_version:
      - 2
      - 0
    .max_flat_workgroup_size: 64
    .name:           _Z35paged_attention_ll4mi_reduce_kernelIDF16_hLi64ELi64ELi256ELi15EEvPT0_PKfS3_PKT_PKiS8_iS3_
    .private_segment_fixed_size: 64
    .sgpr_count:     36
    .sgpr_spill_count: 0
    .symbol:         _Z35paged_attention_ll4mi_reduce_kernelIDF16_hLi64ELi64ELi256ELi15EEvPT0_PKfS3_PKT_PKiS8_iS3_.kd
    .uniform_work_group_size: 1
    .uses_dynamic_stack: false
    .vgpr_count:     51
    .vgpr_spill_count: 0
    .wavefront_size: 32
  - .args:
      - .actual_access:  read_only
        .address_space:  global
        .offset:         0
        .size:           8
        .value_kind:     global_buffer
      - .actual_access:  read_only
        .address_space:  global
        .offset:         8
        .size:           8
        .value_kind:     global_buffer
      - .actual_access:  read_only
        .address_space:  global
        .offset:         16
        .size:           8
        .value_kind:     global_buffer
      - .actual_access:  read_only
        .address_space:  global
        .offset:         24
        .size:           8
        .value_kind:     global_buffer
      - .actual_access:  read_only
        .address_space:  global
        .offset:         32
        .size:           8
        .value_kind:     global_buffer
      - .actual_access:  read_only
        .address_space:  global
        .offset:         40
        .size:           8
        .value_kind:     global_buffer
      - .offset:         48
        .size:           4
        .value_kind:     by_value
      - .actual_access:  read_only
        .address_space:  global
        .offset:         56
        .size:           8
        .value_kind:     global_buffer
      - .offset:         64
        .size:           4
        .value_kind:     hidden_block_count_x
      - .offset:         68
        .size:           4
        .value_kind:     hidden_block_count_y
      - .offset:         72
        .size:           4
        .value_kind:     hidden_block_count_z
      - .offset:         76
        .size:           2
        .value_kind:     hidden_group_size_x
      - .offset:         78
        .size:           2
        .value_kind:     hidden_group_size_y
      - .offset:         80
        .size:           2
        .value_kind:     hidden_group_size_z
      - .offset:         82
        .size:           2
        .value_kind:     hidden_remainder_x
      - .offset:         84
        .size:           2
        .value_kind:     hidden_remainder_y
      - .offset:         86
        .size:           2
        .value_kind:     hidden_remainder_z
      - .offset:         104
        .size:           8
        .value_kind:     hidden_global_offset_x
      - .offset:         112
        .size:           8
        .value_kind:     hidden_global_offset_y
      - .offset:         120
        .size:           8
        .value_kind:     hidden_global_offset_z
      - .offset:         128
        .size:           2
        .value_kind:     hidden_grid_dims
      - .offset:         144
        .size:           8
        .value_kind:     hidden_hostcall_buffer
    .group_segment_fixed_size: 0
    .kernarg_segment_align: 8
    .kernarg_segment_size: 320
    .language:       OpenCL C
    .language_version:
      - 2
      - 0
    .max_flat_workgroup_size: 64
    .name:           _Z35paged_attention_ll4mi_reduce_kernelIDF16_hLi64ELi64ELi256ELi16EEvPT0_PKfS3_PKT_PKiS8_iS3_
    .private_segment_fixed_size: 64
    .sgpr_count:     36
    .sgpr_spill_count: 0
    .symbol:         _Z35paged_attention_ll4mi_reduce_kernelIDF16_hLi64ELi64ELi256ELi16EEvPT0_PKfS3_PKT_PKiS8_iS3_.kd
    .uniform_work_group_size: 1
    .uses_dynamic_stack: false
    .vgpr_count:     51
    .vgpr_spill_count: 0
    .wavefront_size: 32
  - .args:
      - .actual_access:  read_only
        .address_space:  global
        .offset:         0
        .size:           8
        .value_kind:     global_buffer
      - .actual_access:  read_only
        .address_space:  global
        .offset:         8
        .size:           8
        .value_kind:     global_buffer
      - .actual_access:  read_only
        .address_space:  global
        .offset:         16
        .size:           8
        .value_kind:     global_buffer
      - .offset:         24
        .size:           4
        .value_kind:     by_value
      - .offset:         28
        .size:           4
        .value_kind:     by_value
      - .actual_access:  read_only
        .address_space:  global
        .offset:         32
        .size:           8
        .value_kind:     global_buffer
      - .actual_access:  read_only
        .address_space:  global
        .offset:         40
        .size:           8
        .value_kind:     global_buffer
      - .actual_access:  read_only
        .address_space:  global
        .offset:         48
        .size:           8
        .value_kind:     global_buffer
      - .offset:         56
        .size:           4
        .value_kind:     by_value
      - .actual_access:  read_only
        .address_space:  global
        .offset:         64
        .size:           8
        .value_kind:     global_buffer
      - .offset:         72
        .size:           4
        .value_kind:     by_value
      - .offset:         76
        .size:           4
        .value_kind:     by_value
      - .offset:         80
        .size:           4
        .value_kind:     by_value
      - .actual_access:  read_only
        .address_space:  global
        .offset:         88
        .size:           8
        .value_kind:     global_buffer
      - .actual_access:  read_only
        .address_space:  global
        .offset:         96
        .size:           8
        .value_kind:     global_buffer
      - .actual_access:  read_only
        .address_space:  global
        .offset:         104
        .size:           8
        .value_kind:     global_buffer
      - .actual_access:  read_only
        .address_space:  global
        .offset:         112
        .size:           8
        .value_kind:     global_buffer
      - .offset:         120
        .size:           4
        .value_kind:     by_value
      - .address_space:  global
        .offset:         128
        .size:           8
        .value_kind:     global_buffer
      - .address_space:  global
        .offset:         136
        .size:           8
        .value_kind:     global_buffer
      - .offset:         144
        .size:           4
        .value_kind:     hidden_block_count_x
      - .offset:         148
        .size:           4
        .value_kind:     hidden_block_count_y
      - .offset:         152
        .size:           4
        .value_kind:     hidden_block_count_z
      - .offset:         156
        .size:           2
        .value_kind:     hidden_group_size_x
      - .offset:         158
        .size:           2
        .value_kind:     hidden_group_size_y
      - .offset:         160
        .size:           2
        .value_kind:     hidden_group_size_z
      - .offset:         162
        .size:           2
        .value_kind:     hidden_remainder_x
      - .offset:         164
        .size:           2
        .value_kind:     hidden_remainder_y
      - .offset:         166
        .size:           2
        .value_kind:     hidden_remainder_z
      - .offset:         184
        .size:           8
        .value_kind:     hidden_global_offset_x
      - .offset:         192
        .size:           8
        .value_kind:     hidden_global_offset_y
      - .offset:         200
        .size:           8
        .value_kind:     hidden_global_offset_z
      - .offset:         208
        .size:           2
        .value_kind:     hidden_grid_dims
      - .offset:         224
        .size:           8
        .value_kind:     hidden_hostcall_buffer
    .group_segment_fixed_size: 0
    .kernarg_segment_align: 8
    .kernarg_segment_size: 400
    .language:       OpenCL C
    .language_version:
      - 2
      - 0
    .max_flat_workgroup_size: 256
    .name:           _Z38paged_attention_ll4mi_QKV_mfma4_kernelIDF16_DF16_LN4vllm18Fp8KVCacheDataTypeE0EhLi16ELi64ELi256ELb0ELi1EEvPKT_PKT0_S7_ifPKiS9_S9_iPKfiiiPfSC_PS2_PT2_iSB_SB_
    .private_segment_fixed_size: 64
    .sgpr_count:     36
    .sgpr_spill_count: 0
    .symbol:         _Z38paged_attention_ll4mi_QKV_mfma4_kernelIDF16_DF16_LN4vllm18Fp8KVCacheDataTypeE0EhLi16ELi64ELi256ELb0ELi1EEvPKT_PKT0_S7_ifPKiS9_S9_iPKfiiiPfSC_PS2_PT2_iSB_SB_.kd
    .uniform_work_group_size: 1
    .uses_dynamic_stack: false
    .vgpr_count:     51
    .vgpr_spill_count: 0
    .wavefront_size: 32
  - .args:
      - .actual_access:  read_only
        .address_space:  global
        .offset:         0
        .size:           8
        .value_kind:     global_buffer
      - .actual_access:  read_only
        .address_space:  global
        .offset:         8
        .size:           8
        .value_kind:     global_buffer
      - .actual_access:  read_only
        .address_space:  global
        .offset:         16
        .size:           8
        .value_kind:     global_buffer
      - .offset:         24
        .size:           4
        .value_kind:     by_value
      - .offset:         28
        .size:           4
        .value_kind:     by_value
      - .actual_access:  read_only
        .address_space:  global
        .offset:         32
        .size:           8
        .value_kind:     global_buffer
      - .actual_access:  read_only
        .address_space:  global
        .offset:         40
        .size:           8
        .value_kind:     global_buffer
      - .actual_access:  read_only
        .address_space:  global
        .offset:         48
        .size:           8
        .value_kind:     global_buffer
      - .offset:         56
        .size:           4
        .value_kind:     by_value
      - .actual_access:  read_only
        .address_space:  global
        .offset:         64
        .size:           8
        .value_kind:     global_buffer
      - .offset:         72
        .size:           4
        .value_kind:     by_value
      - .offset:         76
        .size:           4
        .value_kind:     by_value
      - .offset:         80
        .size:           4
        .value_kind:     by_value
      - .actual_access:  read_only
        .address_space:  global
        .offset:         88
        .size:           8
        .value_kind:     global_buffer
      - .actual_access:  read_only
        .address_space:  global
        .offset:         96
        .size:           8
        .value_kind:     global_buffer
      - .actual_access:  read_only
        .address_space:  global
        .offset:         104
        .size:           8
        .value_kind:     global_buffer
      - .actual_access:  read_only
        .address_space:  global
        .offset:         112
        .size:           8
        .value_kind:     global_buffer
      - .offset:         120
        .size:           4
        .value_kind:     by_value
      - .address_space:  global
        .offset:         128
        .size:           8
        .value_kind:     global_buffer
      - .address_space:  global
        .offset:         136
        .size:           8
        .value_kind:     global_buffer
      - .offset:         144
        .size:           4
        .value_kind:     hidden_block_count_x
      - .offset:         148
        .size:           4
        .value_kind:     hidden_block_count_y
      - .offset:         152
        .size:           4
        .value_kind:     hidden_block_count_z
      - .offset:         156
        .size:           2
        .value_kind:     hidden_group_size_x
      - .offset:         158
        .size:           2
        .value_kind:     hidden_group_size_y
      - .offset:         160
        .size:           2
        .value_kind:     hidden_group_size_z
      - .offset:         162
        .size:           2
        .value_kind:     hidden_remainder_x
      - .offset:         164
        .size:           2
        .value_kind:     hidden_remainder_y
      - .offset:         166
        .size:           2
        .value_kind:     hidden_remainder_z
      - .offset:         184
        .size:           8
        .value_kind:     hidden_global_offset_x
      - .offset:         192
        .size:           8
        .value_kind:     hidden_global_offset_y
      - .offset:         200
        .size:           8
        .value_kind:     hidden_global_offset_z
      - .offset:         208
        .size:           2
        .value_kind:     hidden_grid_dims
      - .offset:         224
        .size:           8
        .value_kind:     hidden_hostcall_buffer
    .group_segment_fixed_size: 0
    .kernarg_segment_align: 8
    .kernarg_segment_size: 400
    .language:       OpenCL C
    .language_version:
      - 2
      - 0
    .max_flat_workgroup_size: 256
    .name:           _Z38paged_attention_ll4mi_QKV_mfma4_kernelIDF16_DF16_LN4vllm18Fp8KVCacheDataTypeE0EhLi16ELi64ELi256ELb0ELi2EEvPKT_PKT0_S7_ifPKiS9_S9_iPKfiiiPfSC_PS2_PT2_iSB_SB_
    .private_segment_fixed_size: 64
    .sgpr_count:     36
    .sgpr_spill_count: 0
    .symbol:         _Z38paged_attention_ll4mi_QKV_mfma4_kernelIDF16_DF16_LN4vllm18Fp8KVCacheDataTypeE0EhLi16ELi64ELi256ELb0ELi2EEvPKT_PKT0_S7_ifPKiS9_S9_iPKfiiiPfSC_PS2_PT2_iSB_SB_.kd
    .uniform_work_group_size: 1
    .uses_dynamic_stack: false
    .vgpr_count:     51
    .vgpr_spill_count: 0
    .wavefront_size: 32
  - .args:
      - .actual_access:  read_only
        .address_space:  global
        .offset:         0
        .size:           8
        .value_kind:     global_buffer
      - .actual_access:  read_only
        .address_space:  global
        .offset:         8
        .size:           8
        .value_kind:     global_buffer
      - .actual_access:  read_only
        .address_space:  global
        .offset:         16
        .size:           8
        .value_kind:     global_buffer
      - .offset:         24
        .size:           4
        .value_kind:     by_value
      - .offset:         28
        .size:           4
        .value_kind:     by_value
      - .actual_access:  read_only
        .address_space:  global
        .offset:         32
        .size:           8
        .value_kind:     global_buffer
      - .actual_access:  read_only
        .address_space:  global
        .offset:         40
        .size:           8
        .value_kind:     global_buffer
      - .actual_access:  read_only
        .address_space:  global
        .offset:         48
        .size:           8
        .value_kind:     global_buffer
      - .offset:         56
        .size:           4
        .value_kind:     by_value
      - .actual_access:  read_only
        .address_space:  global
        .offset:         64
        .size:           8
        .value_kind:     global_buffer
      - .offset:         72
        .size:           4
        .value_kind:     by_value
      - .offset:         76
        .size:           4
        .value_kind:     by_value
      - .offset:         80
        .size:           4
        .value_kind:     by_value
      - .actual_access:  read_only
        .address_space:  global
        .offset:         88
        .size:           8
        .value_kind:     global_buffer
      - .actual_access:  read_only
        .address_space:  global
        .offset:         96
        .size:           8
        .value_kind:     global_buffer
      - .actual_access:  read_only
        .address_space:  global
        .offset:         104
        .size:           8
        .value_kind:     global_buffer
      - .actual_access:  read_only
        .address_space:  global
        .offset:         112
        .size:           8
        .value_kind:     global_buffer
      - .offset:         120
        .size:           4
        .value_kind:     by_value
      - .address_space:  global
        .offset:         128
        .size:           8
        .value_kind:     global_buffer
      - .address_space:  global
        .offset:         136
        .size:           8
        .value_kind:     global_buffer
      - .offset:         144
        .size:           4
        .value_kind:     hidden_block_count_x
      - .offset:         148
        .size:           4
        .value_kind:     hidden_block_count_y
      - .offset:         152
        .size:           4
        .value_kind:     hidden_block_count_z
      - .offset:         156
        .size:           2
        .value_kind:     hidden_group_size_x
      - .offset:         158
        .size:           2
        .value_kind:     hidden_group_size_y
      - .offset:         160
        .size:           2
        .value_kind:     hidden_group_size_z
      - .offset:         162
        .size:           2
        .value_kind:     hidden_remainder_x
      - .offset:         164
        .size:           2
        .value_kind:     hidden_remainder_y
      - .offset:         166
        .size:           2
        .value_kind:     hidden_remainder_z
      - .offset:         184
        .size:           8
        .value_kind:     hidden_global_offset_x
      - .offset:         192
        .size:           8
        .value_kind:     hidden_global_offset_y
      - .offset:         200
        .size:           8
        .value_kind:     hidden_global_offset_z
      - .offset:         208
        .size:           2
        .value_kind:     hidden_grid_dims
      - .offset:         224
        .size:           8
        .value_kind:     hidden_hostcall_buffer
    .group_segment_fixed_size: 0
    .kernarg_segment_align: 8
    .kernarg_segment_size: 400
    .language:       OpenCL C
    .language_version:
      - 2
      - 0
    .max_flat_workgroup_size: 256
    .name:           _Z38paged_attention_ll4mi_QKV_mfma4_kernelIDF16_DF16_LN4vllm18Fp8KVCacheDataTypeE0EhLi16ELi64ELi256ELb0ELi3EEvPKT_PKT0_S7_ifPKiS9_S9_iPKfiiiPfSC_PS2_PT2_iSB_SB_
    .private_segment_fixed_size: 64
    .sgpr_count:     36
    .sgpr_spill_count: 0
    .symbol:         _Z38paged_attention_ll4mi_QKV_mfma4_kernelIDF16_DF16_LN4vllm18Fp8KVCacheDataTypeE0EhLi16ELi64ELi256ELb0ELi3EEvPKT_PKT0_S7_ifPKiS9_S9_iPKfiiiPfSC_PS2_PT2_iSB_SB_.kd
    .uniform_work_group_size: 1
    .uses_dynamic_stack: false
    .vgpr_count:     51
    .vgpr_spill_count: 0
    .wavefront_size: 32
  - .args:
      - .actual_access:  read_only
        .address_space:  global
        .offset:         0
        .size:           8
        .value_kind:     global_buffer
      - .actual_access:  read_only
        .address_space:  global
        .offset:         8
        .size:           8
        .value_kind:     global_buffer
      - .actual_access:  read_only
        .address_space:  global
        .offset:         16
        .size:           8
        .value_kind:     global_buffer
      - .offset:         24
        .size:           4
        .value_kind:     by_value
      - .offset:         28
        .size:           4
        .value_kind:     by_value
      - .actual_access:  read_only
        .address_space:  global
        .offset:         32
        .size:           8
        .value_kind:     global_buffer
      - .actual_access:  read_only
        .address_space:  global
        .offset:         40
        .size:           8
        .value_kind:     global_buffer
      - .actual_access:  read_only
        .address_space:  global
        .offset:         48
        .size:           8
        .value_kind:     global_buffer
      - .offset:         56
        .size:           4
        .value_kind:     by_value
      - .actual_access:  read_only
        .address_space:  global
        .offset:         64
        .size:           8
        .value_kind:     global_buffer
      - .offset:         72
        .size:           4
        .value_kind:     by_value
      - .offset:         76
        .size:           4
        .value_kind:     by_value
      - .offset:         80
        .size:           4
        .value_kind:     by_value
      - .actual_access:  read_only
        .address_space:  global
        .offset:         88
        .size:           8
        .value_kind:     global_buffer
      - .actual_access:  read_only
        .address_space:  global
        .offset:         96
        .size:           8
        .value_kind:     global_buffer
      - .actual_access:  read_only
        .address_space:  global
        .offset:         104
        .size:           8
        .value_kind:     global_buffer
      - .actual_access:  read_only
        .address_space:  global
        .offset:         112
        .size:           8
        .value_kind:     global_buffer
      - .offset:         120
        .size:           4
        .value_kind:     by_value
      - .address_space:  global
        .offset:         128
        .size:           8
        .value_kind:     global_buffer
      - .address_space:  global
        .offset:         136
        .size:           8
        .value_kind:     global_buffer
      - .offset:         144
        .size:           4
        .value_kind:     hidden_block_count_x
      - .offset:         148
        .size:           4
        .value_kind:     hidden_block_count_y
      - .offset:         152
        .size:           4
        .value_kind:     hidden_block_count_z
      - .offset:         156
        .size:           2
        .value_kind:     hidden_group_size_x
      - .offset:         158
        .size:           2
        .value_kind:     hidden_group_size_y
      - .offset:         160
        .size:           2
        .value_kind:     hidden_group_size_z
      - .offset:         162
        .size:           2
        .value_kind:     hidden_remainder_x
      - .offset:         164
        .size:           2
        .value_kind:     hidden_remainder_y
      - .offset:         166
        .size:           2
        .value_kind:     hidden_remainder_z
      - .offset:         184
        .size:           8
        .value_kind:     hidden_global_offset_x
      - .offset:         192
        .size:           8
        .value_kind:     hidden_global_offset_y
      - .offset:         200
        .size:           8
        .value_kind:     hidden_global_offset_z
      - .offset:         208
        .size:           2
        .value_kind:     hidden_grid_dims
      - .offset:         224
        .size:           8
        .value_kind:     hidden_hostcall_buffer
    .group_segment_fixed_size: 0
    .kernarg_segment_align: 8
    .kernarg_segment_size: 400
    .language:       OpenCL C
    .language_version:
      - 2
      - 0
    .max_flat_workgroup_size: 256
    .name:           _Z38paged_attention_ll4mi_QKV_mfma4_kernelIDF16_DF16_LN4vllm18Fp8KVCacheDataTypeE0EhLi16ELi64ELi256ELb0ELi4EEvPKT_PKT0_S7_ifPKiS9_S9_iPKfiiiPfSC_PS2_PT2_iSB_SB_
    .private_segment_fixed_size: 64
    .sgpr_count:     36
    .sgpr_spill_count: 0
    .symbol:         _Z38paged_attention_ll4mi_QKV_mfma4_kernelIDF16_DF16_LN4vllm18Fp8KVCacheDataTypeE0EhLi16ELi64ELi256ELb0ELi4EEvPKT_PKT0_S7_ifPKiS9_S9_iPKfiiiPfSC_PS2_PT2_iSB_SB_.kd
    .uniform_work_group_size: 1
    .uses_dynamic_stack: false
    .vgpr_count:     51
    .vgpr_spill_count: 0
    .wavefront_size: 32
  - .args:
      - .actual_access:  read_only
        .address_space:  global
        .offset:         0
        .size:           8
        .value_kind:     global_buffer
      - .actual_access:  read_only
        .address_space:  global
        .offset:         8
        .size:           8
        .value_kind:     global_buffer
      - .actual_access:  read_only
        .address_space:  global
        .offset:         16
        .size:           8
        .value_kind:     global_buffer
      - .offset:         24
        .size:           4
        .value_kind:     by_value
      - .offset:         28
        .size:           4
        .value_kind:     by_value
      - .actual_access:  read_only
        .address_space:  global
        .offset:         32
        .size:           8
        .value_kind:     global_buffer
      - .actual_access:  read_only
        .address_space:  global
        .offset:         40
        .size:           8
        .value_kind:     global_buffer
      - .actual_access:  read_only
        .address_space:  global
        .offset:         48
        .size:           8
        .value_kind:     global_buffer
      - .offset:         56
        .size:           4
        .value_kind:     by_value
      - .actual_access:  read_only
        .address_space:  global
        .offset:         64
        .size:           8
        .value_kind:     global_buffer
      - .offset:         72
        .size:           4
        .value_kind:     by_value
      - .offset:         76
        .size:           4
        .value_kind:     by_value
      - .offset:         80
        .size:           4
        .value_kind:     by_value
      - .actual_access:  read_only
        .address_space:  global
        .offset:         88
        .size:           8
        .value_kind:     global_buffer
      - .actual_access:  read_only
        .address_space:  global
        .offset:         96
        .size:           8
        .value_kind:     global_buffer
      - .actual_access:  read_only
        .address_space:  global
        .offset:         104
        .size:           8
        .value_kind:     global_buffer
      - .actual_access:  read_only
        .address_space:  global
        .offset:         112
        .size:           8
        .value_kind:     global_buffer
      - .offset:         120
        .size:           4
        .value_kind:     by_value
      - .address_space:  global
        .offset:         128
        .size:           8
        .value_kind:     global_buffer
      - .address_space:  global
        .offset:         136
        .size:           8
        .value_kind:     global_buffer
      - .offset:         144
        .size:           4
        .value_kind:     hidden_block_count_x
      - .offset:         148
        .size:           4
        .value_kind:     hidden_block_count_y
      - .offset:         152
        .size:           4
        .value_kind:     hidden_block_count_z
      - .offset:         156
        .size:           2
        .value_kind:     hidden_group_size_x
      - .offset:         158
        .size:           2
        .value_kind:     hidden_group_size_y
      - .offset:         160
        .size:           2
        .value_kind:     hidden_group_size_z
      - .offset:         162
        .size:           2
        .value_kind:     hidden_remainder_x
      - .offset:         164
        .size:           2
        .value_kind:     hidden_remainder_y
      - .offset:         166
        .size:           2
        .value_kind:     hidden_remainder_z
      - .offset:         184
        .size:           8
        .value_kind:     hidden_global_offset_x
      - .offset:         192
        .size:           8
        .value_kind:     hidden_global_offset_y
      - .offset:         200
        .size:           8
        .value_kind:     hidden_global_offset_z
      - .offset:         208
        .size:           2
        .value_kind:     hidden_grid_dims
      - .offset:         224
        .size:           8
        .value_kind:     hidden_hostcall_buffer
    .group_segment_fixed_size: 0
    .kernarg_segment_align: 8
    .kernarg_segment_size: 400
    .language:       OpenCL C
    .language_version:
      - 2
      - 0
    .max_flat_workgroup_size: 256
    .name:           _Z39paged_attention_ll4mi_QKV_mfma16_kernelIDF16_DF16_LN4vllm18Fp8KVCacheDataTypeE0EhLi16ELi64ELi256ELb0ELi5EEvPKT_PKT0_S7_ifPKiS9_S9_iPKfiiiPfSC_PS2_PT2_iSB_SB_
    .private_segment_fixed_size: 64
    .sgpr_count:     36
    .sgpr_spill_count: 0
    .symbol:         _Z39paged_attention_ll4mi_QKV_mfma16_kernelIDF16_DF16_LN4vllm18Fp8KVCacheDataTypeE0EhLi16ELi64ELi256ELb0ELi5EEvPKT_PKT0_S7_ifPKiS9_S9_iPKfiiiPfSC_PS2_PT2_iSB_SB_.kd
    .uniform_work_group_size: 1
    .uses_dynamic_stack: false
    .vgpr_count:     51
    .vgpr_spill_count: 0
    .wavefront_size: 32
  - .args:
      - .actual_access:  read_only
        .address_space:  global
        .offset:         0
        .size:           8
        .value_kind:     global_buffer
      - .actual_access:  read_only
        .address_space:  global
        .offset:         8
        .size:           8
        .value_kind:     global_buffer
      - .actual_access:  read_only
        .address_space:  global
        .offset:         16
        .size:           8
        .value_kind:     global_buffer
      - .offset:         24
        .size:           4
        .value_kind:     by_value
      - .offset:         28
        .size:           4
        .value_kind:     by_value
      - .actual_access:  read_only
        .address_space:  global
        .offset:         32
        .size:           8
        .value_kind:     global_buffer
      - .actual_access:  read_only
        .address_space:  global
        .offset:         40
        .size:           8
        .value_kind:     global_buffer
      - .actual_access:  read_only
        .address_space:  global
        .offset:         48
        .size:           8
        .value_kind:     global_buffer
      - .offset:         56
        .size:           4
        .value_kind:     by_value
      - .actual_access:  read_only
        .address_space:  global
        .offset:         64
        .size:           8
        .value_kind:     global_buffer
      - .offset:         72
        .size:           4
        .value_kind:     by_value
      - .offset:         76
        .size:           4
        .value_kind:     by_value
      - .offset:         80
        .size:           4
        .value_kind:     by_value
      - .actual_access:  read_only
        .address_space:  global
        .offset:         88
        .size:           8
        .value_kind:     global_buffer
      - .actual_access:  read_only
        .address_space:  global
        .offset:         96
        .size:           8
        .value_kind:     global_buffer
      - .actual_access:  read_only
        .address_space:  global
        .offset:         104
        .size:           8
        .value_kind:     global_buffer
      - .actual_access:  read_only
        .address_space:  global
        .offset:         112
        .size:           8
        .value_kind:     global_buffer
      - .offset:         120
        .size:           4
        .value_kind:     by_value
      - .address_space:  global
        .offset:         128
        .size:           8
        .value_kind:     global_buffer
      - .address_space:  global
        .offset:         136
        .size:           8
        .value_kind:     global_buffer
      - .offset:         144
        .size:           4
        .value_kind:     hidden_block_count_x
      - .offset:         148
        .size:           4
        .value_kind:     hidden_block_count_y
      - .offset:         152
        .size:           4
        .value_kind:     hidden_block_count_z
      - .offset:         156
        .size:           2
        .value_kind:     hidden_group_size_x
      - .offset:         158
        .size:           2
        .value_kind:     hidden_group_size_y
      - .offset:         160
        .size:           2
        .value_kind:     hidden_group_size_z
      - .offset:         162
        .size:           2
        .value_kind:     hidden_remainder_x
      - .offset:         164
        .size:           2
        .value_kind:     hidden_remainder_y
      - .offset:         166
        .size:           2
        .value_kind:     hidden_remainder_z
      - .offset:         184
        .size:           8
        .value_kind:     hidden_global_offset_x
      - .offset:         192
        .size:           8
        .value_kind:     hidden_global_offset_y
      - .offset:         200
        .size:           8
        .value_kind:     hidden_global_offset_z
      - .offset:         208
        .size:           2
        .value_kind:     hidden_grid_dims
      - .offset:         224
        .size:           8
        .value_kind:     hidden_hostcall_buffer
    .group_segment_fixed_size: 0
    .kernarg_segment_align: 8
    .kernarg_segment_size: 400
    .language:       OpenCL C
    .language_version:
      - 2
      - 0
    .max_flat_workgroup_size: 256
    .name:           _Z39paged_attention_ll4mi_QKV_mfma16_kernelIDF16_DF16_LN4vllm18Fp8KVCacheDataTypeE0EhLi16ELi64ELi256ELb0ELi6EEvPKT_PKT0_S7_ifPKiS9_S9_iPKfiiiPfSC_PS2_PT2_iSB_SB_
    .private_segment_fixed_size: 64
    .sgpr_count:     36
    .sgpr_spill_count: 0
    .symbol:         _Z39paged_attention_ll4mi_QKV_mfma16_kernelIDF16_DF16_LN4vllm18Fp8KVCacheDataTypeE0EhLi16ELi64ELi256ELb0ELi6EEvPKT_PKT0_S7_ifPKiS9_S9_iPKfiiiPfSC_PS2_PT2_iSB_SB_.kd
    .uniform_work_group_size: 1
    .uses_dynamic_stack: false
    .vgpr_count:     51
    .vgpr_spill_count: 0
    .wavefront_size: 32
  - .args:
      - .actual_access:  read_only
        .address_space:  global
        .offset:         0
        .size:           8
        .value_kind:     global_buffer
      - .actual_access:  read_only
        .address_space:  global
        .offset:         8
        .size:           8
        .value_kind:     global_buffer
      - .actual_access:  read_only
        .address_space:  global
        .offset:         16
        .size:           8
        .value_kind:     global_buffer
      - .offset:         24
        .size:           4
        .value_kind:     by_value
      - .offset:         28
        .size:           4
        .value_kind:     by_value
      - .actual_access:  read_only
        .address_space:  global
        .offset:         32
        .size:           8
        .value_kind:     global_buffer
      - .actual_access:  read_only
        .address_space:  global
        .offset:         40
        .size:           8
        .value_kind:     global_buffer
      - .actual_access:  read_only
        .address_space:  global
        .offset:         48
        .size:           8
        .value_kind:     global_buffer
      - .offset:         56
        .size:           4
        .value_kind:     by_value
      - .actual_access:  read_only
        .address_space:  global
        .offset:         64
        .size:           8
        .value_kind:     global_buffer
      - .offset:         72
        .size:           4
        .value_kind:     by_value
      - .offset:         76
        .size:           4
        .value_kind:     by_value
      - .offset:         80
        .size:           4
        .value_kind:     by_value
      - .actual_access:  read_only
        .address_space:  global
        .offset:         88
        .size:           8
        .value_kind:     global_buffer
      - .actual_access:  read_only
        .address_space:  global
        .offset:         96
        .size:           8
        .value_kind:     global_buffer
      - .actual_access:  read_only
        .address_space:  global
        .offset:         104
        .size:           8
        .value_kind:     global_buffer
      - .actual_access:  read_only
        .address_space:  global
        .offset:         112
        .size:           8
        .value_kind:     global_buffer
      - .offset:         120
        .size:           4
        .value_kind:     by_value
      - .address_space:  global
        .offset:         128
        .size:           8
        .value_kind:     global_buffer
      - .address_space:  global
        .offset:         136
        .size:           8
        .value_kind:     global_buffer
      - .offset:         144
        .size:           4
        .value_kind:     hidden_block_count_x
      - .offset:         148
        .size:           4
        .value_kind:     hidden_block_count_y
      - .offset:         152
        .size:           4
        .value_kind:     hidden_block_count_z
      - .offset:         156
        .size:           2
        .value_kind:     hidden_group_size_x
      - .offset:         158
        .size:           2
        .value_kind:     hidden_group_size_y
      - .offset:         160
        .size:           2
        .value_kind:     hidden_group_size_z
      - .offset:         162
        .size:           2
        .value_kind:     hidden_remainder_x
      - .offset:         164
        .size:           2
        .value_kind:     hidden_remainder_y
      - .offset:         166
        .size:           2
        .value_kind:     hidden_remainder_z
      - .offset:         184
        .size:           8
        .value_kind:     hidden_global_offset_x
      - .offset:         192
        .size:           8
        .value_kind:     hidden_global_offset_y
      - .offset:         200
        .size:           8
        .value_kind:     hidden_global_offset_z
      - .offset:         208
        .size:           2
        .value_kind:     hidden_grid_dims
      - .offset:         224
        .size:           8
        .value_kind:     hidden_hostcall_buffer
    .group_segment_fixed_size: 0
    .kernarg_segment_align: 8
    .kernarg_segment_size: 400
    .language:       OpenCL C
    .language_version:
      - 2
      - 0
    .max_flat_workgroup_size: 256
    .name:           _Z39paged_attention_ll4mi_QKV_mfma16_kernelIDF16_DF16_LN4vllm18Fp8KVCacheDataTypeE0EhLi16ELi64ELi256ELb0ELi7EEvPKT_PKT0_S7_ifPKiS9_S9_iPKfiiiPfSC_PS2_PT2_iSB_SB_
    .private_segment_fixed_size: 64
    .sgpr_count:     36
    .sgpr_spill_count: 0
    .symbol:         _Z39paged_attention_ll4mi_QKV_mfma16_kernelIDF16_DF16_LN4vllm18Fp8KVCacheDataTypeE0EhLi16ELi64ELi256ELb0ELi7EEvPKT_PKT0_S7_ifPKiS9_S9_iPKfiiiPfSC_PS2_PT2_iSB_SB_.kd
    .uniform_work_group_size: 1
    .uses_dynamic_stack: false
    .vgpr_count:     51
    .vgpr_spill_count: 0
    .wavefront_size: 32
  - .args:
      - .actual_access:  read_only
        .address_space:  global
        .offset:         0
        .size:           8
        .value_kind:     global_buffer
      - .actual_access:  read_only
        .address_space:  global
        .offset:         8
        .size:           8
        .value_kind:     global_buffer
      - .actual_access:  read_only
        .address_space:  global
        .offset:         16
        .size:           8
        .value_kind:     global_buffer
      - .offset:         24
        .size:           4
        .value_kind:     by_value
      - .offset:         28
        .size:           4
        .value_kind:     by_value
      - .actual_access:  read_only
        .address_space:  global
        .offset:         32
        .size:           8
        .value_kind:     global_buffer
      - .actual_access:  read_only
        .address_space:  global
        .offset:         40
        .size:           8
        .value_kind:     global_buffer
      - .actual_access:  read_only
        .address_space:  global
        .offset:         48
        .size:           8
        .value_kind:     global_buffer
      - .offset:         56
        .size:           4
        .value_kind:     by_value
      - .actual_access:  read_only
        .address_space:  global
        .offset:         64
        .size:           8
        .value_kind:     global_buffer
      - .offset:         72
        .size:           4
        .value_kind:     by_value
      - .offset:         76
        .size:           4
        .value_kind:     by_value
      - .offset:         80
        .size:           4
        .value_kind:     by_value
      - .actual_access:  read_only
        .address_space:  global
        .offset:         88
        .size:           8
        .value_kind:     global_buffer
      - .actual_access:  read_only
        .address_space:  global
        .offset:         96
        .size:           8
        .value_kind:     global_buffer
      - .actual_access:  read_only
        .address_space:  global
        .offset:         104
        .size:           8
        .value_kind:     global_buffer
      - .actual_access:  read_only
        .address_space:  global
        .offset:         112
        .size:           8
        .value_kind:     global_buffer
      - .offset:         120
        .size:           4
        .value_kind:     by_value
      - .address_space:  global
        .offset:         128
        .size:           8
        .value_kind:     global_buffer
      - .address_space:  global
        .offset:         136
        .size:           8
        .value_kind:     global_buffer
      - .offset:         144
        .size:           4
        .value_kind:     hidden_block_count_x
      - .offset:         148
        .size:           4
        .value_kind:     hidden_block_count_y
      - .offset:         152
        .size:           4
        .value_kind:     hidden_block_count_z
      - .offset:         156
        .size:           2
        .value_kind:     hidden_group_size_x
      - .offset:         158
        .size:           2
        .value_kind:     hidden_group_size_y
      - .offset:         160
        .size:           2
        .value_kind:     hidden_group_size_z
      - .offset:         162
        .size:           2
        .value_kind:     hidden_remainder_x
      - .offset:         164
        .size:           2
        .value_kind:     hidden_remainder_y
      - .offset:         166
        .size:           2
        .value_kind:     hidden_remainder_z
      - .offset:         184
        .size:           8
        .value_kind:     hidden_global_offset_x
      - .offset:         192
        .size:           8
        .value_kind:     hidden_global_offset_y
      - .offset:         200
        .size:           8
        .value_kind:     hidden_global_offset_z
      - .offset:         208
        .size:           2
        .value_kind:     hidden_grid_dims
      - .offset:         224
        .size:           8
        .value_kind:     hidden_hostcall_buffer
    .group_segment_fixed_size: 0
    .kernarg_segment_align: 8
    .kernarg_segment_size: 400
    .language:       OpenCL C
    .language_version:
      - 2
      - 0
    .max_flat_workgroup_size: 256
    .name:           _Z39paged_attention_ll4mi_QKV_mfma16_kernelIDF16_DF16_LN4vllm18Fp8KVCacheDataTypeE0EhLi16ELi64ELi256ELb0ELi8EEvPKT_PKT0_S7_ifPKiS9_S9_iPKfiiiPfSC_PS2_PT2_iSB_SB_
    .private_segment_fixed_size: 64
    .sgpr_count:     36
    .sgpr_spill_count: 0
    .symbol:         _Z39paged_attention_ll4mi_QKV_mfma16_kernelIDF16_DF16_LN4vllm18Fp8KVCacheDataTypeE0EhLi16ELi64ELi256ELb0ELi8EEvPKT_PKT0_S7_ifPKiS9_S9_iPKfiiiPfSC_PS2_PT2_iSB_SB_.kd
    .uniform_work_group_size: 1
    .uses_dynamic_stack: false
    .vgpr_count:     51
    .vgpr_spill_count: 0
    .wavefront_size: 32
  - .args:
      - .actual_access:  read_only
        .address_space:  global
        .offset:         0
        .size:           8
        .value_kind:     global_buffer
      - .actual_access:  read_only
        .address_space:  global
        .offset:         8
        .size:           8
        .value_kind:     global_buffer
      - .actual_access:  read_only
        .address_space:  global
        .offset:         16
        .size:           8
        .value_kind:     global_buffer
      - .offset:         24
        .size:           4
        .value_kind:     by_value
      - .offset:         28
        .size:           4
        .value_kind:     by_value
      - .actual_access:  read_only
        .address_space:  global
        .offset:         32
        .size:           8
        .value_kind:     global_buffer
      - .actual_access:  read_only
        .address_space:  global
        .offset:         40
        .size:           8
        .value_kind:     global_buffer
      - .actual_access:  read_only
        .address_space:  global
        .offset:         48
        .size:           8
        .value_kind:     global_buffer
      - .offset:         56
        .size:           4
        .value_kind:     by_value
      - .actual_access:  read_only
        .address_space:  global
        .offset:         64
        .size:           8
        .value_kind:     global_buffer
      - .offset:         72
        .size:           4
        .value_kind:     by_value
      - .offset:         76
        .size:           4
        .value_kind:     by_value
      - .offset:         80
        .size:           4
        .value_kind:     by_value
      - .actual_access:  read_only
        .address_space:  global
        .offset:         88
        .size:           8
        .value_kind:     global_buffer
      - .actual_access:  read_only
        .address_space:  global
        .offset:         96
        .size:           8
        .value_kind:     global_buffer
      - .actual_access:  read_only
        .address_space:  global
        .offset:         104
        .size:           8
        .value_kind:     global_buffer
      - .actual_access:  read_only
        .address_space:  global
        .offset:         112
        .size:           8
        .value_kind:     global_buffer
      - .offset:         120
        .size:           4
        .value_kind:     by_value
      - .address_space:  global
        .offset:         128
        .size:           8
        .value_kind:     global_buffer
      - .address_space:  global
        .offset:         136
        .size:           8
        .value_kind:     global_buffer
      - .offset:         144
        .size:           4
        .value_kind:     hidden_block_count_x
      - .offset:         148
        .size:           4
        .value_kind:     hidden_block_count_y
      - .offset:         152
        .size:           4
        .value_kind:     hidden_block_count_z
      - .offset:         156
        .size:           2
        .value_kind:     hidden_group_size_x
      - .offset:         158
        .size:           2
        .value_kind:     hidden_group_size_y
      - .offset:         160
        .size:           2
        .value_kind:     hidden_group_size_z
      - .offset:         162
        .size:           2
        .value_kind:     hidden_remainder_x
      - .offset:         164
        .size:           2
        .value_kind:     hidden_remainder_y
      - .offset:         166
        .size:           2
        .value_kind:     hidden_remainder_z
      - .offset:         184
        .size:           8
        .value_kind:     hidden_global_offset_x
      - .offset:         192
        .size:           8
        .value_kind:     hidden_global_offset_y
      - .offset:         200
        .size:           8
        .value_kind:     hidden_global_offset_z
      - .offset:         208
        .size:           2
        .value_kind:     hidden_grid_dims
      - .offset:         224
        .size:           8
        .value_kind:     hidden_hostcall_buffer
    .group_segment_fixed_size: 0
    .kernarg_segment_align: 8
    .kernarg_segment_size: 400
    .language:       OpenCL C
    .language_version:
      - 2
      - 0
    .max_flat_workgroup_size: 256
    .name:           _Z39paged_attention_ll4mi_QKV_mfma16_kernelIDF16_DF16_LN4vllm18Fp8KVCacheDataTypeE0EhLi16ELi64ELi256ELb0ELi9EEvPKT_PKT0_S7_ifPKiS9_S9_iPKfiiiPfSC_PS2_PT2_iSB_SB_
    .private_segment_fixed_size: 64
    .sgpr_count:     36
    .sgpr_spill_count: 0
    .symbol:         _Z39paged_attention_ll4mi_QKV_mfma16_kernelIDF16_DF16_LN4vllm18Fp8KVCacheDataTypeE0EhLi16ELi64ELi256ELb0ELi9EEvPKT_PKT0_S7_ifPKiS9_S9_iPKfiiiPfSC_PS2_PT2_iSB_SB_.kd
    .uniform_work_group_size: 1
    .uses_dynamic_stack: false
    .vgpr_count:     51
    .vgpr_spill_count: 0
    .wavefront_size: 32
  - .args:
      - .actual_access:  read_only
        .address_space:  global
        .offset:         0
        .size:           8
        .value_kind:     global_buffer
      - .actual_access:  read_only
        .address_space:  global
        .offset:         8
        .size:           8
        .value_kind:     global_buffer
      - .actual_access:  read_only
        .address_space:  global
        .offset:         16
        .size:           8
        .value_kind:     global_buffer
      - .offset:         24
        .size:           4
        .value_kind:     by_value
      - .offset:         28
        .size:           4
        .value_kind:     by_value
      - .actual_access:  read_only
        .address_space:  global
        .offset:         32
        .size:           8
        .value_kind:     global_buffer
      - .actual_access:  read_only
        .address_space:  global
        .offset:         40
        .size:           8
        .value_kind:     global_buffer
      - .actual_access:  read_only
        .address_space:  global
        .offset:         48
        .size:           8
        .value_kind:     global_buffer
      - .offset:         56
        .size:           4
        .value_kind:     by_value
      - .actual_access:  read_only
        .address_space:  global
        .offset:         64
        .size:           8
        .value_kind:     global_buffer
      - .offset:         72
        .size:           4
        .value_kind:     by_value
      - .offset:         76
        .size:           4
        .value_kind:     by_value
      - .offset:         80
        .size:           4
        .value_kind:     by_value
      - .actual_access:  read_only
        .address_space:  global
        .offset:         88
        .size:           8
        .value_kind:     global_buffer
      - .actual_access:  read_only
        .address_space:  global
        .offset:         96
        .size:           8
        .value_kind:     global_buffer
      - .actual_access:  read_only
        .address_space:  global
        .offset:         104
        .size:           8
        .value_kind:     global_buffer
      - .actual_access:  read_only
        .address_space:  global
        .offset:         112
        .size:           8
        .value_kind:     global_buffer
      - .offset:         120
        .size:           4
        .value_kind:     by_value
      - .address_space:  global
        .offset:         128
        .size:           8
        .value_kind:     global_buffer
      - .address_space:  global
        .offset:         136
        .size:           8
        .value_kind:     global_buffer
      - .offset:         144
        .size:           4
        .value_kind:     hidden_block_count_x
      - .offset:         148
        .size:           4
        .value_kind:     hidden_block_count_y
      - .offset:         152
        .size:           4
        .value_kind:     hidden_block_count_z
      - .offset:         156
        .size:           2
        .value_kind:     hidden_group_size_x
      - .offset:         158
        .size:           2
        .value_kind:     hidden_group_size_y
      - .offset:         160
        .size:           2
        .value_kind:     hidden_group_size_z
      - .offset:         162
        .size:           2
        .value_kind:     hidden_remainder_x
      - .offset:         164
        .size:           2
        .value_kind:     hidden_remainder_y
      - .offset:         166
        .size:           2
        .value_kind:     hidden_remainder_z
      - .offset:         184
        .size:           8
        .value_kind:     hidden_global_offset_x
      - .offset:         192
        .size:           8
        .value_kind:     hidden_global_offset_y
      - .offset:         200
        .size:           8
        .value_kind:     hidden_global_offset_z
      - .offset:         208
        .size:           2
        .value_kind:     hidden_grid_dims
      - .offset:         224
        .size:           8
        .value_kind:     hidden_hostcall_buffer
    .group_segment_fixed_size: 0
    .kernarg_segment_align: 8
    .kernarg_segment_size: 400
    .language:       OpenCL C
    .language_version:
      - 2
      - 0
    .max_flat_workgroup_size: 256
    .name:           _Z39paged_attention_ll4mi_QKV_mfma16_kernelIDF16_DF16_LN4vllm18Fp8KVCacheDataTypeE0EhLi16ELi64ELi256ELb0ELi10EEvPKT_PKT0_S7_ifPKiS9_S9_iPKfiiiPfSC_PS2_PT2_iSB_SB_
    .private_segment_fixed_size: 64
    .sgpr_count:     36
    .sgpr_spill_count: 0
    .symbol:         _Z39paged_attention_ll4mi_QKV_mfma16_kernelIDF16_DF16_LN4vllm18Fp8KVCacheDataTypeE0EhLi16ELi64ELi256ELb0ELi10EEvPKT_PKT0_S7_ifPKiS9_S9_iPKfiiiPfSC_PS2_PT2_iSB_SB_.kd
    .uniform_work_group_size: 1
    .uses_dynamic_stack: false
    .vgpr_count:     51
    .vgpr_spill_count: 0
    .wavefront_size: 32
  - .args:
      - .actual_access:  read_only
        .address_space:  global
        .offset:         0
        .size:           8
        .value_kind:     global_buffer
      - .actual_access:  read_only
        .address_space:  global
        .offset:         8
        .size:           8
        .value_kind:     global_buffer
      - .actual_access:  read_only
        .address_space:  global
        .offset:         16
        .size:           8
        .value_kind:     global_buffer
      - .offset:         24
        .size:           4
        .value_kind:     by_value
      - .offset:         28
        .size:           4
        .value_kind:     by_value
      - .actual_access:  read_only
        .address_space:  global
        .offset:         32
        .size:           8
        .value_kind:     global_buffer
      - .actual_access:  read_only
        .address_space:  global
        .offset:         40
        .size:           8
        .value_kind:     global_buffer
      - .actual_access:  read_only
        .address_space:  global
        .offset:         48
        .size:           8
        .value_kind:     global_buffer
      - .offset:         56
        .size:           4
        .value_kind:     by_value
      - .actual_access:  read_only
        .address_space:  global
        .offset:         64
        .size:           8
        .value_kind:     global_buffer
      - .offset:         72
        .size:           4
        .value_kind:     by_value
      - .offset:         76
        .size:           4
        .value_kind:     by_value
      - .offset:         80
        .size:           4
        .value_kind:     by_value
      - .actual_access:  read_only
        .address_space:  global
        .offset:         88
        .size:           8
        .value_kind:     global_buffer
      - .actual_access:  read_only
        .address_space:  global
        .offset:         96
        .size:           8
        .value_kind:     global_buffer
      - .actual_access:  read_only
        .address_space:  global
        .offset:         104
        .size:           8
        .value_kind:     global_buffer
      - .actual_access:  read_only
        .address_space:  global
        .offset:         112
        .size:           8
        .value_kind:     global_buffer
      - .offset:         120
        .size:           4
        .value_kind:     by_value
      - .address_space:  global
        .offset:         128
        .size:           8
        .value_kind:     global_buffer
      - .address_space:  global
        .offset:         136
        .size:           8
        .value_kind:     global_buffer
      - .offset:         144
        .size:           4
        .value_kind:     hidden_block_count_x
      - .offset:         148
        .size:           4
        .value_kind:     hidden_block_count_y
      - .offset:         152
        .size:           4
        .value_kind:     hidden_block_count_z
      - .offset:         156
        .size:           2
        .value_kind:     hidden_group_size_x
      - .offset:         158
        .size:           2
        .value_kind:     hidden_group_size_y
      - .offset:         160
        .size:           2
        .value_kind:     hidden_group_size_z
      - .offset:         162
        .size:           2
        .value_kind:     hidden_remainder_x
      - .offset:         164
        .size:           2
        .value_kind:     hidden_remainder_y
      - .offset:         166
        .size:           2
        .value_kind:     hidden_remainder_z
      - .offset:         184
        .size:           8
        .value_kind:     hidden_global_offset_x
      - .offset:         192
        .size:           8
        .value_kind:     hidden_global_offset_y
      - .offset:         200
        .size:           8
        .value_kind:     hidden_global_offset_z
      - .offset:         208
        .size:           2
        .value_kind:     hidden_grid_dims
      - .offset:         224
        .size:           8
        .value_kind:     hidden_hostcall_buffer
    .group_segment_fixed_size: 0
    .kernarg_segment_align: 8
    .kernarg_segment_size: 400
    .language:       OpenCL C
    .language_version:
      - 2
      - 0
    .max_flat_workgroup_size: 256
    .name:           _Z39paged_attention_ll4mi_QKV_mfma16_kernelIDF16_DF16_LN4vllm18Fp8KVCacheDataTypeE0EhLi16ELi64ELi256ELb0ELi11EEvPKT_PKT0_S7_ifPKiS9_S9_iPKfiiiPfSC_PS2_PT2_iSB_SB_
    .private_segment_fixed_size: 64
    .sgpr_count:     36
    .sgpr_spill_count: 0
    .symbol:         _Z39paged_attention_ll4mi_QKV_mfma16_kernelIDF16_DF16_LN4vllm18Fp8KVCacheDataTypeE0EhLi16ELi64ELi256ELb0ELi11EEvPKT_PKT0_S7_ifPKiS9_S9_iPKfiiiPfSC_PS2_PT2_iSB_SB_.kd
    .uniform_work_group_size: 1
    .uses_dynamic_stack: false
    .vgpr_count:     51
    .vgpr_spill_count: 0
    .wavefront_size: 32
  - .args:
      - .actual_access:  read_only
        .address_space:  global
        .offset:         0
        .size:           8
        .value_kind:     global_buffer
      - .actual_access:  read_only
        .address_space:  global
        .offset:         8
        .size:           8
        .value_kind:     global_buffer
      - .actual_access:  read_only
        .address_space:  global
        .offset:         16
        .size:           8
        .value_kind:     global_buffer
      - .offset:         24
        .size:           4
        .value_kind:     by_value
      - .offset:         28
        .size:           4
        .value_kind:     by_value
      - .actual_access:  read_only
        .address_space:  global
        .offset:         32
        .size:           8
        .value_kind:     global_buffer
      - .actual_access:  read_only
        .address_space:  global
        .offset:         40
        .size:           8
        .value_kind:     global_buffer
      - .actual_access:  read_only
        .address_space:  global
        .offset:         48
        .size:           8
        .value_kind:     global_buffer
      - .offset:         56
        .size:           4
        .value_kind:     by_value
      - .actual_access:  read_only
        .address_space:  global
        .offset:         64
        .size:           8
        .value_kind:     global_buffer
      - .offset:         72
        .size:           4
        .value_kind:     by_value
      - .offset:         76
        .size:           4
        .value_kind:     by_value
      - .offset:         80
        .size:           4
        .value_kind:     by_value
      - .actual_access:  read_only
        .address_space:  global
        .offset:         88
        .size:           8
        .value_kind:     global_buffer
      - .actual_access:  read_only
        .address_space:  global
        .offset:         96
        .size:           8
        .value_kind:     global_buffer
      - .actual_access:  read_only
        .address_space:  global
        .offset:         104
        .size:           8
        .value_kind:     global_buffer
      - .actual_access:  read_only
        .address_space:  global
        .offset:         112
        .size:           8
        .value_kind:     global_buffer
      - .offset:         120
        .size:           4
        .value_kind:     by_value
      - .address_space:  global
        .offset:         128
        .size:           8
        .value_kind:     global_buffer
      - .address_space:  global
        .offset:         136
        .size:           8
        .value_kind:     global_buffer
      - .offset:         144
        .size:           4
        .value_kind:     hidden_block_count_x
      - .offset:         148
        .size:           4
        .value_kind:     hidden_block_count_y
      - .offset:         152
        .size:           4
        .value_kind:     hidden_block_count_z
      - .offset:         156
        .size:           2
        .value_kind:     hidden_group_size_x
      - .offset:         158
        .size:           2
        .value_kind:     hidden_group_size_y
      - .offset:         160
        .size:           2
        .value_kind:     hidden_group_size_z
      - .offset:         162
        .size:           2
        .value_kind:     hidden_remainder_x
      - .offset:         164
        .size:           2
        .value_kind:     hidden_remainder_y
      - .offset:         166
        .size:           2
        .value_kind:     hidden_remainder_z
      - .offset:         184
        .size:           8
        .value_kind:     hidden_global_offset_x
      - .offset:         192
        .size:           8
        .value_kind:     hidden_global_offset_y
      - .offset:         200
        .size:           8
        .value_kind:     hidden_global_offset_z
      - .offset:         208
        .size:           2
        .value_kind:     hidden_grid_dims
      - .offset:         224
        .size:           8
        .value_kind:     hidden_hostcall_buffer
    .group_segment_fixed_size: 0
    .kernarg_segment_align: 8
    .kernarg_segment_size: 400
    .language:       OpenCL C
    .language_version:
      - 2
      - 0
    .max_flat_workgroup_size: 256
    .name:           _Z39paged_attention_ll4mi_QKV_mfma16_kernelIDF16_DF16_LN4vllm18Fp8KVCacheDataTypeE0EhLi16ELi64ELi256ELb0ELi12EEvPKT_PKT0_S7_ifPKiS9_S9_iPKfiiiPfSC_PS2_PT2_iSB_SB_
    .private_segment_fixed_size: 64
    .sgpr_count:     36
    .sgpr_spill_count: 0
    .symbol:         _Z39paged_attention_ll4mi_QKV_mfma16_kernelIDF16_DF16_LN4vllm18Fp8KVCacheDataTypeE0EhLi16ELi64ELi256ELb0ELi12EEvPKT_PKT0_S7_ifPKiS9_S9_iPKfiiiPfSC_PS2_PT2_iSB_SB_.kd
    .uniform_work_group_size: 1
    .uses_dynamic_stack: false
    .vgpr_count:     51
    .vgpr_spill_count: 0
    .wavefront_size: 32
  - .args:
      - .actual_access:  read_only
        .address_space:  global
        .offset:         0
        .size:           8
        .value_kind:     global_buffer
      - .actual_access:  read_only
        .address_space:  global
        .offset:         8
        .size:           8
        .value_kind:     global_buffer
      - .actual_access:  read_only
        .address_space:  global
        .offset:         16
        .size:           8
        .value_kind:     global_buffer
      - .offset:         24
        .size:           4
        .value_kind:     by_value
      - .offset:         28
        .size:           4
        .value_kind:     by_value
      - .actual_access:  read_only
        .address_space:  global
        .offset:         32
        .size:           8
        .value_kind:     global_buffer
      - .actual_access:  read_only
        .address_space:  global
        .offset:         40
        .size:           8
        .value_kind:     global_buffer
      - .actual_access:  read_only
        .address_space:  global
        .offset:         48
        .size:           8
        .value_kind:     global_buffer
      - .offset:         56
        .size:           4
        .value_kind:     by_value
      - .actual_access:  read_only
        .address_space:  global
        .offset:         64
        .size:           8
        .value_kind:     global_buffer
      - .offset:         72
        .size:           4
        .value_kind:     by_value
      - .offset:         76
        .size:           4
        .value_kind:     by_value
      - .offset:         80
        .size:           4
        .value_kind:     by_value
      - .actual_access:  read_only
        .address_space:  global
        .offset:         88
        .size:           8
        .value_kind:     global_buffer
      - .actual_access:  read_only
        .address_space:  global
        .offset:         96
        .size:           8
        .value_kind:     global_buffer
      - .actual_access:  read_only
        .address_space:  global
        .offset:         104
        .size:           8
        .value_kind:     global_buffer
      - .actual_access:  read_only
        .address_space:  global
        .offset:         112
        .size:           8
        .value_kind:     global_buffer
      - .offset:         120
        .size:           4
        .value_kind:     by_value
      - .address_space:  global
        .offset:         128
        .size:           8
        .value_kind:     global_buffer
      - .address_space:  global
        .offset:         136
        .size:           8
        .value_kind:     global_buffer
      - .offset:         144
        .size:           4
        .value_kind:     hidden_block_count_x
      - .offset:         148
        .size:           4
        .value_kind:     hidden_block_count_y
      - .offset:         152
        .size:           4
        .value_kind:     hidden_block_count_z
      - .offset:         156
        .size:           2
        .value_kind:     hidden_group_size_x
      - .offset:         158
        .size:           2
        .value_kind:     hidden_group_size_y
      - .offset:         160
        .size:           2
        .value_kind:     hidden_group_size_z
      - .offset:         162
        .size:           2
        .value_kind:     hidden_remainder_x
      - .offset:         164
        .size:           2
        .value_kind:     hidden_remainder_y
      - .offset:         166
        .size:           2
        .value_kind:     hidden_remainder_z
      - .offset:         184
        .size:           8
        .value_kind:     hidden_global_offset_x
      - .offset:         192
        .size:           8
        .value_kind:     hidden_global_offset_y
      - .offset:         200
        .size:           8
        .value_kind:     hidden_global_offset_z
      - .offset:         208
        .size:           2
        .value_kind:     hidden_grid_dims
      - .offset:         224
        .size:           8
        .value_kind:     hidden_hostcall_buffer
    .group_segment_fixed_size: 0
    .kernarg_segment_align: 8
    .kernarg_segment_size: 400
    .language:       OpenCL C
    .language_version:
      - 2
      - 0
    .max_flat_workgroup_size: 256
    .name:           _Z39paged_attention_ll4mi_QKV_mfma16_kernelIDF16_DF16_LN4vllm18Fp8KVCacheDataTypeE0EhLi16ELi64ELi256ELb0ELi13EEvPKT_PKT0_S7_ifPKiS9_S9_iPKfiiiPfSC_PS2_PT2_iSB_SB_
    .private_segment_fixed_size: 64
    .sgpr_count:     36
    .sgpr_spill_count: 0
    .symbol:         _Z39paged_attention_ll4mi_QKV_mfma16_kernelIDF16_DF16_LN4vllm18Fp8KVCacheDataTypeE0EhLi16ELi64ELi256ELb0ELi13EEvPKT_PKT0_S7_ifPKiS9_S9_iPKfiiiPfSC_PS2_PT2_iSB_SB_.kd
    .uniform_work_group_size: 1
    .uses_dynamic_stack: false
    .vgpr_count:     51
    .vgpr_spill_count: 0
    .wavefront_size: 32
  - .args:
      - .actual_access:  read_only
        .address_space:  global
        .offset:         0
        .size:           8
        .value_kind:     global_buffer
      - .actual_access:  read_only
        .address_space:  global
        .offset:         8
        .size:           8
        .value_kind:     global_buffer
      - .actual_access:  read_only
        .address_space:  global
        .offset:         16
        .size:           8
        .value_kind:     global_buffer
      - .offset:         24
        .size:           4
        .value_kind:     by_value
      - .offset:         28
        .size:           4
        .value_kind:     by_value
      - .actual_access:  read_only
        .address_space:  global
        .offset:         32
        .size:           8
        .value_kind:     global_buffer
      - .actual_access:  read_only
        .address_space:  global
        .offset:         40
        .size:           8
        .value_kind:     global_buffer
      - .actual_access:  read_only
        .address_space:  global
        .offset:         48
        .size:           8
        .value_kind:     global_buffer
      - .offset:         56
        .size:           4
        .value_kind:     by_value
      - .actual_access:  read_only
        .address_space:  global
        .offset:         64
        .size:           8
        .value_kind:     global_buffer
      - .offset:         72
        .size:           4
        .value_kind:     by_value
      - .offset:         76
        .size:           4
        .value_kind:     by_value
      - .offset:         80
        .size:           4
        .value_kind:     by_value
      - .actual_access:  read_only
        .address_space:  global
        .offset:         88
        .size:           8
        .value_kind:     global_buffer
      - .actual_access:  read_only
        .address_space:  global
        .offset:         96
        .size:           8
        .value_kind:     global_buffer
      - .actual_access:  read_only
        .address_space:  global
        .offset:         104
        .size:           8
        .value_kind:     global_buffer
      - .actual_access:  read_only
        .address_space:  global
        .offset:         112
        .size:           8
        .value_kind:     global_buffer
      - .offset:         120
        .size:           4
        .value_kind:     by_value
      - .address_space:  global
        .offset:         128
        .size:           8
        .value_kind:     global_buffer
      - .address_space:  global
        .offset:         136
        .size:           8
        .value_kind:     global_buffer
      - .offset:         144
        .size:           4
        .value_kind:     hidden_block_count_x
      - .offset:         148
        .size:           4
        .value_kind:     hidden_block_count_y
      - .offset:         152
        .size:           4
        .value_kind:     hidden_block_count_z
      - .offset:         156
        .size:           2
        .value_kind:     hidden_group_size_x
      - .offset:         158
        .size:           2
        .value_kind:     hidden_group_size_y
      - .offset:         160
        .size:           2
        .value_kind:     hidden_group_size_z
      - .offset:         162
        .size:           2
        .value_kind:     hidden_remainder_x
      - .offset:         164
        .size:           2
        .value_kind:     hidden_remainder_y
      - .offset:         166
        .size:           2
        .value_kind:     hidden_remainder_z
      - .offset:         184
        .size:           8
        .value_kind:     hidden_global_offset_x
      - .offset:         192
        .size:           8
        .value_kind:     hidden_global_offset_y
      - .offset:         200
        .size:           8
        .value_kind:     hidden_global_offset_z
      - .offset:         208
        .size:           2
        .value_kind:     hidden_grid_dims
      - .offset:         224
        .size:           8
        .value_kind:     hidden_hostcall_buffer
    .group_segment_fixed_size: 0
    .kernarg_segment_align: 8
    .kernarg_segment_size: 400
    .language:       OpenCL C
    .language_version:
      - 2
      - 0
    .max_flat_workgroup_size: 256
    .name:           _Z39paged_attention_ll4mi_QKV_mfma16_kernelIDF16_DF16_LN4vllm18Fp8KVCacheDataTypeE0EhLi16ELi64ELi256ELb0ELi14EEvPKT_PKT0_S7_ifPKiS9_S9_iPKfiiiPfSC_PS2_PT2_iSB_SB_
    .private_segment_fixed_size: 64
    .sgpr_count:     36
    .sgpr_spill_count: 0
    .symbol:         _Z39paged_attention_ll4mi_QKV_mfma16_kernelIDF16_DF16_LN4vllm18Fp8KVCacheDataTypeE0EhLi16ELi64ELi256ELb0ELi14EEvPKT_PKT0_S7_ifPKiS9_S9_iPKfiiiPfSC_PS2_PT2_iSB_SB_.kd
    .uniform_work_group_size: 1
    .uses_dynamic_stack: false
    .vgpr_count:     51
    .vgpr_spill_count: 0
    .wavefront_size: 32
  - .args:
      - .actual_access:  read_only
        .address_space:  global
        .offset:         0
        .size:           8
        .value_kind:     global_buffer
      - .actual_access:  read_only
        .address_space:  global
        .offset:         8
        .size:           8
        .value_kind:     global_buffer
      - .actual_access:  read_only
        .address_space:  global
        .offset:         16
        .size:           8
        .value_kind:     global_buffer
      - .offset:         24
        .size:           4
        .value_kind:     by_value
      - .offset:         28
        .size:           4
        .value_kind:     by_value
      - .actual_access:  read_only
        .address_space:  global
        .offset:         32
        .size:           8
        .value_kind:     global_buffer
      - .actual_access:  read_only
        .address_space:  global
        .offset:         40
        .size:           8
        .value_kind:     global_buffer
      - .actual_access:  read_only
        .address_space:  global
        .offset:         48
        .size:           8
        .value_kind:     global_buffer
      - .offset:         56
        .size:           4
        .value_kind:     by_value
      - .actual_access:  read_only
        .address_space:  global
        .offset:         64
        .size:           8
        .value_kind:     global_buffer
      - .offset:         72
        .size:           4
        .value_kind:     by_value
      - .offset:         76
        .size:           4
        .value_kind:     by_value
      - .offset:         80
        .size:           4
        .value_kind:     by_value
      - .actual_access:  read_only
        .address_space:  global
        .offset:         88
        .size:           8
        .value_kind:     global_buffer
      - .actual_access:  read_only
        .address_space:  global
        .offset:         96
        .size:           8
        .value_kind:     global_buffer
      - .actual_access:  read_only
        .address_space:  global
        .offset:         104
        .size:           8
        .value_kind:     global_buffer
      - .actual_access:  read_only
        .address_space:  global
        .offset:         112
        .size:           8
        .value_kind:     global_buffer
      - .offset:         120
        .size:           4
        .value_kind:     by_value
      - .address_space:  global
        .offset:         128
        .size:           8
        .value_kind:     global_buffer
      - .address_space:  global
        .offset:         136
        .size:           8
        .value_kind:     global_buffer
      - .offset:         144
        .size:           4
        .value_kind:     hidden_block_count_x
      - .offset:         148
        .size:           4
        .value_kind:     hidden_block_count_y
      - .offset:         152
        .size:           4
        .value_kind:     hidden_block_count_z
      - .offset:         156
        .size:           2
        .value_kind:     hidden_group_size_x
      - .offset:         158
        .size:           2
        .value_kind:     hidden_group_size_y
      - .offset:         160
        .size:           2
        .value_kind:     hidden_group_size_z
      - .offset:         162
        .size:           2
        .value_kind:     hidden_remainder_x
      - .offset:         164
        .size:           2
        .value_kind:     hidden_remainder_y
      - .offset:         166
        .size:           2
        .value_kind:     hidden_remainder_z
      - .offset:         184
        .size:           8
        .value_kind:     hidden_global_offset_x
      - .offset:         192
        .size:           8
        .value_kind:     hidden_global_offset_y
      - .offset:         200
        .size:           8
        .value_kind:     hidden_global_offset_z
      - .offset:         208
        .size:           2
        .value_kind:     hidden_grid_dims
      - .offset:         224
        .size:           8
        .value_kind:     hidden_hostcall_buffer
    .group_segment_fixed_size: 0
    .kernarg_segment_align: 8
    .kernarg_segment_size: 400
    .language:       OpenCL C
    .language_version:
      - 2
      - 0
    .max_flat_workgroup_size: 256
    .name:           _Z39paged_attention_ll4mi_QKV_mfma16_kernelIDF16_DF16_LN4vllm18Fp8KVCacheDataTypeE0EhLi16ELi64ELi256ELb0ELi15EEvPKT_PKT0_S7_ifPKiS9_S9_iPKfiiiPfSC_PS2_PT2_iSB_SB_
    .private_segment_fixed_size: 64
    .sgpr_count:     36
    .sgpr_spill_count: 0
    .symbol:         _Z39paged_attention_ll4mi_QKV_mfma16_kernelIDF16_DF16_LN4vllm18Fp8KVCacheDataTypeE0EhLi16ELi64ELi256ELb0ELi15EEvPKT_PKT0_S7_ifPKiS9_S9_iPKfiiiPfSC_PS2_PT2_iSB_SB_.kd
    .uniform_work_group_size: 1
    .uses_dynamic_stack: false
    .vgpr_count:     51
    .vgpr_spill_count: 0
    .wavefront_size: 32
  - .args:
      - .actual_access:  read_only
        .address_space:  global
        .offset:         0
        .size:           8
        .value_kind:     global_buffer
      - .actual_access:  read_only
        .address_space:  global
        .offset:         8
        .size:           8
        .value_kind:     global_buffer
      - .actual_access:  read_only
        .address_space:  global
        .offset:         16
        .size:           8
        .value_kind:     global_buffer
      - .offset:         24
        .size:           4
        .value_kind:     by_value
      - .offset:         28
        .size:           4
        .value_kind:     by_value
      - .actual_access:  read_only
        .address_space:  global
        .offset:         32
        .size:           8
        .value_kind:     global_buffer
      - .actual_access:  read_only
        .address_space:  global
        .offset:         40
        .size:           8
        .value_kind:     global_buffer
      - .actual_access:  read_only
        .address_space:  global
        .offset:         48
        .size:           8
        .value_kind:     global_buffer
      - .offset:         56
        .size:           4
        .value_kind:     by_value
      - .actual_access:  read_only
        .address_space:  global
        .offset:         64
        .size:           8
        .value_kind:     global_buffer
      - .offset:         72
        .size:           4
        .value_kind:     by_value
      - .offset:         76
        .size:           4
        .value_kind:     by_value
      - .offset:         80
        .size:           4
        .value_kind:     by_value
      - .actual_access:  read_only
        .address_space:  global
        .offset:         88
        .size:           8
        .value_kind:     global_buffer
      - .actual_access:  read_only
        .address_space:  global
        .offset:         96
        .size:           8
        .value_kind:     global_buffer
      - .actual_access:  read_only
        .address_space:  global
        .offset:         104
        .size:           8
        .value_kind:     global_buffer
      - .actual_access:  read_only
        .address_space:  global
        .offset:         112
        .size:           8
        .value_kind:     global_buffer
      - .offset:         120
        .size:           4
        .value_kind:     by_value
      - .address_space:  global
        .offset:         128
        .size:           8
        .value_kind:     global_buffer
      - .address_space:  global
        .offset:         136
        .size:           8
        .value_kind:     global_buffer
      - .offset:         144
        .size:           4
        .value_kind:     hidden_block_count_x
      - .offset:         148
        .size:           4
        .value_kind:     hidden_block_count_y
      - .offset:         152
        .size:           4
        .value_kind:     hidden_block_count_z
      - .offset:         156
        .size:           2
        .value_kind:     hidden_group_size_x
      - .offset:         158
        .size:           2
        .value_kind:     hidden_group_size_y
      - .offset:         160
        .size:           2
        .value_kind:     hidden_group_size_z
      - .offset:         162
        .size:           2
        .value_kind:     hidden_remainder_x
      - .offset:         164
        .size:           2
        .value_kind:     hidden_remainder_y
      - .offset:         166
        .size:           2
        .value_kind:     hidden_remainder_z
      - .offset:         184
        .size:           8
        .value_kind:     hidden_global_offset_x
      - .offset:         192
        .size:           8
        .value_kind:     hidden_global_offset_y
      - .offset:         200
        .size:           8
        .value_kind:     hidden_global_offset_z
      - .offset:         208
        .size:           2
        .value_kind:     hidden_grid_dims
      - .offset:         224
        .size:           8
        .value_kind:     hidden_hostcall_buffer
    .group_segment_fixed_size: 0
    .kernarg_segment_align: 8
    .kernarg_segment_size: 400
    .language:       OpenCL C
    .language_version:
      - 2
      - 0
    .max_flat_workgroup_size: 256
    .name:           _Z39paged_attention_ll4mi_QKV_mfma16_kernelIDF16_DF16_LN4vllm18Fp8KVCacheDataTypeE0EhLi16ELi64ELi256ELb0ELi16EEvPKT_PKT0_S7_ifPKiS9_S9_iPKfiiiPfSC_PS2_PT2_iSB_SB_
    .private_segment_fixed_size: 64
    .sgpr_count:     36
    .sgpr_spill_count: 0
    .symbol:         _Z39paged_attention_ll4mi_QKV_mfma16_kernelIDF16_DF16_LN4vllm18Fp8KVCacheDataTypeE0EhLi16ELi64ELi256ELb0ELi16EEvPKT_PKT0_S7_ifPKiS9_S9_iPKfiiiPfSC_PS2_PT2_iSB_SB_.kd
    .uniform_work_group_size: 1
    .uses_dynamic_stack: false
    .vgpr_count:     51
    .vgpr_spill_count: 0
    .wavefront_size: 32
  - .args:
      - .actual_access:  read_only
        .address_space:  global
        .offset:         0
        .size:           8
        .value_kind:     global_buffer
      - .actual_access:  read_only
        .address_space:  global
        .offset:         8
        .size:           8
        .value_kind:     global_buffer
      - .actual_access:  read_only
        .address_space:  global
        .offset:         16
        .size:           8
        .value_kind:     global_buffer
      - .offset:         24
        .size:           4
        .value_kind:     by_value
      - .offset:         28
        .size:           4
        .value_kind:     by_value
      - .actual_access:  read_only
        .address_space:  global
        .offset:         32
        .size:           8
        .value_kind:     global_buffer
      - .actual_access:  read_only
        .address_space:  global
        .offset:         40
        .size:           8
        .value_kind:     global_buffer
      - .actual_access:  read_only
        .address_space:  global
        .offset:         48
        .size:           8
        .value_kind:     global_buffer
      - .offset:         56
        .size:           4
        .value_kind:     by_value
      - .actual_access:  read_only
        .address_space:  global
        .offset:         64
        .size:           8
        .value_kind:     global_buffer
      - .offset:         72
        .size:           4
        .value_kind:     by_value
      - .offset:         76
        .size:           4
        .value_kind:     by_value
      - .offset:         80
        .size:           4
        .value_kind:     by_value
      - .actual_access:  read_only
        .address_space:  global
        .offset:         88
        .size:           8
        .value_kind:     global_buffer
      - .actual_access:  read_only
        .address_space:  global
        .offset:         96
        .size:           8
        .value_kind:     global_buffer
      - .actual_access:  read_only
        .address_space:  global
        .offset:         104
        .size:           8
        .value_kind:     global_buffer
      - .actual_access:  read_only
        .address_space:  global
        .offset:         112
        .size:           8
        .value_kind:     global_buffer
      - .offset:         120
        .size:           4
        .value_kind:     by_value
      - .address_space:  global
        .offset:         128
        .size:           8
        .value_kind:     global_buffer
      - .address_space:  global
        .offset:         136
        .size:           8
        .value_kind:     global_buffer
      - .offset:         144
        .size:           4
        .value_kind:     hidden_block_count_x
      - .offset:         148
        .size:           4
        .value_kind:     hidden_block_count_y
      - .offset:         152
        .size:           4
        .value_kind:     hidden_block_count_z
      - .offset:         156
        .size:           2
        .value_kind:     hidden_group_size_x
      - .offset:         158
        .size:           2
        .value_kind:     hidden_group_size_y
      - .offset:         160
        .size:           2
        .value_kind:     hidden_group_size_z
      - .offset:         162
        .size:           2
        .value_kind:     hidden_remainder_x
      - .offset:         164
        .size:           2
        .value_kind:     hidden_remainder_y
      - .offset:         166
        .size:           2
        .value_kind:     hidden_remainder_z
      - .offset:         184
        .size:           8
        .value_kind:     hidden_global_offset_x
      - .offset:         192
        .size:           8
        .value_kind:     hidden_global_offset_y
      - .offset:         200
        .size:           8
        .value_kind:     hidden_global_offset_z
      - .offset:         208
        .size:           2
        .value_kind:     hidden_grid_dims
      - .offset:         224
        .size:           8
        .value_kind:     hidden_hostcall_buffer
    .group_segment_fixed_size: 0
    .kernarg_segment_align: 8
    .kernarg_segment_size: 400
    .language:       OpenCL C
    .language_version:
      - 2
      - 0
    .max_flat_workgroup_size: 256
    .name:           _Z39paged_attention_ll4mi_QKV_mfma16_kernelIDF16_DF16_LN4vllm18Fp8KVCacheDataTypeE0EhLi16ELi64ELi256ELb0ELi1EEvPKT_PKT0_S7_ifPKiS9_S9_iPKfiiiPfSC_PS2_PT2_iSB_SB_
    .private_segment_fixed_size: 64
    .sgpr_count:     36
    .sgpr_spill_count: 0
    .symbol:         _Z39paged_attention_ll4mi_QKV_mfma16_kernelIDF16_DF16_LN4vllm18Fp8KVCacheDataTypeE0EhLi16ELi64ELi256ELb0ELi1EEvPKT_PKT0_S7_ifPKiS9_S9_iPKfiiiPfSC_PS2_PT2_iSB_SB_.kd
    .uniform_work_group_size: 1
    .uses_dynamic_stack: false
    .vgpr_count:     51
    .vgpr_spill_count: 0
    .wavefront_size: 32
  - .args:
      - .actual_access:  read_only
        .address_space:  global
        .offset:         0
        .size:           8
        .value_kind:     global_buffer
      - .actual_access:  read_only
        .address_space:  global
        .offset:         8
        .size:           8
        .value_kind:     global_buffer
      - .actual_access:  read_only
        .address_space:  global
        .offset:         16
        .size:           8
        .value_kind:     global_buffer
      - .offset:         24
        .size:           4
        .value_kind:     by_value
      - .offset:         28
        .size:           4
        .value_kind:     by_value
      - .actual_access:  read_only
        .address_space:  global
        .offset:         32
        .size:           8
        .value_kind:     global_buffer
      - .actual_access:  read_only
        .address_space:  global
        .offset:         40
        .size:           8
        .value_kind:     global_buffer
      - .actual_access:  read_only
        .address_space:  global
        .offset:         48
        .size:           8
        .value_kind:     global_buffer
      - .offset:         56
        .size:           4
        .value_kind:     by_value
      - .actual_access:  read_only
        .address_space:  global
        .offset:         64
        .size:           8
        .value_kind:     global_buffer
      - .offset:         72
        .size:           4
        .value_kind:     by_value
      - .offset:         76
        .size:           4
        .value_kind:     by_value
      - .offset:         80
        .size:           4
        .value_kind:     by_value
      - .actual_access:  read_only
        .address_space:  global
        .offset:         88
        .size:           8
        .value_kind:     global_buffer
      - .actual_access:  read_only
        .address_space:  global
        .offset:         96
        .size:           8
        .value_kind:     global_buffer
      - .actual_access:  read_only
        .address_space:  global
        .offset:         104
        .size:           8
        .value_kind:     global_buffer
      - .actual_access:  read_only
        .address_space:  global
        .offset:         112
        .size:           8
        .value_kind:     global_buffer
      - .offset:         120
        .size:           4
        .value_kind:     by_value
      - .address_space:  global
        .offset:         128
        .size:           8
        .value_kind:     global_buffer
      - .address_space:  global
        .offset:         136
        .size:           8
        .value_kind:     global_buffer
      - .offset:         144
        .size:           4
        .value_kind:     hidden_block_count_x
      - .offset:         148
        .size:           4
        .value_kind:     hidden_block_count_y
      - .offset:         152
        .size:           4
        .value_kind:     hidden_block_count_z
      - .offset:         156
        .size:           2
        .value_kind:     hidden_group_size_x
      - .offset:         158
        .size:           2
        .value_kind:     hidden_group_size_y
      - .offset:         160
        .size:           2
        .value_kind:     hidden_group_size_z
      - .offset:         162
        .size:           2
        .value_kind:     hidden_remainder_x
      - .offset:         164
        .size:           2
        .value_kind:     hidden_remainder_y
      - .offset:         166
        .size:           2
        .value_kind:     hidden_remainder_z
      - .offset:         184
        .size:           8
        .value_kind:     hidden_global_offset_x
      - .offset:         192
        .size:           8
        .value_kind:     hidden_global_offset_y
      - .offset:         200
        .size:           8
        .value_kind:     hidden_global_offset_z
      - .offset:         208
        .size:           2
        .value_kind:     hidden_grid_dims
      - .offset:         224
        .size:           8
        .value_kind:     hidden_hostcall_buffer
    .group_segment_fixed_size: 0
    .kernarg_segment_align: 8
    .kernarg_segment_size: 400
    .language:       OpenCL C
    .language_version:
      - 2
      - 0
    .max_flat_workgroup_size: 256
    .name:           _Z39paged_attention_ll4mi_QKV_mfma16_kernelIDF16_DF16_LN4vllm18Fp8KVCacheDataTypeE0EhLi16ELi64ELi256ELb0ELi2EEvPKT_PKT0_S7_ifPKiS9_S9_iPKfiiiPfSC_PS2_PT2_iSB_SB_
    .private_segment_fixed_size: 64
    .sgpr_count:     36
    .sgpr_spill_count: 0
    .symbol:         _Z39paged_attention_ll4mi_QKV_mfma16_kernelIDF16_DF16_LN4vllm18Fp8KVCacheDataTypeE0EhLi16ELi64ELi256ELb0ELi2EEvPKT_PKT0_S7_ifPKiS9_S9_iPKfiiiPfSC_PS2_PT2_iSB_SB_.kd
    .uniform_work_group_size: 1
    .uses_dynamic_stack: false
    .vgpr_count:     51
    .vgpr_spill_count: 0
    .wavefront_size: 32
  - .args:
      - .actual_access:  read_only
        .address_space:  global
        .offset:         0
        .size:           8
        .value_kind:     global_buffer
      - .actual_access:  read_only
        .address_space:  global
        .offset:         8
        .size:           8
        .value_kind:     global_buffer
      - .actual_access:  read_only
        .address_space:  global
        .offset:         16
        .size:           8
        .value_kind:     global_buffer
      - .offset:         24
        .size:           4
        .value_kind:     by_value
      - .offset:         28
        .size:           4
        .value_kind:     by_value
      - .actual_access:  read_only
        .address_space:  global
        .offset:         32
        .size:           8
        .value_kind:     global_buffer
      - .actual_access:  read_only
        .address_space:  global
        .offset:         40
        .size:           8
        .value_kind:     global_buffer
      - .actual_access:  read_only
        .address_space:  global
        .offset:         48
        .size:           8
        .value_kind:     global_buffer
      - .offset:         56
        .size:           4
        .value_kind:     by_value
      - .actual_access:  read_only
        .address_space:  global
        .offset:         64
        .size:           8
        .value_kind:     global_buffer
      - .offset:         72
        .size:           4
        .value_kind:     by_value
      - .offset:         76
        .size:           4
        .value_kind:     by_value
      - .offset:         80
        .size:           4
        .value_kind:     by_value
      - .actual_access:  read_only
        .address_space:  global
        .offset:         88
        .size:           8
        .value_kind:     global_buffer
      - .actual_access:  read_only
        .address_space:  global
        .offset:         96
        .size:           8
        .value_kind:     global_buffer
      - .actual_access:  read_only
        .address_space:  global
        .offset:         104
        .size:           8
        .value_kind:     global_buffer
      - .actual_access:  read_only
        .address_space:  global
        .offset:         112
        .size:           8
        .value_kind:     global_buffer
      - .offset:         120
        .size:           4
        .value_kind:     by_value
      - .address_space:  global
        .offset:         128
        .size:           8
        .value_kind:     global_buffer
      - .address_space:  global
        .offset:         136
        .size:           8
        .value_kind:     global_buffer
      - .offset:         144
        .size:           4
        .value_kind:     hidden_block_count_x
      - .offset:         148
        .size:           4
        .value_kind:     hidden_block_count_y
      - .offset:         152
        .size:           4
        .value_kind:     hidden_block_count_z
      - .offset:         156
        .size:           2
        .value_kind:     hidden_group_size_x
      - .offset:         158
        .size:           2
        .value_kind:     hidden_group_size_y
      - .offset:         160
        .size:           2
        .value_kind:     hidden_group_size_z
      - .offset:         162
        .size:           2
        .value_kind:     hidden_remainder_x
      - .offset:         164
        .size:           2
        .value_kind:     hidden_remainder_y
      - .offset:         166
        .size:           2
        .value_kind:     hidden_remainder_z
      - .offset:         184
        .size:           8
        .value_kind:     hidden_global_offset_x
      - .offset:         192
        .size:           8
        .value_kind:     hidden_global_offset_y
      - .offset:         200
        .size:           8
        .value_kind:     hidden_global_offset_z
      - .offset:         208
        .size:           2
        .value_kind:     hidden_grid_dims
      - .offset:         224
        .size:           8
        .value_kind:     hidden_hostcall_buffer
    .group_segment_fixed_size: 0
    .kernarg_segment_align: 8
    .kernarg_segment_size: 400
    .language:       OpenCL C
    .language_version:
      - 2
      - 0
    .max_flat_workgroup_size: 256
    .name:           _Z39paged_attention_ll4mi_QKV_mfma16_kernelIDF16_DF16_LN4vllm18Fp8KVCacheDataTypeE0EhLi16ELi64ELi256ELb0ELi3EEvPKT_PKT0_S7_ifPKiS9_S9_iPKfiiiPfSC_PS2_PT2_iSB_SB_
    .private_segment_fixed_size: 64
    .sgpr_count:     36
    .sgpr_spill_count: 0
    .symbol:         _Z39paged_attention_ll4mi_QKV_mfma16_kernelIDF16_DF16_LN4vllm18Fp8KVCacheDataTypeE0EhLi16ELi64ELi256ELb0ELi3EEvPKT_PKT0_S7_ifPKiS9_S9_iPKfiiiPfSC_PS2_PT2_iSB_SB_.kd
    .uniform_work_group_size: 1
    .uses_dynamic_stack: false
    .vgpr_count:     51
    .vgpr_spill_count: 0
    .wavefront_size: 32
  - .args:
      - .actual_access:  read_only
        .address_space:  global
        .offset:         0
        .size:           8
        .value_kind:     global_buffer
      - .actual_access:  read_only
        .address_space:  global
        .offset:         8
        .size:           8
        .value_kind:     global_buffer
      - .actual_access:  read_only
        .address_space:  global
        .offset:         16
        .size:           8
        .value_kind:     global_buffer
      - .offset:         24
        .size:           4
        .value_kind:     by_value
      - .offset:         28
        .size:           4
        .value_kind:     by_value
      - .actual_access:  read_only
        .address_space:  global
        .offset:         32
        .size:           8
        .value_kind:     global_buffer
      - .actual_access:  read_only
        .address_space:  global
        .offset:         40
        .size:           8
        .value_kind:     global_buffer
      - .actual_access:  read_only
        .address_space:  global
        .offset:         48
        .size:           8
        .value_kind:     global_buffer
      - .offset:         56
        .size:           4
        .value_kind:     by_value
      - .actual_access:  read_only
        .address_space:  global
        .offset:         64
        .size:           8
        .value_kind:     global_buffer
      - .offset:         72
        .size:           4
        .value_kind:     by_value
      - .offset:         76
        .size:           4
        .value_kind:     by_value
      - .offset:         80
        .size:           4
        .value_kind:     by_value
      - .actual_access:  read_only
        .address_space:  global
        .offset:         88
        .size:           8
        .value_kind:     global_buffer
      - .actual_access:  read_only
        .address_space:  global
        .offset:         96
        .size:           8
        .value_kind:     global_buffer
      - .actual_access:  read_only
        .address_space:  global
        .offset:         104
        .size:           8
        .value_kind:     global_buffer
      - .actual_access:  read_only
        .address_space:  global
        .offset:         112
        .size:           8
        .value_kind:     global_buffer
      - .offset:         120
        .size:           4
        .value_kind:     by_value
      - .address_space:  global
        .offset:         128
        .size:           8
        .value_kind:     global_buffer
      - .address_space:  global
        .offset:         136
        .size:           8
        .value_kind:     global_buffer
      - .offset:         144
        .size:           4
        .value_kind:     hidden_block_count_x
      - .offset:         148
        .size:           4
        .value_kind:     hidden_block_count_y
      - .offset:         152
        .size:           4
        .value_kind:     hidden_block_count_z
      - .offset:         156
        .size:           2
        .value_kind:     hidden_group_size_x
      - .offset:         158
        .size:           2
        .value_kind:     hidden_group_size_y
      - .offset:         160
        .size:           2
        .value_kind:     hidden_group_size_z
      - .offset:         162
        .size:           2
        .value_kind:     hidden_remainder_x
      - .offset:         164
        .size:           2
        .value_kind:     hidden_remainder_y
      - .offset:         166
        .size:           2
        .value_kind:     hidden_remainder_z
      - .offset:         184
        .size:           8
        .value_kind:     hidden_global_offset_x
      - .offset:         192
        .size:           8
        .value_kind:     hidden_global_offset_y
      - .offset:         200
        .size:           8
        .value_kind:     hidden_global_offset_z
      - .offset:         208
        .size:           2
        .value_kind:     hidden_grid_dims
      - .offset:         224
        .size:           8
        .value_kind:     hidden_hostcall_buffer
    .group_segment_fixed_size: 0
    .kernarg_segment_align: 8
    .kernarg_segment_size: 400
    .language:       OpenCL C
    .language_version:
      - 2
      - 0
    .max_flat_workgroup_size: 256
    .name:           _Z39paged_attention_ll4mi_QKV_mfma16_kernelIDF16_DF16_LN4vllm18Fp8KVCacheDataTypeE0EhLi16ELi64ELi256ELb0ELi4EEvPKT_PKT0_S7_ifPKiS9_S9_iPKfiiiPfSC_PS2_PT2_iSB_SB_
    .private_segment_fixed_size: 64
    .sgpr_count:     36
    .sgpr_spill_count: 0
    .symbol:         _Z39paged_attention_ll4mi_QKV_mfma16_kernelIDF16_DF16_LN4vllm18Fp8KVCacheDataTypeE0EhLi16ELi64ELi256ELb0ELi4EEvPKT_PKT0_S7_ifPKiS9_S9_iPKfiiiPfSC_PS2_PT2_iSB_SB_.kd
    .uniform_work_group_size: 1
    .uses_dynamic_stack: false
    .vgpr_count:     51
    .vgpr_spill_count: 0
    .wavefront_size: 32
  - .args:
      - .actual_access:  read_only
        .address_space:  global
        .offset:         0
        .size:           8
        .value_kind:     global_buffer
      - .actual_access:  read_only
        .address_space:  global
        .offset:         8
        .size:           8
        .value_kind:     global_buffer
      - .actual_access:  read_only
        .address_space:  global
        .offset:         16
        .size:           8
        .value_kind:     global_buffer
      - .offset:         24
        .size:           4
        .value_kind:     by_value
      - .offset:         28
        .size:           4
        .value_kind:     by_value
      - .actual_access:  read_only
        .address_space:  global
        .offset:         32
        .size:           8
        .value_kind:     global_buffer
      - .actual_access:  read_only
        .address_space:  global
        .offset:         40
        .size:           8
        .value_kind:     global_buffer
      - .actual_access:  read_only
        .address_space:  global
        .offset:         48
        .size:           8
        .value_kind:     global_buffer
      - .offset:         56
        .size:           4
        .value_kind:     by_value
      - .actual_access:  read_only
        .address_space:  global
        .offset:         64
        .size:           8
        .value_kind:     global_buffer
      - .offset:         72
        .size:           4
        .value_kind:     by_value
      - .offset:         76
        .size:           4
        .value_kind:     by_value
      - .offset:         80
        .size:           4
        .value_kind:     by_value
      - .actual_access:  read_only
        .address_space:  global
        .offset:         88
        .size:           8
        .value_kind:     global_buffer
      - .actual_access:  read_only
        .address_space:  global
        .offset:         96
        .size:           8
        .value_kind:     global_buffer
      - .actual_access:  read_only
        .address_space:  global
        .offset:         104
        .size:           8
        .value_kind:     global_buffer
      - .actual_access:  read_only
        .address_space:  global
        .offset:         112
        .size:           8
        .value_kind:     global_buffer
      - .offset:         120
        .size:           4
        .value_kind:     by_value
      - .address_space:  global
        .offset:         128
        .size:           8
        .value_kind:     global_buffer
      - .address_space:  global
        .offset:         136
        .size:           8
        .value_kind:     global_buffer
      - .offset:         144
        .size:           4
        .value_kind:     hidden_block_count_x
      - .offset:         148
        .size:           4
        .value_kind:     hidden_block_count_y
      - .offset:         152
        .size:           4
        .value_kind:     hidden_block_count_z
      - .offset:         156
        .size:           2
        .value_kind:     hidden_group_size_x
      - .offset:         158
        .size:           2
        .value_kind:     hidden_group_size_y
      - .offset:         160
        .size:           2
        .value_kind:     hidden_group_size_z
      - .offset:         162
        .size:           2
        .value_kind:     hidden_remainder_x
      - .offset:         164
        .size:           2
        .value_kind:     hidden_remainder_y
      - .offset:         166
        .size:           2
        .value_kind:     hidden_remainder_z
      - .offset:         184
        .size:           8
        .value_kind:     hidden_global_offset_x
      - .offset:         192
        .size:           8
        .value_kind:     hidden_global_offset_y
      - .offset:         200
        .size:           8
        .value_kind:     hidden_global_offset_z
      - .offset:         208
        .size:           2
        .value_kind:     hidden_grid_dims
      - .offset:         224
        .size:           8
        .value_kind:     hidden_hostcall_buffer
    .group_segment_fixed_size: 0
    .kernarg_segment_align: 8
    .kernarg_segment_size: 400
    .language:       OpenCL C
    .language_version:
      - 2
      - 0
    .max_flat_workgroup_size: 256
    .name:           _Z38paged_attention_ll4mi_QKV_mfma4_kernelIDF16_DF16_LN4vllm18Fp8KVCacheDataTypeE0EDF16_Li16ELi64ELi256ELb1ELi1EEvPKT_PKT0_S7_ifPKiS9_S9_iPKfiiiPfSC_PS2_PT2_iSB_SB_
    .private_segment_fixed_size: 64
    .sgpr_count:     36
    .sgpr_spill_count: 0
    .symbol:         _Z38paged_attention_ll4mi_QKV_mfma4_kernelIDF16_DF16_LN4vllm18Fp8KVCacheDataTypeE0EDF16_Li16ELi64ELi256ELb1ELi1EEvPKT_PKT0_S7_ifPKiS9_S9_iPKfiiiPfSC_PS2_PT2_iSB_SB_.kd
    .uniform_work_group_size: 1
    .uses_dynamic_stack: false
    .vgpr_count:     51
    .vgpr_spill_count: 0
    .wavefront_size: 32
  - .args:
      - .actual_access:  read_only
        .address_space:  global
        .offset:         0
        .size:           8
        .value_kind:     global_buffer
      - .actual_access:  read_only
        .address_space:  global
        .offset:         8
        .size:           8
        .value_kind:     global_buffer
      - .actual_access:  read_only
        .address_space:  global
        .offset:         16
        .size:           8
        .value_kind:     global_buffer
      - .offset:         24
        .size:           4
        .value_kind:     by_value
      - .offset:         28
        .size:           4
        .value_kind:     by_value
      - .actual_access:  read_only
        .address_space:  global
        .offset:         32
        .size:           8
        .value_kind:     global_buffer
      - .actual_access:  read_only
        .address_space:  global
        .offset:         40
        .size:           8
        .value_kind:     global_buffer
      - .actual_access:  read_only
        .address_space:  global
        .offset:         48
        .size:           8
        .value_kind:     global_buffer
      - .offset:         56
        .size:           4
        .value_kind:     by_value
      - .actual_access:  read_only
        .address_space:  global
        .offset:         64
        .size:           8
        .value_kind:     global_buffer
      - .offset:         72
        .size:           4
        .value_kind:     by_value
      - .offset:         76
        .size:           4
        .value_kind:     by_value
      - .offset:         80
        .size:           4
        .value_kind:     by_value
      - .actual_access:  read_only
        .address_space:  global
        .offset:         88
        .size:           8
        .value_kind:     global_buffer
      - .actual_access:  read_only
        .address_space:  global
        .offset:         96
        .size:           8
        .value_kind:     global_buffer
      - .actual_access:  read_only
        .address_space:  global
        .offset:         104
        .size:           8
        .value_kind:     global_buffer
      - .actual_access:  read_only
        .address_space:  global
        .offset:         112
        .size:           8
        .value_kind:     global_buffer
      - .offset:         120
        .size:           4
        .value_kind:     by_value
      - .address_space:  global
        .offset:         128
        .size:           8
        .value_kind:     global_buffer
      - .address_space:  global
        .offset:         136
        .size:           8
        .value_kind:     global_buffer
      - .offset:         144
        .size:           4
        .value_kind:     hidden_block_count_x
      - .offset:         148
        .size:           4
        .value_kind:     hidden_block_count_y
      - .offset:         152
        .size:           4
        .value_kind:     hidden_block_count_z
      - .offset:         156
        .size:           2
        .value_kind:     hidden_group_size_x
      - .offset:         158
        .size:           2
        .value_kind:     hidden_group_size_y
      - .offset:         160
        .size:           2
        .value_kind:     hidden_group_size_z
      - .offset:         162
        .size:           2
        .value_kind:     hidden_remainder_x
      - .offset:         164
        .size:           2
        .value_kind:     hidden_remainder_y
      - .offset:         166
        .size:           2
        .value_kind:     hidden_remainder_z
      - .offset:         184
        .size:           8
        .value_kind:     hidden_global_offset_x
      - .offset:         192
        .size:           8
        .value_kind:     hidden_global_offset_y
      - .offset:         200
        .size:           8
        .value_kind:     hidden_global_offset_z
      - .offset:         208
        .size:           2
        .value_kind:     hidden_grid_dims
      - .offset:         224
        .size:           8
        .value_kind:     hidden_hostcall_buffer
    .group_segment_fixed_size: 0
    .kernarg_segment_align: 8
    .kernarg_segment_size: 400
    .language:       OpenCL C
    .language_version:
      - 2
      - 0
    .max_flat_workgroup_size: 256
    .name:           _Z38paged_attention_ll4mi_QKV_mfma4_kernelIDF16_DF16_LN4vllm18Fp8KVCacheDataTypeE0EDF16_Li16ELi64ELi256ELb1ELi2EEvPKT_PKT0_S7_ifPKiS9_S9_iPKfiiiPfSC_PS2_PT2_iSB_SB_
    .private_segment_fixed_size: 64
    .sgpr_count:     36
    .sgpr_spill_count: 0
    .symbol:         _Z38paged_attention_ll4mi_QKV_mfma4_kernelIDF16_DF16_LN4vllm18Fp8KVCacheDataTypeE0EDF16_Li16ELi64ELi256ELb1ELi2EEvPKT_PKT0_S7_ifPKiS9_S9_iPKfiiiPfSC_PS2_PT2_iSB_SB_.kd
    .uniform_work_group_size: 1
    .uses_dynamic_stack: false
    .vgpr_count:     51
    .vgpr_spill_count: 0
    .wavefront_size: 32
  - .args:
      - .actual_access:  read_only
        .address_space:  global
        .offset:         0
        .size:           8
        .value_kind:     global_buffer
      - .actual_access:  read_only
        .address_space:  global
        .offset:         8
        .size:           8
        .value_kind:     global_buffer
      - .actual_access:  read_only
        .address_space:  global
        .offset:         16
        .size:           8
        .value_kind:     global_buffer
      - .offset:         24
        .size:           4
        .value_kind:     by_value
      - .offset:         28
        .size:           4
        .value_kind:     by_value
      - .actual_access:  read_only
        .address_space:  global
        .offset:         32
        .size:           8
        .value_kind:     global_buffer
      - .actual_access:  read_only
        .address_space:  global
        .offset:         40
        .size:           8
        .value_kind:     global_buffer
      - .actual_access:  read_only
        .address_space:  global
        .offset:         48
        .size:           8
        .value_kind:     global_buffer
      - .offset:         56
        .size:           4
        .value_kind:     by_value
      - .actual_access:  read_only
        .address_space:  global
        .offset:         64
        .size:           8
        .value_kind:     global_buffer
      - .offset:         72
        .size:           4
        .value_kind:     by_value
      - .offset:         76
        .size:           4
        .value_kind:     by_value
      - .offset:         80
        .size:           4
        .value_kind:     by_value
      - .actual_access:  read_only
        .address_space:  global
        .offset:         88
        .size:           8
        .value_kind:     global_buffer
      - .actual_access:  read_only
        .address_space:  global
        .offset:         96
        .size:           8
        .value_kind:     global_buffer
      - .actual_access:  read_only
        .address_space:  global
        .offset:         104
        .size:           8
        .value_kind:     global_buffer
      - .actual_access:  read_only
        .address_space:  global
        .offset:         112
        .size:           8
        .value_kind:     global_buffer
      - .offset:         120
        .size:           4
        .value_kind:     by_value
      - .address_space:  global
        .offset:         128
        .size:           8
        .value_kind:     global_buffer
      - .address_space:  global
        .offset:         136
        .size:           8
        .value_kind:     global_buffer
      - .offset:         144
        .size:           4
        .value_kind:     hidden_block_count_x
      - .offset:         148
        .size:           4
        .value_kind:     hidden_block_count_y
      - .offset:         152
        .size:           4
        .value_kind:     hidden_block_count_z
      - .offset:         156
        .size:           2
        .value_kind:     hidden_group_size_x
      - .offset:         158
        .size:           2
        .value_kind:     hidden_group_size_y
      - .offset:         160
        .size:           2
        .value_kind:     hidden_group_size_z
      - .offset:         162
        .size:           2
        .value_kind:     hidden_remainder_x
      - .offset:         164
        .size:           2
        .value_kind:     hidden_remainder_y
      - .offset:         166
        .size:           2
        .value_kind:     hidden_remainder_z
      - .offset:         184
        .size:           8
        .value_kind:     hidden_global_offset_x
      - .offset:         192
        .size:           8
        .value_kind:     hidden_global_offset_y
      - .offset:         200
        .size:           8
        .value_kind:     hidden_global_offset_z
      - .offset:         208
        .size:           2
        .value_kind:     hidden_grid_dims
      - .offset:         224
        .size:           8
        .value_kind:     hidden_hostcall_buffer
    .group_segment_fixed_size: 0
    .kernarg_segment_align: 8
    .kernarg_segment_size: 400
    .language:       OpenCL C
    .language_version:
      - 2
      - 0
    .max_flat_workgroup_size: 256
    .name:           _Z38paged_attention_ll4mi_QKV_mfma4_kernelIDF16_DF16_LN4vllm18Fp8KVCacheDataTypeE0EDF16_Li16ELi64ELi256ELb1ELi3EEvPKT_PKT0_S7_ifPKiS9_S9_iPKfiiiPfSC_PS2_PT2_iSB_SB_
    .private_segment_fixed_size: 64
    .sgpr_count:     36
    .sgpr_spill_count: 0
    .symbol:         _Z38paged_attention_ll4mi_QKV_mfma4_kernelIDF16_DF16_LN4vllm18Fp8KVCacheDataTypeE0EDF16_Li16ELi64ELi256ELb1ELi3EEvPKT_PKT0_S7_ifPKiS9_S9_iPKfiiiPfSC_PS2_PT2_iSB_SB_.kd
    .uniform_work_group_size: 1
    .uses_dynamic_stack: false
    .vgpr_count:     51
    .vgpr_spill_count: 0
    .wavefront_size: 32
  - .args:
      - .actual_access:  read_only
        .address_space:  global
        .offset:         0
        .size:           8
        .value_kind:     global_buffer
      - .actual_access:  read_only
        .address_space:  global
        .offset:         8
        .size:           8
        .value_kind:     global_buffer
      - .actual_access:  read_only
        .address_space:  global
        .offset:         16
        .size:           8
        .value_kind:     global_buffer
      - .offset:         24
        .size:           4
        .value_kind:     by_value
      - .offset:         28
        .size:           4
        .value_kind:     by_value
      - .actual_access:  read_only
        .address_space:  global
        .offset:         32
        .size:           8
        .value_kind:     global_buffer
      - .actual_access:  read_only
        .address_space:  global
        .offset:         40
        .size:           8
        .value_kind:     global_buffer
      - .actual_access:  read_only
        .address_space:  global
        .offset:         48
        .size:           8
        .value_kind:     global_buffer
      - .offset:         56
        .size:           4
        .value_kind:     by_value
      - .actual_access:  read_only
        .address_space:  global
        .offset:         64
        .size:           8
        .value_kind:     global_buffer
      - .offset:         72
        .size:           4
        .value_kind:     by_value
      - .offset:         76
        .size:           4
        .value_kind:     by_value
      - .offset:         80
        .size:           4
        .value_kind:     by_value
      - .actual_access:  read_only
        .address_space:  global
        .offset:         88
        .size:           8
        .value_kind:     global_buffer
      - .actual_access:  read_only
        .address_space:  global
        .offset:         96
        .size:           8
        .value_kind:     global_buffer
      - .actual_access:  read_only
        .address_space:  global
        .offset:         104
        .size:           8
        .value_kind:     global_buffer
      - .actual_access:  read_only
        .address_space:  global
        .offset:         112
        .size:           8
        .value_kind:     global_buffer
      - .offset:         120
        .size:           4
        .value_kind:     by_value
      - .address_space:  global
        .offset:         128
        .size:           8
        .value_kind:     global_buffer
      - .address_space:  global
        .offset:         136
        .size:           8
        .value_kind:     global_buffer
      - .offset:         144
        .size:           4
        .value_kind:     hidden_block_count_x
      - .offset:         148
        .size:           4
        .value_kind:     hidden_block_count_y
      - .offset:         152
        .size:           4
        .value_kind:     hidden_block_count_z
      - .offset:         156
        .size:           2
        .value_kind:     hidden_group_size_x
      - .offset:         158
        .size:           2
        .value_kind:     hidden_group_size_y
      - .offset:         160
        .size:           2
        .value_kind:     hidden_group_size_z
      - .offset:         162
        .size:           2
        .value_kind:     hidden_remainder_x
      - .offset:         164
        .size:           2
        .value_kind:     hidden_remainder_y
      - .offset:         166
        .size:           2
        .value_kind:     hidden_remainder_z
      - .offset:         184
        .size:           8
        .value_kind:     hidden_global_offset_x
      - .offset:         192
        .size:           8
        .value_kind:     hidden_global_offset_y
      - .offset:         200
        .size:           8
        .value_kind:     hidden_global_offset_z
      - .offset:         208
        .size:           2
        .value_kind:     hidden_grid_dims
      - .offset:         224
        .size:           8
        .value_kind:     hidden_hostcall_buffer
    .group_segment_fixed_size: 0
    .kernarg_segment_align: 8
    .kernarg_segment_size: 400
    .language:       OpenCL C
    .language_version:
      - 2
      - 0
    .max_flat_workgroup_size: 256
    .name:           _Z38paged_attention_ll4mi_QKV_mfma4_kernelIDF16_DF16_LN4vllm18Fp8KVCacheDataTypeE0EDF16_Li16ELi64ELi256ELb1ELi4EEvPKT_PKT0_S7_ifPKiS9_S9_iPKfiiiPfSC_PS2_PT2_iSB_SB_
    .private_segment_fixed_size: 64
    .sgpr_count:     36
    .sgpr_spill_count: 0
    .symbol:         _Z38paged_attention_ll4mi_QKV_mfma4_kernelIDF16_DF16_LN4vllm18Fp8KVCacheDataTypeE0EDF16_Li16ELi64ELi256ELb1ELi4EEvPKT_PKT0_S7_ifPKiS9_S9_iPKfiiiPfSC_PS2_PT2_iSB_SB_.kd
    .uniform_work_group_size: 1
    .uses_dynamic_stack: false
    .vgpr_count:     51
    .vgpr_spill_count: 0
    .wavefront_size: 32
  - .args:
      - .actual_access:  read_only
        .address_space:  global
        .offset:         0
        .size:           8
        .value_kind:     global_buffer
      - .actual_access:  read_only
        .address_space:  global
        .offset:         8
        .size:           8
        .value_kind:     global_buffer
      - .actual_access:  read_only
        .address_space:  global
        .offset:         16
        .size:           8
        .value_kind:     global_buffer
      - .offset:         24
        .size:           4
        .value_kind:     by_value
      - .offset:         28
        .size:           4
        .value_kind:     by_value
      - .actual_access:  read_only
        .address_space:  global
        .offset:         32
        .size:           8
        .value_kind:     global_buffer
      - .actual_access:  read_only
        .address_space:  global
        .offset:         40
        .size:           8
        .value_kind:     global_buffer
      - .actual_access:  read_only
        .address_space:  global
        .offset:         48
        .size:           8
        .value_kind:     global_buffer
      - .offset:         56
        .size:           4
        .value_kind:     by_value
      - .actual_access:  read_only
        .address_space:  global
        .offset:         64
        .size:           8
        .value_kind:     global_buffer
      - .offset:         72
        .size:           4
        .value_kind:     by_value
      - .offset:         76
        .size:           4
        .value_kind:     by_value
      - .offset:         80
        .size:           4
        .value_kind:     by_value
      - .actual_access:  read_only
        .address_space:  global
        .offset:         88
        .size:           8
        .value_kind:     global_buffer
      - .actual_access:  read_only
        .address_space:  global
        .offset:         96
        .size:           8
        .value_kind:     global_buffer
      - .actual_access:  read_only
        .address_space:  global
        .offset:         104
        .size:           8
        .value_kind:     global_buffer
      - .actual_access:  read_only
        .address_space:  global
        .offset:         112
        .size:           8
        .value_kind:     global_buffer
      - .offset:         120
        .size:           4
        .value_kind:     by_value
      - .address_space:  global
        .offset:         128
        .size:           8
        .value_kind:     global_buffer
      - .address_space:  global
        .offset:         136
        .size:           8
        .value_kind:     global_buffer
      - .offset:         144
        .size:           4
        .value_kind:     hidden_block_count_x
      - .offset:         148
        .size:           4
        .value_kind:     hidden_block_count_y
      - .offset:         152
        .size:           4
        .value_kind:     hidden_block_count_z
      - .offset:         156
        .size:           2
        .value_kind:     hidden_group_size_x
      - .offset:         158
        .size:           2
        .value_kind:     hidden_group_size_y
      - .offset:         160
        .size:           2
        .value_kind:     hidden_group_size_z
      - .offset:         162
        .size:           2
        .value_kind:     hidden_remainder_x
      - .offset:         164
        .size:           2
        .value_kind:     hidden_remainder_y
      - .offset:         166
        .size:           2
        .value_kind:     hidden_remainder_z
      - .offset:         184
        .size:           8
        .value_kind:     hidden_global_offset_x
      - .offset:         192
        .size:           8
        .value_kind:     hidden_global_offset_y
      - .offset:         200
        .size:           8
        .value_kind:     hidden_global_offset_z
      - .offset:         208
        .size:           2
        .value_kind:     hidden_grid_dims
      - .offset:         224
        .size:           8
        .value_kind:     hidden_hostcall_buffer
    .group_segment_fixed_size: 0
    .kernarg_segment_align: 8
    .kernarg_segment_size: 400
    .language:       OpenCL C
    .language_version:
      - 2
      - 0
    .max_flat_workgroup_size: 256
    .name:           _Z39paged_attention_ll4mi_QKV_mfma16_kernelIDF16_DF16_LN4vllm18Fp8KVCacheDataTypeE0EDF16_Li16ELi64ELi256ELb1ELi5EEvPKT_PKT0_S7_ifPKiS9_S9_iPKfiiiPfSC_PS2_PT2_iSB_SB_
    .private_segment_fixed_size: 64
    .sgpr_count:     36
    .sgpr_spill_count: 0
    .symbol:         _Z39paged_attention_ll4mi_QKV_mfma16_kernelIDF16_DF16_LN4vllm18Fp8KVCacheDataTypeE0EDF16_Li16ELi64ELi256ELb1ELi5EEvPKT_PKT0_S7_ifPKiS9_S9_iPKfiiiPfSC_PS2_PT2_iSB_SB_.kd
    .uniform_work_group_size: 1
    .uses_dynamic_stack: false
    .vgpr_count:     51
    .vgpr_spill_count: 0
    .wavefront_size: 32
  - .args:
      - .actual_access:  read_only
        .address_space:  global
        .offset:         0
        .size:           8
        .value_kind:     global_buffer
      - .actual_access:  read_only
        .address_space:  global
        .offset:         8
        .size:           8
        .value_kind:     global_buffer
      - .actual_access:  read_only
        .address_space:  global
        .offset:         16
        .size:           8
        .value_kind:     global_buffer
      - .offset:         24
        .size:           4
        .value_kind:     by_value
      - .offset:         28
        .size:           4
        .value_kind:     by_value
      - .actual_access:  read_only
        .address_space:  global
        .offset:         32
        .size:           8
        .value_kind:     global_buffer
      - .actual_access:  read_only
        .address_space:  global
        .offset:         40
        .size:           8
        .value_kind:     global_buffer
      - .actual_access:  read_only
        .address_space:  global
        .offset:         48
        .size:           8
        .value_kind:     global_buffer
      - .offset:         56
        .size:           4
        .value_kind:     by_value
      - .actual_access:  read_only
        .address_space:  global
        .offset:         64
        .size:           8
        .value_kind:     global_buffer
      - .offset:         72
        .size:           4
        .value_kind:     by_value
      - .offset:         76
        .size:           4
        .value_kind:     by_value
      - .offset:         80
        .size:           4
        .value_kind:     by_value
      - .actual_access:  read_only
        .address_space:  global
        .offset:         88
        .size:           8
        .value_kind:     global_buffer
      - .actual_access:  read_only
        .address_space:  global
        .offset:         96
        .size:           8
        .value_kind:     global_buffer
      - .actual_access:  read_only
        .address_space:  global
        .offset:         104
        .size:           8
        .value_kind:     global_buffer
      - .actual_access:  read_only
        .address_space:  global
        .offset:         112
        .size:           8
        .value_kind:     global_buffer
      - .offset:         120
        .size:           4
        .value_kind:     by_value
      - .address_space:  global
        .offset:         128
        .size:           8
        .value_kind:     global_buffer
      - .address_space:  global
        .offset:         136
        .size:           8
        .value_kind:     global_buffer
      - .offset:         144
        .size:           4
        .value_kind:     hidden_block_count_x
      - .offset:         148
        .size:           4
        .value_kind:     hidden_block_count_y
      - .offset:         152
        .size:           4
        .value_kind:     hidden_block_count_z
      - .offset:         156
        .size:           2
        .value_kind:     hidden_group_size_x
      - .offset:         158
        .size:           2
        .value_kind:     hidden_group_size_y
      - .offset:         160
        .size:           2
        .value_kind:     hidden_group_size_z
      - .offset:         162
        .size:           2
        .value_kind:     hidden_remainder_x
      - .offset:         164
        .size:           2
        .value_kind:     hidden_remainder_y
      - .offset:         166
        .size:           2
        .value_kind:     hidden_remainder_z
      - .offset:         184
        .size:           8
        .value_kind:     hidden_global_offset_x
      - .offset:         192
        .size:           8
        .value_kind:     hidden_global_offset_y
      - .offset:         200
        .size:           8
        .value_kind:     hidden_global_offset_z
      - .offset:         208
        .size:           2
        .value_kind:     hidden_grid_dims
      - .offset:         224
        .size:           8
        .value_kind:     hidden_hostcall_buffer
    .group_segment_fixed_size: 0
    .kernarg_segment_align: 8
    .kernarg_segment_size: 400
    .language:       OpenCL C
    .language_version:
      - 2
      - 0
    .max_flat_workgroup_size: 256
    .name:           _Z39paged_attention_ll4mi_QKV_mfma16_kernelIDF16_DF16_LN4vllm18Fp8KVCacheDataTypeE0EDF16_Li16ELi64ELi256ELb1ELi6EEvPKT_PKT0_S7_ifPKiS9_S9_iPKfiiiPfSC_PS2_PT2_iSB_SB_
    .private_segment_fixed_size: 64
    .sgpr_count:     36
    .sgpr_spill_count: 0
    .symbol:         _Z39paged_attention_ll4mi_QKV_mfma16_kernelIDF16_DF16_LN4vllm18Fp8KVCacheDataTypeE0EDF16_Li16ELi64ELi256ELb1ELi6EEvPKT_PKT0_S7_ifPKiS9_S9_iPKfiiiPfSC_PS2_PT2_iSB_SB_.kd
    .uniform_work_group_size: 1
    .uses_dynamic_stack: false
    .vgpr_count:     51
    .vgpr_spill_count: 0
    .wavefront_size: 32
  - .args:
      - .actual_access:  read_only
        .address_space:  global
        .offset:         0
        .size:           8
        .value_kind:     global_buffer
      - .actual_access:  read_only
        .address_space:  global
        .offset:         8
        .size:           8
        .value_kind:     global_buffer
      - .actual_access:  read_only
        .address_space:  global
        .offset:         16
        .size:           8
        .value_kind:     global_buffer
      - .offset:         24
        .size:           4
        .value_kind:     by_value
      - .offset:         28
        .size:           4
        .value_kind:     by_value
      - .actual_access:  read_only
        .address_space:  global
        .offset:         32
        .size:           8
        .value_kind:     global_buffer
      - .actual_access:  read_only
        .address_space:  global
        .offset:         40
        .size:           8
        .value_kind:     global_buffer
      - .actual_access:  read_only
        .address_space:  global
        .offset:         48
        .size:           8
        .value_kind:     global_buffer
      - .offset:         56
        .size:           4
        .value_kind:     by_value
      - .actual_access:  read_only
        .address_space:  global
        .offset:         64
        .size:           8
        .value_kind:     global_buffer
      - .offset:         72
        .size:           4
        .value_kind:     by_value
      - .offset:         76
        .size:           4
        .value_kind:     by_value
      - .offset:         80
        .size:           4
        .value_kind:     by_value
      - .actual_access:  read_only
        .address_space:  global
        .offset:         88
        .size:           8
        .value_kind:     global_buffer
      - .actual_access:  read_only
        .address_space:  global
        .offset:         96
        .size:           8
        .value_kind:     global_buffer
      - .actual_access:  read_only
        .address_space:  global
        .offset:         104
        .size:           8
        .value_kind:     global_buffer
      - .actual_access:  read_only
        .address_space:  global
        .offset:         112
        .size:           8
        .value_kind:     global_buffer
      - .offset:         120
        .size:           4
        .value_kind:     by_value
      - .address_space:  global
        .offset:         128
        .size:           8
        .value_kind:     global_buffer
      - .address_space:  global
        .offset:         136
        .size:           8
        .value_kind:     global_buffer
      - .offset:         144
        .size:           4
        .value_kind:     hidden_block_count_x
      - .offset:         148
        .size:           4
        .value_kind:     hidden_block_count_y
      - .offset:         152
        .size:           4
        .value_kind:     hidden_block_count_z
      - .offset:         156
        .size:           2
        .value_kind:     hidden_group_size_x
      - .offset:         158
        .size:           2
        .value_kind:     hidden_group_size_y
      - .offset:         160
        .size:           2
        .value_kind:     hidden_group_size_z
      - .offset:         162
        .size:           2
        .value_kind:     hidden_remainder_x
      - .offset:         164
        .size:           2
        .value_kind:     hidden_remainder_y
      - .offset:         166
        .size:           2
        .value_kind:     hidden_remainder_z
      - .offset:         184
        .size:           8
        .value_kind:     hidden_global_offset_x
      - .offset:         192
        .size:           8
        .value_kind:     hidden_global_offset_y
      - .offset:         200
        .size:           8
        .value_kind:     hidden_global_offset_z
      - .offset:         208
        .size:           2
        .value_kind:     hidden_grid_dims
      - .offset:         224
        .size:           8
        .value_kind:     hidden_hostcall_buffer
    .group_segment_fixed_size: 0
    .kernarg_segment_align: 8
    .kernarg_segment_size: 400
    .language:       OpenCL C
    .language_version:
      - 2
      - 0
    .max_flat_workgroup_size: 256
    .name:           _Z39paged_attention_ll4mi_QKV_mfma16_kernelIDF16_DF16_LN4vllm18Fp8KVCacheDataTypeE0EDF16_Li16ELi64ELi256ELb1ELi7EEvPKT_PKT0_S7_ifPKiS9_S9_iPKfiiiPfSC_PS2_PT2_iSB_SB_
    .private_segment_fixed_size: 64
    .sgpr_count:     36
    .sgpr_spill_count: 0
    .symbol:         _Z39paged_attention_ll4mi_QKV_mfma16_kernelIDF16_DF16_LN4vllm18Fp8KVCacheDataTypeE0EDF16_Li16ELi64ELi256ELb1ELi7EEvPKT_PKT0_S7_ifPKiS9_S9_iPKfiiiPfSC_PS2_PT2_iSB_SB_.kd
    .uniform_work_group_size: 1
    .uses_dynamic_stack: false
    .vgpr_count:     51
    .vgpr_spill_count: 0
    .wavefront_size: 32
  - .args:
      - .actual_access:  read_only
        .address_space:  global
        .offset:         0
        .size:           8
        .value_kind:     global_buffer
      - .actual_access:  read_only
        .address_space:  global
        .offset:         8
        .size:           8
        .value_kind:     global_buffer
      - .actual_access:  read_only
        .address_space:  global
        .offset:         16
        .size:           8
        .value_kind:     global_buffer
      - .offset:         24
        .size:           4
        .value_kind:     by_value
      - .offset:         28
        .size:           4
        .value_kind:     by_value
      - .actual_access:  read_only
        .address_space:  global
        .offset:         32
        .size:           8
        .value_kind:     global_buffer
      - .actual_access:  read_only
        .address_space:  global
        .offset:         40
        .size:           8
        .value_kind:     global_buffer
      - .actual_access:  read_only
        .address_space:  global
        .offset:         48
        .size:           8
        .value_kind:     global_buffer
      - .offset:         56
        .size:           4
        .value_kind:     by_value
      - .actual_access:  read_only
        .address_space:  global
        .offset:         64
        .size:           8
        .value_kind:     global_buffer
      - .offset:         72
        .size:           4
        .value_kind:     by_value
      - .offset:         76
        .size:           4
        .value_kind:     by_value
      - .offset:         80
        .size:           4
        .value_kind:     by_value
      - .actual_access:  read_only
        .address_space:  global
        .offset:         88
        .size:           8
        .value_kind:     global_buffer
      - .actual_access:  read_only
        .address_space:  global
        .offset:         96
        .size:           8
        .value_kind:     global_buffer
      - .actual_access:  read_only
        .address_space:  global
        .offset:         104
        .size:           8
        .value_kind:     global_buffer
      - .actual_access:  read_only
        .address_space:  global
        .offset:         112
        .size:           8
        .value_kind:     global_buffer
      - .offset:         120
        .size:           4
        .value_kind:     by_value
      - .address_space:  global
        .offset:         128
        .size:           8
        .value_kind:     global_buffer
      - .address_space:  global
        .offset:         136
        .size:           8
        .value_kind:     global_buffer
      - .offset:         144
        .size:           4
        .value_kind:     hidden_block_count_x
      - .offset:         148
        .size:           4
        .value_kind:     hidden_block_count_y
      - .offset:         152
        .size:           4
        .value_kind:     hidden_block_count_z
      - .offset:         156
        .size:           2
        .value_kind:     hidden_group_size_x
      - .offset:         158
        .size:           2
        .value_kind:     hidden_group_size_y
      - .offset:         160
        .size:           2
        .value_kind:     hidden_group_size_z
      - .offset:         162
        .size:           2
        .value_kind:     hidden_remainder_x
      - .offset:         164
        .size:           2
        .value_kind:     hidden_remainder_y
      - .offset:         166
        .size:           2
        .value_kind:     hidden_remainder_z
      - .offset:         184
        .size:           8
        .value_kind:     hidden_global_offset_x
      - .offset:         192
        .size:           8
        .value_kind:     hidden_global_offset_y
      - .offset:         200
        .size:           8
        .value_kind:     hidden_global_offset_z
      - .offset:         208
        .size:           2
        .value_kind:     hidden_grid_dims
      - .offset:         224
        .size:           8
        .value_kind:     hidden_hostcall_buffer
    .group_segment_fixed_size: 0
    .kernarg_segment_align: 8
    .kernarg_segment_size: 400
    .language:       OpenCL C
    .language_version:
      - 2
      - 0
    .max_flat_workgroup_size: 256
    .name:           _Z39paged_attention_ll4mi_QKV_mfma16_kernelIDF16_DF16_LN4vllm18Fp8KVCacheDataTypeE0EDF16_Li16ELi64ELi256ELb1ELi8EEvPKT_PKT0_S7_ifPKiS9_S9_iPKfiiiPfSC_PS2_PT2_iSB_SB_
    .private_segment_fixed_size: 64
    .sgpr_count:     36
    .sgpr_spill_count: 0
    .symbol:         _Z39paged_attention_ll4mi_QKV_mfma16_kernelIDF16_DF16_LN4vllm18Fp8KVCacheDataTypeE0EDF16_Li16ELi64ELi256ELb1ELi8EEvPKT_PKT0_S7_ifPKiS9_S9_iPKfiiiPfSC_PS2_PT2_iSB_SB_.kd
    .uniform_work_group_size: 1
    .uses_dynamic_stack: false
    .vgpr_count:     51
    .vgpr_spill_count: 0
    .wavefront_size: 32
  - .args:
      - .actual_access:  read_only
        .address_space:  global
        .offset:         0
        .size:           8
        .value_kind:     global_buffer
      - .actual_access:  read_only
        .address_space:  global
        .offset:         8
        .size:           8
        .value_kind:     global_buffer
      - .actual_access:  read_only
        .address_space:  global
        .offset:         16
        .size:           8
        .value_kind:     global_buffer
      - .offset:         24
        .size:           4
        .value_kind:     by_value
      - .offset:         28
        .size:           4
        .value_kind:     by_value
      - .actual_access:  read_only
        .address_space:  global
        .offset:         32
        .size:           8
        .value_kind:     global_buffer
      - .actual_access:  read_only
        .address_space:  global
        .offset:         40
        .size:           8
        .value_kind:     global_buffer
      - .actual_access:  read_only
        .address_space:  global
        .offset:         48
        .size:           8
        .value_kind:     global_buffer
      - .offset:         56
        .size:           4
        .value_kind:     by_value
      - .actual_access:  read_only
        .address_space:  global
        .offset:         64
        .size:           8
        .value_kind:     global_buffer
      - .offset:         72
        .size:           4
        .value_kind:     by_value
      - .offset:         76
        .size:           4
        .value_kind:     by_value
      - .offset:         80
        .size:           4
        .value_kind:     by_value
      - .actual_access:  read_only
        .address_space:  global
        .offset:         88
        .size:           8
        .value_kind:     global_buffer
      - .actual_access:  read_only
        .address_space:  global
        .offset:         96
        .size:           8
        .value_kind:     global_buffer
      - .actual_access:  read_only
        .address_space:  global
        .offset:         104
        .size:           8
        .value_kind:     global_buffer
      - .actual_access:  read_only
        .address_space:  global
        .offset:         112
        .size:           8
        .value_kind:     global_buffer
      - .offset:         120
        .size:           4
        .value_kind:     by_value
      - .address_space:  global
        .offset:         128
        .size:           8
        .value_kind:     global_buffer
      - .address_space:  global
        .offset:         136
        .size:           8
        .value_kind:     global_buffer
      - .offset:         144
        .size:           4
        .value_kind:     hidden_block_count_x
      - .offset:         148
        .size:           4
        .value_kind:     hidden_block_count_y
      - .offset:         152
        .size:           4
        .value_kind:     hidden_block_count_z
      - .offset:         156
        .size:           2
        .value_kind:     hidden_group_size_x
      - .offset:         158
        .size:           2
        .value_kind:     hidden_group_size_y
      - .offset:         160
        .size:           2
        .value_kind:     hidden_group_size_z
      - .offset:         162
        .size:           2
        .value_kind:     hidden_remainder_x
      - .offset:         164
        .size:           2
        .value_kind:     hidden_remainder_y
      - .offset:         166
        .size:           2
        .value_kind:     hidden_remainder_z
      - .offset:         184
        .size:           8
        .value_kind:     hidden_global_offset_x
      - .offset:         192
        .size:           8
        .value_kind:     hidden_global_offset_y
      - .offset:         200
        .size:           8
        .value_kind:     hidden_global_offset_z
      - .offset:         208
        .size:           2
        .value_kind:     hidden_grid_dims
      - .offset:         224
        .size:           8
        .value_kind:     hidden_hostcall_buffer
    .group_segment_fixed_size: 0
    .kernarg_segment_align: 8
    .kernarg_segment_size: 400
    .language:       OpenCL C
    .language_version:
      - 2
      - 0
    .max_flat_workgroup_size: 256
    .name:           _Z39paged_attention_ll4mi_QKV_mfma16_kernelIDF16_DF16_LN4vllm18Fp8KVCacheDataTypeE0EDF16_Li16ELi64ELi256ELb1ELi9EEvPKT_PKT0_S7_ifPKiS9_S9_iPKfiiiPfSC_PS2_PT2_iSB_SB_
    .private_segment_fixed_size: 64
    .sgpr_count:     36
    .sgpr_spill_count: 0
    .symbol:         _Z39paged_attention_ll4mi_QKV_mfma16_kernelIDF16_DF16_LN4vllm18Fp8KVCacheDataTypeE0EDF16_Li16ELi64ELi256ELb1ELi9EEvPKT_PKT0_S7_ifPKiS9_S9_iPKfiiiPfSC_PS2_PT2_iSB_SB_.kd
    .uniform_work_group_size: 1
    .uses_dynamic_stack: false
    .vgpr_count:     51
    .vgpr_spill_count: 0
    .wavefront_size: 32
  - .args:
      - .actual_access:  read_only
        .address_space:  global
        .offset:         0
        .size:           8
        .value_kind:     global_buffer
      - .actual_access:  read_only
        .address_space:  global
        .offset:         8
        .size:           8
        .value_kind:     global_buffer
      - .actual_access:  read_only
        .address_space:  global
        .offset:         16
        .size:           8
        .value_kind:     global_buffer
      - .offset:         24
        .size:           4
        .value_kind:     by_value
      - .offset:         28
        .size:           4
        .value_kind:     by_value
      - .actual_access:  read_only
        .address_space:  global
        .offset:         32
        .size:           8
        .value_kind:     global_buffer
      - .actual_access:  read_only
        .address_space:  global
        .offset:         40
        .size:           8
        .value_kind:     global_buffer
      - .actual_access:  read_only
        .address_space:  global
        .offset:         48
        .size:           8
        .value_kind:     global_buffer
      - .offset:         56
        .size:           4
        .value_kind:     by_value
      - .actual_access:  read_only
        .address_space:  global
        .offset:         64
        .size:           8
        .value_kind:     global_buffer
      - .offset:         72
        .size:           4
        .value_kind:     by_value
      - .offset:         76
        .size:           4
        .value_kind:     by_value
      - .offset:         80
        .size:           4
        .value_kind:     by_value
      - .actual_access:  read_only
        .address_space:  global
        .offset:         88
        .size:           8
        .value_kind:     global_buffer
      - .actual_access:  read_only
        .address_space:  global
        .offset:         96
        .size:           8
        .value_kind:     global_buffer
      - .actual_access:  read_only
        .address_space:  global
        .offset:         104
        .size:           8
        .value_kind:     global_buffer
      - .actual_access:  read_only
        .address_space:  global
        .offset:         112
        .size:           8
        .value_kind:     global_buffer
      - .offset:         120
        .size:           4
        .value_kind:     by_value
      - .address_space:  global
        .offset:         128
        .size:           8
        .value_kind:     global_buffer
      - .address_space:  global
        .offset:         136
        .size:           8
        .value_kind:     global_buffer
      - .offset:         144
        .size:           4
        .value_kind:     hidden_block_count_x
      - .offset:         148
        .size:           4
        .value_kind:     hidden_block_count_y
      - .offset:         152
        .size:           4
        .value_kind:     hidden_block_count_z
      - .offset:         156
        .size:           2
        .value_kind:     hidden_group_size_x
      - .offset:         158
        .size:           2
        .value_kind:     hidden_group_size_y
      - .offset:         160
        .size:           2
        .value_kind:     hidden_group_size_z
      - .offset:         162
        .size:           2
        .value_kind:     hidden_remainder_x
      - .offset:         164
        .size:           2
        .value_kind:     hidden_remainder_y
      - .offset:         166
        .size:           2
        .value_kind:     hidden_remainder_z
      - .offset:         184
        .size:           8
        .value_kind:     hidden_global_offset_x
      - .offset:         192
        .size:           8
        .value_kind:     hidden_global_offset_y
      - .offset:         200
        .size:           8
        .value_kind:     hidden_global_offset_z
      - .offset:         208
        .size:           2
        .value_kind:     hidden_grid_dims
      - .offset:         224
        .size:           8
        .value_kind:     hidden_hostcall_buffer
    .group_segment_fixed_size: 0
    .kernarg_segment_align: 8
    .kernarg_segment_size: 400
    .language:       OpenCL C
    .language_version:
      - 2
      - 0
    .max_flat_workgroup_size: 256
    .name:           _Z39paged_attention_ll4mi_QKV_mfma16_kernelIDF16_DF16_LN4vllm18Fp8KVCacheDataTypeE0EDF16_Li16ELi64ELi256ELb1ELi10EEvPKT_PKT0_S7_ifPKiS9_S9_iPKfiiiPfSC_PS2_PT2_iSB_SB_
    .private_segment_fixed_size: 64
    .sgpr_count:     36
    .sgpr_spill_count: 0
    .symbol:         _Z39paged_attention_ll4mi_QKV_mfma16_kernelIDF16_DF16_LN4vllm18Fp8KVCacheDataTypeE0EDF16_Li16ELi64ELi256ELb1ELi10EEvPKT_PKT0_S7_ifPKiS9_S9_iPKfiiiPfSC_PS2_PT2_iSB_SB_.kd
    .uniform_work_group_size: 1
    .uses_dynamic_stack: false
    .vgpr_count:     51
    .vgpr_spill_count: 0
    .wavefront_size: 32
  - .args:
      - .actual_access:  read_only
        .address_space:  global
        .offset:         0
        .size:           8
        .value_kind:     global_buffer
      - .actual_access:  read_only
        .address_space:  global
        .offset:         8
        .size:           8
        .value_kind:     global_buffer
      - .actual_access:  read_only
        .address_space:  global
        .offset:         16
        .size:           8
        .value_kind:     global_buffer
      - .offset:         24
        .size:           4
        .value_kind:     by_value
      - .offset:         28
        .size:           4
        .value_kind:     by_value
      - .actual_access:  read_only
        .address_space:  global
        .offset:         32
        .size:           8
        .value_kind:     global_buffer
      - .actual_access:  read_only
        .address_space:  global
        .offset:         40
        .size:           8
        .value_kind:     global_buffer
      - .actual_access:  read_only
        .address_space:  global
        .offset:         48
        .size:           8
        .value_kind:     global_buffer
      - .offset:         56
        .size:           4
        .value_kind:     by_value
      - .actual_access:  read_only
        .address_space:  global
        .offset:         64
        .size:           8
        .value_kind:     global_buffer
      - .offset:         72
        .size:           4
        .value_kind:     by_value
      - .offset:         76
        .size:           4
        .value_kind:     by_value
      - .offset:         80
        .size:           4
        .value_kind:     by_value
      - .actual_access:  read_only
        .address_space:  global
        .offset:         88
        .size:           8
        .value_kind:     global_buffer
      - .actual_access:  read_only
        .address_space:  global
        .offset:         96
        .size:           8
        .value_kind:     global_buffer
      - .actual_access:  read_only
        .address_space:  global
        .offset:         104
        .size:           8
        .value_kind:     global_buffer
      - .actual_access:  read_only
        .address_space:  global
        .offset:         112
        .size:           8
        .value_kind:     global_buffer
      - .offset:         120
        .size:           4
        .value_kind:     by_value
      - .address_space:  global
        .offset:         128
        .size:           8
        .value_kind:     global_buffer
      - .address_space:  global
        .offset:         136
        .size:           8
        .value_kind:     global_buffer
      - .offset:         144
        .size:           4
        .value_kind:     hidden_block_count_x
      - .offset:         148
        .size:           4
        .value_kind:     hidden_block_count_y
      - .offset:         152
        .size:           4
        .value_kind:     hidden_block_count_z
      - .offset:         156
        .size:           2
        .value_kind:     hidden_group_size_x
      - .offset:         158
        .size:           2
        .value_kind:     hidden_group_size_y
      - .offset:         160
        .size:           2
        .value_kind:     hidden_group_size_z
      - .offset:         162
        .size:           2
        .value_kind:     hidden_remainder_x
      - .offset:         164
        .size:           2
        .value_kind:     hidden_remainder_y
      - .offset:         166
        .size:           2
        .value_kind:     hidden_remainder_z
      - .offset:         184
        .size:           8
        .value_kind:     hidden_global_offset_x
      - .offset:         192
        .size:           8
        .value_kind:     hidden_global_offset_y
      - .offset:         200
        .size:           8
        .value_kind:     hidden_global_offset_z
      - .offset:         208
        .size:           2
        .value_kind:     hidden_grid_dims
      - .offset:         224
        .size:           8
        .value_kind:     hidden_hostcall_buffer
    .group_segment_fixed_size: 0
    .kernarg_segment_align: 8
    .kernarg_segment_size: 400
    .language:       OpenCL C
    .language_version:
      - 2
      - 0
    .max_flat_workgroup_size: 256
    .name:           _Z39paged_attention_ll4mi_QKV_mfma16_kernelIDF16_DF16_LN4vllm18Fp8KVCacheDataTypeE0EDF16_Li16ELi64ELi256ELb1ELi11EEvPKT_PKT0_S7_ifPKiS9_S9_iPKfiiiPfSC_PS2_PT2_iSB_SB_
    .private_segment_fixed_size: 64
    .sgpr_count:     36
    .sgpr_spill_count: 0
    .symbol:         _Z39paged_attention_ll4mi_QKV_mfma16_kernelIDF16_DF16_LN4vllm18Fp8KVCacheDataTypeE0EDF16_Li16ELi64ELi256ELb1ELi11EEvPKT_PKT0_S7_ifPKiS9_S9_iPKfiiiPfSC_PS2_PT2_iSB_SB_.kd
    .uniform_work_group_size: 1
    .uses_dynamic_stack: false
    .vgpr_count:     51
    .vgpr_spill_count: 0
    .wavefront_size: 32
  - .args:
      - .actual_access:  read_only
        .address_space:  global
        .offset:         0
        .size:           8
        .value_kind:     global_buffer
      - .actual_access:  read_only
        .address_space:  global
        .offset:         8
        .size:           8
        .value_kind:     global_buffer
      - .actual_access:  read_only
        .address_space:  global
        .offset:         16
        .size:           8
        .value_kind:     global_buffer
      - .offset:         24
        .size:           4
        .value_kind:     by_value
      - .offset:         28
        .size:           4
        .value_kind:     by_value
      - .actual_access:  read_only
        .address_space:  global
        .offset:         32
        .size:           8
        .value_kind:     global_buffer
      - .actual_access:  read_only
        .address_space:  global
        .offset:         40
        .size:           8
        .value_kind:     global_buffer
      - .actual_access:  read_only
        .address_space:  global
        .offset:         48
        .size:           8
        .value_kind:     global_buffer
      - .offset:         56
        .size:           4
        .value_kind:     by_value
      - .actual_access:  read_only
        .address_space:  global
        .offset:         64
        .size:           8
        .value_kind:     global_buffer
      - .offset:         72
        .size:           4
        .value_kind:     by_value
      - .offset:         76
        .size:           4
        .value_kind:     by_value
      - .offset:         80
        .size:           4
        .value_kind:     by_value
      - .actual_access:  read_only
        .address_space:  global
        .offset:         88
        .size:           8
        .value_kind:     global_buffer
      - .actual_access:  read_only
        .address_space:  global
        .offset:         96
        .size:           8
        .value_kind:     global_buffer
      - .actual_access:  read_only
        .address_space:  global
        .offset:         104
        .size:           8
        .value_kind:     global_buffer
      - .actual_access:  read_only
        .address_space:  global
        .offset:         112
        .size:           8
        .value_kind:     global_buffer
      - .offset:         120
        .size:           4
        .value_kind:     by_value
      - .address_space:  global
        .offset:         128
        .size:           8
        .value_kind:     global_buffer
      - .address_space:  global
        .offset:         136
        .size:           8
        .value_kind:     global_buffer
      - .offset:         144
        .size:           4
        .value_kind:     hidden_block_count_x
      - .offset:         148
        .size:           4
        .value_kind:     hidden_block_count_y
      - .offset:         152
        .size:           4
        .value_kind:     hidden_block_count_z
      - .offset:         156
        .size:           2
        .value_kind:     hidden_group_size_x
      - .offset:         158
        .size:           2
        .value_kind:     hidden_group_size_y
      - .offset:         160
        .size:           2
        .value_kind:     hidden_group_size_z
      - .offset:         162
        .size:           2
        .value_kind:     hidden_remainder_x
      - .offset:         164
        .size:           2
        .value_kind:     hidden_remainder_y
      - .offset:         166
        .size:           2
        .value_kind:     hidden_remainder_z
      - .offset:         184
        .size:           8
        .value_kind:     hidden_global_offset_x
      - .offset:         192
        .size:           8
        .value_kind:     hidden_global_offset_y
      - .offset:         200
        .size:           8
        .value_kind:     hidden_global_offset_z
      - .offset:         208
        .size:           2
        .value_kind:     hidden_grid_dims
      - .offset:         224
        .size:           8
        .value_kind:     hidden_hostcall_buffer
    .group_segment_fixed_size: 0
    .kernarg_segment_align: 8
    .kernarg_segment_size: 400
    .language:       OpenCL C
    .language_version:
      - 2
      - 0
    .max_flat_workgroup_size: 256
    .name:           _Z39paged_attention_ll4mi_QKV_mfma16_kernelIDF16_DF16_LN4vllm18Fp8KVCacheDataTypeE0EDF16_Li16ELi64ELi256ELb1ELi12EEvPKT_PKT0_S7_ifPKiS9_S9_iPKfiiiPfSC_PS2_PT2_iSB_SB_
    .private_segment_fixed_size: 64
    .sgpr_count:     36
    .sgpr_spill_count: 0
    .symbol:         _Z39paged_attention_ll4mi_QKV_mfma16_kernelIDF16_DF16_LN4vllm18Fp8KVCacheDataTypeE0EDF16_Li16ELi64ELi256ELb1ELi12EEvPKT_PKT0_S7_ifPKiS9_S9_iPKfiiiPfSC_PS2_PT2_iSB_SB_.kd
    .uniform_work_group_size: 1
    .uses_dynamic_stack: false
    .vgpr_count:     51
    .vgpr_spill_count: 0
    .wavefront_size: 32
  - .args:
      - .actual_access:  read_only
        .address_space:  global
        .offset:         0
        .size:           8
        .value_kind:     global_buffer
      - .actual_access:  read_only
        .address_space:  global
        .offset:         8
        .size:           8
        .value_kind:     global_buffer
      - .actual_access:  read_only
        .address_space:  global
        .offset:         16
        .size:           8
        .value_kind:     global_buffer
      - .offset:         24
        .size:           4
        .value_kind:     by_value
      - .offset:         28
        .size:           4
        .value_kind:     by_value
      - .actual_access:  read_only
        .address_space:  global
        .offset:         32
        .size:           8
        .value_kind:     global_buffer
      - .actual_access:  read_only
        .address_space:  global
        .offset:         40
        .size:           8
        .value_kind:     global_buffer
      - .actual_access:  read_only
        .address_space:  global
        .offset:         48
        .size:           8
        .value_kind:     global_buffer
      - .offset:         56
        .size:           4
        .value_kind:     by_value
      - .actual_access:  read_only
        .address_space:  global
        .offset:         64
        .size:           8
        .value_kind:     global_buffer
      - .offset:         72
        .size:           4
        .value_kind:     by_value
      - .offset:         76
        .size:           4
        .value_kind:     by_value
      - .offset:         80
        .size:           4
        .value_kind:     by_value
      - .actual_access:  read_only
        .address_space:  global
        .offset:         88
        .size:           8
        .value_kind:     global_buffer
      - .actual_access:  read_only
        .address_space:  global
        .offset:         96
        .size:           8
        .value_kind:     global_buffer
      - .actual_access:  read_only
        .address_space:  global
        .offset:         104
        .size:           8
        .value_kind:     global_buffer
      - .actual_access:  read_only
        .address_space:  global
        .offset:         112
        .size:           8
        .value_kind:     global_buffer
      - .offset:         120
        .size:           4
        .value_kind:     by_value
      - .address_space:  global
        .offset:         128
        .size:           8
        .value_kind:     global_buffer
      - .address_space:  global
        .offset:         136
        .size:           8
        .value_kind:     global_buffer
      - .offset:         144
        .size:           4
        .value_kind:     hidden_block_count_x
      - .offset:         148
        .size:           4
        .value_kind:     hidden_block_count_y
      - .offset:         152
        .size:           4
        .value_kind:     hidden_block_count_z
      - .offset:         156
        .size:           2
        .value_kind:     hidden_group_size_x
      - .offset:         158
        .size:           2
        .value_kind:     hidden_group_size_y
      - .offset:         160
        .size:           2
        .value_kind:     hidden_group_size_z
      - .offset:         162
        .size:           2
        .value_kind:     hidden_remainder_x
      - .offset:         164
        .size:           2
        .value_kind:     hidden_remainder_y
      - .offset:         166
        .size:           2
        .value_kind:     hidden_remainder_z
      - .offset:         184
        .size:           8
        .value_kind:     hidden_global_offset_x
      - .offset:         192
        .size:           8
        .value_kind:     hidden_global_offset_y
      - .offset:         200
        .size:           8
        .value_kind:     hidden_global_offset_z
      - .offset:         208
        .size:           2
        .value_kind:     hidden_grid_dims
      - .offset:         224
        .size:           8
        .value_kind:     hidden_hostcall_buffer
    .group_segment_fixed_size: 0
    .kernarg_segment_align: 8
    .kernarg_segment_size: 400
    .language:       OpenCL C
    .language_version:
      - 2
      - 0
    .max_flat_workgroup_size: 256
    .name:           _Z39paged_attention_ll4mi_QKV_mfma16_kernelIDF16_DF16_LN4vllm18Fp8KVCacheDataTypeE0EDF16_Li16ELi64ELi256ELb1ELi13EEvPKT_PKT0_S7_ifPKiS9_S9_iPKfiiiPfSC_PS2_PT2_iSB_SB_
    .private_segment_fixed_size: 64
    .sgpr_count:     36
    .sgpr_spill_count: 0
    .symbol:         _Z39paged_attention_ll4mi_QKV_mfma16_kernelIDF16_DF16_LN4vllm18Fp8KVCacheDataTypeE0EDF16_Li16ELi64ELi256ELb1ELi13EEvPKT_PKT0_S7_ifPKiS9_S9_iPKfiiiPfSC_PS2_PT2_iSB_SB_.kd
    .uniform_work_group_size: 1
    .uses_dynamic_stack: false
    .vgpr_count:     51
    .vgpr_spill_count: 0
    .wavefront_size: 32
  - .args:
      - .actual_access:  read_only
        .address_space:  global
        .offset:         0
        .size:           8
        .value_kind:     global_buffer
      - .actual_access:  read_only
        .address_space:  global
        .offset:         8
        .size:           8
        .value_kind:     global_buffer
      - .actual_access:  read_only
        .address_space:  global
        .offset:         16
        .size:           8
        .value_kind:     global_buffer
      - .offset:         24
        .size:           4
        .value_kind:     by_value
      - .offset:         28
        .size:           4
        .value_kind:     by_value
      - .actual_access:  read_only
        .address_space:  global
        .offset:         32
        .size:           8
        .value_kind:     global_buffer
      - .actual_access:  read_only
        .address_space:  global
        .offset:         40
        .size:           8
        .value_kind:     global_buffer
      - .actual_access:  read_only
        .address_space:  global
        .offset:         48
        .size:           8
        .value_kind:     global_buffer
      - .offset:         56
        .size:           4
        .value_kind:     by_value
      - .actual_access:  read_only
        .address_space:  global
        .offset:         64
        .size:           8
        .value_kind:     global_buffer
      - .offset:         72
        .size:           4
        .value_kind:     by_value
      - .offset:         76
        .size:           4
        .value_kind:     by_value
      - .offset:         80
        .size:           4
        .value_kind:     by_value
      - .actual_access:  read_only
        .address_space:  global
        .offset:         88
        .size:           8
        .value_kind:     global_buffer
      - .actual_access:  read_only
        .address_space:  global
        .offset:         96
        .size:           8
        .value_kind:     global_buffer
      - .actual_access:  read_only
        .address_space:  global
        .offset:         104
        .size:           8
        .value_kind:     global_buffer
      - .actual_access:  read_only
        .address_space:  global
        .offset:         112
        .size:           8
        .value_kind:     global_buffer
      - .offset:         120
        .size:           4
        .value_kind:     by_value
      - .address_space:  global
        .offset:         128
        .size:           8
        .value_kind:     global_buffer
      - .address_space:  global
        .offset:         136
        .size:           8
        .value_kind:     global_buffer
      - .offset:         144
        .size:           4
        .value_kind:     hidden_block_count_x
      - .offset:         148
        .size:           4
        .value_kind:     hidden_block_count_y
      - .offset:         152
        .size:           4
        .value_kind:     hidden_block_count_z
      - .offset:         156
        .size:           2
        .value_kind:     hidden_group_size_x
      - .offset:         158
        .size:           2
        .value_kind:     hidden_group_size_y
      - .offset:         160
        .size:           2
        .value_kind:     hidden_group_size_z
      - .offset:         162
        .size:           2
        .value_kind:     hidden_remainder_x
      - .offset:         164
        .size:           2
        .value_kind:     hidden_remainder_y
      - .offset:         166
        .size:           2
        .value_kind:     hidden_remainder_z
      - .offset:         184
        .size:           8
        .value_kind:     hidden_global_offset_x
      - .offset:         192
        .size:           8
        .value_kind:     hidden_global_offset_y
      - .offset:         200
        .size:           8
        .value_kind:     hidden_global_offset_z
      - .offset:         208
        .size:           2
        .value_kind:     hidden_grid_dims
      - .offset:         224
        .size:           8
        .value_kind:     hidden_hostcall_buffer
    .group_segment_fixed_size: 0
    .kernarg_segment_align: 8
    .kernarg_segment_size: 400
    .language:       OpenCL C
    .language_version:
      - 2
      - 0
    .max_flat_workgroup_size: 256
    .name:           _Z39paged_attention_ll4mi_QKV_mfma16_kernelIDF16_DF16_LN4vllm18Fp8KVCacheDataTypeE0EDF16_Li16ELi64ELi256ELb1ELi14EEvPKT_PKT0_S7_ifPKiS9_S9_iPKfiiiPfSC_PS2_PT2_iSB_SB_
    .private_segment_fixed_size: 64
    .sgpr_count:     36
    .sgpr_spill_count: 0
    .symbol:         _Z39paged_attention_ll4mi_QKV_mfma16_kernelIDF16_DF16_LN4vllm18Fp8KVCacheDataTypeE0EDF16_Li16ELi64ELi256ELb1ELi14EEvPKT_PKT0_S7_ifPKiS9_S9_iPKfiiiPfSC_PS2_PT2_iSB_SB_.kd
    .uniform_work_group_size: 1
    .uses_dynamic_stack: false
    .vgpr_count:     51
    .vgpr_spill_count: 0
    .wavefront_size: 32
  - .args:
      - .actual_access:  read_only
        .address_space:  global
        .offset:         0
        .size:           8
        .value_kind:     global_buffer
      - .actual_access:  read_only
        .address_space:  global
        .offset:         8
        .size:           8
        .value_kind:     global_buffer
      - .actual_access:  read_only
        .address_space:  global
        .offset:         16
        .size:           8
        .value_kind:     global_buffer
      - .offset:         24
        .size:           4
        .value_kind:     by_value
      - .offset:         28
        .size:           4
        .value_kind:     by_value
      - .actual_access:  read_only
        .address_space:  global
        .offset:         32
        .size:           8
        .value_kind:     global_buffer
      - .actual_access:  read_only
        .address_space:  global
        .offset:         40
        .size:           8
        .value_kind:     global_buffer
      - .actual_access:  read_only
        .address_space:  global
        .offset:         48
        .size:           8
        .value_kind:     global_buffer
      - .offset:         56
        .size:           4
        .value_kind:     by_value
      - .actual_access:  read_only
        .address_space:  global
        .offset:         64
        .size:           8
        .value_kind:     global_buffer
      - .offset:         72
        .size:           4
        .value_kind:     by_value
      - .offset:         76
        .size:           4
        .value_kind:     by_value
      - .offset:         80
        .size:           4
        .value_kind:     by_value
      - .actual_access:  read_only
        .address_space:  global
        .offset:         88
        .size:           8
        .value_kind:     global_buffer
      - .actual_access:  read_only
        .address_space:  global
        .offset:         96
        .size:           8
        .value_kind:     global_buffer
      - .actual_access:  read_only
        .address_space:  global
        .offset:         104
        .size:           8
        .value_kind:     global_buffer
      - .actual_access:  read_only
        .address_space:  global
        .offset:         112
        .size:           8
        .value_kind:     global_buffer
      - .offset:         120
        .size:           4
        .value_kind:     by_value
      - .address_space:  global
        .offset:         128
        .size:           8
        .value_kind:     global_buffer
      - .address_space:  global
        .offset:         136
        .size:           8
        .value_kind:     global_buffer
      - .offset:         144
        .size:           4
        .value_kind:     hidden_block_count_x
      - .offset:         148
        .size:           4
        .value_kind:     hidden_block_count_y
      - .offset:         152
        .size:           4
        .value_kind:     hidden_block_count_z
      - .offset:         156
        .size:           2
        .value_kind:     hidden_group_size_x
      - .offset:         158
        .size:           2
        .value_kind:     hidden_group_size_y
      - .offset:         160
        .size:           2
        .value_kind:     hidden_group_size_z
      - .offset:         162
        .size:           2
        .value_kind:     hidden_remainder_x
      - .offset:         164
        .size:           2
        .value_kind:     hidden_remainder_y
      - .offset:         166
        .size:           2
        .value_kind:     hidden_remainder_z
      - .offset:         184
        .size:           8
        .value_kind:     hidden_global_offset_x
      - .offset:         192
        .size:           8
        .value_kind:     hidden_global_offset_y
      - .offset:         200
        .size:           8
        .value_kind:     hidden_global_offset_z
      - .offset:         208
        .size:           2
        .value_kind:     hidden_grid_dims
      - .offset:         224
        .size:           8
        .value_kind:     hidden_hostcall_buffer
    .group_segment_fixed_size: 0
    .kernarg_segment_align: 8
    .kernarg_segment_size: 400
    .language:       OpenCL C
    .language_version:
      - 2
      - 0
    .max_flat_workgroup_size: 256
    .name:           _Z39paged_attention_ll4mi_QKV_mfma16_kernelIDF16_DF16_LN4vllm18Fp8KVCacheDataTypeE0EDF16_Li16ELi64ELi256ELb1ELi15EEvPKT_PKT0_S7_ifPKiS9_S9_iPKfiiiPfSC_PS2_PT2_iSB_SB_
    .private_segment_fixed_size: 64
    .sgpr_count:     36
    .sgpr_spill_count: 0
    .symbol:         _Z39paged_attention_ll4mi_QKV_mfma16_kernelIDF16_DF16_LN4vllm18Fp8KVCacheDataTypeE0EDF16_Li16ELi64ELi256ELb1ELi15EEvPKT_PKT0_S7_ifPKiS9_S9_iPKfiiiPfSC_PS2_PT2_iSB_SB_.kd
    .uniform_work_group_size: 1
    .uses_dynamic_stack: false
    .vgpr_count:     51
    .vgpr_spill_count: 0
    .wavefront_size: 32
  - .args:
      - .actual_access:  read_only
        .address_space:  global
        .offset:         0
        .size:           8
        .value_kind:     global_buffer
      - .actual_access:  read_only
        .address_space:  global
        .offset:         8
        .size:           8
        .value_kind:     global_buffer
      - .actual_access:  read_only
        .address_space:  global
        .offset:         16
        .size:           8
        .value_kind:     global_buffer
      - .offset:         24
        .size:           4
        .value_kind:     by_value
      - .offset:         28
        .size:           4
        .value_kind:     by_value
      - .actual_access:  read_only
        .address_space:  global
        .offset:         32
        .size:           8
        .value_kind:     global_buffer
      - .actual_access:  read_only
        .address_space:  global
        .offset:         40
        .size:           8
        .value_kind:     global_buffer
      - .actual_access:  read_only
        .address_space:  global
        .offset:         48
        .size:           8
        .value_kind:     global_buffer
      - .offset:         56
        .size:           4
        .value_kind:     by_value
      - .actual_access:  read_only
        .address_space:  global
        .offset:         64
        .size:           8
        .value_kind:     global_buffer
      - .offset:         72
        .size:           4
        .value_kind:     by_value
      - .offset:         76
        .size:           4
        .value_kind:     by_value
      - .offset:         80
        .size:           4
        .value_kind:     by_value
      - .actual_access:  read_only
        .address_space:  global
        .offset:         88
        .size:           8
        .value_kind:     global_buffer
      - .actual_access:  read_only
        .address_space:  global
        .offset:         96
        .size:           8
        .value_kind:     global_buffer
      - .actual_access:  read_only
        .address_space:  global
        .offset:         104
        .size:           8
        .value_kind:     global_buffer
      - .actual_access:  read_only
        .address_space:  global
        .offset:         112
        .size:           8
        .value_kind:     global_buffer
      - .offset:         120
        .size:           4
        .value_kind:     by_value
      - .address_space:  global
        .offset:         128
        .size:           8
        .value_kind:     global_buffer
      - .address_space:  global
        .offset:         136
        .size:           8
        .value_kind:     global_buffer
      - .offset:         144
        .size:           4
        .value_kind:     hidden_block_count_x
      - .offset:         148
        .size:           4
        .value_kind:     hidden_block_count_y
      - .offset:         152
        .size:           4
        .value_kind:     hidden_block_count_z
      - .offset:         156
        .size:           2
        .value_kind:     hidden_group_size_x
      - .offset:         158
        .size:           2
        .value_kind:     hidden_group_size_y
      - .offset:         160
        .size:           2
        .value_kind:     hidden_group_size_z
      - .offset:         162
        .size:           2
        .value_kind:     hidden_remainder_x
      - .offset:         164
        .size:           2
        .value_kind:     hidden_remainder_y
      - .offset:         166
        .size:           2
        .value_kind:     hidden_remainder_z
      - .offset:         184
        .size:           8
        .value_kind:     hidden_global_offset_x
      - .offset:         192
        .size:           8
        .value_kind:     hidden_global_offset_y
      - .offset:         200
        .size:           8
        .value_kind:     hidden_global_offset_z
      - .offset:         208
        .size:           2
        .value_kind:     hidden_grid_dims
      - .offset:         224
        .size:           8
        .value_kind:     hidden_hostcall_buffer
    .group_segment_fixed_size: 0
    .kernarg_segment_align: 8
    .kernarg_segment_size: 400
    .language:       OpenCL C
    .language_version:
      - 2
      - 0
    .max_flat_workgroup_size: 256
    .name:           _Z39paged_attention_ll4mi_QKV_mfma16_kernelIDF16_DF16_LN4vllm18Fp8KVCacheDataTypeE0EDF16_Li16ELi64ELi256ELb1ELi16EEvPKT_PKT0_S7_ifPKiS9_S9_iPKfiiiPfSC_PS2_PT2_iSB_SB_
    .private_segment_fixed_size: 64
    .sgpr_count:     36
    .sgpr_spill_count: 0
    .symbol:         _Z39paged_attention_ll4mi_QKV_mfma16_kernelIDF16_DF16_LN4vllm18Fp8KVCacheDataTypeE0EDF16_Li16ELi64ELi256ELb1ELi16EEvPKT_PKT0_S7_ifPKiS9_S9_iPKfiiiPfSC_PS2_PT2_iSB_SB_.kd
    .uniform_work_group_size: 1
    .uses_dynamic_stack: false
    .vgpr_count:     51
    .vgpr_spill_count: 0
    .wavefront_size: 32
  - .args:
      - .actual_access:  read_only
        .address_space:  global
        .offset:         0
        .size:           8
        .value_kind:     global_buffer
      - .actual_access:  read_only
        .address_space:  global
        .offset:         8
        .size:           8
        .value_kind:     global_buffer
      - .actual_access:  read_only
        .address_space:  global
        .offset:         16
        .size:           8
        .value_kind:     global_buffer
      - .actual_access:  read_only
        .address_space:  global
        .offset:         24
        .size:           8
        .value_kind:     global_buffer
      - .actual_access:  read_only
        .address_space:  global
        .offset:         32
        .size:           8
        .value_kind:     global_buffer
      - .actual_access:  read_only
        .address_space:  global
        .offset:         40
        .size:           8
        .value_kind:     global_buffer
      - .offset:         48
        .size:           4
        .value_kind:     by_value
      - .actual_access:  read_only
        .address_space:  global
        .offset:         56
        .size:           8
        .value_kind:     global_buffer
      - .offset:         64
        .size:           4
        .value_kind:     hidden_block_count_x
      - .offset:         68
        .size:           4
        .value_kind:     hidden_block_count_y
      - .offset:         72
        .size:           4
        .value_kind:     hidden_block_count_z
      - .offset:         76
        .size:           2
        .value_kind:     hidden_group_size_x
      - .offset:         78
        .size:           2
        .value_kind:     hidden_group_size_y
      - .offset:         80
        .size:           2
        .value_kind:     hidden_group_size_z
      - .offset:         82
        .size:           2
        .value_kind:     hidden_remainder_x
      - .offset:         84
        .size:           2
        .value_kind:     hidden_remainder_y
      - .offset:         86
        .size:           2
        .value_kind:     hidden_remainder_z
      - .offset:         104
        .size:           8
        .value_kind:     hidden_global_offset_x
      - .offset:         112
        .size:           8
        .value_kind:     hidden_global_offset_y
      - .offset:         120
        .size:           8
        .value_kind:     hidden_global_offset_z
      - .offset:         128
        .size:           2
        .value_kind:     hidden_grid_dims
      - .offset:         144
        .size:           8
        .value_kind:     hidden_hostcall_buffer
    .group_segment_fixed_size: 0
    .kernarg_segment_align: 8
    .kernarg_segment_size: 320
    .language:       OpenCL C
    .language_version:
      - 2
      - 0
    .max_flat_workgroup_size: 64
    .name:           _Z35paged_attention_ll4mi_reduce_kernelIDF16_DF16_Li64ELi64ELi256ELi1EEvPT0_PKfS3_PKT_PKiS8_iS3_
    .private_segment_fixed_size: 64
    .sgpr_count:     36
    .sgpr_spill_count: 0
    .symbol:         _Z35paged_attention_ll4mi_reduce_kernelIDF16_DF16_Li64ELi64ELi256ELi1EEvPT0_PKfS3_PKT_PKiS8_iS3_.kd
    .uniform_work_group_size: 1
    .uses_dynamic_stack: false
    .vgpr_count:     51
    .vgpr_spill_count: 0
    .wavefront_size: 32
  - .args:
      - .actual_access:  read_only
        .address_space:  global
        .offset:         0
        .size:           8
        .value_kind:     global_buffer
      - .actual_access:  read_only
        .address_space:  global
        .offset:         8
        .size:           8
        .value_kind:     global_buffer
      - .actual_access:  read_only
        .address_space:  global
        .offset:         16
        .size:           8
        .value_kind:     global_buffer
      - .actual_access:  read_only
        .address_space:  global
        .offset:         24
        .size:           8
        .value_kind:     global_buffer
      - .actual_access:  read_only
        .address_space:  global
        .offset:         32
        .size:           8
        .value_kind:     global_buffer
      - .actual_access:  read_only
        .address_space:  global
        .offset:         40
        .size:           8
        .value_kind:     global_buffer
      - .offset:         48
        .size:           4
        .value_kind:     by_value
      - .actual_access:  read_only
        .address_space:  global
        .offset:         56
        .size:           8
        .value_kind:     global_buffer
      - .offset:         64
        .size:           4
        .value_kind:     hidden_block_count_x
      - .offset:         68
        .size:           4
        .value_kind:     hidden_block_count_y
      - .offset:         72
        .size:           4
        .value_kind:     hidden_block_count_z
      - .offset:         76
        .size:           2
        .value_kind:     hidden_group_size_x
      - .offset:         78
        .size:           2
        .value_kind:     hidden_group_size_y
      - .offset:         80
        .size:           2
        .value_kind:     hidden_group_size_z
      - .offset:         82
        .size:           2
        .value_kind:     hidden_remainder_x
      - .offset:         84
        .size:           2
        .value_kind:     hidden_remainder_y
      - .offset:         86
        .size:           2
        .value_kind:     hidden_remainder_z
      - .offset:         104
        .size:           8
        .value_kind:     hidden_global_offset_x
      - .offset:         112
        .size:           8
        .value_kind:     hidden_global_offset_y
      - .offset:         120
        .size:           8
        .value_kind:     hidden_global_offset_z
      - .offset:         128
        .size:           2
        .value_kind:     hidden_grid_dims
      - .offset:         144
        .size:           8
        .value_kind:     hidden_hostcall_buffer
    .group_segment_fixed_size: 0
    .kernarg_segment_align: 8
    .kernarg_segment_size: 320
    .language:       OpenCL C
    .language_version:
      - 2
      - 0
    .max_flat_workgroup_size: 64
    .name:           _Z35paged_attention_ll4mi_reduce_kernelIDF16_DF16_Li64ELi64ELi256ELi2EEvPT0_PKfS3_PKT_PKiS8_iS3_
    .private_segment_fixed_size: 64
    .sgpr_count:     36
    .sgpr_spill_count: 0
    .symbol:         _Z35paged_attention_ll4mi_reduce_kernelIDF16_DF16_Li64ELi64ELi256ELi2EEvPT0_PKfS3_PKT_PKiS8_iS3_.kd
    .uniform_work_group_size: 1
    .uses_dynamic_stack: false
    .vgpr_count:     51
    .vgpr_spill_count: 0
    .wavefront_size: 32
  - .args:
      - .actual_access:  read_only
        .address_space:  global
        .offset:         0
        .size:           8
        .value_kind:     global_buffer
      - .actual_access:  read_only
        .address_space:  global
        .offset:         8
        .size:           8
        .value_kind:     global_buffer
      - .actual_access:  read_only
        .address_space:  global
        .offset:         16
        .size:           8
        .value_kind:     global_buffer
      - .actual_access:  read_only
        .address_space:  global
        .offset:         24
        .size:           8
        .value_kind:     global_buffer
      - .actual_access:  read_only
        .address_space:  global
        .offset:         32
        .size:           8
        .value_kind:     global_buffer
      - .actual_access:  read_only
        .address_space:  global
        .offset:         40
        .size:           8
        .value_kind:     global_buffer
      - .offset:         48
        .size:           4
        .value_kind:     by_value
      - .actual_access:  read_only
        .address_space:  global
        .offset:         56
        .size:           8
        .value_kind:     global_buffer
      - .offset:         64
        .size:           4
        .value_kind:     hidden_block_count_x
      - .offset:         68
        .size:           4
        .value_kind:     hidden_block_count_y
      - .offset:         72
        .size:           4
        .value_kind:     hidden_block_count_z
      - .offset:         76
        .size:           2
        .value_kind:     hidden_group_size_x
      - .offset:         78
        .size:           2
        .value_kind:     hidden_group_size_y
      - .offset:         80
        .size:           2
        .value_kind:     hidden_group_size_z
      - .offset:         82
        .size:           2
        .value_kind:     hidden_remainder_x
      - .offset:         84
        .size:           2
        .value_kind:     hidden_remainder_y
      - .offset:         86
        .size:           2
        .value_kind:     hidden_remainder_z
      - .offset:         104
        .size:           8
        .value_kind:     hidden_global_offset_x
      - .offset:         112
        .size:           8
        .value_kind:     hidden_global_offset_y
      - .offset:         120
        .size:           8
        .value_kind:     hidden_global_offset_z
      - .offset:         128
        .size:           2
        .value_kind:     hidden_grid_dims
      - .offset:         144
        .size:           8
        .value_kind:     hidden_hostcall_buffer
    .group_segment_fixed_size: 0
    .kernarg_segment_align: 8
    .kernarg_segment_size: 320
    .language:       OpenCL C
    .language_version:
      - 2
      - 0
    .max_flat_workgroup_size: 64
    .name:           _Z35paged_attention_ll4mi_reduce_kernelIDF16_DF16_Li64ELi64ELi256ELi3EEvPT0_PKfS3_PKT_PKiS8_iS3_
    .private_segment_fixed_size: 64
    .sgpr_count:     36
    .sgpr_spill_count: 0
    .symbol:         _Z35paged_attention_ll4mi_reduce_kernelIDF16_DF16_Li64ELi64ELi256ELi3EEvPT0_PKfS3_PKT_PKiS8_iS3_.kd
    .uniform_work_group_size: 1
    .uses_dynamic_stack: false
    .vgpr_count:     51
    .vgpr_spill_count: 0
    .wavefront_size: 32
  - .args:
      - .actual_access:  read_only
        .address_space:  global
        .offset:         0
        .size:           8
        .value_kind:     global_buffer
      - .actual_access:  read_only
        .address_space:  global
        .offset:         8
        .size:           8
        .value_kind:     global_buffer
      - .actual_access:  read_only
        .address_space:  global
        .offset:         16
        .size:           8
        .value_kind:     global_buffer
      - .actual_access:  read_only
        .address_space:  global
        .offset:         24
        .size:           8
        .value_kind:     global_buffer
      - .actual_access:  read_only
        .address_space:  global
        .offset:         32
        .size:           8
        .value_kind:     global_buffer
      - .actual_access:  read_only
        .address_space:  global
        .offset:         40
        .size:           8
        .value_kind:     global_buffer
      - .offset:         48
        .size:           4
        .value_kind:     by_value
      - .actual_access:  read_only
        .address_space:  global
        .offset:         56
        .size:           8
        .value_kind:     global_buffer
      - .offset:         64
        .size:           4
        .value_kind:     hidden_block_count_x
      - .offset:         68
        .size:           4
        .value_kind:     hidden_block_count_y
      - .offset:         72
        .size:           4
        .value_kind:     hidden_block_count_z
      - .offset:         76
        .size:           2
        .value_kind:     hidden_group_size_x
      - .offset:         78
        .size:           2
        .value_kind:     hidden_group_size_y
      - .offset:         80
        .size:           2
        .value_kind:     hidden_group_size_z
      - .offset:         82
        .size:           2
        .value_kind:     hidden_remainder_x
      - .offset:         84
        .size:           2
        .value_kind:     hidden_remainder_y
      - .offset:         86
        .size:           2
        .value_kind:     hidden_remainder_z
      - .offset:         104
        .size:           8
        .value_kind:     hidden_global_offset_x
      - .offset:         112
        .size:           8
        .value_kind:     hidden_global_offset_y
      - .offset:         120
        .size:           8
        .value_kind:     hidden_global_offset_z
      - .offset:         128
        .size:           2
        .value_kind:     hidden_grid_dims
      - .offset:         144
        .size:           8
        .value_kind:     hidden_hostcall_buffer
    .group_segment_fixed_size: 0
    .kernarg_segment_align: 8
    .kernarg_segment_size: 320
    .language:       OpenCL C
    .language_version:
      - 2
      - 0
    .max_flat_workgroup_size: 64
    .name:           _Z35paged_attention_ll4mi_reduce_kernelIDF16_DF16_Li64ELi64ELi256ELi4EEvPT0_PKfS3_PKT_PKiS8_iS3_
    .private_segment_fixed_size: 64
    .sgpr_count:     36
    .sgpr_spill_count: 0
    .symbol:         _Z35paged_attention_ll4mi_reduce_kernelIDF16_DF16_Li64ELi64ELi256ELi4EEvPT0_PKfS3_PKT_PKiS8_iS3_.kd
    .uniform_work_group_size: 1
    .uses_dynamic_stack: false
    .vgpr_count:     51
    .vgpr_spill_count: 0
    .wavefront_size: 32
  - .args:
      - .actual_access:  read_only
        .address_space:  global
        .offset:         0
        .size:           8
        .value_kind:     global_buffer
      - .actual_access:  read_only
        .address_space:  global
        .offset:         8
        .size:           8
        .value_kind:     global_buffer
      - .actual_access:  read_only
        .address_space:  global
        .offset:         16
        .size:           8
        .value_kind:     global_buffer
      - .actual_access:  read_only
        .address_space:  global
        .offset:         24
        .size:           8
        .value_kind:     global_buffer
      - .actual_access:  read_only
        .address_space:  global
        .offset:         32
        .size:           8
        .value_kind:     global_buffer
      - .actual_access:  read_only
        .address_space:  global
        .offset:         40
        .size:           8
        .value_kind:     global_buffer
      - .offset:         48
        .size:           4
        .value_kind:     by_value
      - .actual_access:  read_only
        .address_space:  global
        .offset:         56
        .size:           8
        .value_kind:     global_buffer
      - .offset:         64
        .size:           4
        .value_kind:     hidden_block_count_x
      - .offset:         68
        .size:           4
        .value_kind:     hidden_block_count_y
      - .offset:         72
        .size:           4
        .value_kind:     hidden_block_count_z
      - .offset:         76
        .size:           2
        .value_kind:     hidden_group_size_x
      - .offset:         78
        .size:           2
        .value_kind:     hidden_group_size_y
      - .offset:         80
        .size:           2
        .value_kind:     hidden_group_size_z
      - .offset:         82
        .size:           2
        .value_kind:     hidden_remainder_x
      - .offset:         84
        .size:           2
        .value_kind:     hidden_remainder_y
      - .offset:         86
        .size:           2
        .value_kind:     hidden_remainder_z
      - .offset:         104
        .size:           8
        .value_kind:     hidden_global_offset_x
      - .offset:         112
        .size:           8
        .value_kind:     hidden_global_offset_y
      - .offset:         120
        .size:           8
        .value_kind:     hidden_global_offset_z
      - .offset:         128
        .size:           2
        .value_kind:     hidden_grid_dims
      - .offset:         144
        .size:           8
        .value_kind:     hidden_hostcall_buffer
    .group_segment_fixed_size: 0
    .kernarg_segment_align: 8
    .kernarg_segment_size: 320
    .language:       OpenCL C
    .language_version:
      - 2
      - 0
    .max_flat_workgroup_size: 64
    .name:           _Z35paged_attention_ll4mi_reduce_kernelIDF16_DF16_Li64ELi64ELi256ELi5EEvPT0_PKfS3_PKT_PKiS8_iS3_
    .private_segment_fixed_size: 64
    .sgpr_count:     36
    .sgpr_spill_count: 0
    .symbol:         _Z35paged_attention_ll4mi_reduce_kernelIDF16_DF16_Li64ELi64ELi256ELi5EEvPT0_PKfS3_PKT_PKiS8_iS3_.kd
    .uniform_work_group_size: 1
    .uses_dynamic_stack: false
    .vgpr_count:     51
    .vgpr_spill_count: 0
    .wavefront_size: 32
  - .args:
      - .actual_access:  read_only
        .address_space:  global
        .offset:         0
        .size:           8
        .value_kind:     global_buffer
      - .actual_access:  read_only
        .address_space:  global
        .offset:         8
        .size:           8
        .value_kind:     global_buffer
      - .actual_access:  read_only
        .address_space:  global
        .offset:         16
        .size:           8
        .value_kind:     global_buffer
      - .actual_access:  read_only
        .address_space:  global
        .offset:         24
        .size:           8
        .value_kind:     global_buffer
      - .actual_access:  read_only
        .address_space:  global
        .offset:         32
        .size:           8
        .value_kind:     global_buffer
      - .actual_access:  read_only
        .address_space:  global
        .offset:         40
        .size:           8
        .value_kind:     global_buffer
      - .offset:         48
        .size:           4
        .value_kind:     by_value
      - .actual_access:  read_only
        .address_space:  global
        .offset:         56
        .size:           8
        .value_kind:     global_buffer
      - .offset:         64
        .size:           4
        .value_kind:     hidden_block_count_x
      - .offset:         68
        .size:           4
        .value_kind:     hidden_block_count_y
      - .offset:         72
        .size:           4
        .value_kind:     hidden_block_count_z
      - .offset:         76
        .size:           2
        .value_kind:     hidden_group_size_x
      - .offset:         78
        .size:           2
        .value_kind:     hidden_group_size_y
      - .offset:         80
        .size:           2
        .value_kind:     hidden_group_size_z
      - .offset:         82
        .size:           2
        .value_kind:     hidden_remainder_x
      - .offset:         84
        .size:           2
        .value_kind:     hidden_remainder_y
      - .offset:         86
        .size:           2
        .value_kind:     hidden_remainder_z
      - .offset:         104
        .size:           8
        .value_kind:     hidden_global_offset_x
      - .offset:         112
        .size:           8
        .value_kind:     hidden_global_offset_y
      - .offset:         120
        .size:           8
        .value_kind:     hidden_global_offset_z
      - .offset:         128
        .size:           2
        .value_kind:     hidden_grid_dims
      - .offset:         144
        .size:           8
        .value_kind:     hidden_hostcall_buffer
    .group_segment_fixed_size: 0
    .kernarg_segment_align: 8
    .kernarg_segment_size: 320
    .language:       OpenCL C
    .language_version:
      - 2
      - 0
    .max_flat_workgroup_size: 64
    .name:           _Z35paged_attention_ll4mi_reduce_kernelIDF16_DF16_Li64ELi64ELi256ELi6EEvPT0_PKfS3_PKT_PKiS8_iS3_
    .private_segment_fixed_size: 64
    .sgpr_count:     36
    .sgpr_spill_count: 0
    .symbol:         _Z35paged_attention_ll4mi_reduce_kernelIDF16_DF16_Li64ELi64ELi256ELi6EEvPT0_PKfS3_PKT_PKiS8_iS3_.kd
    .uniform_work_group_size: 1
    .uses_dynamic_stack: false
    .vgpr_count:     51
    .vgpr_spill_count: 0
    .wavefront_size: 32
  - .args:
      - .actual_access:  read_only
        .address_space:  global
        .offset:         0
        .size:           8
        .value_kind:     global_buffer
      - .actual_access:  read_only
        .address_space:  global
        .offset:         8
        .size:           8
        .value_kind:     global_buffer
      - .actual_access:  read_only
        .address_space:  global
        .offset:         16
        .size:           8
        .value_kind:     global_buffer
      - .actual_access:  read_only
        .address_space:  global
        .offset:         24
        .size:           8
        .value_kind:     global_buffer
      - .actual_access:  read_only
        .address_space:  global
        .offset:         32
        .size:           8
        .value_kind:     global_buffer
      - .actual_access:  read_only
        .address_space:  global
        .offset:         40
        .size:           8
        .value_kind:     global_buffer
      - .offset:         48
        .size:           4
        .value_kind:     by_value
      - .actual_access:  read_only
        .address_space:  global
        .offset:         56
        .size:           8
        .value_kind:     global_buffer
      - .offset:         64
        .size:           4
        .value_kind:     hidden_block_count_x
      - .offset:         68
        .size:           4
        .value_kind:     hidden_block_count_y
      - .offset:         72
        .size:           4
        .value_kind:     hidden_block_count_z
      - .offset:         76
        .size:           2
        .value_kind:     hidden_group_size_x
      - .offset:         78
        .size:           2
        .value_kind:     hidden_group_size_y
      - .offset:         80
        .size:           2
        .value_kind:     hidden_group_size_z
      - .offset:         82
        .size:           2
        .value_kind:     hidden_remainder_x
      - .offset:         84
        .size:           2
        .value_kind:     hidden_remainder_y
      - .offset:         86
        .size:           2
        .value_kind:     hidden_remainder_z
      - .offset:         104
        .size:           8
        .value_kind:     hidden_global_offset_x
      - .offset:         112
        .size:           8
        .value_kind:     hidden_global_offset_y
      - .offset:         120
        .size:           8
        .value_kind:     hidden_global_offset_z
      - .offset:         128
        .size:           2
        .value_kind:     hidden_grid_dims
      - .offset:         144
        .size:           8
        .value_kind:     hidden_hostcall_buffer
    .group_segment_fixed_size: 0
    .kernarg_segment_align: 8
    .kernarg_segment_size: 320
    .language:       OpenCL C
    .language_version:
      - 2
      - 0
    .max_flat_workgroup_size: 64
    .name:           _Z35paged_attention_ll4mi_reduce_kernelIDF16_DF16_Li64ELi64ELi256ELi7EEvPT0_PKfS3_PKT_PKiS8_iS3_
    .private_segment_fixed_size: 64
    .sgpr_count:     36
    .sgpr_spill_count: 0
    .symbol:         _Z35paged_attention_ll4mi_reduce_kernelIDF16_DF16_Li64ELi64ELi256ELi7EEvPT0_PKfS3_PKT_PKiS8_iS3_.kd
    .uniform_work_group_size: 1
    .uses_dynamic_stack: false
    .vgpr_count:     51
    .vgpr_spill_count: 0
    .wavefront_size: 32
  - .args:
      - .actual_access:  read_only
        .address_space:  global
        .offset:         0
        .size:           8
        .value_kind:     global_buffer
      - .actual_access:  read_only
        .address_space:  global
        .offset:         8
        .size:           8
        .value_kind:     global_buffer
      - .actual_access:  read_only
        .address_space:  global
        .offset:         16
        .size:           8
        .value_kind:     global_buffer
      - .actual_access:  read_only
        .address_space:  global
        .offset:         24
        .size:           8
        .value_kind:     global_buffer
      - .actual_access:  read_only
        .address_space:  global
        .offset:         32
        .size:           8
        .value_kind:     global_buffer
      - .actual_access:  read_only
        .address_space:  global
        .offset:         40
        .size:           8
        .value_kind:     global_buffer
      - .offset:         48
        .size:           4
        .value_kind:     by_value
      - .actual_access:  read_only
        .address_space:  global
        .offset:         56
        .size:           8
        .value_kind:     global_buffer
      - .offset:         64
        .size:           4
        .value_kind:     hidden_block_count_x
      - .offset:         68
        .size:           4
        .value_kind:     hidden_block_count_y
      - .offset:         72
        .size:           4
        .value_kind:     hidden_block_count_z
      - .offset:         76
        .size:           2
        .value_kind:     hidden_group_size_x
      - .offset:         78
        .size:           2
        .value_kind:     hidden_group_size_y
      - .offset:         80
        .size:           2
        .value_kind:     hidden_group_size_z
      - .offset:         82
        .size:           2
        .value_kind:     hidden_remainder_x
      - .offset:         84
        .size:           2
        .value_kind:     hidden_remainder_y
      - .offset:         86
        .size:           2
        .value_kind:     hidden_remainder_z
      - .offset:         104
        .size:           8
        .value_kind:     hidden_global_offset_x
      - .offset:         112
        .size:           8
        .value_kind:     hidden_global_offset_y
      - .offset:         120
        .size:           8
        .value_kind:     hidden_global_offset_z
      - .offset:         128
        .size:           2
        .value_kind:     hidden_grid_dims
      - .offset:         144
        .size:           8
        .value_kind:     hidden_hostcall_buffer
    .group_segment_fixed_size: 0
    .kernarg_segment_align: 8
    .kernarg_segment_size: 320
    .language:       OpenCL C
    .language_version:
      - 2
      - 0
    .max_flat_workgroup_size: 64
    .name:           _Z35paged_attention_ll4mi_reduce_kernelIDF16_DF16_Li64ELi64ELi256ELi8EEvPT0_PKfS3_PKT_PKiS8_iS3_
    .private_segment_fixed_size: 64
    .sgpr_count:     36
    .sgpr_spill_count: 0
    .symbol:         _Z35paged_attention_ll4mi_reduce_kernelIDF16_DF16_Li64ELi64ELi256ELi8EEvPT0_PKfS3_PKT_PKiS8_iS3_.kd
    .uniform_work_group_size: 1
    .uses_dynamic_stack: false
    .vgpr_count:     51
    .vgpr_spill_count: 0
    .wavefront_size: 32
  - .args:
      - .actual_access:  read_only
        .address_space:  global
        .offset:         0
        .size:           8
        .value_kind:     global_buffer
      - .actual_access:  read_only
        .address_space:  global
        .offset:         8
        .size:           8
        .value_kind:     global_buffer
      - .actual_access:  read_only
        .address_space:  global
        .offset:         16
        .size:           8
        .value_kind:     global_buffer
      - .offset:         24
        .size:           4
        .value_kind:     by_value
      - .offset:         28
        .size:           4
        .value_kind:     by_value
      - .actual_access:  read_only
        .address_space:  global
        .offset:         32
        .size:           8
        .value_kind:     global_buffer
      - .actual_access:  read_only
        .address_space:  global
        .offset:         40
        .size:           8
        .value_kind:     global_buffer
      - .actual_access:  read_only
        .address_space:  global
        .offset:         48
        .size:           8
        .value_kind:     global_buffer
      - .offset:         56
        .size:           4
        .value_kind:     by_value
      - .actual_access:  read_only
        .address_space:  global
        .offset:         64
        .size:           8
        .value_kind:     global_buffer
      - .offset:         72
        .size:           4
        .value_kind:     by_value
      - .offset:         76
        .size:           4
        .value_kind:     by_value
      - .offset:         80
        .size:           4
        .value_kind:     by_value
      - .actual_access:  read_only
        .address_space:  global
        .offset:         88
        .size:           8
        .value_kind:     global_buffer
      - .actual_access:  read_only
        .address_space:  global
        .offset:         96
        .size:           8
        .value_kind:     global_buffer
      - .actual_access:  read_only
        .address_space:  global
        .offset:         104
        .size:           8
        .value_kind:     global_buffer
      - .actual_access:  read_only
        .address_space:  global
        .offset:         112
        .size:           8
        .value_kind:     global_buffer
      - .offset:         120
        .size:           4
        .value_kind:     by_value
      - .address_space:  global
        .offset:         128
        .size:           8
        .value_kind:     global_buffer
      - .address_space:  global
        .offset:         136
        .size:           8
        .value_kind:     global_buffer
      - .offset:         144
        .size:           4
        .value_kind:     hidden_block_count_x
      - .offset:         148
        .size:           4
        .value_kind:     hidden_block_count_y
      - .offset:         152
        .size:           4
        .value_kind:     hidden_block_count_z
      - .offset:         156
        .size:           2
        .value_kind:     hidden_group_size_x
      - .offset:         158
        .size:           2
        .value_kind:     hidden_group_size_y
      - .offset:         160
        .size:           2
        .value_kind:     hidden_group_size_z
      - .offset:         162
        .size:           2
        .value_kind:     hidden_remainder_x
      - .offset:         164
        .size:           2
        .value_kind:     hidden_remainder_y
      - .offset:         166
        .size:           2
        .value_kind:     hidden_remainder_z
      - .offset:         184
        .size:           8
        .value_kind:     hidden_global_offset_x
      - .offset:         192
        .size:           8
        .value_kind:     hidden_global_offset_y
      - .offset:         200
        .size:           8
        .value_kind:     hidden_global_offset_z
      - .offset:         208
        .size:           2
        .value_kind:     hidden_grid_dims
      - .offset:         224
        .size:           8
        .value_kind:     hidden_hostcall_buffer
    .group_segment_fixed_size: 0
    .kernarg_segment_align: 8
    .kernarg_segment_size: 400
    .language:       OpenCL C
    .language_version:
      - 2
      - 0
    .max_flat_workgroup_size: 256
    .name:           _Z39paged_attention_ll4mi_QKV_mfma16_kernelIDF16_DF16_LN4vllm18Fp8KVCacheDataTypeE0EDF16_Li16ELi64ELi256ELb1ELi1EEvPKT_PKT0_S7_ifPKiS9_S9_iPKfiiiPfSC_PS2_PT2_iSB_SB_
    .private_segment_fixed_size: 64
    .sgpr_count:     36
    .sgpr_spill_count: 0
    .symbol:         _Z39paged_attention_ll4mi_QKV_mfma16_kernelIDF16_DF16_LN4vllm18Fp8KVCacheDataTypeE0EDF16_Li16ELi64ELi256ELb1ELi1EEvPKT_PKT0_S7_ifPKiS9_S9_iPKfiiiPfSC_PS2_PT2_iSB_SB_.kd
    .uniform_work_group_size: 1
    .uses_dynamic_stack: false
    .vgpr_count:     51
    .vgpr_spill_count: 0
    .wavefront_size: 32
  - .args:
      - .actual_access:  read_only
        .address_space:  global
        .offset:         0
        .size:           8
        .value_kind:     global_buffer
      - .actual_access:  read_only
        .address_space:  global
        .offset:         8
        .size:           8
        .value_kind:     global_buffer
      - .actual_access:  read_only
        .address_space:  global
        .offset:         16
        .size:           8
        .value_kind:     global_buffer
      - .offset:         24
        .size:           4
        .value_kind:     by_value
      - .offset:         28
        .size:           4
        .value_kind:     by_value
      - .actual_access:  read_only
        .address_space:  global
        .offset:         32
        .size:           8
        .value_kind:     global_buffer
      - .actual_access:  read_only
        .address_space:  global
        .offset:         40
        .size:           8
        .value_kind:     global_buffer
      - .actual_access:  read_only
        .address_space:  global
        .offset:         48
        .size:           8
        .value_kind:     global_buffer
      - .offset:         56
        .size:           4
        .value_kind:     by_value
      - .actual_access:  read_only
        .address_space:  global
        .offset:         64
        .size:           8
        .value_kind:     global_buffer
      - .offset:         72
        .size:           4
        .value_kind:     by_value
      - .offset:         76
        .size:           4
        .value_kind:     by_value
      - .offset:         80
        .size:           4
        .value_kind:     by_value
      - .actual_access:  read_only
        .address_space:  global
        .offset:         88
        .size:           8
        .value_kind:     global_buffer
      - .actual_access:  read_only
        .address_space:  global
        .offset:         96
        .size:           8
        .value_kind:     global_buffer
      - .actual_access:  read_only
        .address_space:  global
        .offset:         104
        .size:           8
        .value_kind:     global_buffer
      - .actual_access:  read_only
        .address_space:  global
        .offset:         112
        .size:           8
        .value_kind:     global_buffer
      - .offset:         120
        .size:           4
        .value_kind:     by_value
      - .address_space:  global
        .offset:         128
        .size:           8
        .value_kind:     global_buffer
      - .address_space:  global
        .offset:         136
        .size:           8
        .value_kind:     global_buffer
      - .offset:         144
        .size:           4
        .value_kind:     hidden_block_count_x
      - .offset:         148
        .size:           4
        .value_kind:     hidden_block_count_y
      - .offset:         152
        .size:           4
        .value_kind:     hidden_block_count_z
      - .offset:         156
        .size:           2
        .value_kind:     hidden_group_size_x
      - .offset:         158
        .size:           2
        .value_kind:     hidden_group_size_y
      - .offset:         160
        .size:           2
        .value_kind:     hidden_group_size_z
      - .offset:         162
        .size:           2
        .value_kind:     hidden_remainder_x
      - .offset:         164
        .size:           2
        .value_kind:     hidden_remainder_y
      - .offset:         166
        .size:           2
        .value_kind:     hidden_remainder_z
      - .offset:         184
        .size:           8
        .value_kind:     hidden_global_offset_x
      - .offset:         192
        .size:           8
        .value_kind:     hidden_global_offset_y
      - .offset:         200
        .size:           8
        .value_kind:     hidden_global_offset_z
      - .offset:         208
        .size:           2
        .value_kind:     hidden_grid_dims
      - .offset:         224
        .size:           8
        .value_kind:     hidden_hostcall_buffer
    .group_segment_fixed_size: 0
    .kernarg_segment_align: 8
    .kernarg_segment_size: 400
    .language:       OpenCL C
    .language_version:
      - 2
      - 0
    .max_flat_workgroup_size: 256
    .name:           _Z39paged_attention_ll4mi_QKV_mfma16_kernelIDF16_DF16_LN4vllm18Fp8KVCacheDataTypeE0EDF16_Li16ELi64ELi256ELb1ELi2EEvPKT_PKT0_S7_ifPKiS9_S9_iPKfiiiPfSC_PS2_PT2_iSB_SB_
    .private_segment_fixed_size: 64
    .sgpr_count:     36
    .sgpr_spill_count: 0
    .symbol:         _Z39paged_attention_ll4mi_QKV_mfma16_kernelIDF16_DF16_LN4vllm18Fp8KVCacheDataTypeE0EDF16_Li16ELi64ELi256ELb1ELi2EEvPKT_PKT0_S7_ifPKiS9_S9_iPKfiiiPfSC_PS2_PT2_iSB_SB_.kd
    .uniform_work_group_size: 1
    .uses_dynamic_stack: false
    .vgpr_count:     51
    .vgpr_spill_count: 0
    .wavefront_size: 32
  - .args:
      - .actual_access:  read_only
        .address_space:  global
        .offset:         0
        .size:           8
        .value_kind:     global_buffer
      - .actual_access:  read_only
        .address_space:  global
        .offset:         8
        .size:           8
        .value_kind:     global_buffer
      - .actual_access:  read_only
        .address_space:  global
        .offset:         16
        .size:           8
        .value_kind:     global_buffer
      - .offset:         24
        .size:           4
        .value_kind:     by_value
      - .offset:         28
        .size:           4
        .value_kind:     by_value
      - .actual_access:  read_only
        .address_space:  global
        .offset:         32
        .size:           8
        .value_kind:     global_buffer
      - .actual_access:  read_only
        .address_space:  global
        .offset:         40
        .size:           8
        .value_kind:     global_buffer
      - .actual_access:  read_only
        .address_space:  global
        .offset:         48
        .size:           8
        .value_kind:     global_buffer
      - .offset:         56
        .size:           4
        .value_kind:     by_value
      - .actual_access:  read_only
        .address_space:  global
        .offset:         64
        .size:           8
        .value_kind:     global_buffer
      - .offset:         72
        .size:           4
        .value_kind:     by_value
      - .offset:         76
        .size:           4
        .value_kind:     by_value
      - .offset:         80
        .size:           4
        .value_kind:     by_value
      - .actual_access:  read_only
        .address_space:  global
        .offset:         88
        .size:           8
        .value_kind:     global_buffer
      - .actual_access:  read_only
        .address_space:  global
        .offset:         96
        .size:           8
        .value_kind:     global_buffer
      - .actual_access:  read_only
        .address_space:  global
        .offset:         104
        .size:           8
        .value_kind:     global_buffer
      - .actual_access:  read_only
        .address_space:  global
        .offset:         112
        .size:           8
        .value_kind:     global_buffer
      - .offset:         120
        .size:           4
        .value_kind:     by_value
      - .address_space:  global
        .offset:         128
        .size:           8
        .value_kind:     global_buffer
      - .address_space:  global
        .offset:         136
        .size:           8
        .value_kind:     global_buffer
      - .offset:         144
        .size:           4
        .value_kind:     hidden_block_count_x
      - .offset:         148
        .size:           4
        .value_kind:     hidden_block_count_y
      - .offset:         152
        .size:           4
        .value_kind:     hidden_block_count_z
      - .offset:         156
        .size:           2
        .value_kind:     hidden_group_size_x
      - .offset:         158
        .size:           2
        .value_kind:     hidden_group_size_y
      - .offset:         160
        .size:           2
        .value_kind:     hidden_group_size_z
      - .offset:         162
        .size:           2
        .value_kind:     hidden_remainder_x
      - .offset:         164
        .size:           2
        .value_kind:     hidden_remainder_y
      - .offset:         166
        .size:           2
        .value_kind:     hidden_remainder_z
      - .offset:         184
        .size:           8
        .value_kind:     hidden_global_offset_x
      - .offset:         192
        .size:           8
        .value_kind:     hidden_global_offset_y
      - .offset:         200
        .size:           8
        .value_kind:     hidden_global_offset_z
      - .offset:         208
        .size:           2
        .value_kind:     hidden_grid_dims
      - .offset:         224
        .size:           8
        .value_kind:     hidden_hostcall_buffer
    .group_segment_fixed_size: 0
    .kernarg_segment_align: 8
    .kernarg_segment_size: 400
    .language:       OpenCL C
    .language_version:
      - 2
      - 0
    .max_flat_workgroup_size: 256
    .name:           _Z39paged_attention_ll4mi_QKV_mfma16_kernelIDF16_DF16_LN4vllm18Fp8KVCacheDataTypeE0EDF16_Li16ELi64ELi256ELb1ELi3EEvPKT_PKT0_S7_ifPKiS9_S9_iPKfiiiPfSC_PS2_PT2_iSB_SB_
    .private_segment_fixed_size: 64
    .sgpr_count:     36
    .sgpr_spill_count: 0
    .symbol:         _Z39paged_attention_ll4mi_QKV_mfma16_kernelIDF16_DF16_LN4vllm18Fp8KVCacheDataTypeE0EDF16_Li16ELi64ELi256ELb1ELi3EEvPKT_PKT0_S7_ifPKiS9_S9_iPKfiiiPfSC_PS2_PT2_iSB_SB_.kd
    .uniform_work_group_size: 1
    .uses_dynamic_stack: false
    .vgpr_count:     51
    .vgpr_spill_count: 0
    .wavefront_size: 32
  - .args:
      - .actual_access:  read_only
        .address_space:  global
        .offset:         0
        .size:           8
        .value_kind:     global_buffer
      - .actual_access:  read_only
        .address_space:  global
        .offset:         8
        .size:           8
        .value_kind:     global_buffer
      - .actual_access:  read_only
        .address_space:  global
        .offset:         16
        .size:           8
        .value_kind:     global_buffer
      - .offset:         24
        .size:           4
        .value_kind:     by_value
      - .offset:         28
        .size:           4
        .value_kind:     by_value
      - .actual_access:  read_only
        .address_space:  global
        .offset:         32
        .size:           8
        .value_kind:     global_buffer
      - .actual_access:  read_only
        .address_space:  global
        .offset:         40
        .size:           8
        .value_kind:     global_buffer
      - .actual_access:  read_only
        .address_space:  global
        .offset:         48
        .size:           8
        .value_kind:     global_buffer
      - .offset:         56
        .size:           4
        .value_kind:     by_value
      - .actual_access:  read_only
        .address_space:  global
        .offset:         64
        .size:           8
        .value_kind:     global_buffer
      - .offset:         72
        .size:           4
        .value_kind:     by_value
      - .offset:         76
        .size:           4
        .value_kind:     by_value
      - .offset:         80
        .size:           4
        .value_kind:     by_value
      - .actual_access:  read_only
        .address_space:  global
        .offset:         88
        .size:           8
        .value_kind:     global_buffer
      - .actual_access:  read_only
        .address_space:  global
        .offset:         96
        .size:           8
        .value_kind:     global_buffer
      - .actual_access:  read_only
        .address_space:  global
        .offset:         104
        .size:           8
        .value_kind:     global_buffer
      - .actual_access:  read_only
        .address_space:  global
        .offset:         112
        .size:           8
        .value_kind:     global_buffer
      - .offset:         120
        .size:           4
        .value_kind:     by_value
      - .address_space:  global
        .offset:         128
        .size:           8
        .value_kind:     global_buffer
      - .address_space:  global
        .offset:         136
        .size:           8
        .value_kind:     global_buffer
      - .offset:         144
        .size:           4
        .value_kind:     hidden_block_count_x
      - .offset:         148
        .size:           4
        .value_kind:     hidden_block_count_y
      - .offset:         152
        .size:           4
        .value_kind:     hidden_block_count_z
      - .offset:         156
        .size:           2
        .value_kind:     hidden_group_size_x
      - .offset:         158
        .size:           2
        .value_kind:     hidden_group_size_y
      - .offset:         160
        .size:           2
        .value_kind:     hidden_group_size_z
      - .offset:         162
        .size:           2
        .value_kind:     hidden_remainder_x
      - .offset:         164
        .size:           2
        .value_kind:     hidden_remainder_y
      - .offset:         166
        .size:           2
        .value_kind:     hidden_remainder_z
      - .offset:         184
        .size:           8
        .value_kind:     hidden_global_offset_x
      - .offset:         192
        .size:           8
        .value_kind:     hidden_global_offset_y
      - .offset:         200
        .size:           8
        .value_kind:     hidden_global_offset_z
      - .offset:         208
        .size:           2
        .value_kind:     hidden_grid_dims
      - .offset:         224
        .size:           8
        .value_kind:     hidden_hostcall_buffer
    .group_segment_fixed_size: 0
    .kernarg_segment_align: 8
    .kernarg_segment_size: 400
    .language:       OpenCL C
    .language_version:
      - 2
      - 0
    .max_flat_workgroup_size: 256
    .name:           _Z39paged_attention_ll4mi_QKV_mfma16_kernelIDF16_DF16_LN4vllm18Fp8KVCacheDataTypeE0EDF16_Li16ELi64ELi256ELb1ELi4EEvPKT_PKT0_S7_ifPKiS9_S9_iPKfiiiPfSC_PS2_PT2_iSB_SB_
    .private_segment_fixed_size: 64
    .sgpr_count:     36
    .sgpr_spill_count: 0
    .symbol:         _Z39paged_attention_ll4mi_QKV_mfma16_kernelIDF16_DF16_LN4vllm18Fp8KVCacheDataTypeE0EDF16_Li16ELi64ELi256ELb1ELi4EEvPKT_PKT0_S7_ifPKiS9_S9_iPKfiiiPfSC_PS2_PT2_iSB_SB_.kd
    .uniform_work_group_size: 1
    .uses_dynamic_stack: false
    .vgpr_count:     51
    .vgpr_spill_count: 0
    .wavefront_size: 32
  - .args:
      - .actual_access:  read_only
        .address_space:  global
        .offset:         0
        .size:           8
        .value_kind:     global_buffer
      - .actual_access:  read_only
        .address_space:  global
        .offset:         8
        .size:           8
        .value_kind:     global_buffer
      - .actual_access:  read_only
        .address_space:  global
        .offset:         16
        .size:           8
        .value_kind:     global_buffer
      - .actual_access:  read_only
        .address_space:  global
        .offset:         24
        .size:           8
        .value_kind:     global_buffer
      - .actual_access:  read_only
        .address_space:  global
        .offset:         32
        .size:           8
        .value_kind:     global_buffer
      - .actual_access:  read_only
        .address_space:  global
        .offset:         40
        .size:           8
        .value_kind:     global_buffer
      - .offset:         48
        .size:           4
        .value_kind:     by_value
      - .actual_access:  read_only
        .address_space:  global
        .offset:         56
        .size:           8
        .value_kind:     global_buffer
      - .offset:         64
        .size:           4
        .value_kind:     hidden_block_count_x
      - .offset:         68
        .size:           4
        .value_kind:     hidden_block_count_y
      - .offset:         72
        .size:           4
        .value_kind:     hidden_block_count_z
      - .offset:         76
        .size:           2
        .value_kind:     hidden_group_size_x
      - .offset:         78
        .size:           2
        .value_kind:     hidden_group_size_y
      - .offset:         80
        .size:           2
        .value_kind:     hidden_group_size_z
      - .offset:         82
        .size:           2
        .value_kind:     hidden_remainder_x
      - .offset:         84
        .size:           2
        .value_kind:     hidden_remainder_y
      - .offset:         86
        .size:           2
        .value_kind:     hidden_remainder_z
      - .offset:         104
        .size:           8
        .value_kind:     hidden_global_offset_x
      - .offset:         112
        .size:           8
        .value_kind:     hidden_global_offset_y
      - .offset:         120
        .size:           8
        .value_kind:     hidden_global_offset_z
      - .offset:         128
        .size:           2
        .value_kind:     hidden_grid_dims
      - .offset:         144
        .size:           8
        .value_kind:     hidden_hostcall_buffer
    .group_segment_fixed_size: 0
    .kernarg_segment_align: 8
    .kernarg_segment_size: 320
    .language:       OpenCL C
    .language_version:
      - 2
      - 0
    .max_flat_workgroup_size: 64
    .name:           _Z35paged_attention_ll4mi_reduce_kernelIDF16_DF16_Li64ELi64ELi256ELi9EEvPT0_PKfS3_PKT_PKiS8_iS3_
    .private_segment_fixed_size: 64
    .sgpr_count:     36
    .sgpr_spill_count: 0
    .symbol:         _Z35paged_attention_ll4mi_reduce_kernelIDF16_DF16_Li64ELi64ELi256ELi9EEvPT0_PKfS3_PKT_PKiS8_iS3_.kd
    .uniform_work_group_size: 1
    .uses_dynamic_stack: false
    .vgpr_count:     51
    .vgpr_spill_count: 0
    .wavefront_size: 32
  - .args:
      - .actual_access:  read_only
        .address_space:  global
        .offset:         0
        .size:           8
        .value_kind:     global_buffer
      - .actual_access:  read_only
        .address_space:  global
        .offset:         8
        .size:           8
        .value_kind:     global_buffer
      - .actual_access:  read_only
        .address_space:  global
        .offset:         16
        .size:           8
        .value_kind:     global_buffer
      - .actual_access:  read_only
        .address_space:  global
        .offset:         24
        .size:           8
        .value_kind:     global_buffer
      - .actual_access:  read_only
        .address_space:  global
        .offset:         32
        .size:           8
        .value_kind:     global_buffer
      - .actual_access:  read_only
        .address_space:  global
        .offset:         40
        .size:           8
        .value_kind:     global_buffer
      - .offset:         48
        .size:           4
        .value_kind:     by_value
      - .actual_access:  read_only
        .address_space:  global
        .offset:         56
        .size:           8
        .value_kind:     global_buffer
      - .offset:         64
        .size:           4
        .value_kind:     hidden_block_count_x
      - .offset:         68
        .size:           4
        .value_kind:     hidden_block_count_y
      - .offset:         72
        .size:           4
        .value_kind:     hidden_block_count_z
      - .offset:         76
        .size:           2
        .value_kind:     hidden_group_size_x
      - .offset:         78
        .size:           2
        .value_kind:     hidden_group_size_y
      - .offset:         80
        .size:           2
        .value_kind:     hidden_group_size_z
      - .offset:         82
        .size:           2
        .value_kind:     hidden_remainder_x
      - .offset:         84
        .size:           2
        .value_kind:     hidden_remainder_y
      - .offset:         86
        .size:           2
        .value_kind:     hidden_remainder_z
      - .offset:         104
        .size:           8
        .value_kind:     hidden_global_offset_x
      - .offset:         112
        .size:           8
        .value_kind:     hidden_global_offset_y
      - .offset:         120
        .size:           8
        .value_kind:     hidden_global_offset_z
      - .offset:         128
        .size:           2
        .value_kind:     hidden_grid_dims
      - .offset:         144
        .size:           8
        .value_kind:     hidden_hostcall_buffer
    .group_segment_fixed_size: 0
    .kernarg_segment_align: 8
    .kernarg_segment_size: 320
    .language:       OpenCL C
    .language_version:
      - 2
      - 0
    .max_flat_workgroup_size: 64
    .name:           _Z35paged_attention_ll4mi_reduce_kernelIDF16_DF16_Li64ELi64ELi256ELi10EEvPT0_PKfS3_PKT_PKiS8_iS3_
    .private_segment_fixed_size: 64
    .sgpr_count:     36
    .sgpr_spill_count: 0
    .symbol:         _Z35paged_attention_ll4mi_reduce_kernelIDF16_DF16_Li64ELi64ELi256ELi10EEvPT0_PKfS3_PKT_PKiS8_iS3_.kd
    .uniform_work_group_size: 1
    .uses_dynamic_stack: false
    .vgpr_count:     51
    .vgpr_spill_count: 0
    .wavefront_size: 32
  - .args:
      - .actual_access:  read_only
        .address_space:  global
        .offset:         0
        .size:           8
        .value_kind:     global_buffer
      - .actual_access:  read_only
        .address_space:  global
        .offset:         8
        .size:           8
        .value_kind:     global_buffer
      - .actual_access:  read_only
        .address_space:  global
        .offset:         16
        .size:           8
        .value_kind:     global_buffer
      - .actual_access:  read_only
        .address_space:  global
        .offset:         24
        .size:           8
        .value_kind:     global_buffer
      - .actual_access:  read_only
        .address_space:  global
        .offset:         32
        .size:           8
        .value_kind:     global_buffer
      - .actual_access:  read_only
        .address_space:  global
        .offset:         40
        .size:           8
        .value_kind:     global_buffer
      - .offset:         48
        .size:           4
        .value_kind:     by_value
      - .actual_access:  read_only
        .address_space:  global
        .offset:         56
        .size:           8
        .value_kind:     global_buffer
      - .offset:         64
        .size:           4
        .value_kind:     hidden_block_count_x
      - .offset:         68
        .size:           4
        .value_kind:     hidden_block_count_y
      - .offset:         72
        .size:           4
        .value_kind:     hidden_block_count_z
      - .offset:         76
        .size:           2
        .value_kind:     hidden_group_size_x
      - .offset:         78
        .size:           2
        .value_kind:     hidden_group_size_y
      - .offset:         80
        .size:           2
        .value_kind:     hidden_group_size_z
      - .offset:         82
        .size:           2
        .value_kind:     hidden_remainder_x
      - .offset:         84
        .size:           2
        .value_kind:     hidden_remainder_y
      - .offset:         86
        .size:           2
        .value_kind:     hidden_remainder_z
      - .offset:         104
        .size:           8
        .value_kind:     hidden_global_offset_x
      - .offset:         112
        .size:           8
        .value_kind:     hidden_global_offset_y
      - .offset:         120
        .size:           8
        .value_kind:     hidden_global_offset_z
      - .offset:         128
        .size:           2
        .value_kind:     hidden_grid_dims
      - .offset:         144
        .size:           8
        .value_kind:     hidden_hostcall_buffer
    .group_segment_fixed_size: 0
    .kernarg_segment_align: 8
    .kernarg_segment_size: 320
    .language:       OpenCL C
    .language_version:
      - 2
      - 0
    .max_flat_workgroup_size: 64
    .name:           _Z35paged_attention_ll4mi_reduce_kernelIDF16_DF16_Li64ELi64ELi256ELi11EEvPT0_PKfS3_PKT_PKiS8_iS3_
    .private_segment_fixed_size: 64
    .sgpr_count:     36
    .sgpr_spill_count: 0
    .symbol:         _Z35paged_attention_ll4mi_reduce_kernelIDF16_DF16_Li64ELi64ELi256ELi11EEvPT0_PKfS3_PKT_PKiS8_iS3_.kd
    .uniform_work_group_size: 1
    .uses_dynamic_stack: false
    .vgpr_count:     51
    .vgpr_spill_count: 0
    .wavefront_size: 32
  - .args:
      - .actual_access:  read_only
        .address_space:  global
        .offset:         0
        .size:           8
        .value_kind:     global_buffer
      - .actual_access:  read_only
        .address_space:  global
        .offset:         8
        .size:           8
        .value_kind:     global_buffer
      - .actual_access:  read_only
        .address_space:  global
        .offset:         16
        .size:           8
        .value_kind:     global_buffer
      - .actual_access:  read_only
        .address_space:  global
        .offset:         24
        .size:           8
        .value_kind:     global_buffer
      - .actual_access:  read_only
        .address_space:  global
        .offset:         32
        .size:           8
        .value_kind:     global_buffer
      - .actual_access:  read_only
        .address_space:  global
        .offset:         40
        .size:           8
        .value_kind:     global_buffer
      - .offset:         48
        .size:           4
        .value_kind:     by_value
      - .actual_access:  read_only
        .address_space:  global
        .offset:         56
        .size:           8
        .value_kind:     global_buffer
      - .offset:         64
        .size:           4
        .value_kind:     hidden_block_count_x
      - .offset:         68
        .size:           4
        .value_kind:     hidden_block_count_y
      - .offset:         72
        .size:           4
        .value_kind:     hidden_block_count_z
      - .offset:         76
        .size:           2
        .value_kind:     hidden_group_size_x
      - .offset:         78
        .size:           2
        .value_kind:     hidden_group_size_y
      - .offset:         80
        .size:           2
        .value_kind:     hidden_group_size_z
      - .offset:         82
        .size:           2
        .value_kind:     hidden_remainder_x
      - .offset:         84
        .size:           2
        .value_kind:     hidden_remainder_y
      - .offset:         86
        .size:           2
        .value_kind:     hidden_remainder_z
      - .offset:         104
        .size:           8
        .value_kind:     hidden_global_offset_x
      - .offset:         112
        .size:           8
        .value_kind:     hidden_global_offset_y
      - .offset:         120
        .size:           8
        .value_kind:     hidden_global_offset_z
      - .offset:         128
        .size:           2
        .value_kind:     hidden_grid_dims
      - .offset:         144
        .size:           8
        .value_kind:     hidden_hostcall_buffer
    .group_segment_fixed_size: 0
    .kernarg_segment_align: 8
    .kernarg_segment_size: 320
    .language:       OpenCL C
    .language_version:
      - 2
      - 0
    .max_flat_workgroup_size: 64
    .name:           _Z35paged_attention_ll4mi_reduce_kernelIDF16_DF16_Li64ELi64ELi256ELi12EEvPT0_PKfS3_PKT_PKiS8_iS3_
    .private_segment_fixed_size: 64
    .sgpr_count:     36
    .sgpr_spill_count: 0
    .symbol:         _Z35paged_attention_ll4mi_reduce_kernelIDF16_DF16_Li64ELi64ELi256ELi12EEvPT0_PKfS3_PKT_PKiS8_iS3_.kd
    .uniform_work_group_size: 1
    .uses_dynamic_stack: false
    .vgpr_count:     51
    .vgpr_spill_count: 0
    .wavefront_size: 32
  - .args:
      - .actual_access:  read_only
        .address_space:  global
        .offset:         0
        .size:           8
        .value_kind:     global_buffer
      - .actual_access:  read_only
        .address_space:  global
        .offset:         8
        .size:           8
        .value_kind:     global_buffer
      - .actual_access:  read_only
        .address_space:  global
        .offset:         16
        .size:           8
        .value_kind:     global_buffer
      - .actual_access:  read_only
        .address_space:  global
        .offset:         24
        .size:           8
        .value_kind:     global_buffer
      - .actual_access:  read_only
        .address_space:  global
        .offset:         32
        .size:           8
        .value_kind:     global_buffer
      - .actual_access:  read_only
        .address_space:  global
        .offset:         40
        .size:           8
        .value_kind:     global_buffer
      - .offset:         48
        .size:           4
        .value_kind:     by_value
      - .actual_access:  read_only
        .address_space:  global
        .offset:         56
        .size:           8
        .value_kind:     global_buffer
      - .offset:         64
        .size:           4
        .value_kind:     hidden_block_count_x
      - .offset:         68
        .size:           4
        .value_kind:     hidden_block_count_y
      - .offset:         72
        .size:           4
        .value_kind:     hidden_block_count_z
      - .offset:         76
        .size:           2
        .value_kind:     hidden_group_size_x
      - .offset:         78
        .size:           2
        .value_kind:     hidden_group_size_y
      - .offset:         80
        .size:           2
        .value_kind:     hidden_group_size_z
      - .offset:         82
        .size:           2
        .value_kind:     hidden_remainder_x
      - .offset:         84
        .size:           2
        .value_kind:     hidden_remainder_y
      - .offset:         86
        .size:           2
        .value_kind:     hidden_remainder_z
      - .offset:         104
        .size:           8
        .value_kind:     hidden_global_offset_x
      - .offset:         112
        .size:           8
        .value_kind:     hidden_global_offset_y
      - .offset:         120
        .size:           8
        .value_kind:     hidden_global_offset_z
      - .offset:         128
        .size:           2
        .value_kind:     hidden_grid_dims
      - .offset:         144
        .size:           8
        .value_kind:     hidden_hostcall_buffer
    .group_segment_fixed_size: 0
    .kernarg_segment_align: 8
    .kernarg_segment_size: 320
    .language:       OpenCL C
    .language_version:
      - 2
      - 0
    .max_flat_workgroup_size: 64
    .name:           _Z35paged_attention_ll4mi_reduce_kernelIDF16_DF16_Li64ELi64ELi256ELi13EEvPT0_PKfS3_PKT_PKiS8_iS3_
    .private_segment_fixed_size: 64
    .sgpr_count:     36
    .sgpr_spill_count: 0
    .symbol:         _Z35paged_attention_ll4mi_reduce_kernelIDF16_DF16_Li64ELi64ELi256ELi13EEvPT0_PKfS3_PKT_PKiS8_iS3_.kd
    .uniform_work_group_size: 1
    .uses_dynamic_stack: false
    .vgpr_count:     51
    .vgpr_spill_count: 0
    .wavefront_size: 32
  - .args:
      - .actual_access:  read_only
        .address_space:  global
        .offset:         0
        .size:           8
        .value_kind:     global_buffer
      - .actual_access:  read_only
        .address_space:  global
        .offset:         8
        .size:           8
        .value_kind:     global_buffer
      - .actual_access:  read_only
        .address_space:  global
        .offset:         16
        .size:           8
        .value_kind:     global_buffer
      - .actual_access:  read_only
        .address_space:  global
        .offset:         24
        .size:           8
        .value_kind:     global_buffer
      - .actual_access:  read_only
        .address_space:  global
        .offset:         32
        .size:           8
        .value_kind:     global_buffer
      - .actual_access:  read_only
        .address_space:  global
        .offset:         40
        .size:           8
        .value_kind:     global_buffer
      - .offset:         48
        .size:           4
        .value_kind:     by_value
      - .actual_access:  read_only
        .address_space:  global
        .offset:         56
        .size:           8
        .value_kind:     global_buffer
      - .offset:         64
        .size:           4
        .value_kind:     hidden_block_count_x
      - .offset:         68
        .size:           4
        .value_kind:     hidden_block_count_y
      - .offset:         72
        .size:           4
        .value_kind:     hidden_block_count_z
      - .offset:         76
        .size:           2
        .value_kind:     hidden_group_size_x
      - .offset:         78
        .size:           2
        .value_kind:     hidden_group_size_y
      - .offset:         80
        .size:           2
        .value_kind:     hidden_group_size_z
      - .offset:         82
        .size:           2
        .value_kind:     hidden_remainder_x
      - .offset:         84
        .size:           2
        .value_kind:     hidden_remainder_y
      - .offset:         86
        .size:           2
        .value_kind:     hidden_remainder_z
      - .offset:         104
        .size:           8
        .value_kind:     hidden_global_offset_x
      - .offset:         112
        .size:           8
        .value_kind:     hidden_global_offset_y
      - .offset:         120
        .size:           8
        .value_kind:     hidden_global_offset_z
      - .offset:         128
        .size:           2
        .value_kind:     hidden_grid_dims
      - .offset:         144
        .size:           8
        .value_kind:     hidden_hostcall_buffer
    .group_segment_fixed_size: 0
    .kernarg_segment_align: 8
    .kernarg_segment_size: 320
    .language:       OpenCL C
    .language_version:
      - 2
      - 0
    .max_flat_workgroup_size: 64
    .name:           _Z35paged_attention_ll4mi_reduce_kernelIDF16_DF16_Li64ELi64ELi256ELi14EEvPT0_PKfS3_PKT_PKiS8_iS3_
    .private_segment_fixed_size: 64
    .sgpr_count:     36
    .sgpr_spill_count: 0
    .symbol:         _Z35paged_attention_ll4mi_reduce_kernelIDF16_DF16_Li64ELi64ELi256ELi14EEvPT0_PKfS3_PKT_PKiS8_iS3_.kd
    .uniform_work_group_size: 1
    .uses_dynamic_stack: false
    .vgpr_count:     51
    .vgpr_spill_count: 0
    .wavefront_size: 32
  - .args:
      - .actual_access:  read_only
        .address_space:  global
        .offset:         0
        .size:           8
        .value_kind:     global_buffer
      - .actual_access:  read_only
        .address_space:  global
        .offset:         8
        .size:           8
        .value_kind:     global_buffer
      - .actual_access:  read_only
        .address_space:  global
        .offset:         16
        .size:           8
        .value_kind:     global_buffer
      - .actual_access:  read_only
        .address_space:  global
        .offset:         24
        .size:           8
        .value_kind:     global_buffer
      - .actual_access:  read_only
        .address_space:  global
        .offset:         32
        .size:           8
        .value_kind:     global_buffer
      - .actual_access:  read_only
        .address_space:  global
        .offset:         40
        .size:           8
        .value_kind:     global_buffer
      - .offset:         48
        .size:           4
        .value_kind:     by_value
      - .actual_access:  read_only
        .address_space:  global
        .offset:         56
        .size:           8
        .value_kind:     global_buffer
      - .offset:         64
        .size:           4
        .value_kind:     hidden_block_count_x
      - .offset:         68
        .size:           4
        .value_kind:     hidden_block_count_y
      - .offset:         72
        .size:           4
        .value_kind:     hidden_block_count_z
      - .offset:         76
        .size:           2
        .value_kind:     hidden_group_size_x
      - .offset:         78
        .size:           2
        .value_kind:     hidden_group_size_y
      - .offset:         80
        .size:           2
        .value_kind:     hidden_group_size_z
      - .offset:         82
        .size:           2
        .value_kind:     hidden_remainder_x
      - .offset:         84
        .size:           2
        .value_kind:     hidden_remainder_y
      - .offset:         86
        .size:           2
        .value_kind:     hidden_remainder_z
      - .offset:         104
        .size:           8
        .value_kind:     hidden_global_offset_x
      - .offset:         112
        .size:           8
        .value_kind:     hidden_global_offset_y
      - .offset:         120
        .size:           8
        .value_kind:     hidden_global_offset_z
      - .offset:         128
        .size:           2
        .value_kind:     hidden_grid_dims
      - .offset:         144
        .size:           8
        .value_kind:     hidden_hostcall_buffer
    .group_segment_fixed_size: 0
    .kernarg_segment_align: 8
    .kernarg_segment_size: 320
    .language:       OpenCL C
    .language_version:
      - 2
      - 0
    .max_flat_workgroup_size: 64
    .name:           _Z35paged_attention_ll4mi_reduce_kernelIDF16_DF16_Li64ELi64ELi256ELi15EEvPT0_PKfS3_PKT_PKiS8_iS3_
    .private_segment_fixed_size: 64
    .sgpr_count:     36
    .sgpr_spill_count: 0
    .symbol:         _Z35paged_attention_ll4mi_reduce_kernelIDF16_DF16_Li64ELi64ELi256ELi15EEvPT0_PKfS3_PKT_PKiS8_iS3_.kd
    .uniform_work_group_size: 1
    .uses_dynamic_stack: false
    .vgpr_count:     51
    .vgpr_spill_count: 0
    .wavefront_size: 32
  - .args:
      - .actual_access:  read_only
        .address_space:  global
        .offset:         0
        .size:           8
        .value_kind:     global_buffer
      - .actual_access:  read_only
        .address_space:  global
        .offset:         8
        .size:           8
        .value_kind:     global_buffer
      - .actual_access:  read_only
        .address_space:  global
        .offset:         16
        .size:           8
        .value_kind:     global_buffer
      - .actual_access:  read_only
        .address_space:  global
        .offset:         24
        .size:           8
        .value_kind:     global_buffer
      - .actual_access:  read_only
        .address_space:  global
        .offset:         32
        .size:           8
        .value_kind:     global_buffer
      - .actual_access:  read_only
        .address_space:  global
        .offset:         40
        .size:           8
        .value_kind:     global_buffer
      - .offset:         48
        .size:           4
        .value_kind:     by_value
      - .actual_access:  read_only
        .address_space:  global
        .offset:         56
        .size:           8
        .value_kind:     global_buffer
      - .offset:         64
        .size:           4
        .value_kind:     hidden_block_count_x
      - .offset:         68
        .size:           4
        .value_kind:     hidden_block_count_y
      - .offset:         72
        .size:           4
        .value_kind:     hidden_block_count_z
      - .offset:         76
        .size:           2
        .value_kind:     hidden_group_size_x
      - .offset:         78
        .size:           2
        .value_kind:     hidden_group_size_y
      - .offset:         80
        .size:           2
        .value_kind:     hidden_group_size_z
      - .offset:         82
        .size:           2
        .value_kind:     hidden_remainder_x
      - .offset:         84
        .size:           2
        .value_kind:     hidden_remainder_y
      - .offset:         86
        .size:           2
        .value_kind:     hidden_remainder_z
      - .offset:         104
        .size:           8
        .value_kind:     hidden_global_offset_x
      - .offset:         112
        .size:           8
        .value_kind:     hidden_global_offset_y
      - .offset:         120
        .size:           8
        .value_kind:     hidden_global_offset_z
      - .offset:         128
        .size:           2
        .value_kind:     hidden_grid_dims
      - .offset:         144
        .size:           8
        .value_kind:     hidden_hostcall_buffer
    .group_segment_fixed_size: 0
    .kernarg_segment_align: 8
    .kernarg_segment_size: 320
    .language:       OpenCL C
    .language_version:
      - 2
      - 0
    .max_flat_workgroup_size: 64
    .name:           _Z35paged_attention_ll4mi_reduce_kernelIDF16_DF16_Li64ELi64ELi256ELi16EEvPT0_PKfS3_PKT_PKiS8_iS3_
    .private_segment_fixed_size: 64
    .sgpr_count:     36
    .sgpr_spill_count: 0
    .symbol:         _Z35paged_attention_ll4mi_reduce_kernelIDF16_DF16_Li64ELi64ELi256ELi16EEvPT0_PKfS3_PKT_PKiS8_iS3_.kd
    .uniform_work_group_size: 1
    .uses_dynamic_stack: false
    .vgpr_count:     51
    .vgpr_spill_count: 0
    .wavefront_size: 32
  - .args:
      - .actual_access:  read_only
        .address_space:  global
        .offset:         0
        .size:           8
        .value_kind:     global_buffer
      - .actual_access:  read_only
        .address_space:  global
        .offset:         8
        .size:           8
        .value_kind:     global_buffer
      - .actual_access:  read_only
        .address_space:  global
        .offset:         16
        .size:           8
        .value_kind:     global_buffer
      - .offset:         24
        .size:           4
        .value_kind:     by_value
      - .offset:         28
        .size:           4
        .value_kind:     by_value
      - .actual_access:  read_only
        .address_space:  global
        .offset:         32
        .size:           8
        .value_kind:     global_buffer
      - .actual_access:  read_only
        .address_space:  global
        .offset:         40
        .size:           8
        .value_kind:     global_buffer
      - .actual_access:  read_only
        .address_space:  global
        .offset:         48
        .size:           8
        .value_kind:     global_buffer
      - .offset:         56
        .size:           4
        .value_kind:     by_value
      - .actual_access:  read_only
        .address_space:  global
        .offset:         64
        .size:           8
        .value_kind:     global_buffer
      - .offset:         72
        .size:           4
        .value_kind:     by_value
      - .offset:         76
        .size:           4
        .value_kind:     by_value
      - .offset:         80
        .size:           4
        .value_kind:     by_value
      - .actual_access:  read_only
        .address_space:  global
        .offset:         88
        .size:           8
        .value_kind:     global_buffer
      - .actual_access:  read_only
        .address_space:  global
        .offset:         96
        .size:           8
        .value_kind:     global_buffer
      - .actual_access:  read_only
        .address_space:  global
        .offset:         104
        .size:           8
        .value_kind:     global_buffer
      - .actual_access:  read_only
        .address_space:  global
        .offset:         112
        .size:           8
        .value_kind:     global_buffer
      - .offset:         120
        .size:           4
        .value_kind:     by_value
      - .address_space:  global
        .offset:         128
        .size:           8
        .value_kind:     global_buffer
      - .address_space:  global
        .offset:         136
        .size:           8
        .value_kind:     global_buffer
      - .offset:         144
        .size:           4
        .value_kind:     hidden_block_count_x
      - .offset:         148
        .size:           4
        .value_kind:     hidden_block_count_y
      - .offset:         152
        .size:           4
        .value_kind:     hidden_block_count_z
      - .offset:         156
        .size:           2
        .value_kind:     hidden_group_size_x
      - .offset:         158
        .size:           2
        .value_kind:     hidden_group_size_y
      - .offset:         160
        .size:           2
        .value_kind:     hidden_group_size_z
      - .offset:         162
        .size:           2
        .value_kind:     hidden_remainder_x
      - .offset:         164
        .size:           2
        .value_kind:     hidden_remainder_y
      - .offset:         166
        .size:           2
        .value_kind:     hidden_remainder_z
      - .offset:         184
        .size:           8
        .value_kind:     hidden_global_offset_x
      - .offset:         192
        .size:           8
        .value_kind:     hidden_global_offset_y
      - .offset:         200
        .size:           8
        .value_kind:     hidden_global_offset_z
      - .offset:         208
        .size:           2
        .value_kind:     hidden_grid_dims
      - .offset:         224
        .size:           8
        .value_kind:     hidden_hostcall_buffer
    .group_segment_fixed_size: 0
    .kernarg_segment_align: 8
    .kernarg_segment_size: 400
    .language:       OpenCL C
    .language_version:
      - 2
      - 0
    .max_flat_workgroup_size: 256
    .name:           _Z38paged_attention_ll4mi_QKV_mfma4_kernelIDF16_DF16_LN4vllm18Fp8KVCacheDataTypeE0EDF16_Li16ELi64ELi256ELb0ELi1EEvPKT_PKT0_S7_ifPKiS9_S9_iPKfiiiPfSC_PS2_PT2_iSB_SB_
    .private_segment_fixed_size: 64
    .sgpr_count:     36
    .sgpr_spill_count: 0
    .symbol:         _Z38paged_attention_ll4mi_QKV_mfma4_kernelIDF16_DF16_LN4vllm18Fp8KVCacheDataTypeE0EDF16_Li16ELi64ELi256ELb0ELi1EEvPKT_PKT0_S7_ifPKiS9_S9_iPKfiiiPfSC_PS2_PT2_iSB_SB_.kd
    .uniform_work_group_size: 1
    .uses_dynamic_stack: false
    .vgpr_count:     51
    .vgpr_spill_count: 0
    .wavefront_size: 32
  - .args:
      - .actual_access:  read_only
        .address_space:  global
        .offset:         0
        .size:           8
        .value_kind:     global_buffer
      - .actual_access:  read_only
        .address_space:  global
        .offset:         8
        .size:           8
        .value_kind:     global_buffer
      - .actual_access:  read_only
        .address_space:  global
        .offset:         16
        .size:           8
        .value_kind:     global_buffer
      - .offset:         24
        .size:           4
        .value_kind:     by_value
      - .offset:         28
        .size:           4
        .value_kind:     by_value
      - .actual_access:  read_only
        .address_space:  global
        .offset:         32
        .size:           8
        .value_kind:     global_buffer
      - .actual_access:  read_only
        .address_space:  global
        .offset:         40
        .size:           8
        .value_kind:     global_buffer
      - .actual_access:  read_only
        .address_space:  global
        .offset:         48
        .size:           8
        .value_kind:     global_buffer
      - .offset:         56
        .size:           4
        .value_kind:     by_value
      - .actual_access:  read_only
        .address_space:  global
        .offset:         64
        .size:           8
        .value_kind:     global_buffer
      - .offset:         72
        .size:           4
        .value_kind:     by_value
      - .offset:         76
        .size:           4
        .value_kind:     by_value
      - .offset:         80
        .size:           4
        .value_kind:     by_value
      - .actual_access:  read_only
        .address_space:  global
        .offset:         88
        .size:           8
        .value_kind:     global_buffer
      - .actual_access:  read_only
        .address_space:  global
        .offset:         96
        .size:           8
        .value_kind:     global_buffer
      - .actual_access:  read_only
        .address_space:  global
        .offset:         104
        .size:           8
        .value_kind:     global_buffer
      - .actual_access:  read_only
        .address_space:  global
        .offset:         112
        .size:           8
        .value_kind:     global_buffer
      - .offset:         120
        .size:           4
        .value_kind:     by_value
      - .address_space:  global
        .offset:         128
        .size:           8
        .value_kind:     global_buffer
      - .address_space:  global
        .offset:         136
        .size:           8
        .value_kind:     global_buffer
      - .offset:         144
        .size:           4
        .value_kind:     hidden_block_count_x
      - .offset:         148
        .size:           4
        .value_kind:     hidden_block_count_y
      - .offset:         152
        .size:           4
        .value_kind:     hidden_block_count_z
      - .offset:         156
        .size:           2
        .value_kind:     hidden_group_size_x
      - .offset:         158
        .size:           2
        .value_kind:     hidden_group_size_y
      - .offset:         160
        .size:           2
        .value_kind:     hidden_group_size_z
      - .offset:         162
        .size:           2
        .value_kind:     hidden_remainder_x
      - .offset:         164
        .size:           2
        .value_kind:     hidden_remainder_y
      - .offset:         166
        .size:           2
        .value_kind:     hidden_remainder_z
      - .offset:         184
        .size:           8
        .value_kind:     hidden_global_offset_x
      - .offset:         192
        .size:           8
        .value_kind:     hidden_global_offset_y
      - .offset:         200
        .size:           8
        .value_kind:     hidden_global_offset_z
      - .offset:         208
        .size:           2
        .value_kind:     hidden_grid_dims
      - .offset:         224
        .size:           8
        .value_kind:     hidden_hostcall_buffer
    .group_segment_fixed_size: 0
    .kernarg_segment_align: 8
    .kernarg_segment_size: 400
    .language:       OpenCL C
    .language_version:
      - 2
      - 0
    .max_flat_workgroup_size: 256
    .name:           _Z38paged_attention_ll4mi_QKV_mfma4_kernelIDF16_DF16_LN4vllm18Fp8KVCacheDataTypeE0EDF16_Li16ELi64ELi256ELb0ELi2EEvPKT_PKT0_S7_ifPKiS9_S9_iPKfiiiPfSC_PS2_PT2_iSB_SB_
    .private_segment_fixed_size: 64
    .sgpr_count:     36
    .sgpr_spill_count: 0
    .symbol:         _Z38paged_attention_ll4mi_QKV_mfma4_kernelIDF16_DF16_LN4vllm18Fp8KVCacheDataTypeE0EDF16_Li16ELi64ELi256ELb0ELi2EEvPKT_PKT0_S7_ifPKiS9_S9_iPKfiiiPfSC_PS2_PT2_iSB_SB_.kd
    .uniform_work_group_size: 1
    .uses_dynamic_stack: false
    .vgpr_count:     51
    .vgpr_spill_count: 0
    .wavefront_size: 32
  - .args:
      - .actual_access:  read_only
        .address_space:  global
        .offset:         0
        .size:           8
        .value_kind:     global_buffer
      - .actual_access:  read_only
        .address_space:  global
        .offset:         8
        .size:           8
        .value_kind:     global_buffer
      - .actual_access:  read_only
        .address_space:  global
        .offset:         16
        .size:           8
        .value_kind:     global_buffer
      - .offset:         24
        .size:           4
        .value_kind:     by_value
      - .offset:         28
        .size:           4
        .value_kind:     by_value
      - .actual_access:  read_only
        .address_space:  global
        .offset:         32
        .size:           8
        .value_kind:     global_buffer
      - .actual_access:  read_only
        .address_space:  global
        .offset:         40
        .size:           8
        .value_kind:     global_buffer
      - .actual_access:  read_only
        .address_space:  global
        .offset:         48
        .size:           8
        .value_kind:     global_buffer
      - .offset:         56
        .size:           4
        .value_kind:     by_value
      - .actual_access:  read_only
        .address_space:  global
        .offset:         64
        .size:           8
        .value_kind:     global_buffer
      - .offset:         72
        .size:           4
        .value_kind:     by_value
      - .offset:         76
        .size:           4
        .value_kind:     by_value
      - .offset:         80
        .size:           4
        .value_kind:     by_value
      - .actual_access:  read_only
        .address_space:  global
        .offset:         88
        .size:           8
        .value_kind:     global_buffer
      - .actual_access:  read_only
        .address_space:  global
        .offset:         96
        .size:           8
        .value_kind:     global_buffer
      - .actual_access:  read_only
        .address_space:  global
        .offset:         104
        .size:           8
        .value_kind:     global_buffer
      - .actual_access:  read_only
        .address_space:  global
        .offset:         112
        .size:           8
        .value_kind:     global_buffer
      - .offset:         120
        .size:           4
        .value_kind:     by_value
      - .address_space:  global
        .offset:         128
        .size:           8
        .value_kind:     global_buffer
      - .address_space:  global
        .offset:         136
        .size:           8
        .value_kind:     global_buffer
      - .offset:         144
        .size:           4
        .value_kind:     hidden_block_count_x
      - .offset:         148
        .size:           4
        .value_kind:     hidden_block_count_y
      - .offset:         152
        .size:           4
        .value_kind:     hidden_block_count_z
      - .offset:         156
        .size:           2
        .value_kind:     hidden_group_size_x
      - .offset:         158
        .size:           2
        .value_kind:     hidden_group_size_y
      - .offset:         160
        .size:           2
        .value_kind:     hidden_group_size_z
      - .offset:         162
        .size:           2
        .value_kind:     hidden_remainder_x
      - .offset:         164
        .size:           2
        .value_kind:     hidden_remainder_y
      - .offset:         166
        .size:           2
        .value_kind:     hidden_remainder_z
      - .offset:         184
        .size:           8
        .value_kind:     hidden_global_offset_x
      - .offset:         192
        .size:           8
        .value_kind:     hidden_global_offset_y
      - .offset:         200
        .size:           8
        .value_kind:     hidden_global_offset_z
      - .offset:         208
        .size:           2
        .value_kind:     hidden_grid_dims
      - .offset:         224
        .size:           8
        .value_kind:     hidden_hostcall_buffer
    .group_segment_fixed_size: 0
    .kernarg_segment_align: 8
    .kernarg_segment_size: 400
    .language:       OpenCL C
    .language_version:
      - 2
      - 0
    .max_flat_workgroup_size: 256
    .name:           _Z38paged_attention_ll4mi_QKV_mfma4_kernelIDF16_DF16_LN4vllm18Fp8KVCacheDataTypeE0EDF16_Li16ELi64ELi256ELb0ELi3EEvPKT_PKT0_S7_ifPKiS9_S9_iPKfiiiPfSC_PS2_PT2_iSB_SB_
    .private_segment_fixed_size: 64
    .sgpr_count:     36
    .sgpr_spill_count: 0
    .symbol:         _Z38paged_attention_ll4mi_QKV_mfma4_kernelIDF16_DF16_LN4vllm18Fp8KVCacheDataTypeE0EDF16_Li16ELi64ELi256ELb0ELi3EEvPKT_PKT0_S7_ifPKiS9_S9_iPKfiiiPfSC_PS2_PT2_iSB_SB_.kd
    .uniform_work_group_size: 1
    .uses_dynamic_stack: false
    .vgpr_count:     51
    .vgpr_spill_count: 0
    .wavefront_size: 32
  - .args:
      - .actual_access:  read_only
        .address_space:  global
        .offset:         0
        .size:           8
        .value_kind:     global_buffer
      - .actual_access:  read_only
        .address_space:  global
        .offset:         8
        .size:           8
        .value_kind:     global_buffer
      - .actual_access:  read_only
        .address_space:  global
        .offset:         16
        .size:           8
        .value_kind:     global_buffer
      - .offset:         24
        .size:           4
        .value_kind:     by_value
      - .offset:         28
        .size:           4
        .value_kind:     by_value
      - .actual_access:  read_only
        .address_space:  global
        .offset:         32
        .size:           8
        .value_kind:     global_buffer
      - .actual_access:  read_only
        .address_space:  global
        .offset:         40
        .size:           8
        .value_kind:     global_buffer
      - .actual_access:  read_only
        .address_space:  global
        .offset:         48
        .size:           8
        .value_kind:     global_buffer
      - .offset:         56
        .size:           4
        .value_kind:     by_value
      - .actual_access:  read_only
        .address_space:  global
        .offset:         64
        .size:           8
        .value_kind:     global_buffer
      - .offset:         72
        .size:           4
        .value_kind:     by_value
      - .offset:         76
        .size:           4
        .value_kind:     by_value
      - .offset:         80
        .size:           4
        .value_kind:     by_value
      - .actual_access:  read_only
        .address_space:  global
        .offset:         88
        .size:           8
        .value_kind:     global_buffer
      - .actual_access:  read_only
        .address_space:  global
        .offset:         96
        .size:           8
        .value_kind:     global_buffer
      - .actual_access:  read_only
        .address_space:  global
        .offset:         104
        .size:           8
        .value_kind:     global_buffer
      - .actual_access:  read_only
        .address_space:  global
        .offset:         112
        .size:           8
        .value_kind:     global_buffer
      - .offset:         120
        .size:           4
        .value_kind:     by_value
      - .address_space:  global
        .offset:         128
        .size:           8
        .value_kind:     global_buffer
      - .address_space:  global
        .offset:         136
        .size:           8
        .value_kind:     global_buffer
      - .offset:         144
        .size:           4
        .value_kind:     hidden_block_count_x
      - .offset:         148
        .size:           4
        .value_kind:     hidden_block_count_y
      - .offset:         152
        .size:           4
        .value_kind:     hidden_block_count_z
      - .offset:         156
        .size:           2
        .value_kind:     hidden_group_size_x
      - .offset:         158
        .size:           2
        .value_kind:     hidden_group_size_y
      - .offset:         160
        .size:           2
        .value_kind:     hidden_group_size_z
      - .offset:         162
        .size:           2
        .value_kind:     hidden_remainder_x
      - .offset:         164
        .size:           2
        .value_kind:     hidden_remainder_y
      - .offset:         166
        .size:           2
        .value_kind:     hidden_remainder_z
      - .offset:         184
        .size:           8
        .value_kind:     hidden_global_offset_x
      - .offset:         192
        .size:           8
        .value_kind:     hidden_global_offset_y
      - .offset:         200
        .size:           8
        .value_kind:     hidden_global_offset_z
      - .offset:         208
        .size:           2
        .value_kind:     hidden_grid_dims
      - .offset:         224
        .size:           8
        .value_kind:     hidden_hostcall_buffer
    .group_segment_fixed_size: 0
    .kernarg_segment_align: 8
    .kernarg_segment_size: 400
    .language:       OpenCL C
    .language_version:
      - 2
      - 0
    .max_flat_workgroup_size: 256
    .name:           _Z38paged_attention_ll4mi_QKV_mfma4_kernelIDF16_DF16_LN4vllm18Fp8KVCacheDataTypeE0EDF16_Li16ELi64ELi256ELb0ELi4EEvPKT_PKT0_S7_ifPKiS9_S9_iPKfiiiPfSC_PS2_PT2_iSB_SB_
    .private_segment_fixed_size: 64
    .sgpr_count:     36
    .sgpr_spill_count: 0
    .symbol:         _Z38paged_attention_ll4mi_QKV_mfma4_kernelIDF16_DF16_LN4vllm18Fp8KVCacheDataTypeE0EDF16_Li16ELi64ELi256ELb0ELi4EEvPKT_PKT0_S7_ifPKiS9_S9_iPKfiiiPfSC_PS2_PT2_iSB_SB_.kd
    .uniform_work_group_size: 1
    .uses_dynamic_stack: false
    .vgpr_count:     51
    .vgpr_spill_count: 0
    .wavefront_size: 32
  - .args:
      - .actual_access:  read_only
        .address_space:  global
        .offset:         0
        .size:           8
        .value_kind:     global_buffer
      - .actual_access:  read_only
        .address_space:  global
        .offset:         8
        .size:           8
        .value_kind:     global_buffer
      - .actual_access:  read_only
        .address_space:  global
        .offset:         16
        .size:           8
        .value_kind:     global_buffer
      - .offset:         24
        .size:           4
        .value_kind:     by_value
      - .offset:         28
        .size:           4
        .value_kind:     by_value
      - .actual_access:  read_only
        .address_space:  global
        .offset:         32
        .size:           8
        .value_kind:     global_buffer
      - .actual_access:  read_only
        .address_space:  global
        .offset:         40
        .size:           8
        .value_kind:     global_buffer
      - .actual_access:  read_only
        .address_space:  global
        .offset:         48
        .size:           8
        .value_kind:     global_buffer
      - .offset:         56
        .size:           4
        .value_kind:     by_value
      - .actual_access:  read_only
        .address_space:  global
        .offset:         64
        .size:           8
        .value_kind:     global_buffer
      - .offset:         72
        .size:           4
        .value_kind:     by_value
      - .offset:         76
        .size:           4
        .value_kind:     by_value
      - .offset:         80
        .size:           4
        .value_kind:     by_value
      - .actual_access:  read_only
        .address_space:  global
        .offset:         88
        .size:           8
        .value_kind:     global_buffer
      - .actual_access:  read_only
        .address_space:  global
        .offset:         96
        .size:           8
        .value_kind:     global_buffer
      - .actual_access:  read_only
        .address_space:  global
        .offset:         104
        .size:           8
        .value_kind:     global_buffer
      - .actual_access:  read_only
        .address_space:  global
        .offset:         112
        .size:           8
        .value_kind:     global_buffer
      - .offset:         120
        .size:           4
        .value_kind:     by_value
      - .address_space:  global
        .offset:         128
        .size:           8
        .value_kind:     global_buffer
      - .address_space:  global
        .offset:         136
        .size:           8
        .value_kind:     global_buffer
      - .offset:         144
        .size:           4
        .value_kind:     hidden_block_count_x
      - .offset:         148
        .size:           4
        .value_kind:     hidden_block_count_y
      - .offset:         152
        .size:           4
        .value_kind:     hidden_block_count_z
      - .offset:         156
        .size:           2
        .value_kind:     hidden_group_size_x
      - .offset:         158
        .size:           2
        .value_kind:     hidden_group_size_y
      - .offset:         160
        .size:           2
        .value_kind:     hidden_group_size_z
      - .offset:         162
        .size:           2
        .value_kind:     hidden_remainder_x
      - .offset:         164
        .size:           2
        .value_kind:     hidden_remainder_y
      - .offset:         166
        .size:           2
        .value_kind:     hidden_remainder_z
      - .offset:         184
        .size:           8
        .value_kind:     hidden_global_offset_x
      - .offset:         192
        .size:           8
        .value_kind:     hidden_global_offset_y
      - .offset:         200
        .size:           8
        .value_kind:     hidden_global_offset_z
      - .offset:         208
        .size:           2
        .value_kind:     hidden_grid_dims
      - .offset:         224
        .size:           8
        .value_kind:     hidden_hostcall_buffer
    .group_segment_fixed_size: 0
    .kernarg_segment_align: 8
    .kernarg_segment_size: 400
    .language:       OpenCL C
    .language_version:
      - 2
      - 0
    .max_flat_workgroup_size: 256
    .name:           _Z39paged_attention_ll4mi_QKV_mfma16_kernelIDF16_DF16_LN4vllm18Fp8KVCacheDataTypeE0EDF16_Li16ELi64ELi256ELb0ELi5EEvPKT_PKT0_S7_ifPKiS9_S9_iPKfiiiPfSC_PS2_PT2_iSB_SB_
    .private_segment_fixed_size: 64
    .sgpr_count:     36
    .sgpr_spill_count: 0
    .symbol:         _Z39paged_attention_ll4mi_QKV_mfma16_kernelIDF16_DF16_LN4vllm18Fp8KVCacheDataTypeE0EDF16_Li16ELi64ELi256ELb0ELi5EEvPKT_PKT0_S7_ifPKiS9_S9_iPKfiiiPfSC_PS2_PT2_iSB_SB_.kd
    .uniform_work_group_size: 1
    .uses_dynamic_stack: false
    .vgpr_count:     51
    .vgpr_spill_count: 0
    .wavefront_size: 32
  - .args:
      - .actual_access:  read_only
        .address_space:  global
        .offset:         0
        .size:           8
        .value_kind:     global_buffer
      - .actual_access:  read_only
        .address_space:  global
        .offset:         8
        .size:           8
        .value_kind:     global_buffer
      - .actual_access:  read_only
        .address_space:  global
        .offset:         16
        .size:           8
        .value_kind:     global_buffer
      - .offset:         24
        .size:           4
        .value_kind:     by_value
      - .offset:         28
        .size:           4
        .value_kind:     by_value
      - .actual_access:  read_only
        .address_space:  global
        .offset:         32
        .size:           8
        .value_kind:     global_buffer
      - .actual_access:  read_only
        .address_space:  global
        .offset:         40
        .size:           8
        .value_kind:     global_buffer
      - .actual_access:  read_only
        .address_space:  global
        .offset:         48
        .size:           8
        .value_kind:     global_buffer
      - .offset:         56
        .size:           4
        .value_kind:     by_value
      - .actual_access:  read_only
        .address_space:  global
        .offset:         64
        .size:           8
        .value_kind:     global_buffer
      - .offset:         72
        .size:           4
        .value_kind:     by_value
      - .offset:         76
        .size:           4
        .value_kind:     by_value
      - .offset:         80
        .size:           4
        .value_kind:     by_value
      - .actual_access:  read_only
        .address_space:  global
        .offset:         88
        .size:           8
        .value_kind:     global_buffer
      - .actual_access:  read_only
        .address_space:  global
        .offset:         96
        .size:           8
        .value_kind:     global_buffer
      - .actual_access:  read_only
        .address_space:  global
        .offset:         104
        .size:           8
        .value_kind:     global_buffer
      - .actual_access:  read_only
        .address_space:  global
        .offset:         112
        .size:           8
        .value_kind:     global_buffer
      - .offset:         120
        .size:           4
        .value_kind:     by_value
      - .address_space:  global
        .offset:         128
        .size:           8
        .value_kind:     global_buffer
      - .address_space:  global
        .offset:         136
        .size:           8
        .value_kind:     global_buffer
      - .offset:         144
        .size:           4
        .value_kind:     hidden_block_count_x
      - .offset:         148
        .size:           4
        .value_kind:     hidden_block_count_y
      - .offset:         152
        .size:           4
        .value_kind:     hidden_block_count_z
      - .offset:         156
        .size:           2
        .value_kind:     hidden_group_size_x
      - .offset:         158
        .size:           2
        .value_kind:     hidden_group_size_y
      - .offset:         160
        .size:           2
        .value_kind:     hidden_group_size_z
      - .offset:         162
        .size:           2
        .value_kind:     hidden_remainder_x
      - .offset:         164
        .size:           2
        .value_kind:     hidden_remainder_y
      - .offset:         166
        .size:           2
        .value_kind:     hidden_remainder_z
      - .offset:         184
        .size:           8
        .value_kind:     hidden_global_offset_x
      - .offset:         192
        .size:           8
        .value_kind:     hidden_global_offset_y
      - .offset:         200
        .size:           8
        .value_kind:     hidden_global_offset_z
      - .offset:         208
        .size:           2
        .value_kind:     hidden_grid_dims
      - .offset:         224
        .size:           8
        .value_kind:     hidden_hostcall_buffer
    .group_segment_fixed_size: 0
    .kernarg_segment_align: 8
    .kernarg_segment_size: 400
    .language:       OpenCL C
    .language_version:
      - 2
      - 0
    .max_flat_workgroup_size: 256
    .name:           _Z39paged_attention_ll4mi_QKV_mfma16_kernelIDF16_DF16_LN4vllm18Fp8KVCacheDataTypeE0EDF16_Li16ELi64ELi256ELb0ELi6EEvPKT_PKT0_S7_ifPKiS9_S9_iPKfiiiPfSC_PS2_PT2_iSB_SB_
    .private_segment_fixed_size: 64
    .sgpr_count:     36
    .sgpr_spill_count: 0
    .symbol:         _Z39paged_attention_ll4mi_QKV_mfma16_kernelIDF16_DF16_LN4vllm18Fp8KVCacheDataTypeE0EDF16_Li16ELi64ELi256ELb0ELi6EEvPKT_PKT0_S7_ifPKiS9_S9_iPKfiiiPfSC_PS2_PT2_iSB_SB_.kd
    .uniform_work_group_size: 1
    .uses_dynamic_stack: false
    .vgpr_count:     51
    .vgpr_spill_count: 0
    .wavefront_size: 32
  - .args:
      - .actual_access:  read_only
        .address_space:  global
        .offset:         0
        .size:           8
        .value_kind:     global_buffer
      - .actual_access:  read_only
        .address_space:  global
        .offset:         8
        .size:           8
        .value_kind:     global_buffer
      - .actual_access:  read_only
        .address_space:  global
        .offset:         16
        .size:           8
        .value_kind:     global_buffer
      - .offset:         24
        .size:           4
        .value_kind:     by_value
      - .offset:         28
        .size:           4
        .value_kind:     by_value
      - .actual_access:  read_only
        .address_space:  global
        .offset:         32
        .size:           8
        .value_kind:     global_buffer
      - .actual_access:  read_only
        .address_space:  global
        .offset:         40
        .size:           8
        .value_kind:     global_buffer
      - .actual_access:  read_only
        .address_space:  global
        .offset:         48
        .size:           8
        .value_kind:     global_buffer
      - .offset:         56
        .size:           4
        .value_kind:     by_value
      - .actual_access:  read_only
        .address_space:  global
        .offset:         64
        .size:           8
        .value_kind:     global_buffer
      - .offset:         72
        .size:           4
        .value_kind:     by_value
      - .offset:         76
        .size:           4
        .value_kind:     by_value
      - .offset:         80
        .size:           4
        .value_kind:     by_value
      - .actual_access:  read_only
        .address_space:  global
        .offset:         88
        .size:           8
        .value_kind:     global_buffer
      - .actual_access:  read_only
        .address_space:  global
        .offset:         96
        .size:           8
        .value_kind:     global_buffer
      - .actual_access:  read_only
        .address_space:  global
        .offset:         104
        .size:           8
        .value_kind:     global_buffer
      - .actual_access:  read_only
        .address_space:  global
        .offset:         112
        .size:           8
        .value_kind:     global_buffer
      - .offset:         120
        .size:           4
        .value_kind:     by_value
      - .address_space:  global
        .offset:         128
        .size:           8
        .value_kind:     global_buffer
      - .address_space:  global
        .offset:         136
        .size:           8
        .value_kind:     global_buffer
      - .offset:         144
        .size:           4
        .value_kind:     hidden_block_count_x
      - .offset:         148
        .size:           4
        .value_kind:     hidden_block_count_y
      - .offset:         152
        .size:           4
        .value_kind:     hidden_block_count_z
      - .offset:         156
        .size:           2
        .value_kind:     hidden_group_size_x
      - .offset:         158
        .size:           2
        .value_kind:     hidden_group_size_y
      - .offset:         160
        .size:           2
        .value_kind:     hidden_group_size_z
      - .offset:         162
        .size:           2
        .value_kind:     hidden_remainder_x
      - .offset:         164
        .size:           2
        .value_kind:     hidden_remainder_y
      - .offset:         166
        .size:           2
        .value_kind:     hidden_remainder_z
      - .offset:         184
        .size:           8
        .value_kind:     hidden_global_offset_x
      - .offset:         192
        .size:           8
        .value_kind:     hidden_global_offset_y
      - .offset:         200
        .size:           8
        .value_kind:     hidden_global_offset_z
      - .offset:         208
        .size:           2
        .value_kind:     hidden_grid_dims
      - .offset:         224
        .size:           8
        .value_kind:     hidden_hostcall_buffer
    .group_segment_fixed_size: 0
    .kernarg_segment_align: 8
    .kernarg_segment_size: 400
    .language:       OpenCL C
    .language_version:
      - 2
      - 0
    .max_flat_workgroup_size: 256
    .name:           _Z39paged_attention_ll4mi_QKV_mfma16_kernelIDF16_DF16_LN4vllm18Fp8KVCacheDataTypeE0EDF16_Li16ELi64ELi256ELb0ELi7EEvPKT_PKT0_S7_ifPKiS9_S9_iPKfiiiPfSC_PS2_PT2_iSB_SB_
    .private_segment_fixed_size: 64
    .sgpr_count:     36
    .sgpr_spill_count: 0
    .symbol:         _Z39paged_attention_ll4mi_QKV_mfma16_kernelIDF16_DF16_LN4vllm18Fp8KVCacheDataTypeE0EDF16_Li16ELi64ELi256ELb0ELi7EEvPKT_PKT0_S7_ifPKiS9_S9_iPKfiiiPfSC_PS2_PT2_iSB_SB_.kd
    .uniform_work_group_size: 1
    .uses_dynamic_stack: false
    .vgpr_count:     51
    .vgpr_spill_count: 0
    .wavefront_size: 32
  - .args:
      - .actual_access:  read_only
        .address_space:  global
        .offset:         0
        .size:           8
        .value_kind:     global_buffer
      - .actual_access:  read_only
        .address_space:  global
        .offset:         8
        .size:           8
        .value_kind:     global_buffer
      - .actual_access:  read_only
        .address_space:  global
        .offset:         16
        .size:           8
        .value_kind:     global_buffer
      - .offset:         24
        .size:           4
        .value_kind:     by_value
      - .offset:         28
        .size:           4
        .value_kind:     by_value
      - .actual_access:  read_only
        .address_space:  global
        .offset:         32
        .size:           8
        .value_kind:     global_buffer
      - .actual_access:  read_only
        .address_space:  global
        .offset:         40
        .size:           8
        .value_kind:     global_buffer
      - .actual_access:  read_only
        .address_space:  global
        .offset:         48
        .size:           8
        .value_kind:     global_buffer
      - .offset:         56
        .size:           4
        .value_kind:     by_value
      - .actual_access:  read_only
        .address_space:  global
        .offset:         64
        .size:           8
        .value_kind:     global_buffer
      - .offset:         72
        .size:           4
        .value_kind:     by_value
      - .offset:         76
        .size:           4
        .value_kind:     by_value
      - .offset:         80
        .size:           4
        .value_kind:     by_value
      - .actual_access:  read_only
        .address_space:  global
        .offset:         88
        .size:           8
        .value_kind:     global_buffer
      - .actual_access:  read_only
        .address_space:  global
        .offset:         96
        .size:           8
        .value_kind:     global_buffer
      - .actual_access:  read_only
        .address_space:  global
        .offset:         104
        .size:           8
        .value_kind:     global_buffer
      - .actual_access:  read_only
        .address_space:  global
        .offset:         112
        .size:           8
        .value_kind:     global_buffer
      - .offset:         120
        .size:           4
        .value_kind:     by_value
      - .address_space:  global
        .offset:         128
        .size:           8
        .value_kind:     global_buffer
      - .address_space:  global
        .offset:         136
        .size:           8
        .value_kind:     global_buffer
      - .offset:         144
        .size:           4
        .value_kind:     hidden_block_count_x
      - .offset:         148
        .size:           4
        .value_kind:     hidden_block_count_y
      - .offset:         152
        .size:           4
        .value_kind:     hidden_block_count_z
      - .offset:         156
        .size:           2
        .value_kind:     hidden_group_size_x
      - .offset:         158
        .size:           2
        .value_kind:     hidden_group_size_y
      - .offset:         160
        .size:           2
        .value_kind:     hidden_group_size_z
      - .offset:         162
        .size:           2
        .value_kind:     hidden_remainder_x
      - .offset:         164
        .size:           2
        .value_kind:     hidden_remainder_y
      - .offset:         166
        .size:           2
        .value_kind:     hidden_remainder_z
      - .offset:         184
        .size:           8
        .value_kind:     hidden_global_offset_x
      - .offset:         192
        .size:           8
        .value_kind:     hidden_global_offset_y
      - .offset:         200
        .size:           8
        .value_kind:     hidden_global_offset_z
      - .offset:         208
        .size:           2
        .value_kind:     hidden_grid_dims
      - .offset:         224
        .size:           8
        .value_kind:     hidden_hostcall_buffer
    .group_segment_fixed_size: 0
    .kernarg_segment_align: 8
    .kernarg_segment_size: 400
    .language:       OpenCL C
    .language_version:
      - 2
      - 0
    .max_flat_workgroup_size: 256
    .name:           _Z39paged_attention_ll4mi_QKV_mfma16_kernelIDF16_DF16_LN4vllm18Fp8KVCacheDataTypeE0EDF16_Li16ELi64ELi256ELb0ELi8EEvPKT_PKT0_S7_ifPKiS9_S9_iPKfiiiPfSC_PS2_PT2_iSB_SB_
    .private_segment_fixed_size: 64
    .sgpr_count:     36
    .sgpr_spill_count: 0
    .symbol:         _Z39paged_attention_ll4mi_QKV_mfma16_kernelIDF16_DF16_LN4vllm18Fp8KVCacheDataTypeE0EDF16_Li16ELi64ELi256ELb0ELi8EEvPKT_PKT0_S7_ifPKiS9_S9_iPKfiiiPfSC_PS2_PT2_iSB_SB_.kd
    .uniform_work_group_size: 1
    .uses_dynamic_stack: false
    .vgpr_count:     51
    .vgpr_spill_count: 0
    .wavefront_size: 32
  - .args:
      - .actual_access:  read_only
        .address_space:  global
        .offset:         0
        .size:           8
        .value_kind:     global_buffer
      - .actual_access:  read_only
        .address_space:  global
        .offset:         8
        .size:           8
        .value_kind:     global_buffer
      - .actual_access:  read_only
        .address_space:  global
        .offset:         16
        .size:           8
        .value_kind:     global_buffer
      - .offset:         24
        .size:           4
        .value_kind:     by_value
      - .offset:         28
        .size:           4
        .value_kind:     by_value
      - .actual_access:  read_only
        .address_space:  global
        .offset:         32
        .size:           8
        .value_kind:     global_buffer
      - .actual_access:  read_only
        .address_space:  global
        .offset:         40
        .size:           8
        .value_kind:     global_buffer
      - .actual_access:  read_only
        .address_space:  global
        .offset:         48
        .size:           8
        .value_kind:     global_buffer
      - .offset:         56
        .size:           4
        .value_kind:     by_value
      - .actual_access:  read_only
        .address_space:  global
        .offset:         64
        .size:           8
        .value_kind:     global_buffer
      - .offset:         72
        .size:           4
        .value_kind:     by_value
      - .offset:         76
        .size:           4
        .value_kind:     by_value
      - .offset:         80
        .size:           4
        .value_kind:     by_value
      - .actual_access:  read_only
        .address_space:  global
        .offset:         88
        .size:           8
        .value_kind:     global_buffer
      - .actual_access:  read_only
        .address_space:  global
        .offset:         96
        .size:           8
        .value_kind:     global_buffer
      - .actual_access:  read_only
        .address_space:  global
        .offset:         104
        .size:           8
        .value_kind:     global_buffer
      - .actual_access:  read_only
        .address_space:  global
        .offset:         112
        .size:           8
        .value_kind:     global_buffer
      - .offset:         120
        .size:           4
        .value_kind:     by_value
      - .address_space:  global
        .offset:         128
        .size:           8
        .value_kind:     global_buffer
      - .address_space:  global
        .offset:         136
        .size:           8
        .value_kind:     global_buffer
      - .offset:         144
        .size:           4
        .value_kind:     hidden_block_count_x
      - .offset:         148
        .size:           4
        .value_kind:     hidden_block_count_y
      - .offset:         152
        .size:           4
        .value_kind:     hidden_block_count_z
      - .offset:         156
        .size:           2
        .value_kind:     hidden_group_size_x
      - .offset:         158
        .size:           2
        .value_kind:     hidden_group_size_y
      - .offset:         160
        .size:           2
        .value_kind:     hidden_group_size_z
      - .offset:         162
        .size:           2
        .value_kind:     hidden_remainder_x
      - .offset:         164
        .size:           2
        .value_kind:     hidden_remainder_y
      - .offset:         166
        .size:           2
        .value_kind:     hidden_remainder_z
      - .offset:         184
        .size:           8
        .value_kind:     hidden_global_offset_x
      - .offset:         192
        .size:           8
        .value_kind:     hidden_global_offset_y
      - .offset:         200
        .size:           8
        .value_kind:     hidden_global_offset_z
      - .offset:         208
        .size:           2
        .value_kind:     hidden_grid_dims
      - .offset:         224
        .size:           8
        .value_kind:     hidden_hostcall_buffer
    .group_segment_fixed_size: 0
    .kernarg_segment_align: 8
    .kernarg_segment_size: 400
    .language:       OpenCL C
    .language_version:
      - 2
      - 0
    .max_flat_workgroup_size: 256
    .name:           _Z39paged_attention_ll4mi_QKV_mfma16_kernelIDF16_DF16_LN4vllm18Fp8KVCacheDataTypeE0EDF16_Li16ELi64ELi256ELb0ELi9EEvPKT_PKT0_S7_ifPKiS9_S9_iPKfiiiPfSC_PS2_PT2_iSB_SB_
    .private_segment_fixed_size: 64
    .sgpr_count:     36
    .sgpr_spill_count: 0
    .symbol:         _Z39paged_attention_ll4mi_QKV_mfma16_kernelIDF16_DF16_LN4vllm18Fp8KVCacheDataTypeE0EDF16_Li16ELi64ELi256ELb0ELi9EEvPKT_PKT0_S7_ifPKiS9_S9_iPKfiiiPfSC_PS2_PT2_iSB_SB_.kd
    .uniform_work_group_size: 1
    .uses_dynamic_stack: false
    .vgpr_count:     51
    .vgpr_spill_count: 0
    .wavefront_size: 32
  - .args:
      - .actual_access:  read_only
        .address_space:  global
        .offset:         0
        .size:           8
        .value_kind:     global_buffer
      - .actual_access:  read_only
        .address_space:  global
        .offset:         8
        .size:           8
        .value_kind:     global_buffer
      - .actual_access:  read_only
        .address_space:  global
        .offset:         16
        .size:           8
        .value_kind:     global_buffer
      - .offset:         24
        .size:           4
        .value_kind:     by_value
      - .offset:         28
        .size:           4
        .value_kind:     by_value
      - .actual_access:  read_only
        .address_space:  global
        .offset:         32
        .size:           8
        .value_kind:     global_buffer
      - .actual_access:  read_only
        .address_space:  global
        .offset:         40
        .size:           8
        .value_kind:     global_buffer
      - .actual_access:  read_only
        .address_space:  global
        .offset:         48
        .size:           8
        .value_kind:     global_buffer
      - .offset:         56
        .size:           4
        .value_kind:     by_value
      - .actual_access:  read_only
        .address_space:  global
        .offset:         64
        .size:           8
        .value_kind:     global_buffer
      - .offset:         72
        .size:           4
        .value_kind:     by_value
      - .offset:         76
        .size:           4
        .value_kind:     by_value
      - .offset:         80
        .size:           4
        .value_kind:     by_value
      - .actual_access:  read_only
        .address_space:  global
        .offset:         88
        .size:           8
        .value_kind:     global_buffer
      - .actual_access:  read_only
        .address_space:  global
        .offset:         96
        .size:           8
        .value_kind:     global_buffer
      - .actual_access:  read_only
        .address_space:  global
        .offset:         104
        .size:           8
        .value_kind:     global_buffer
      - .actual_access:  read_only
        .address_space:  global
        .offset:         112
        .size:           8
        .value_kind:     global_buffer
      - .offset:         120
        .size:           4
        .value_kind:     by_value
      - .address_space:  global
        .offset:         128
        .size:           8
        .value_kind:     global_buffer
      - .address_space:  global
        .offset:         136
        .size:           8
        .value_kind:     global_buffer
      - .offset:         144
        .size:           4
        .value_kind:     hidden_block_count_x
      - .offset:         148
        .size:           4
        .value_kind:     hidden_block_count_y
      - .offset:         152
        .size:           4
        .value_kind:     hidden_block_count_z
      - .offset:         156
        .size:           2
        .value_kind:     hidden_group_size_x
      - .offset:         158
        .size:           2
        .value_kind:     hidden_group_size_y
      - .offset:         160
        .size:           2
        .value_kind:     hidden_group_size_z
      - .offset:         162
        .size:           2
        .value_kind:     hidden_remainder_x
      - .offset:         164
        .size:           2
        .value_kind:     hidden_remainder_y
      - .offset:         166
        .size:           2
        .value_kind:     hidden_remainder_z
      - .offset:         184
        .size:           8
        .value_kind:     hidden_global_offset_x
      - .offset:         192
        .size:           8
        .value_kind:     hidden_global_offset_y
      - .offset:         200
        .size:           8
        .value_kind:     hidden_global_offset_z
      - .offset:         208
        .size:           2
        .value_kind:     hidden_grid_dims
      - .offset:         224
        .size:           8
        .value_kind:     hidden_hostcall_buffer
    .group_segment_fixed_size: 0
    .kernarg_segment_align: 8
    .kernarg_segment_size: 400
    .language:       OpenCL C
    .language_version:
      - 2
      - 0
    .max_flat_workgroup_size: 256
    .name:           _Z39paged_attention_ll4mi_QKV_mfma16_kernelIDF16_DF16_LN4vllm18Fp8KVCacheDataTypeE0EDF16_Li16ELi64ELi256ELb0ELi10EEvPKT_PKT0_S7_ifPKiS9_S9_iPKfiiiPfSC_PS2_PT2_iSB_SB_
    .private_segment_fixed_size: 64
    .sgpr_count:     36
    .sgpr_spill_count: 0
    .symbol:         _Z39paged_attention_ll4mi_QKV_mfma16_kernelIDF16_DF16_LN4vllm18Fp8KVCacheDataTypeE0EDF16_Li16ELi64ELi256ELb0ELi10EEvPKT_PKT0_S7_ifPKiS9_S9_iPKfiiiPfSC_PS2_PT2_iSB_SB_.kd
    .uniform_work_group_size: 1
    .uses_dynamic_stack: false
    .vgpr_count:     51
    .vgpr_spill_count: 0
    .wavefront_size: 32
  - .args:
      - .actual_access:  read_only
        .address_space:  global
        .offset:         0
        .size:           8
        .value_kind:     global_buffer
      - .actual_access:  read_only
        .address_space:  global
        .offset:         8
        .size:           8
        .value_kind:     global_buffer
      - .actual_access:  read_only
        .address_space:  global
        .offset:         16
        .size:           8
        .value_kind:     global_buffer
      - .offset:         24
        .size:           4
        .value_kind:     by_value
      - .offset:         28
        .size:           4
        .value_kind:     by_value
      - .actual_access:  read_only
        .address_space:  global
        .offset:         32
        .size:           8
        .value_kind:     global_buffer
      - .actual_access:  read_only
        .address_space:  global
        .offset:         40
        .size:           8
        .value_kind:     global_buffer
      - .actual_access:  read_only
        .address_space:  global
        .offset:         48
        .size:           8
        .value_kind:     global_buffer
      - .offset:         56
        .size:           4
        .value_kind:     by_value
      - .actual_access:  read_only
        .address_space:  global
        .offset:         64
        .size:           8
        .value_kind:     global_buffer
      - .offset:         72
        .size:           4
        .value_kind:     by_value
      - .offset:         76
        .size:           4
        .value_kind:     by_value
      - .offset:         80
        .size:           4
        .value_kind:     by_value
      - .actual_access:  read_only
        .address_space:  global
        .offset:         88
        .size:           8
        .value_kind:     global_buffer
      - .actual_access:  read_only
        .address_space:  global
        .offset:         96
        .size:           8
        .value_kind:     global_buffer
      - .actual_access:  read_only
        .address_space:  global
        .offset:         104
        .size:           8
        .value_kind:     global_buffer
      - .actual_access:  read_only
        .address_space:  global
        .offset:         112
        .size:           8
        .value_kind:     global_buffer
      - .offset:         120
        .size:           4
        .value_kind:     by_value
      - .address_space:  global
        .offset:         128
        .size:           8
        .value_kind:     global_buffer
      - .address_space:  global
        .offset:         136
        .size:           8
        .value_kind:     global_buffer
      - .offset:         144
        .size:           4
        .value_kind:     hidden_block_count_x
      - .offset:         148
        .size:           4
        .value_kind:     hidden_block_count_y
      - .offset:         152
        .size:           4
        .value_kind:     hidden_block_count_z
      - .offset:         156
        .size:           2
        .value_kind:     hidden_group_size_x
      - .offset:         158
        .size:           2
        .value_kind:     hidden_group_size_y
      - .offset:         160
        .size:           2
        .value_kind:     hidden_group_size_z
      - .offset:         162
        .size:           2
        .value_kind:     hidden_remainder_x
      - .offset:         164
        .size:           2
        .value_kind:     hidden_remainder_y
      - .offset:         166
        .size:           2
        .value_kind:     hidden_remainder_z
      - .offset:         184
        .size:           8
        .value_kind:     hidden_global_offset_x
      - .offset:         192
        .size:           8
        .value_kind:     hidden_global_offset_y
      - .offset:         200
        .size:           8
        .value_kind:     hidden_global_offset_z
      - .offset:         208
        .size:           2
        .value_kind:     hidden_grid_dims
      - .offset:         224
        .size:           8
        .value_kind:     hidden_hostcall_buffer
    .group_segment_fixed_size: 0
    .kernarg_segment_align: 8
    .kernarg_segment_size: 400
    .language:       OpenCL C
    .language_version:
      - 2
      - 0
    .max_flat_workgroup_size: 256
    .name:           _Z39paged_attention_ll4mi_QKV_mfma16_kernelIDF16_DF16_LN4vllm18Fp8KVCacheDataTypeE0EDF16_Li16ELi64ELi256ELb0ELi11EEvPKT_PKT0_S7_ifPKiS9_S9_iPKfiiiPfSC_PS2_PT2_iSB_SB_
    .private_segment_fixed_size: 64
    .sgpr_count:     36
    .sgpr_spill_count: 0
    .symbol:         _Z39paged_attention_ll4mi_QKV_mfma16_kernelIDF16_DF16_LN4vllm18Fp8KVCacheDataTypeE0EDF16_Li16ELi64ELi256ELb0ELi11EEvPKT_PKT0_S7_ifPKiS9_S9_iPKfiiiPfSC_PS2_PT2_iSB_SB_.kd
    .uniform_work_group_size: 1
    .uses_dynamic_stack: false
    .vgpr_count:     51
    .vgpr_spill_count: 0
    .wavefront_size: 32
  - .args:
      - .actual_access:  read_only
        .address_space:  global
        .offset:         0
        .size:           8
        .value_kind:     global_buffer
      - .actual_access:  read_only
        .address_space:  global
        .offset:         8
        .size:           8
        .value_kind:     global_buffer
      - .actual_access:  read_only
        .address_space:  global
        .offset:         16
        .size:           8
        .value_kind:     global_buffer
      - .offset:         24
        .size:           4
        .value_kind:     by_value
      - .offset:         28
        .size:           4
        .value_kind:     by_value
      - .actual_access:  read_only
        .address_space:  global
        .offset:         32
        .size:           8
        .value_kind:     global_buffer
      - .actual_access:  read_only
        .address_space:  global
        .offset:         40
        .size:           8
        .value_kind:     global_buffer
      - .actual_access:  read_only
        .address_space:  global
        .offset:         48
        .size:           8
        .value_kind:     global_buffer
      - .offset:         56
        .size:           4
        .value_kind:     by_value
      - .actual_access:  read_only
        .address_space:  global
        .offset:         64
        .size:           8
        .value_kind:     global_buffer
      - .offset:         72
        .size:           4
        .value_kind:     by_value
      - .offset:         76
        .size:           4
        .value_kind:     by_value
      - .offset:         80
        .size:           4
        .value_kind:     by_value
      - .actual_access:  read_only
        .address_space:  global
        .offset:         88
        .size:           8
        .value_kind:     global_buffer
      - .actual_access:  read_only
        .address_space:  global
        .offset:         96
        .size:           8
        .value_kind:     global_buffer
      - .actual_access:  read_only
        .address_space:  global
        .offset:         104
        .size:           8
        .value_kind:     global_buffer
      - .actual_access:  read_only
        .address_space:  global
        .offset:         112
        .size:           8
        .value_kind:     global_buffer
      - .offset:         120
        .size:           4
        .value_kind:     by_value
      - .address_space:  global
        .offset:         128
        .size:           8
        .value_kind:     global_buffer
      - .address_space:  global
        .offset:         136
        .size:           8
        .value_kind:     global_buffer
      - .offset:         144
        .size:           4
        .value_kind:     hidden_block_count_x
      - .offset:         148
        .size:           4
        .value_kind:     hidden_block_count_y
      - .offset:         152
        .size:           4
        .value_kind:     hidden_block_count_z
      - .offset:         156
        .size:           2
        .value_kind:     hidden_group_size_x
      - .offset:         158
        .size:           2
        .value_kind:     hidden_group_size_y
      - .offset:         160
        .size:           2
        .value_kind:     hidden_group_size_z
      - .offset:         162
        .size:           2
        .value_kind:     hidden_remainder_x
      - .offset:         164
        .size:           2
        .value_kind:     hidden_remainder_y
      - .offset:         166
        .size:           2
        .value_kind:     hidden_remainder_z
      - .offset:         184
        .size:           8
        .value_kind:     hidden_global_offset_x
      - .offset:         192
        .size:           8
        .value_kind:     hidden_global_offset_y
      - .offset:         200
        .size:           8
        .value_kind:     hidden_global_offset_z
      - .offset:         208
        .size:           2
        .value_kind:     hidden_grid_dims
      - .offset:         224
        .size:           8
        .value_kind:     hidden_hostcall_buffer
    .group_segment_fixed_size: 0
    .kernarg_segment_align: 8
    .kernarg_segment_size: 400
    .language:       OpenCL C
    .language_version:
      - 2
      - 0
    .max_flat_workgroup_size: 256
    .name:           _Z39paged_attention_ll4mi_QKV_mfma16_kernelIDF16_DF16_LN4vllm18Fp8KVCacheDataTypeE0EDF16_Li16ELi64ELi256ELb0ELi12EEvPKT_PKT0_S7_ifPKiS9_S9_iPKfiiiPfSC_PS2_PT2_iSB_SB_
    .private_segment_fixed_size: 64
    .sgpr_count:     36
    .sgpr_spill_count: 0
    .symbol:         _Z39paged_attention_ll4mi_QKV_mfma16_kernelIDF16_DF16_LN4vllm18Fp8KVCacheDataTypeE0EDF16_Li16ELi64ELi256ELb0ELi12EEvPKT_PKT0_S7_ifPKiS9_S9_iPKfiiiPfSC_PS2_PT2_iSB_SB_.kd
    .uniform_work_group_size: 1
    .uses_dynamic_stack: false
    .vgpr_count:     51
    .vgpr_spill_count: 0
    .wavefront_size: 32
  - .args:
      - .actual_access:  read_only
        .address_space:  global
        .offset:         0
        .size:           8
        .value_kind:     global_buffer
      - .actual_access:  read_only
        .address_space:  global
        .offset:         8
        .size:           8
        .value_kind:     global_buffer
      - .actual_access:  read_only
        .address_space:  global
        .offset:         16
        .size:           8
        .value_kind:     global_buffer
      - .offset:         24
        .size:           4
        .value_kind:     by_value
      - .offset:         28
        .size:           4
        .value_kind:     by_value
      - .actual_access:  read_only
        .address_space:  global
        .offset:         32
        .size:           8
        .value_kind:     global_buffer
      - .actual_access:  read_only
        .address_space:  global
        .offset:         40
        .size:           8
        .value_kind:     global_buffer
      - .actual_access:  read_only
        .address_space:  global
        .offset:         48
        .size:           8
        .value_kind:     global_buffer
      - .offset:         56
        .size:           4
        .value_kind:     by_value
      - .actual_access:  read_only
        .address_space:  global
        .offset:         64
        .size:           8
        .value_kind:     global_buffer
      - .offset:         72
        .size:           4
        .value_kind:     by_value
      - .offset:         76
        .size:           4
        .value_kind:     by_value
      - .offset:         80
        .size:           4
        .value_kind:     by_value
      - .actual_access:  read_only
        .address_space:  global
        .offset:         88
        .size:           8
        .value_kind:     global_buffer
      - .actual_access:  read_only
        .address_space:  global
        .offset:         96
        .size:           8
        .value_kind:     global_buffer
      - .actual_access:  read_only
        .address_space:  global
        .offset:         104
        .size:           8
        .value_kind:     global_buffer
      - .actual_access:  read_only
        .address_space:  global
        .offset:         112
        .size:           8
        .value_kind:     global_buffer
      - .offset:         120
        .size:           4
        .value_kind:     by_value
      - .address_space:  global
        .offset:         128
        .size:           8
        .value_kind:     global_buffer
      - .address_space:  global
        .offset:         136
        .size:           8
        .value_kind:     global_buffer
      - .offset:         144
        .size:           4
        .value_kind:     hidden_block_count_x
      - .offset:         148
        .size:           4
        .value_kind:     hidden_block_count_y
      - .offset:         152
        .size:           4
        .value_kind:     hidden_block_count_z
      - .offset:         156
        .size:           2
        .value_kind:     hidden_group_size_x
      - .offset:         158
        .size:           2
        .value_kind:     hidden_group_size_y
      - .offset:         160
        .size:           2
        .value_kind:     hidden_group_size_z
      - .offset:         162
        .size:           2
        .value_kind:     hidden_remainder_x
      - .offset:         164
        .size:           2
        .value_kind:     hidden_remainder_y
      - .offset:         166
        .size:           2
        .value_kind:     hidden_remainder_z
      - .offset:         184
        .size:           8
        .value_kind:     hidden_global_offset_x
      - .offset:         192
        .size:           8
        .value_kind:     hidden_global_offset_y
      - .offset:         200
        .size:           8
        .value_kind:     hidden_global_offset_z
      - .offset:         208
        .size:           2
        .value_kind:     hidden_grid_dims
      - .offset:         224
        .size:           8
        .value_kind:     hidden_hostcall_buffer
    .group_segment_fixed_size: 0
    .kernarg_segment_align: 8
    .kernarg_segment_size: 400
    .language:       OpenCL C
    .language_version:
      - 2
      - 0
    .max_flat_workgroup_size: 256
    .name:           _Z39paged_attention_ll4mi_QKV_mfma16_kernelIDF16_DF16_LN4vllm18Fp8KVCacheDataTypeE0EDF16_Li16ELi64ELi256ELb0ELi13EEvPKT_PKT0_S7_ifPKiS9_S9_iPKfiiiPfSC_PS2_PT2_iSB_SB_
    .private_segment_fixed_size: 64
    .sgpr_count:     36
    .sgpr_spill_count: 0
    .symbol:         _Z39paged_attention_ll4mi_QKV_mfma16_kernelIDF16_DF16_LN4vllm18Fp8KVCacheDataTypeE0EDF16_Li16ELi64ELi256ELb0ELi13EEvPKT_PKT0_S7_ifPKiS9_S9_iPKfiiiPfSC_PS2_PT2_iSB_SB_.kd
    .uniform_work_group_size: 1
    .uses_dynamic_stack: false
    .vgpr_count:     51
    .vgpr_spill_count: 0
    .wavefront_size: 32
  - .args:
      - .actual_access:  read_only
        .address_space:  global
        .offset:         0
        .size:           8
        .value_kind:     global_buffer
      - .actual_access:  read_only
        .address_space:  global
        .offset:         8
        .size:           8
        .value_kind:     global_buffer
      - .actual_access:  read_only
        .address_space:  global
        .offset:         16
        .size:           8
        .value_kind:     global_buffer
      - .offset:         24
        .size:           4
        .value_kind:     by_value
      - .offset:         28
        .size:           4
        .value_kind:     by_value
      - .actual_access:  read_only
        .address_space:  global
        .offset:         32
        .size:           8
        .value_kind:     global_buffer
      - .actual_access:  read_only
        .address_space:  global
        .offset:         40
        .size:           8
        .value_kind:     global_buffer
      - .actual_access:  read_only
        .address_space:  global
        .offset:         48
        .size:           8
        .value_kind:     global_buffer
      - .offset:         56
        .size:           4
        .value_kind:     by_value
      - .actual_access:  read_only
        .address_space:  global
        .offset:         64
        .size:           8
        .value_kind:     global_buffer
      - .offset:         72
        .size:           4
        .value_kind:     by_value
      - .offset:         76
        .size:           4
        .value_kind:     by_value
      - .offset:         80
        .size:           4
        .value_kind:     by_value
      - .actual_access:  read_only
        .address_space:  global
        .offset:         88
        .size:           8
        .value_kind:     global_buffer
      - .actual_access:  read_only
        .address_space:  global
        .offset:         96
        .size:           8
        .value_kind:     global_buffer
      - .actual_access:  read_only
        .address_space:  global
        .offset:         104
        .size:           8
        .value_kind:     global_buffer
      - .actual_access:  read_only
        .address_space:  global
        .offset:         112
        .size:           8
        .value_kind:     global_buffer
      - .offset:         120
        .size:           4
        .value_kind:     by_value
      - .address_space:  global
        .offset:         128
        .size:           8
        .value_kind:     global_buffer
      - .address_space:  global
        .offset:         136
        .size:           8
        .value_kind:     global_buffer
      - .offset:         144
        .size:           4
        .value_kind:     hidden_block_count_x
      - .offset:         148
        .size:           4
        .value_kind:     hidden_block_count_y
      - .offset:         152
        .size:           4
        .value_kind:     hidden_block_count_z
      - .offset:         156
        .size:           2
        .value_kind:     hidden_group_size_x
      - .offset:         158
        .size:           2
        .value_kind:     hidden_group_size_y
      - .offset:         160
        .size:           2
        .value_kind:     hidden_group_size_z
      - .offset:         162
        .size:           2
        .value_kind:     hidden_remainder_x
      - .offset:         164
        .size:           2
        .value_kind:     hidden_remainder_y
      - .offset:         166
        .size:           2
        .value_kind:     hidden_remainder_z
      - .offset:         184
        .size:           8
        .value_kind:     hidden_global_offset_x
      - .offset:         192
        .size:           8
        .value_kind:     hidden_global_offset_y
      - .offset:         200
        .size:           8
        .value_kind:     hidden_global_offset_z
      - .offset:         208
        .size:           2
        .value_kind:     hidden_grid_dims
      - .offset:         224
        .size:           8
        .value_kind:     hidden_hostcall_buffer
    .group_segment_fixed_size: 0
    .kernarg_segment_align: 8
    .kernarg_segment_size: 400
    .language:       OpenCL C
    .language_version:
      - 2
      - 0
    .max_flat_workgroup_size: 256
    .name:           _Z39paged_attention_ll4mi_QKV_mfma16_kernelIDF16_DF16_LN4vllm18Fp8KVCacheDataTypeE0EDF16_Li16ELi64ELi256ELb0ELi14EEvPKT_PKT0_S7_ifPKiS9_S9_iPKfiiiPfSC_PS2_PT2_iSB_SB_
    .private_segment_fixed_size: 64
    .sgpr_count:     36
    .sgpr_spill_count: 0
    .symbol:         _Z39paged_attention_ll4mi_QKV_mfma16_kernelIDF16_DF16_LN4vllm18Fp8KVCacheDataTypeE0EDF16_Li16ELi64ELi256ELb0ELi14EEvPKT_PKT0_S7_ifPKiS9_S9_iPKfiiiPfSC_PS2_PT2_iSB_SB_.kd
    .uniform_work_group_size: 1
    .uses_dynamic_stack: false
    .vgpr_count:     51
    .vgpr_spill_count: 0
    .wavefront_size: 32
  - .args:
      - .actual_access:  read_only
        .address_space:  global
        .offset:         0
        .size:           8
        .value_kind:     global_buffer
      - .actual_access:  read_only
        .address_space:  global
        .offset:         8
        .size:           8
        .value_kind:     global_buffer
      - .actual_access:  read_only
        .address_space:  global
        .offset:         16
        .size:           8
        .value_kind:     global_buffer
      - .offset:         24
        .size:           4
        .value_kind:     by_value
      - .offset:         28
        .size:           4
        .value_kind:     by_value
      - .actual_access:  read_only
        .address_space:  global
        .offset:         32
        .size:           8
        .value_kind:     global_buffer
      - .actual_access:  read_only
        .address_space:  global
        .offset:         40
        .size:           8
        .value_kind:     global_buffer
      - .actual_access:  read_only
        .address_space:  global
        .offset:         48
        .size:           8
        .value_kind:     global_buffer
      - .offset:         56
        .size:           4
        .value_kind:     by_value
      - .actual_access:  read_only
        .address_space:  global
        .offset:         64
        .size:           8
        .value_kind:     global_buffer
      - .offset:         72
        .size:           4
        .value_kind:     by_value
      - .offset:         76
        .size:           4
        .value_kind:     by_value
      - .offset:         80
        .size:           4
        .value_kind:     by_value
      - .actual_access:  read_only
        .address_space:  global
        .offset:         88
        .size:           8
        .value_kind:     global_buffer
      - .actual_access:  read_only
        .address_space:  global
        .offset:         96
        .size:           8
        .value_kind:     global_buffer
      - .actual_access:  read_only
        .address_space:  global
        .offset:         104
        .size:           8
        .value_kind:     global_buffer
      - .actual_access:  read_only
        .address_space:  global
        .offset:         112
        .size:           8
        .value_kind:     global_buffer
      - .offset:         120
        .size:           4
        .value_kind:     by_value
      - .address_space:  global
        .offset:         128
        .size:           8
        .value_kind:     global_buffer
      - .address_space:  global
        .offset:         136
        .size:           8
        .value_kind:     global_buffer
      - .offset:         144
        .size:           4
        .value_kind:     hidden_block_count_x
      - .offset:         148
        .size:           4
        .value_kind:     hidden_block_count_y
      - .offset:         152
        .size:           4
        .value_kind:     hidden_block_count_z
      - .offset:         156
        .size:           2
        .value_kind:     hidden_group_size_x
      - .offset:         158
        .size:           2
        .value_kind:     hidden_group_size_y
      - .offset:         160
        .size:           2
        .value_kind:     hidden_group_size_z
      - .offset:         162
        .size:           2
        .value_kind:     hidden_remainder_x
      - .offset:         164
        .size:           2
        .value_kind:     hidden_remainder_y
      - .offset:         166
        .size:           2
        .value_kind:     hidden_remainder_z
      - .offset:         184
        .size:           8
        .value_kind:     hidden_global_offset_x
      - .offset:         192
        .size:           8
        .value_kind:     hidden_global_offset_y
      - .offset:         200
        .size:           8
        .value_kind:     hidden_global_offset_z
      - .offset:         208
        .size:           2
        .value_kind:     hidden_grid_dims
      - .offset:         224
        .size:           8
        .value_kind:     hidden_hostcall_buffer
    .group_segment_fixed_size: 0
    .kernarg_segment_align: 8
    .kernarg_segment_size: 400
    .language:       OpenCL C
    .language_version:
      - 2
      - 0
    .max_flat_workgroup_size: 256
    .name:           _Z39paged_attention_ll4mi_QKV_mfma16_kernelIDF16_DF16_LN4vllm18Fp8KVCacheDataTypeE0EDF16_Li16ELi64ELi256ELb0ELi15EEvPKT_PKT0_S7_ifPKiS9_S9_iPKfiiiPfSC_PS2_PT2_iSB_SB_
    .private_segment_fixed_size: 64
    .sgpr_count:     36
    .sgpr_spill_count: 0
    .symbol:         _Z39paged_attention_ll4mi_QKV_mfma16_kernelIDF16_DF16_LN4vllm18Fp8KVCacheDataTypeE0EDF16_Li16ELi64ELi256ELb0ELi15EEvPKT_PKT0_S7_ifPKiS9_S9_iPKfiiiPfSC_PS2_PT2_iSB_SB_.kd
    .uniform_work_group_size: 1
    .uses_dynamic_stack: false
    .vgpr_count:     51
    .vgpr_spill_count: 0
    .wavefront_size: 32
  - .args:
      - .actual_access:  read_only
        .address_space:  global
        .offset:         0
        .size:           8
        .value_kind:     global_buffer
      - .actual_access:  read_only
        .address_space:  global
        .offset:         8
        .size:           8
        .value_kind:     global_buffer
      - .actual_access:  read_only
        .address_space:  global
        .offset:         16
        .size:           8
        .value_kind:     global_buffer
      - .offset:         24
        .size:           4
        .value_kind:     by_value
      - .offset:         28
        .size:           4
        .value_kind:     by_value
      - .actual_access:  read_only
        .address_space:  global
        .offset:         32
        .size:           8
        .value_kind:     global_buffer
      - .actual_access:  read_only
        .address_space:  global
        .offset:         40
        .size:           8
        .value_kind:     global_buffer
      - .actual_access:  read_only
        .address_space:  global
        .offset:         48
        .size:           8
        .value_kind:     global_buffer
      - .offset:         56
        .size:           4
        .value_kind:     by_value
      - .actual_access:  read_only
        .address_space:  global
        .offset:         64
        .size:           8
        .value_kind:     global_buffer
      - .offset:         72
        .size:           4
        .value_kind:     by_value
      - .offset:         76
        .size:           4
        .value_kind:     by_value
      - .offset:         80
        .size:           4
        .value_kind:     by_value
      - .actual_access:  read_only
        .address_space:  global
        .offset:         88
        .size:           8
        .value_kind:     global_buffer
      - .actual_access:  read_only
        .address_space:  global
        .offset:         96
        .size:           8
        .value_kind:     global_buffer
      - .actual_access:  read_only
        .address_space:  global
        .offset:         104
        .size:           8
        .value_kind:     global_buffer
      - .actual_access:  read_only
        .address_space:  global
        .offset:         112
        .size:           8
        .value_kind:     global_buffer
      - .offset:         120
        .size:           4
        .value_kind:     by_value
      - .address_space:  global
        .offset:         128
        .size:           8
        .value_kind:     global_buffer
      - .address_space:  global
        .offset:         136
        .size:           8
        .value_kind:     global_buffer
      - .offset:         144
        .size:           4
        .value_kind:     hidden_block_count_x
      - .offset:         148
        .size:           4
        .value_kind:     hidden_block_count_y
      - .offset:         152
        .size:           4
        .value_kind:     hidden_block_count_z
      - .offset:         156
        .size:           2
        .value_kind:     hidden_group_size_x
      - .offset:         158
        .size:           2
        .value_kind:     hidden_group_size_y
      - .offset:         160
        .size:           2
        .value_kind:     hidden_group_size_z
      - .offset:         162
        .size:           2
        .value_kind:     hidden_remainder_x
      - .offset:         164
        .size:           2
        .value_kind:     hidden_remainder_y
      - .offset:         166
        .size:           2
        .value_kind:     hidden_remainder_z
      - .offset:         184
        .size:           8
        .value_kind:     hidden_global_offset_x
      - .offset:         192
        .size:           8
        .value_kind:     hidden_global_offset_y
      - .offset:         200
        .size:           8
        .value_kind:     hidden_global_offset_z
      - .offset:         208
        .size:           2
        .value_kind:     hidden_grid_dims
      - .offset:         224
        .size:           8
        .value_kind:     hidden_hostcall_buffer
    .group_segment_fixed_size: 0
    .kernarg_segment_align: 8
    .kernarg_segment_size: 400
    .language:       OpenCL C
    .language_version:
      - 2
      - 0
    .max_flat_workgroup_size: 256
    .name:           _Z39paged_attention_ll4mi_QKV_mfma16_kernelIDF16_DF16_LN4vllm18Fp8KVCacheDataTypeE0EDF16_Li16ELi64ELi256ELb0ELi16EEvPKT_PKT0_S7_ifPKiS9_S9_iPKfiiiPfSC_PS2_PT2_iSB_SB_
    .private_segment_fixed_size: 64
    .sgpr_count:     36
    .sgpr_spill_count: 0
    .symbol:         _Z39paged_attention_ll4mi_QKV_mfma16_kernelIDF16_DF16_LN4vllm18Fp8KVCacheDataTypeE0EDF16_Li16ELi64ELi256ELb0ELi16EEvPKT_PKT0_S7_ifPKiS9_S9_iPKfiiiPfSC_PS2_PT2_iSB_SB_.kd
    .uniform_work_group_size: 1
    .uses_dynamic_stack: false
    .vgpr_count:     51
    .vgpr_spill_count: 0
    .wavefront_size: 32
  - .args:
      - .actual_access:  read_only
        .address_space:  global
        .offset:         0
        .size:           8
        .value_kind:     global_buffer
      - .actual_access:  read_only
        .address_space:  global
        .offset:         8
        .size:           8
        .value_kind:     global_buffer
      - .actual_access:  read_only
        .address_space:  global
        .offset:         16
        .size:           8
        .value_kind:     global_buffer
      - .offset:         24
        .size:           4
        .value_kind:     by_value
      - .offset:         28
        .size:           4
        .value_kind:     by_value
      - .actual_access:  read_only
        .address_space:  global
        .offset:         32
        .size:           8
        .value_kind:     global_buffer
      - .actual_access:  read_only
        .address_space:  global
        .offset:         40
        .size:           8
        .value_kind:     global_buffer
      - .actual_access:  read_only
        .address_space:  global
        .offset:         48
        .size:           8
        .value_kind:     global_buffer
      - .offset:         56
        .size:           4
        .value_kind:     by_value
      - .actual_access:  read_only
        .address_space:  global
        .offset:         64
        .size:           8
        .value_kind:     global_buffer
      - .offset:         72
        .size:           4
        .value_kind:     by_value
      - .offset:         76
        .size:           4
        .value_kind:     by_value
      - .offset:         80
        .size:           4
        .value_kind:     by_value
      - .actual_access:  read_only
        .address_space:  global
        .offset:         88
        .size:           8
        .value_kind:     global_buffer
      - .actual_access:  read_only
        .address_space:  global
        .offset:         96
        .size:           8
        .value_kind:     global_buffer
      - .actual_access:  read_only
        .address_space:  global
        .offset:         104
        .size:           8
        .value_kind:     global_buffer
      - .actual_access:  read_only
        .address_space:  global
        .offset:         112
        .size:           8
        .value_kind:     global_buffer
      - .offset:         120
        .size:           4
        .value_kind:     by_value
      - .address_space:  global
        .offset:         128
        .size:           8
        .value_kind:     global_buffer
      - .address_space:  global
        .offset:         136
        .size:           8
        .value_kind:     global_buffer
      - .offset:         144
        .size:           4
        .value_kind:     hidden_block_count_x
      - .offset:         148
        .size:           4
        .value_kind:     hidden_block_count_y
      - .offset:         152
        .size:           4
        .value_kind:     hidden_block_count_z
      - .offset:         156
        .size:           2
        .value_kind:     hidden_group_size_x
      - .offset:         158
        .size:           2
        .value_kind:     hidden_group_size_y
      - .offset:         160
        .size:           2
        .value_kind:     hidden_group_size_z
      - .offset:         162
        .size:           2
        .value_kind:     hidden_remainder_x
      - .offset:         164
        .size:           2
        .value_kind:     hidden_remainder_y
      - .offset:         166
        .size:           2
        .value_kind:     hidden_remainder_z
      - .offset:         184
        .size:           8
        .value_kind:     hidden_global_offset_x
      - .offset:         192
        .size:           8
        .value_kind:     hidden_global_offset_y
      - .offset:         200
        .size:           8
        .value_kind:     hidden_global_offset_z
      - .offset:         208
        .size:           2
        .value_kind:     hidden_grid_dims
      - .offset:         224
        .size:           8
        .value_kind:     hidden_hostcall_buffer
    .group_segment_fixed_size: 0
    .kernarg_segment_align: 8
    .kernarg_segment_size: 400
    .language:       OpenCL C
    .language_version:
      - 2
      - 0
    .max_flat_workgroup_size: 256
    .name:           _Z39paged_attention_ll4mi_QKV_mfma16_kernelIDF16_DF16_LN4vllm18Fp8KVCacheDataTypeE0EDF16_Li16ELi64ELi256ELb0ELi1EEvPKT_PKT0_S7_ifPKiS9_S9_iPKfiiiPfSC_PS2_PT2_iSB_SB_
    .private_segment_fixed_size: 64
    .sgpr_count:     36
    .sgpr_spill_count: 0
    .symbol:         _Z39paged_attention_ll4mi_QKV_mfma16_kernelIDF16_DF16_LN4vllm18Fp8KVCacheDataTypeE0EDF16_Li16ELi64ELi256ELb0ELi1EEvPKT_PKT0_S7_ifPKiS9_S9_iPKfiiiPfSC_PS2_PT2_iSB_SB_.kd
    .uniform_work_group_size: 1
    .uses_dynamic_stack: false
    .vgpr_count:     51
    .vgpr_spill_count: 0
    .wavefront_size: 32
  - .args:
      - .actual_access:  read_only
        .address_space:  global
        .offset:         0
        .size:           8
        .value_kind:     global_buffer
      - .actual_access:  read_only
        .address_space:  global
        .offset:         8
        .size:           8
        .value_kind:     global_buffer
      - .actual_access:  read_only
        .address_space:  global
        .offset:         16
        .size:           8
        .value_kind:     global_buffer
      - .offset:         24
        .size:           4
        .value_kind:     by_value
      - .offset:         28
        .size:           4
        .value_kind:     by_value
      - .actual_access:  read_only
        .address_space:  global
        .offset:         32
        .size:           8
        .value_kind:     global_buffer
      - .actual_access:  read_only
        .address_space:  global
        .offset:         40
        .size:           8
        .value_kind:     global_buffer
      - .actual_access:  read_only
        .address_space:  global
        .offset:         48
        .size:           8
        .value_kind:     global_buffer
      - .offset:         56
        .size:           4
        .value_kind:     by_value
      - .actual_access:  read_only
        .address_space:  global
        .offset:         64
        .size:           8
        .value_kind:     global_buffer
      - .offset:         72
        .size:           4
        .value_kind:     by_value
      - .offset:         76
        .size:           4
        .value_kind:     by_value
      - .offset:         80
        .size:           4
        .value_kind:     by_value
      - .actual_access:  read_only
        .address_space:  global
        .offset:         88
        .size:           8
        .value_kind:     global_buffer
      - .actual_access:  read_only
        .address_space:  global
        .offset:         96
        .size:           8
        .value_kind:     global_buffer
      - .actual_access:  read_only
        .address_space:  global
        .offset:         104
        .size:           8
        .value_kind:     global_buffer
      - .actual_access:  read_only
        .address_space:  global
        .offset:         112
        .size:           8
        .value_kind:     global_buffer
      - .offset:         120
        .size:           4
        .value_kind:     by_value
      - .address_space:  global
        .offset:         128
        .size:           8
        .value_kind:     global_buffer
      - .address_space:  global
        .offset:         136
        .size:           8
        .value_kind:     global_buffer
      - .offset:         144
        .size:           4
        .value_kind:     hidden_block_count_x
      - .offset:         148
        .size:           4
        .value_kind:     hidden_block_count_y
      - .offset:         152
        .size:           4
        .value_kind:     hidden_block_count_z
      - .offset:         156
        .size:           2
        .value_kind:     hidden_group_size_x
      - .offset:         158
        .size:           2
        .value_kind:     hidden_group_size_y
      - .offset:         160
        .size:           2
        .value_kind:     hidden_group_size_z
      - .offset:         162
        .size:           2
        .value_kind:     hidden_remainder_x
      - .offset:         164
        .size:           2
        .value_kind:     hidden_remainder_y
      - .offset:         166
        .size:           2
        .value_kind:     hidden_remainder_z
      - .offset:         184
        .size:           8
        .value_kind:     hidden_global_offset_x
      - .offset:         192
        .size:           8
        .value_kind:     hidden_global_offset_y
      - .offset:         200
        .size:           8
        .value_kind:     hidden_global_offset_z
      - .offset:         208
        .size:           2
        .value_kind:     hidden_grid_dims
      - .offset:         224
        .size:           8
        .value_kind:     hidden_hostcall_buffer
    .group_segment_fixed_size: 0
    .kernarg_segment_align: 8
    .kernarg_segment_size: 400
    .language:       OpenCL C
    .language_version:
      - 2
      - 0
    .max_flat_workgroup_size: 256
    .name:           _Z39paged_attention_ll4mi_QKV_mfma16_kernelIDF16_DF16_LN4vllm18Fp8KVCacheDataTypeE0EDF16_Li16ELi64ELi256ELb0ELi2EEvPKT_PKT0_S7_ifPKiS9_S9_iPKfiiiPfSC_PS2_PT2_iSB_SB_
    .private_segment_fixed_size: 64
    .sgpr_count:     36
    .sgpr_spill_count: 0
    .symbol:         _Z39paged_attention_ll4mi_QKV_mfma16_kernelIDF16_DF16_LN4vllm18Fp8KVCacheDataTypeE0EDF16_Li16ELi64ELi256ELb0ELi2EEvPKT_PKT0_S7_ifPKiS9_S9_iPKfiiiPfSC_PS2_PT2_iSB_SB_.kd
    .uniform_work_group_size: 1
    .uses_dynamic_stack: false
    .vgpr_count:     51
    .vgpr_spill_count: 0
    .wavefront_size: 32
  - .args:
      - .actual_access:  read_only
        .address_space:  global
        .offset:         0
        .size:           8
        .value_kind:     global_buffer
      - .actual_access:  read_only
        .address_space:  global
        .offset:         8
        .size:           8
        .value_kind:     global_buffer
      - .actual_access:  read_only
        .address_space:  global
        .offset:         16
        .size:           8
        .value_kind:     global_buffer
      - .offset:         24
        .size:           4
        .value_kind:     by_value
      - .offset:         28
        .size:           4
        .value_kind:     by_value
      - .actual_access:  read_only
        .address_space:  global
        .offset:         32
        .size:           8
        .value_kind:     global_buffer
      - .actual_access:  read_only
        .address_space:  global
        .offset:         40
        .size:           8
        .value_kind:     global_buffer
      - .actual_access:  read_only
        .address_space:  global
        .offset:         48
        .size:           8
        .value_kind:     global_buffer
      - .offset:         56
        .size:           4
        .value_kind:     by_value
      - .actual_access:  read_only
        .address_space:  global
        .offset:         64
        .size:           8
        .value_kind:     global_buffer
      - .offset:         72
        .size:           4
        .value_kind:     by_value
      - .offset:         76
        .size:           4
        .value_kind:     by_value
      - .offset:         80
        .size:           4
        .value_kind:     by_value
      - .actual_access:  read_only
        .address_space:  global
        .offset:         88
        .size:           8
        .value_kind:     global_buffer
      - .actual_access:  read_only
        .address_space:  global
        .offset:         96
        .size:           8
        .value_kind:     global_buffer
      - .actual_access:  read_only
        .address_space:  global
        .offset:         104
        .size:           8
        .value_kind:     global_buffer
      - .actual_access:  read_only
        .address_space:  global
        .offset:         112
        .size:           8
        .value_kind:     global_buffer
      - .offset:         120
        .size:           4
        .value_kind:     by_value
      - .address_space:  global
        .offset:         128
        .size:           8
        .value_kind:     global_buffer
      - .address_space:  global
        .offset:         136
        .size:           8
        .value_kind:     global_buffer
      - .offset:         144
        .size:           4
        .value_kind:     hidden_block_count_x
      - .offset:         148
        .size:           4
        .value_kind:     hidden_block_count_y
      - .offset:         152
        .size:           4
        .value_kind:     hidden_block_count_z
      - .offset:         156
        .size:           2
        .value_kind:     hidden_group_size_x
      - .offset:         158
        .size:           2
        .value_kind:     hidden_group_size_y
      - .offset:         160
        .size:           2
        .value_kind:     hidden_group_size_z
      - .offset:         162
        .size:           2
        .value_kind:     hidden_remainder_x
      - .offset:         164
        .size:           2
        .value_kind:     hidden_remainder_y
      - .offset:         166
        .size:           2
        .value_kind:     hidden_remainder_z
      - .offset:         184
        .size:           8
        .value_kind:     hidden_global_offset_x
      - .offset:         192
        .size:           8
        .value_kind:     hidden_global_offset_y
      - .offset:         200
        .size:           8
        .value_kind:     hidden_global_offset_z
      - .offset:         208
        .size:           2
        .value_kind:     hidden_grid_dims
      - .offset:         224
        .size:           8
        .value_kind:     hidden_hostcall_buffer
    .group_segment_fixed_size: 0
    .kernarg_segment_align: 8
    .kernarg_segment_size: 400
    .language:       OpenCL C
    .language_version:
      - 2
      - 0
    .max_flat_workgroup_size: 256
    .name:           _Z39paged_attention_ll4mi_QKV_mfma16_kernelIDF16_DF16_LN4vllm18Fp8KVCacheDataTypeE0EDF16_Li16ELi64ELi256ELb0ELi3EEvPKT_PKT0_S7_ifPKiS9_S9_iPKfiiiPfSC_PS2_PT2_iSB_SB_
    .private_segment_fixed_size: 64
    .sgpr_count:     36
    .sgpr_spill_count: 0
    .symbol:         _Z39paged_attention_ll4mi_QKV_mfma16_kernelIDF16_DF16_LN4vllm18Fp8KVCacheDataTypeE0EDF16_Li16ELi64ELi256ELb0ELi3EEvPKT_PKT0_S7_ifPKiS9_S9_iPKfiiiPfSC_PS2_PT2_iSB_SB_.kd
    .uniform_work_group_size: 1
    .uses_dynamic_stack: false
    .vgpr_count:     51
    .vgpr_spill_count: 0
    .wavefront_size: 32
  - .args:
      - .actual_access:  read_only
        .address_space:  global
        .offset:         0
        .size:           8
        .value_kind:     global_buffer
      - .actual_access:  read_only
        .address_space:  global
        .offset:         8
        .size:           8
        .value_kind:     global_buffer
      - .actual_access:  read_only
        .address_space:  global
        .offset:         16
        .size:           8
        .value_kind:     global_buffer
      - .offset:         24
        .size:           4
        .value_kind:     by_value
      - .offset:         28
        .size:           4
        .value_kind:     by_value
      - .actual_access:  read_only
        .address_space:  global
        .offset:         32
        .size:           8
        .value_kind:     global_buffer
      - .actual_access:  read_only
        .address_space:  global
        .offset:         40
        .size:           8
        .value_kind:     global_buffer
      - .actual_access:  read_only
        .address_space:  global
        .offset:         48
        .size:           8
        .value_kind:     global_buffer
      - .offset:         56
        .size:           4
        .value_kind:     by_value
      - .actual_access:  read_only
        .address_space:  global
        .offset:         64
        .size:           8
        .value_kind:     global_buffer
      - .offset:         72
        .size:           4
        .value_kind:     by_value
      - .offset:         76
        .size:           4
        .value_kind:     by_value
      - .offset:         80
        .size:           4
        .value_kind:     by_value
      - .actual_access:  read_only
        .address_space:  global
        .offset:         88
        .size:           8
        .value_kind:     global_buffer
      - .actual_access:  read_only
        .address_space:  global
        .offset:         96
        .size:           8
        .value_kind:     global_buffer
      - .actual_access:  read_only
        .address_space:  global
        .offset:         104
        .size:           8
        .value_kind:     global_buffer
      - .actual_access:  read_only
        .address_space:  global
        .offset:         112
        .size:           8
        .value_kind:     global_buffer
      - .offset:         120
        .size:           4
        .value_kind:     by_value
      - .address_space:  global
        .offset:         128
        .size:           8
        .value_kind:     global_buffer
      - .address_space:  global
        .offset:         136
        .size:           8
        .value_kind:     global_buffer
      - .offset:         144
        .size:           4
        .value_kind:     hidden_block_count_x
      - .offset:         148
        .size:           4
        .value_kind:     hidden_block_count_y
      - .offset:         152
        .size:           4
        .value_kind:     hidden_block_count_z
      - .offset:         156
        .size:           2
        .value_kind:     hidden_group_size_x
      - .offset:         158
        .size:           2
        .value_kind:     hidden_group_size_y
      - .offset:         160
        .size:           2
        .value_kind:     hidden_group_size_z
      - .offset:         162
        .size:           2
        .value_kind:     hidden_remainder_x
      - .offset:         164
        .size:           2
        .value_kind:     hidden_remainder_y
      - .offset:         166
        .size:           2
        .value_kind:     hidden_remainder_z
      - .offset:         184
        .size:           8
        .value_kind:     hidden_global_offset_x
      - .offset:         192
        .size:           8
        .value_kind:     hidden_global_offset_y
      - .offset:         200
        .size:           8
        .value_kind:     hidden_global_offset_z
      - .offset:         208
        .size:           2
        .value_kind:     hidden_grid_dims
      - .offset:         224
        .size:           8
        .value_kind:     hidden_hostcall_buffer
    .group_segment_fixed_size: 0
    .kernarg_segment_align: 8
    .kernarg_segment_size: 400
    .language:       OpenCL C
    .language_version:
      - 2
      - 0
    .max_flat_workgroup_size: 256
    .name:           _Z39paged_attention_ll4mi_QKV_mfma16_kernelIDF16_DF16_LN4vllm18Fp8KVCacheDataTypeE0EDF16_Li16ELi64ELi256ELb0ELi4EEvPKT_PKT0_S7_ifPKiS9_S9_iPKfiiiPfSC_PS2_PT2_iSB_SB_
    .private_segment_fixed_size: 64
    .sgpr_count:     36
    .sgpr_spill_count: 0
    .symbol:         _Z39paged_attention_ll4mi_QKV_mfma16_kernelIDF16_DF16_LN4vllm18Fp8KVCacheDataTypeE0EDF16_Li16ELi64ELi256ELb0ELi4EEvPKT_PKT0_S7_ifPKiS9_S9_iPKfiiiPfSC_PS2_PT2_iSB_SB_.kd
    .uniform_work_group_size: 1
    .uses_dynamic_stack: false
    .vgpr_count:     51
    .vgpr_spill_count: 0
    .wavefront_size: 32
  - .args:
      - .actual_access:  read_only
        .address_space:  global
        .offset:         0
        .size:           8
        .value_kind:     global_buffer
      - .actual_access:  read_only
        .address_space:  global
        .offset:         8
        .size:           8
        .value_kind:     global_buffer
      - .actual_access:  read_only
        .address_space:  global
        .offset:         16
        .size:           8
        .value_kind:     global_buffer
      - .offset:         24
        .size:           4
        .value_kind:     by_value
      - .offset:         28
        .size:           4
        .value_kind:     by_value
      - .actual_access:  read_only
        .address_space:  global
        .offset:         32
        .size:           8
        .value_kind:     global_buffer
      - .actual_access:  read_only
        .address_space:  global
        .offset:         40
        .size:           8
        .value_kind:     global_buffer
      - .actual_access:  read_only
        .address_space:  global
        .offset:         48
        .size:           8
        .value_kind:     global_buffer
      - .offset:         56
        .size:           4
        .value_kind:     by_value
      - .actual_access:  read_only
        .address_space:  global
        .offset:         64
        .size:           8
        .value_kind:     global_buffer
      - .offset:         72
        .size:           4
        .value_kind:     by_value
      - .offset:         76
        .size:           4
        .value_kind:     by_value
      - .offset:         80
        .size:           4
        .value_kind:     by_value
      - .actual_access:  read_only
        .address_space:  global
        .offset:         88
        .size:           8
        .value_kind:     global_buffer
      - .actual_access:  read_only
        .address_space:  global
        .offset:         96
        .size:           8
        .value_kind:     global_buffer
      - .actual_access:  read_only
        .address_space:  global
        .offset:         104
        .size:           8
        .value_kind:     global_buffer
      - .actual_access:  read_only
        .address_space:  global
        .offset:         112
        .size:           8
        .value_kind:     global_buffer
      - .offset:         120
        .size:           4
        .value_kind:     by_value
      - .address_space:  global
        .offset:         128
        .size:           8
        .value_kind:     global_buffer
      - .address_space:  global
        .offset:         136
        .size:           8
        .value_kind:     global_buffer
      - .offset:         144
        .size:           4
        .value_kind:     hidden_block_count_x
      - .offset:         148
        .size:           4
        .value_kind:     hidden_block_count_y
      - .offset:         152
        .size:           4
        .value_kind:     hidden_block_count_z
      - .offset:         156
        .size:           2
        .value_kind:     hidden_group_size_x
      - .offset:         158
        .size:           2
        .value_kind:     hidden_group_size_y
      - .offset:         160
        .size:           2
        .value_kind:     hidden_group_size_z
      - .offset:         162
        .size:           2
        .value_kind:     hidden_remainder_x
      - .offset:         164
        .size:           2
        .value_kind:     hidden_remainder_y
      - .offset:         166
        .size:           2
        .value_kind:     hidden_remainder_z
      - .offset:         184
        .size:           8
        .value_kind:     hidden_global_offset_x
      - .offset:         192
        .size:           8
        .value_kind:     hidden_global_offset_y
      - .offset:         200
        .size:           8
        .value_kind:     hidden_global_offset_z
      - .offset:         208
        .size:           2
        .value_kind:     hidden_grid_dims
      - .offset:         224
        .size:           8
        .value_kind:     hidden_hostcall_buffer
    .group_segment_fixed_size: 0
    .kernarg_segment_align: 8
    .kernarg_segment_size: 400
    .language:       OpenCL C
    .language_version:
      - 2
      - 0
    .max_flat_workgroup_size: 256
    .name:           _Z38paged_attention_ll4mi_QKV_mfma4_kernelIDF16_DF16_LN4vllm18Fp8KVCacheDataTypeE0EhLi32ELi64ELi256ELb1ELi1EEvPKT_PKT0_S7_ifPKiS9_S9_iPKfiiiPfSC_PS2_PT2_iSB_SB_
    .private_segment_fixed_size: 64
    .sgpr_count:     36
    .sgpr_spill_count: 0
    .symbol:         _Z38paged_attention_ll4mi_QKV_mfma4_kernelIDF16_DF16_LN4vllm18Fp8KVCacheDataTypeE0EhLi32ELi64ELi256ELb1ELi1EEvPKT_PKT0_S7_ifPKiS9_S9_iPKfiiiPfSC_PS2_PT2_iSB_SB_.kd
    .uniform_work_group_size: 1
    .uses_dynamic_stack: false
    .vgpr_count:     51
    .vgpr_spill_count: 0
    .wavefront_size: 32
  - .args:
      - .actual_access:  read_only
        .address_space:  global
        .offset:         0
        .size:           8
        .value_kind:     global_buffer
      - .actual_access:  read_only
        .address_space:  global
        .offset:         8
        .size:           8
        .value_kind:     global_buffer
      - .actual_access:  read_only
        .address_space:  global
        .offset:         16
        .size:           8
        .value_kind:     global_buffer
      - .offset:         24
        .size:           4
        .value_kind:     by_value
      - .offset:         28
        .size:           4
        .value_kind:     by_value
      - .actual_access:  read_only
        .address_space:  global
        .offset:         32
        .size:           8
        .value_kind:     global_buffer
      - .actual_access:  read_only
        .address_space:  global
        .offset:         40
        .size:           8
        .value_kind:     global_buffer
      - .actual_access:  read_only
        .address_space:  global
        .offset:         48
        .size:           8
        .value_kind:     global_buffer
      - .offset:         56
        .size:           4
        .value_kind:     by_value
      - .actual_access:  read_only
        .address_space:  global
        .offset:         64
        .size:           8
        .value_kind:     global_buffer
      - .offset:         72
        .size:           4
        .value_kind:     by_value
      - .offset:         76
        .size:           4
        .value_kind:     by_value
      - .offset:         80
        .size:           4
        .value_kind:     by_value
      - .actual_access:  read_only
        .address_space:  global
        .offset:         88
        .size:           8
        .value_kind:     global_buffer
      - .actual_access:  read_only
        .address_space:  global
        .offset:         96
        .size:           8
        .value_kind:     global_buffer
      - .actual_access:  read_only
        .address_space:  global
        .offset:         104
        .size:           8
        .value_kind:     global_buffer
      - .actual_access:  read_only
        .address_space:  global
        .offset:         112
        .size:           8
        .value_kind:     global_buffer
      - .offset:         120
        .size:           4
        .value_kind:     by_value
      - .address_space:  global
        .offset:         128
        .size:           8
        .value_kind:     global_buffer
      - .address_space:  global
        .offset:         136
        .size:           8
        .value_kind:     global_buffer
      - .offset:         144
        .size:           4
        .value_kind:     hidden_block_count_x
      - .offset:         148
        .size:           4
        .value_kind:     hidden_block_count_y
      - .offset:         152
        .size:           4
        .value_kind:     hidden_block_count_z
      - .offset:         156
        .size:           2
        .value_kind:     hidden_group_size_x
      - .offset:         158
        .size:           2
        .value_kind:     hidden_group_size_y
      - .offset:         160
        .size:           2
        .value_kind:     hidden_group_size_z
      - .offset:         162
        .size:           2
        .value_kind:     hidden_remainder_x
      - .offset:         164
        .size:           2
        .value_kind:     hidden_remainder_y
      - .offset:         166
        .size:           2
        .value_kind:     hidden_remainder_z
      - .offset:         184
        .size:           8
        .value_kind:     hidden_global_offset_x
      - .offset:         192
        .size:           8
        .value_kind:     hidden_global_offset_y
      - .offset:         200
        .size:           8
        .value_kind:     hidden_global_offset_z
      - .offset:         208
        .size:           2
        .value_kind:     hidden_grid_dims
      - .offset:         224
        .size:           8
        .value_kind:     hidden_hostcall_buffer
    .group_segment_fixed_size: 0
    .kernarg_segment_align: 8
    .kernarg_segment_size: 400
    .language:       OpenCL C
    .language_version:
      - 2
      - 0
    .max_flat_workgroup_size: 256
    .name:           _Z38paged_attention_ll4mi_QKV_mfma4_kernelIDF16_DF16_LN4vllm18Fp8KVCacheDataTypeE0EhLi32ELi64ELi256ELb1ELi2EEvPKT_PKT0_S7_ifPKiS9_S9_iPKfiiiPfSC_PS2_PT2_iSB_SB_
    .private_segment_fixed_size: 64
    .sgpr_count:     36
    .sgpr_spill_count: 0
    .symbol:         _Z38paged_attention_ll4mi_QKV_mfma4_kernelIDF16_DF16_LN4vllm18Fp8KVCacheDataTypeE0EhLi32ELi64ELi256ELb1ELi2EEvPKT_PKT0_S7_ifPKiS9_S9_iPKfiiiPfSC_PS2_PT2_iSB_SB_.kd
    .uniform_work_group_size: 1
    .uses_dynamic_stack: false
    .vgpr_count:     51
    .vgpr_spill_count: 0
    .wavefront_size: 32
  - .args:
      - .actual_access:  read_only
        .address_space:  global
        .offset:         0
        .size:           8
        .value_kind:     global_buffer
      - .actual_access:  read_only
        .address_space:  global
        .offset:         8
        .size:           8
        .value_kind:     global_buffer
      - .actual_access:  read_only
        .address_space:  global
        .offset:         16
        .size:           8
        .value_kind:     global_buffer
      - .offset:         24
        .size:           4
        .value_kind:     by_value
      - .offset:         28
        .size:           4
        .value_kind:     by_value
      - .actual_access:  read_only
        .address_space:  global
        .offset:         32
        .size:           8
        .value_kind:     global_buffer
      - .actual_access:  read_only
        .address_space:  global
        .offset:         40
        .size:           8
        .value_kind:     global_buffer
      - .actual_access:  read_only
        .address_space:  global
        .offset:         48
        .size:           8
        .value_kind:     global_buffer
      - .offset:         56
        .size:           4
        .value_kind:     by_value
      - .actual_access:  read_only
        .address_space:  global
        .offset:         64
        .size:           8
        .value_kind:     global_buffer
      - .offset:         72
        .size:           4
        .value_kind:     by_value
      - .offset:         76
        .size:           4
        .value_kind:     by_value
      - .offset:         80
        .size:           4
        .value_kind:     by_value
      - .actual_access:  read_only
        .address_space:  global
        .offset:         88
        .size:           8
        .value_kind:     global_buffer
      - .actual_access:  read_only
        .address_space:  global
        .offset:         96
        .size:           8
        .value_kind:     global_buffer
      - .actual_access:  read_only
        .address_space:  global
        .offset:         104
        .size:           8
        .value_kind:     global_buffer
      - .actual_access:  read_only
        .address_space:  global
        .offset:         112
        .size:           8
        .value_kind:     global_buffer
      - .offset:         120
        .size:           4
        .value_kind:     by_value
      - .address_space:  global
        .offset:         128
        .size:           8
        .value_kind:     global_buffer
      - .address_space:  global
        .offset:         136
        .size:           8
        .value_kind:     global_buffer
      - .offset:         144
        .size:           4
        .value_kind:     hidden_block_count_x
      - .offset:         148
        .size:           4
        .value_kind:     hidden_block_count_y
      - .offset:         152
        .size:           4
        .value_kind:     hidden_block_count_z
      - .offset:         156
        .size:           2
        .value_kind:     hidden_group_size_x
      - .offset:         158
        .size:           2
        .value_kind:     hidden_group_size_y
      - .offset:         160
        .size:           2
        .value_kind:     hidden_group_size_z
      - .offset:         162
        .size:           2
        .value_kind:     hidden_remainder_x
      - .offset:         164
        .size:           2
        .value_kind:     hidden_remainder_y
      - .offset:         166
        .size:           2
        .value_kind:     hidden_remainder_z
      - .offset:         184
        .size:           8
        .value_kind:     hidden_global_offset_x
      - .offset:         192
        .size:           8
        .value_kind:     hidden_global_offset_y
      - .offset:         200
        .size:           8
        .value_kind:     hidden_global_offset_z
      - .offset:         208
        .size:           2
        .value_kind:     hidden_grid_dims
      - .offset:         224
        .size:           8
        .value_kind:     hidden_hostcall_buffer
    .group_segment_fixed_size: 0
    .kernarg_segment_align: 8
    .kernarg_segment_size: 400
    .language:       OpenCL C
    .language_version:
      - 2
      - 0
    .max_flat_workgroup_size: 256
    .name:           _Z38paged_attention_ll4mi_QKV_mfma4_kernelIDF16_DF16_LN4vllm18Fp8KVCacheDataTypeE0EhLi32ELi64ELi256ELb1ELi3EEvPKT_PKT0_S7_ifPKiS9_S9_iPKfiiiPfSC_PS2_PT2_iSB_SB_
    .private_segment_fixed_size: 64
    .sgpr_count:     36
    .sgpr_spill_count: 0
    .symbol:         _Z38paged_attention_ll4mi_QKV_mfma4_kernelIDF16_DF16_LN4vllm18Fp8KVCacheDataTypeE0EhLi32ELi64ELi256ELb1ELi3EEvPKT_PKT0_S7_ifPKiS9_S9_iPKfiiiPfSC_PS2_PT2_iSB_SB_.kd
    .uniform_work_group_size: 1
    .uses_dynamic_stack: false
    .vgpr_count:     51
    .vgpr_spill_count: 0
    .wavefront_size: 32
  - .args:
      - .actual_access:  read_only
        .address_space:  global
        .offset:         0
        .size:           8
        .value_kind:     global_buffer
      - .actual_access:  read_only
        .address_space:  global
        .offset:         8
        .size:           8
        .value_kind:     global_buffer
      - .actual_access:  read_only
        .address_space:  global
        .offset:         16
        .size:           8
        .value_kind:     global_buffer
      - .offset:         24
        .size:           4
        .value_kind:     by_value
      - .offset:         28
        .size:           4
        .value_kind:     by_value
      - .actual_access:  read_only
        .address_space:  global
        .offset:         32
        .size:           8
        .value_kind:     global_buffer
      - .actual_access:  read_only
        .address_space:  global
        .offset:         40
        .size:           8
        .value_kind:     global_buffer
      - .actual_access:  read_only
        .address_space:  global
        .offset:         48
        .size:           8
        .value_kind:     global_buffer
      - .offset:         56
        .size:           4
        .value_kind:     by_value
      - .actual_access:  read_only
        .address_space:  global
        .offset:         64
        .size:           8
        .value_kind:     global_buffer
      - .offset:         72
        .size:           4
        .value_kind:     by_value
      - .offset:         76
        .size:           4
        .value_kind:     by_value
      - .offset:         80
        .size:           4
        .value_kind:     by_value
      - .actual_access:  read_only
        .address_space:  global
        .offset:         88
        .size:           8
        .value_kind:     global_buffer
      - .actual_access:  read_only
        .address_space:  global
        .offset:         96
        .size:           8
        .value_kind:     global_buffer
      - .actual_access:  read_only
        .address_space:  global
        .offset:         104
        .size:           8
        .value_kind:     global_buffer
      - .actual_access:  read_only
        .address_space:  global
        .offset:         112
        .size:           8
        .value_kind:     global_buffer
      - .offset:         120
        .size:           4
        .value_kind:     by_value
      - .address_space:  global
        .offset:         128
        .size:           8
        .value_kind:     global_buffer
      - .address_space:  global
        .offset:         136
        .size:           8
        .value_kind:     global_buffer
      - .offset:         144
        .size:           4
        .value_kind:     hidden_block_count_x
      - .offset:         148
        .size:           4
        .value_kind:     hidden_block_count_y
      - .offset:         152
        .size:           4
        .value_kind:     hidden_block_count_z
      - .offset:         156
        .size:           2
        .value_kind:     hidden_group_size_x
      - .offset:         158
        .size:           2
        .value_kind:     hidden_group_size_y
      - .offset:         160
        .size:           2
        .value_kind:     hidden_group_size_z
      - .offset:         162
        .size:           2
        .value_kind:     hidden_remainder_x
      - .offset:         164
        .size:           2
        .value_kind:     hidden_remainder_y
      - .offset:         166
        .size:           2
        .value_kind:     hidden_remainder_z
      - .offset:         184
        .size:           8
        .value_kind:     hidden_global_offset_x
      - .offset:         192
        .size:           8
        .value_kind:     hidden_global_offset_y
      - .offset:         200
        .size:           8
        .value_kind:     hidden_global_offset_z
      - .offset:         208
        .size:           2
        .value_kind:     hidden_grid_dims
      - .offset:         224
        .size:           8
        .value_kind:     hidden_hostcall_buffer
    .group_segment_fixed_size: 0
    .kernarg_segment_align: 8
    .kernarg_segment_size: 400
    .language:       OpenCL C
    .language_version:
      - 2
      - 0
    .max_flat_workgroup_size: 256
    .name:           _Z38paged_attention_ll4mi_QKV_mfma4_kernelIDF16_DF16_LN4vllm18Fp8KVCacheDataTypeE0EhLi32ELi64ELi256ELb1ELi4EEvPKT_PKT0_S7_ifPKiS9_S9_iPKfiiiPfSC_PS2_PT2_iSB_SB_
    .private_segment_fixed_size: 64
    .sgpr_count:     36
    .sgpr_spill_count: 0
    .symbol:         _Z38paged_attention_ll4mi_QKV_mfma4_kernelIDF16_DF16_LN4vllm18Fp8KVCacheDataTypeE0EhLi32ELi64ELi256ELb1ELi4EEvPKT_PKT0_S7_ifPKiS9_S9_iPKfiiiPfSC_PS2_PT2_iSB_SB_.kd
    .uniform_work_group_size: 1
    .uses_dynamic_stack: false
    .vgpr_count:     51
    .vgpr_spill_count: 0
    .wavefront_size: 32
  - .args:
      - .actual_access:  read_only
        .address_space:  global
        .offset:         0
        .size:           8
        .value_kind:     global_buffer
      - .actual_access:  read_only
        .address_space:  global
        .offset:         8
        .size:           8
        .value_kind:     global_buffer
      - .actual_access:  read_only
        .address_space:  global
        .offset:         16
        .size:           8
        .value_kind:     global_buffer
      - .offset:         24
        .size:           4
        .value_kind:     by_value
      - .offset:         28
        .size:           4
        .value_kind:     by_value
      - .actual_access:  read_only
        .address_space:  global
        .offset:         32
        .size:           8
        .value_kind:     global_buffer
      - .actual_access:  read_only
        .address_space:  global
        .offset:         40
        .size:           8
        .value_kind:     global_buffer
      - .actual_access:  read_only
        .address_space:  global
        .offset:         48
        .size:           8
        .value_kind:     global_buffer
      - .offset:         56
        .size:           4
        .value_kind:     by_value
      - .actual_access:  read_only
        .address_space:  global
        .offset:         64
        .size:           8
        .value_kind:     global_buffer
      - .offset:         72
        .size:           4
        .value_kind:     by_value
      - .offset:         76
        .size:           4
        .value_kind:     by_value
      - .offset:         80
        .size:           4
        .value_kind:     by_value
      - .actual_access:  read_only
        .address_space:  global
        .offset:         88
        .size:           8
        .value_kind:     global_buffer
      - .actual_access:  read_only
        .address_space:  global
        .offset:         96
        .size:           8
        .value_kind:     global_buffer
      - .actual_access:  read_only
        .address_space:  global
        .offset:         104
        .size:           8
        .value_kind:     global_buffer
      - .actual_access:  read_only
        .address_space:  global
        .offset:         112
        .size:           8
        .value_kind:     global_buffer
      - .offset:         120
        .size:           4
        .value_kind:     by_value
      - .address_space:  global
        .offset:         128
        .size:           8
        .value_kind:     global_buffer
      - .address_space:  global
        .offset:         136
        .size:           8
        .value_kind:     global_buffer
      - .offset:         144
        .size:           4
        .value_kind:     hidden_block_count_x
      - .offset:         148
        .size:           4
        .value_kind:     hidden_block_count_y
      - .offset:         152
        .size:           4
        .value_kind:     hidden_block_count_z
      - .offset:         156
        .size:           2
        .value_kind:     hidden_group_size_x
      - .offset:         158
        .size:           2
        .value_kind:     hidden_group_size_y
      - .offset:         160
        .size:           2
        .value_kind:     hidden_group_size_z
      - .offset:         162
        .size:           2
        .value_kind:     hidden_remainder_x
      - .offset:         164
        .size:           2
        .value_kind:     hidden_remainder_y
      - .offset:         166
        .size:           2
        .value_kind:     hidden_remainder_z
      - .offset:         184
        .size:           8
        .value_kind:     hidden_global_offset_x
      - .offset:         192
        .size:           8
        .value_kind:     hidden_global_offset_y
      - .offset:         200
        .size:           8
        .value_kind:     hidden_global_offset_z
      - .offset:         208
        .size:           2
        .value_kind:     hidden_grid_dims
      - .offset:         224
        .size:           8
        .value_kind:     hidden_hostcall_buffer
    .group_segment_fixed_size: 0
    .kernarg_segment_align: 8
    .kernarg_segment_size: 400
    .language:       OpenCL C
    .language_version:
      - 2
      - 0
    .max_flat_workgroup_size: 256
    .name:           _Z39paged_attention_ll4mi_QKV_mfma16_kernelIDF16_DF16_LN4vllm18Fp8KVCacheDataTypeE0EhLi32ELi64ELi256ELb1ELi5EEvPKT_PKT0_S7_ifPKiS9_S9_iPKfiiiPfSC_PS2_PT2_iSB_SB_
    .private_segment_fixed_size: 64
    .sgpr_count:     36
    .sgpr_spill_count: 0
    .symbol:         _Z39paged_attention_ll4mi_QKV_mfma16_kernelIDF16_DF16_LN4vllm18Fp8KVCacheDataTypeE0EhLi32ELi64ELi256ELb1ELi5EEvPKT_PKT0_S7_ifPKiS9_S9_iPKfiiiPfSC_PS2_PT2_iSB_SB_.kd
    .uniform_work_group_size: 1
    .uses_dynamic_stack: false
    .vgpr_count:     51
    .vgpr_spill_count: 0
    .wavefront_size: 32
  - .args:
      - .actual_access:  read_only
        .address_space:  global
        .offset:         0
        .size:           8
        .value_kind:     global_buffer
      - .actual_access:  read_only
        .address_space:  global
        .offset:         8
        .size:           8
        .value_kind:     global_buffer
      - .actual_access:  read_only
        .address_space:  global
        .offset:         16
        .size:           8
        .value_kind:     global_buffer
      - .offset:         24
        .size:           4
        .value_kind:     by_value
      - .offset:         28
        .size:           4
        .value_kind:     by_value
      - .actual_access:  read_only
        .address_space:  global
        .offset:         32
        .size:           8
        .value_kind:     global_buffer
      - .actual_access:  read_only
        .address_space:  global
        .offset:         40
        .size:           8
        .value_kind:     global_buffer
      - .actual_access:  read_only
        .address_space:  global
        .offset:         48
        .size:           8
        .value_kind:     global_buffer
      - .offset:         56
        .size:           4
        .value_kind:     by_value
      - .actual_access:  read_only
        .address_space:  global
        .offset:         64
        .size:           8
        .value_kind:     global_buffer
      - .offset:         72
        .size:           4
        .value_kind:     by_value
      - .offset:         76
        .size:           4
        .value_kind:     by_value
      - .offset:         80
        .size:           4
        .value_kind:     by_value
      - .actual_access:  read_only
        .address_space:  global
        .offset:         88
        .size:           8
        .value_kind:     global_buffer
      - .actual_access:  read_only
        .address_space:  global
        .offset:         96
        .size:           8
        .value_kind:     global_buffer
      - .actual_access:  read_only
        .address_space:  global
        .offset:         104
        .size:           8
        .value_kind:     global_buffer
      - .actual_access:  read_only
        .address_space:  global
        .offset:         112
        .size:           8
        .value_kind:     global_buffer
      - .offset:         120
        .size:           4
        .value_kind:     by_value
      - .address_space:  global
        .offset:         128
        .size:           8
        .value_kind:     global_buffer
      - .address_space:  global
        .offset:         136
        .size:           8
        .value_kind:     global_buffer
      - .offset:         144
        .size:           4
        .value_kind:     hidden_block_count_x
      - .offset:         148
        .size:           4
        .value_kind:     hidden_block_count_y
      - .offset:         152
        .size:           4
        .value_kind:     hidden_block_count_z
      - .offset:         156
        .size:           2
        .value_kind:     hidden_group_size_x
      - .offset:         158
        .size:           2
        .value_kind:     hidden_group_size_y
      - .offset:         160
        .size:           2
        .value_kind:     hidden_group_size_z
      - .offset:         162
        .size:           2
        .value_kind:     hidden_remainder_x
      - .offset:         164
        .size:           2
        .value_kind:     hidden_remainder_y
      - .offset:         166
        .size:           2
        .value_kind:     hidden_remainder_z
      - .offset:         184
        .size:           8
        .value_kind:     hidden_global_offset_x
      - .offset:         192
        .size:           8
        .value_kind:     hidden_global_offset_y
      - .offset:         200
        .size:           8
        .value_kind:     hidden_global_offset_z
      - .offset:         208
        .size:           2
        .value_kind:     hidden_grid_dims
      - .offset:         224
        .size:           8
        .value_kind:     hidden_hostcall_buffer
    .group_segment_fixed_size: 0
    .kernarg_segment_align: 8
    .kernarg_segment_size: 400
    .language:       OpenCL C
    .language_version:
      - 2
      - 0
    .max_flat_workgroup_size: 256
    .name:           _Z39paged_attention_ll4mi_QKV_mfma16_kernelIDF16_DF16_LN4vllm18Fp8KVCacheDataTypeE0EhLi32ELi64ELi256ELb1ELi6EEvPKT_PKT0_S7_ifPKiS9_S9_iPKfiiiPfSC_PS2_PT2_iSB_SB_
    .private_segment_fixed_size: 64
    .sgpr_count:     36
    .sgpr_spill_count: 0
    .symbol:         _Z39paged_attention_ll4mi_QKV_mfma16_kernelIDF16_DF16_LN4vllm18Fp8KVCacheDataTypeE0EhLi32ELi64ELi256ELb1ELi6EEvPKT_PKT0_S7_ifPKiS9_S9_iPKfiiiPfSC_PS2_PT2_iSB_SB_.kd
    .uniform_work_group_size: 1
    .uses_dynamic_stack: false
    .vgpr_count:     51
    .vgpr_spill_count: 0
    .wavefront_size: 32
  - .args:
      - .actual_access:  read_only
        .address_space:  global
        .offset:         0
        .size:           8
        .value_kind:     global_buffer
      - .actual_access:  read_only
        .address_space:  global
        .offset:         8
        .size:           8
        .value_kind:     global_buffer
      - .actual_access:  read_only
        .address_space:  global
        .offset:         16
        .size:           8
        .value_kind:     global_buffer
      - .offset:         24
        .size:           4
        .value_kind:     by_value
      - .offset:         28
        .size:           4
        .value_kind:     by_value
      - .actual_access:  read_only
        .address_space:  global
        .offset:         32
        .size:           8
        .value_kind:     global_buffer
      - .actual_access:  read_only
        .address_space:  global
        .offset:         40
        .size:           8
        .value_kind:     global_buffer
      - .actual_access:  read_only
        .address_space:  global
        .offset:         48
        .size:           8
        .value_kind:     global_buffer
      - .offset:         56
        .size:           4
        .value_kind:     by_value
      - .actual_access:  read_only
        .address_space:  global
        .offset:         64
        .size:           8
        .value_kind:     global_buffer
      - .offset:         72
        .size:           4
        .value_kind:     by_value
      - .offset:         76
        .size:           4
        .value_kind:     by_value
      - .offset:         80
        .size:           4
        .value_kind:     by_value
      - .actual_access:  read_only
        .address_space:  global
        .offset:         88
        .size:           8
        .value_kind:     global_buffer
      - .actual_access:  read_only
        .address_space:  global
        .offset:         96
        .size:           8
        .value_kind:     global_buffer
      - .actual_access:  read_only
        .address_space:  global
        .offset:         104
        .size:           8
        .value_kind:     global_buffer
      - .actual_access:  read_only
        .address_space:  global
        .offset:         112
        .size:           8
        .value_kind:     global_buffer
      - .offset:         120
        .size:           4
        .value_kind:     by_value
      - .address_space:  global
        .offset:         128
        .size:           8
        .value_kind:     global_buffer
      - .address_space:  global
        .offset:         136
        .size:           8
        .value_kind:     global_buffer
      - .offset:         144
        .size:           4
        .value_kind:     hidden_block_count_x
      - .offset:         148
        .size:           4
        .value_kind:     hidden_block_count_y
      - .offset:         152
        .size:           4
        .value_kind:     hidden_block_count_z
      - .offset:         156
        .size:           2
        .value_kind:     hidden_group_size_x
      - .offset:         158
        .size:           2
        .value_kind:     hidden_group_size_y
      - .offset:         160
        .size:           2
        .value_kind:     hidden_group_size_z
      - .offset:         162
        .size:           2
        .value_kind:     hidden_remainder_x
      - .offset:         164
        .size:           2
        .value_kind:     hidden_remainder_y
      - .offset:         166
        .size:           2
        .value_kind:     hidden_remainder_z
      - .offset:         184
        .size:           8
        .value_kind:     hidden_global_offset_x
      - .offset:         192
        .size:           8
        .value_kind:     hidden_global_offset_y
      - .offset:         200
        .size:           8
        .value_kind:     hidden_global_offset_z
      - .offset:         208
        .size:           2
        .value_kind:     hidden_grid_dims
      - .offset:         224
        .size:           8
        .value_kind:     hidden_hostcall_buffer
    .group_segment_fixed_size: 0
    .kernarg_segment_align: 8
    .kernarg_segment_size: 400
    .language:       OpenCL C
    .language_version:
      - 2
      - 0
    .max_flat_workgroup_size: 256
    .name:           _Z39paged_attention_ll4mi_QKV_mfma16_kernelIDF16_DF16_LN4vllm18Fp8KVCacheDataTypeE0EhLi32ELi64ELi256ELb1ELi7EEvPKT_PKT0_S7_ifPKiS9_S9_iPKfiiiPfSC_PS2_PT2_iSB_SB_
    .private_segment_fixed_size: 64
    .sgpr_count:     36
    .sgpr_spill_count: 0
    .symbol:         _Z39paged_attention_ll4mi_QKV_mfma16_kernelIDF16_DF16_LN4vllm18Fp8KVCacheDataTypeE0EhLi32ELi64ELi256ELb1ELi7EEvPKT_PKT0_S7_ifPKiS9_S9_iPKfiiiPfSC_PS2_PT2_iSB_SB_.kd
    .uniform_work_group_size: 1
    .uses_dynamic_stack: false
    .vgpr_count:     51
    .vgpr_spill_count: 0
    .wavefront_size: 32
  - .args:
      - .actual_access:  read_only
        .address_space:  global
        .offset:         0
        .size:           8
        .value_kind:     global_buffer
      - .actual_access:  read_only
        .address_space:  global
        .offset:         8
        .size:           8
        .value_kind:     global_buffer
      - .actual_access:  read_only
        .address_space:  global
        .offset:         16
        .size:           8
        .value_kind:     global_buffer
      - .offset:         24
        .size:           4
        .value_kind:     by_value
      - .offset:         28
        .size:           4
        .value_kind:     by_value
      - .actual_access:  read_only
        .address_space:  global
        .offset:         32
        .size:           8
        .value_kind:     global_buffer
      - .actual_access:  read_only
        .address_space:  global
        .offset:         40
        .size:           8
        .value_kind:     global_buffer
      - .actual_access:  read_only
        .address_space:  global
        .offset:         48
        .size:           8
        .value_kind:     global_buffer
      - .offset:         56
        .size:           4
        .value_kind:     by_value
      - .actual_access:  read_only
        .address_space:  global
        .offset:         64
        .size:           8
        .value_kind:     global_buffer
      - .offset:         72
        .size:           4
        .value_kind:     by_value
      - .offset:         76
        .size:           4
        .value_kind:     by_value
      - .offset:         80
        .size:           4
        .value_kind:     by_value
      - .actual_access:  read_only
        .address_space:  global
        .offset:         88
        .size:           8
        .value_kind:     global_buffer
      - .actual_access:  read_only
        .address_space:  global
        .offset:         96
        .size:           8
        .value_kind:     global_buffer
      - .actual_access:  read_only
        .address_space:  global
        .offset:         104
        .size:           8
        .value_kind:     global_buffer
      - .actual_access:  read_only
        .address_space:  global
        .offset:         112
        .size:           8
        .value_kind:     global_buffer
      - .offset:         120
        .size:           4
        .value_kind:     by_value
      - .address_space:  global
        .offset:         128
        .size:           8
        .value_kind:     global_buffer
      - .address_space:  global
        .offset:         136
        .size:           8
        .value_kind:     global_buffer
      - .offset:         144
        .size:           4
        .value_kind:     hidden_block_count_x
      - .offset:         148
        .size:           4
        .value_kind:     hidden_block_count_y
      - .offset:         152
        .size:           4
        .value_kind:     hidden_block_count_z
      - .offset:         156
        .size:           2
        .value_kind:     hidden_group_size_x
      - .offset:         158
        .size:           2
        .value_kind:     hidden_group_size_y
      - .offset:         160
        .size:           2
        .value_kind:     hidden_group_size_z
      - .offset:         162
        .size:           2
        .value_kind:     hidden_remainder_x
      - .offset:         164
        .size:           2
        .value_kind:     hidden_remainder_y
      - .offset:         166
        .size:           2
        .value_kind:     hidden_remainder_z
      - .offset:         184
        .size:           8
        .value_kind:     hidden_global_offset_x
      - .offset:         192
        .size:           8
        .value_kind:     hidden_global_offset_y
      - .offset:         200
        .size:           8
        .value_kind:     hidden_global_offset_z
      - .offset:         208
        .size:           2
        .value_kind:     hidden_grid_dims
      - .offset:         224
        .size:           8
        .value_kind:     hidden_hostcall_buffer
    .group_segment_fixed_size: 0
    .kernarg_segment_align: 8
    .kernarg_segment_size: 400
    .language:       OpenCL C
    .language_version:
      - 2
      - 0
    .max_flat_workgroup_size: 256
    .name:           _Z39paged_attention_ll4mi_QKV_mfma16_kernelIDF16_DF16_LN4vllm18Fp8KVCacheDataTypeE0EhLi32ELi64ELi256ELb1ELi8EEvPKT_PKT0_S7_ifPKiS9_S9_iPKfiiiPfSC_PS2_PT2_iSB_SB_
    .private_segment_fixed_size: 64
    .sgpr_count:     36
    .sgpr_spill_count: 0
    .symbol:         _Z39paged_attention_ll4mi_QKV_mfma16_kernelIDF16_DF16_LN4vllm18Fp8KVCacheDataTypeE0EhLi32ELi64ELi256ELb1ELi8EEvPKT_PKT0_S7_ifPKiS9_S9_iPKfiiiPfSC_PS2_PT2_iSB_SB_.kd
    .uniform_work_group_size: 1
    .uses_dynamic_stack: false
    .vgpr_count:     51
    .vgpr_spill_count: 0
    .wavefront_size: 32
  - .args:
      - .actual_access:  read_only
        .address_space:  global
        .offset:         0
        .size:           8
        .value_kind:     global_buffer
      - .actual_access:  read_only
        .address_space:  global
        .offset:         8
        .size:           8
        .value_kind:     global_buffer
      - .actual_access:  read_only
        .address_space:  global
        .offset:         16
        .size:           8
        .value_kind:     global_buffer
      - .offset:         24
        .size:           4
        .value_kind:     by_value
      - .offset:         28
        .size:           4
        .value_kind:     by_value
      - .actual_access:  read_only
        .address_space:  global
        .offset:         32
        .size:           8
        .value_kind:     global_buffer
      - .actual_access:  read_only
        .address_space:  global
        .offset:         40
        .size:           8
        .value_kind:     global_buffer
      - .actual_access:  read_only
        .address_space:  global
        .offset:         48
        .size:           8
        .value_kind:     global_buffer
      - .offset:         56
        .size:           4
        .value_kind:     by_value
      - .actual_access:  read_only
        .address_space:  global
        .offset:         64
        .size:           8
        .value_kind:     global_buffer
      - .offset:         72
        .size:           4
        .value_kind:     by_value
      - .offset:         76
        .size:           4
        .value_kind:     by_value
      - .offset:         80
        .size:           4
        .value_kind:     by_value
      - .actual_access:  read_only
        .address_space:  global
        .offset:         88
        .size:           8
        .value_kind:     global_buffer
      - .actual_access:  read_only
        .address_space:  global
        .offset:         96
        .size:           8
        .value_kind:     global_buffer
      - .actual_access:  read_only
        .address_space:  global
        .offset:         104
        .size:           8
        .value_kind:     global_buffer
      - .actual_access:  read_only
        .address_space:  global
        .offset:         112
        .size:           8
        .value_kind:     global_buffer
      - .offset:         120
        .size:           4
        .value_kind:     by_value
      - .address_space:  global
        .offset:         128
        .size:           8
        .value_kind:     global_buffer
      - .address_space:  global
        .offset:         136
        .size:           8
        .value_kind:     global_buffer
      - .offset:         144
        .size:           4
        .value_kind:     hidden_block_count_x
      - .offset:         148
        .size:           4
        .value_kind:     hidden_block_count_y
      - .offset:         152
        .size:           4
        .value_kind:     hidden_block_count_z
      - .offset:         156
        .size:           2
        .value_kind:     hidden_group_size_x
      - .offset:         158
        .size:           2
        .value_kind:     hidden_group_size_y
      - .offset:         160
        .size:           2
        .value_kind:     hidden_group_size_z
      - .offset:         162
        .size:           2
        .value_kind:     hidden_remainder_x
      - .offset:         164
        .size:           2
        .value_kind:     hidden_remainder_y
      - .offset:         166
        .size:           2
        .value_kind:     hidden_remainder_z
      - .offset:         184
        .size:           8
        .value_kind:     hidden_global_offset_x
      - .offset:         192
        .size:           8
        .value_kind:     hidden_global_offset_y
      - .offset:         200
        .size:           8
        .value_kind:     hidden_global_offset_z
      - .offset:         208
        .size:           2
        .value_kind:     hidden_grid_dims
      - .offset:         224
        .size:           8
        .value_kind:     hidden_hostcall_buffer
    .group_segment_fixed_size: 0
    .kernarg_segment_align: 8
    .kernarg_segment_size: 400
    .language:       OpenCL C
    .language_version:
      - 2
      - 0
    .max_flat_workgroup_size: 256
    .name:           _Z39paged_attention_ll4mi_QKV_mfma16_kernelIDF16_DF16_LN4vllm18Fp8KVCacheDataTypeE0EhLi32ELi64ELi256ELb1ELi9EEvPKT_PKT0_S7_ifPKiS9_S9_iPKfiiiPfSC_PS2_PT2_iSB_SB_
    .private_segment_fixed_size: 64
    .sgpr_count:     36
    .sgpr_spill_count: 0
    .symbol:         _Z39paged_attention_ll4mi_QKV_mfma16_kernelIDF16_DF16_LN4vllm18Fp8KVCacheDataTypeE0EhLi32ELi64ELi256ELb1ELi9EEvPKT_PKT0_S7_ifPKiS9_S9_iPKfiiiPfSC_PS2_PT2_iSB_SB_.kd
    .uniform_work_group_size: 1
    .uses_dynamic_stack: false
    .vgpr_count:     51
    .vgpr_spill_count: 0
    .wavefront_size: 32
  - .args:
      - .actual_access:  read_only
        .address_space:  global
        .offset:         0
        .size:           8
        .value_kind:     global_buffer
      - .actual_access:  read_only
        .address_space:  global
        .offset:         8
        .size:           8
        .value_kind:     global_buffer
      - .actual_access:  read_only
        .address_space:  global
        .offset:         16
        .size:           8
        .value_kind:     global_buffer
      - .offset:         24
        .size:           4
        .value_kind:     by_value
      - .offset:         28
        .size:           4
        .value_kind:     by_value
      - .actual_access:  read_only
        .address_space:  global
        .offset:         32
        .size:           8
        .value_kind:     global_buffer
      - .actual_access:  read_only
        .address_space:  global
        .offset:         40
        .size:           8
        .value_kind:     global_buffer
      - .actual_access:  read_only
        .address_space:  global
        .offset:         48
        .size:           8
        .value_kind:     global_buffer
      - .offset:         56
        .size:           4
        .value_kind:     by_value
      - .actual_access:  read_only
        .address_space:  global
        .offset:         64
        .size:           8
        .value_kind:     global_buffer
      - .offset:         72
        .size:           4
        .value_kind:     by_value
      - .offset:         76
        .size:           4
        .value_kind:     by_value
      - .offset:         80
        .size:           4
        .value_kind:     by_value
      - .actual_access:  read_only
        .address_space:  global
        .offset:         88
        .size:           8
        .value_kind:     global_buffer
      - .actual_access:  read_only
        .address_space:  global
        .offset:         96
        .size:           8
        .value_kind:     global_buffer
      - .actual_access:  read_only
        .address_space:  global
        .offset:         104
        .size:           8
        .value_kind:     global_buffer
      - .actual_access:  read_only
        .address_space:  global
        .offset:         112
        .size:           8
        .value_kind:     global_buffer
      - .offset:         120
        .size:           4
        .value_kind:     by_value
      - .address_space:  global
        .offset:         128
        .size:           8
        .value_kind:     global_buffer
      - .address_space:  global
        .offset:         136
        .size:           8
        .value_kind:     global_buffer
      - .offset:         144
        .size:           4
        .value_kind:     hidden_block_count_x
      - .offset:         148
        .size:           4
        .value_kind:     hidden_block_count_y
      - .offset:         152
        .size:           4
        .value_kind:     hidden_block_count_z
      - .offset:         156
        .size:           2
        .value_kind:     hidden_group_size_x
      - .offset:         158
        .size:           2
        .value_kind:     hidden_group_size_y
      - .offset:         160
        .size:           2
        .value_kind:     hidden_group_size_z
      - .offset:         162
        .size:           2
        .value_kind:     hidden_remainder_x
      - .offset:         164
        .size:           2
        .value_kind:     hidden_remainder_y
      - .offset:         166
        .size:           2
        .value_kind:     hidden_remainder_z
      - .offset:         184
        .size:           8
        .value_kind:     hidden_global_offset_x
      - .offset:         192
        .size:           8
        .value_kind:     hidden_global_offset_y
      - .offset:         200
        .size:           8
        .value_kind:     hidden_global_offset_z
      - .offset:         208
        .size:           2
        .value_kind:     hidden_grid_dims
      - .offset:         224
        .size:           8
        .value_kind:     hidden_hostcall_buffer
    .group_segment_fixed_size: 0
    .kernarg_segment_align: 8
    .kernarg_segment_size: 400
    .language:       OpenCL C
    .language_version:
      - 2
      - 0
    .max_flat_workgroup_size: 256
    .name:           _Z39paged_attention_ll4mi_QKV_mfma16_kernelIDF16_DF16_LN4vllm18Fp8KVCacheDataTypeE0EhLi32ELi64ELi256ELb1ELi10EEvPKT_PKT0_S7_ifPKiS9_S9_iPKfiiiPfSC_PS2_PT2_iSB_SB_
    .private_segment_fixed_size: 64
    .sgpr_count:     36
    .sgpr_spill_count: 0
    .symbol:         _Z39paged_attention_ll4mi_QKV_mfma16_kernelIDF16_DF16_LN4vllm18Fp8KVCacheDataTypeE0EhLi32ELi64ELi256ELb1ELi10EEvPKT_PKT0_S7_ifPKiS9_S9_iPKfiiiPfSC_PS2_PT2_iSB_SB_.kd
    .uniform_work_group_size: 1
    .uses_dynamic_stack: false
    .vgpr_count:     51
    .vgpr_spill_count: 0
    .wavefront_size: 32
  - .args:
      - .actual_access:  read_only
        .address_space:  global
        .offset:         0
        .size:           8
        .value_kind:     global_buffer
      - .actual_access:  read_only
        .address_space:  global
        .offset:         8
        .size:           8
        .value_kind:     global_buffer
      - .actual_access:  read_only
        .address_space:  global
        .offset:         16
        .size:           8
        .value_kind:     global_buffer
      - .offset:         24
        .size:           4
        .value_kind:     by_value
      - .offset:         28
        .size:           4
        .value_kind:     by_value
      - .actual_access:  read_only
        .address_space:  global
        .offset:         32
        .size:           8
        .value_kind:     global_buffer
      - .actual_access:  read_only
        .address_space:  global
        .offset:         40
        .size:           8
        .value_kind:     global_buffer
      - .actual_access:  read_only
        .address_space:  global
        .offset:         48
        .size:           8
        .value_kind:     global_buffer
      - .offset:         56
        .size:           4
        .value_kind:     by_value
      - .actual_access:  read_only
        .address_space:  global
        .offset:         64
        .size:           8
        .value_kind:     global_buffer
      - .offset:         72
        .size:           4
        .value_kind:     by_value
      - .offset:         76
        .size:           4
        .value_kind:     by_value
      - .offset:         80
        .size:           4
        .value_kind:     by_value
      - .actual_access:  read_only
        .address_space:  global
        .offset:         88
        .size:           8
        .value_kind:     global_buffer
      - .actual_access:  read_only
        .address_space:  global
        .offset:         96
        .size:           8
        .value_kind:     global_buffer
      - .actual_access:  read_only
        .address_space:  global
        .offset:         104
        .size:           8
        .value_kind:     global_buffer
      - .actual_access:  read_only
        .address_space:  global
        .offset:         112
        .size:           8
        .value_kind:     global_buffer
      - .offset:         120
        .size:           4
        .value_kind:     by_value
      - .address_space:  global
        .offset:         128
        .size:           8
        .value_kind:     global_buffer
      - .address_space:  global
        .offset:         136
        .size:           8
        .value_kind:     global_buffer
      - .offset:         144
        .size:           4
        .value_kind:     hidden_block_count_x
      - .offset:         148
        .size:           4
        .value_kind:     hidden_block_count_y
      - .offset:         152
        .size:           4
        .value_kind:     hidden_block_count_z
      - .offset:         156
        .size:           2
        .value_kind:     hidden_group_size_x
      - .offset:         158
        .size:           2
        .value_kind:     hidden_group_size_y
      - .offset:         160
        .size:           2
        .value_kind:     hidden_group_size_z
      - .offset:         162
        .size:           2
        .value_kind:     hidden_remainder_x
      - .offset:         164
        .size:           2
        .value_kind:     hidden_remainder_y
      - .offset:         166
        .size:           2
        .value_kind:     hidden_remainder_z
      - .offset:         184
        .size:           8
        .value_kind:     hidden_global_offset_x
      - .offset:         192
        .size:           8
        .value_kind:     hidden_global_offset_y
      - .offset:         200
        .size:           8
        .value_kind:     hidden_global_offset_z
      - .offset:         208
        .size:           2
        .value_kind:     hidden_grid_dims
      - .offset:         224
        .size:           8
        .value_kind:     hidden_hostcall_buffer
    .group_segment_fixed_size: 0
    .kernarg_segment_align: 8
    .kernarg_segment_size: 400
    .language:       OpenCL C
    .language_version:
      - 2
      - 0
    .max_flat_workgroup_size: 256
    .name:           _Z39paged_attention_ll4mi_QKV_mfma16_kernelIDF16_DF16_LN4vllm18Fp8KVCacheDataTypeE0EhLi32ELi64ELi256ELb1ELi11EEvPKT_PKT0_S7_ifPKiS9_S9_iPKfiiiPfSC_PS2_PT2_iSB_SB_
    .private_segment_fixed_size: 64
    .sgpr_count:     36
    .sgpr_spill_count: 0
    .symbol:         _Z39paged_attention_ll4mi_QKV_mfma16_kernelIDF16_DF16_LN4vllm18Fp8KVCacheDataTypeE0EhLi32ELi64ELi256ELb1ELi11EEvPKT_PKT0_S7_ifPKiS9_S9_iPKfiiiPfSC_PS2_PT2_iSB_SB_.kd
    .uniform_work_group_size: 1
    .uses_dynamic_stack: false
    .vgpr_count:     51
    .vgpr_spill_count: 0
    .wavefront_size: 32
  - .args:
      - .actual_access:  read_only
        .address_space:  global
        .offset:         0
        .size:           8
        .value_kind:     global_buffer
      - .actual_access:  read_only
        .address_space:  global
        .offset:         8
        .size:           8
        .value_kind:     global_buffer
      - .actual_access:  read_only
        .address_space:  global
        .offset:         16
        .size:           8
        .value_kind:     global_buffer
      - .offset:         24
        .size:           4
        .value_kind:     by_value
      - .offset:         28
        .size:           4
        .value_kind:     by_value
      - .actual_access:  read_only
        .address_space:  global
        .offset:         32
        .size:           8
        .value_kind:     global_buffer
      - .actual_access:  read_only
        .address_space:  global
        .offset:         40
        .size:           8
        .value_kind:     global_buffer
      - .actual_access:  read_only
        .address_space:  global
        .offset:         48
        .size:           8
        .value_kind:     global_buffer
      - .offset:         56
        .size:           4
        .value_kind:     by_value
      - .actual_access:  read_only
        .address_space:  global
        .offset:         64
        .size:           8
        .value_kind:     global_buffer
      - .offset:         72
        .size:           4
        .value_kind:     by_value
      - .offset:         76
        .size:           4
        .value_kind:     by_value
      - .offset:         80
        .size:           4
        .value_kind:     by_value
      - .actual_access:  read_only
        .address_space:  global
        .offset:         88
        .size:           8
        .value_kind:     global_buffer
      - .actual_access:  read_only
        .address_space:  global
        .offset:         96
        .size:           8
        .value_kind:     global_buffer
      - .actual_access:  read_only
        .address_space:  global
        .offset:         104
        .size:           8
        .value_kind:     global_buffer
      - .actual_access:  read_only
        .address_space:  global
        .offset:         112
        .size:           8
        .value_kind:     global_buffer
      - .offset:         120
        .size:           4
        .value_kind:     by_value
      - .address_space:  global
        .offset:         128
        .size:           8
        .value_kind:     global_buffer
      - .address_space:  global
        .offset:         136
        .size:           8
        .value_kind:     global_buffer
      - .offset:         144
        .size:           4
        .value_kind:     hidden_block_count_x
      - .offset:         148
        .size:           4
        .value_kind:     hidden_block_count_y
      - .offset:         152
        .size:           4
        .value_kind:     hidden_block_count_z
      - .offset:         156
        .size:           2
        .value_kind:     hidden_group_size_x
      - .offset:         158
        .size:           2
        .value_kind:     hidden_group_size_y
      - .offset:         160
        .size:           2
        .value_kind:     hidden_group_size_z
      - .offset:         162
        .size:           2
        .value_kind:     hidden_remainder_x
      - .offset:         164
        .size:           2
        .value_kind:     hidden_remainder_y
      - .offset:         166
        .size:           2
        .value_kind:     hidden_remainder_z
      - .offset:         184
        .size:           8
        .value_kind:     hidden_global_offset_x
      - .offset:         192
        .size:           8
        .value_kind:     hidden_global_offset_y
      - .offset:         200
        .size:           8
        .value_kind:     hidden_global_offset_z
      - .offset:         208
        .size:           2
        .value_kind:     hidden_grid_dims
      - .offset:         224
        .size:           8
        .value_kind:     hidden_hostcall_buffer
    .group_segment_fixed_size: 0
    .kernarg_segment_align: 8
    .kernarg_segment_size: 400
    .language:       OpenCL C
    .language_version:
      - 2
      - 0
    .max_flat_workgroup_size: 256
    .name:           _Z39paged_attention_ll4mi_QKV_mfma16_kernelIDF16_DF16_LN4vllm18Fp8KVCacheDataTypeE0EhLi32ELi64ELi256ELb1ELi12EEvPKT_PKT0_S7_ifPKiS9_S9_iPKfiiiPfSC_PS2_PT2_iSB_SB_
    .private_segment_fixed_size: 64
    .sgpr_count:     36
    .sgpr_spill_count: 0
    .symbol:         _Z39paged_attention_ll4mi_QKV_mfma16_kernelIDF16_DF16_LN4vllm18Fp8KVCacheDataTypeE0EhLi32ELi64ELi256ELb1ELi12EEvPKT_PKT0_S7_ifPKiS9_S9_iPKfiiiPfSC_PS2_PT2_iSB_SB_.kd
    .uniform_work_group_size: 1
    .uses_dynamic_stack: false
    .vgpr_count:     51
    .vgpr_spill_count: 0
    .wavefront_size: 32
  - .args:
      - .actual_access:  read_only
        .address_space:  global
        .offset:         0
        .size:           8
        .value_kind:     global_buffer
      - .actual_access:  read_only
        .address_space:  global
        .offset:         8
        .size:           8
        .value_kind:     global_buffer
      - .actual_access:  read_only
        .address_space:  global
        .offset:         16
        .size:           8
        .value_kind:     global_buffer
      - .offset:         24
        .size:           4
        .value_kind:     by_value
      - .offset:         28
        .size:           4
        .value_kind:     by_value
      - .actual_access:  read_only
        .address_space:  global
        .offset:         32
        .size:           8
        .value_kind:     global_buffer
      - .actual_access:  read_only
        .address_space:  global
        .offset:         40
        .size:           8
        .value_kind:     global_buffer
      - .actual_access:  read_only
        .address_space:  global
        .offset:         48
        .size:           8
        .value_kind:     global_buffer
      - .offset:         56
        .size:           4
        .value_kind:     by_value
      - .actual_access:  read_only
        .address_space:  global
        .offset:         64
        .size:           8
        .value_kind:     global_buffer
      - .offset:         72
        .size:           4
        .value_kind:     by_value
      - .offset:         76
        .size:           4
        .value_kind:     by_value
      - .offset:         80
        .size:           4
        .value_kind:     by_value
      - .actual_access:  read_only
        .address_space:  global
        .offset:         88
        .size:           8
        .value_kind:     global_buffer
      - .actual_access:  read_only
        .address_space:  global
        .offset:         96
        .size:           8
        .value_kind:     global_buffer
      - .actual_access:  read_only
        .address_space:  global
        .offset:         104
        .size:           8
        .value_kind:     global_buffer
      - .actual_access:  read_only
        .address_space:  global
        .offset:         112
        .size:           8
        .value_kind:     global_buffer
      - .offset:         120
        .size:           4
        .value_kind:     by_value
      - .address_space:  global
        .offset:         128
        .size:           8
        .value_kind:     global_buffer
      - .address_space:  global
        .offset:         136
        .size:           8
        .value_kind:     global_buffer
      - .offset:         144
        .size:           4
        .value_kind:     hidden_block_count_x
      - .offset:         148
        .size:           4
        .value_kind:     hidden_block_count_y
      - .offset:         152
        .size:           4
        .value_kind:     hidden_block_count_z
      - .offset:         156
        .size:           2
        .value_kind:     hidden_group_size_x
      - .offset:         158
        .size:           2
        .value_kind:     hidden_group_size_y
      - .offset:         160
        .size:           2
        .value_kind:     hidden_group_size_z
      - .offset:         162
        .size:           2
        .value_kind:     hidden_remainder_x
      - .offset:         164
        .size:           2
        .value_kind:     hidden_remainder_y
      - .offset:         166
        .size:           2
        .value_kind:     hidden_remainder_z
      - .offset:         184
        .size:           8
        .value_kind:     hidden_global_offset_x
      - .offset:         192
        .size:           8
        .value_kind:     hidden_global_offset_y
      - .offset:         200
        .size:           8
        .value_kind:     hidden_global_offset_z
      - .offset:         208
        .size:           2
        .value_kind:     hidden_grid_dims
      - .offset:         224
        .size:           8
        .value_kind:     hidden_hostcall_buffer
    .group_segment_fixed_size: 0
    .kernarg_segment_align: 8
    .kernarg_segment_size: 400
    .language:       OpenCL C
    .language_version:
      - 2
      - 0
    .max_flat_workgroup_size: 256
    .name:           _Z39paged_attention_ll4mi_QKV_mfma16_kernelIDF16_DF16_LN4vllm18Fp8KVCacheDataTypeE0EhLi32ELi64ELi256ELb1ELi13EEvPKT_PKT0_S7_ifPKiS9_S9_iPKfiiiPfSC_PS2_PT2_iSB_SB_
    .private_segment_fixed_size: 64
    .sgpr_count:     36
    .sgpr_spill_count: 0
    .symbol:         _Z39paged_attention_ll4mi_QKV_mfma16_kernelIDF16_DF16_LN4vllm18Fp8KVCacheDataTypeE0EhLi32ELi64ELi256ELb1ELi13EEvPKT_PKT0_S7_ifPKiS9_S9_iPKfiiiPfSC_PS2_PT2_iSB_SB_.kd
    .uniform_work_group_size: 1
    .uses_dynamic_stack: false
    .vgpr_count:     51
    .vgpr_spill_count: 0
    .wavefront_size: 32
  - .args:
      - .actual_access:  read_only
        .address_space:  global
        .offset:         0
        .size:           8
        .value_kind:     global_buffer
      - .actual_access:  read_only
        .address_space:  global
        .offset:         8
        .size:           8
        .value_kind:     global_buffer
      - .actual_access:  read_only
        .address_space:  global
        .offset:         16
        .size:           8
        .value_kind:     global_buffer
      - .offset:         24
        .size:           4
        .value_kind:     by_value
      - .offset:         28
        .size:           4
        .value_kind:     by_value
      - .actual_access:  read_only
        .address_space:  global
        .offset:         32
        .size:           8
        .value_kind:     global_buffer
      - .actual_access:  read_only
        .address_space:  global
        .offset:         40
        .size:           8
        .value_kind:     global_buffer
      - .actual_access:  read_only
        .address_space:  global
        .offset:         48
        .size:           8
        .value_kind:     global_buffer
      - .offset:         56
        .size:           4
        .value_kind:     by_value
      - .actual_access:  read_only
        .address_space:  global
        .offset:         64
        .size:           8
        .value_kind:     global_buffer
      - .offset:         72
        .size:           4
        .value_kind:     by_value
      - .offset:         76
        .size:           4
        .value_kind:     by_value
      - .offset:         80
        .size:           4
        .value_kind:     by_value
      - .actual_access:  read_only
        .address_space:  global
        .offset:         88
        .size:           8
        .value_kind:     global_buffer
      - .actual_access:  read_only
        .address_space:  global
        .offset:         96
        .size:           8
        .value_kind:     global_buffer
      - .actual_access:  read_only
        .address_space:  global
        .offset:         104
        .size:           8
        .value_kind:     global_buffer
      - .actual_access:  read_only
        .address_space:  global
        .offset:         112
        .size:           8
        .value_kind:     global_buffer
      - .offset:         120
        .size:           4
        .value_kind:     by_value
      - .address_space:  global
        .offset:         128
        .size:           8
        .value_kind:     global_buffer
      - .address_space:  global
        .offset:         136
        .size:           8
        .value_kind:     global_buffer
      - .offset:         144
        .size:           4
        .value_kind:     hidden_block_count_x
      - .offset:         148
        .size:           4
        .value_kind:     hidden_block_count_y
      - .offset:         152
        .size:           4
        .value_kind:     hidden_block_count_z
      - .offset:         156
        .size:           2
        .value_kind:     hidden_group_size_x
      - .offset:         158
        .size:           2
        .value_kind:     hidden_group_size_y
      - .offset:         160
        .size:           2
        .value_kind:     hidden_group_size_z
      - .offset:         162
        .size:           2
        .value_kind:     hidden_remainder_x
      - .offset:         164
        .size:           2
        .value_kind:     hidden_remainder_y
      - .offset:         166
        .size:           2
        .value_kind:     hidden_remainder_z
      - .offset:         184
        .size:           8
        .value_kind:     hidden_global_offset_x
      - .offset:         192
        .size:           8
        .value_kind:     hidden_global_offset_y
      - .offset:         200
        .size:           8
        .value_kind:     hidden_global_offset_z
      - .offset:         208
        .size:           2
        .value_kind:     hidden_grid_dims
      - .offset:         224
        .size:           8
        .value_kind:     hidden_hostcall_buffer
    .group_segment_fixed_size: 0
    .kernarg_segment_align: 8
    .kernarg_segment_size: 400
    .language:       OpenCL C
    .language_version:
      - 2
      - 0
    .max_flat_workgroup_size: 256
    .name:           _Z39paged_attention_ll4mi_QKV_mfma16_kernelIDF16_DF16_LN4vllm18Fp8KVCacheDataTypeE0EhLi32ELi64ELi256ELb1ELi14EEvPKT_PKT0_S7_ifPKiS9_S9_iPKfiiiPfSC_PS2_PT2_iSB_SB_
    .private_segment_fixed_size: 64
    .sgpr_count:     36
    .sgpr_spill_count: 0
    .symbol:         _Z39paged_attention_ll4mi_QKV_mfma16_kernelIDF16_DF16_LN4vllm18Fp8KVCacheDataTypeE0EhLi32ELi64ELi256ELb1ELi14EEvPKT_PKT0_S7_ifPKiS9_S9_iPKfiiiPfSC_PS2_PT2_iSB_SB_.kd
    .uniform_work_group_size: 1
    .uses_dynamic_stack: false
    .vgpr_count:     51
    .vgpr_spill_count: 0
    .wavefront_size: 32
  - .args:
      - .actual_access:  read_only
        .address_space:  global
        .offset:         0
        .size:           8
        .value_kind:     global_buffer
      - .actual_access:  read_only
        .address_space:  global
        .offset:         8
        .size:           8
        .value_kind:     global_buffer
      - .actual_access:  read_only
        .address_space:  global
        .offset:         16
        .size:           8
        .value_kind:     global_buffer
      - .offset:         24
        .size:           4
        .value_kind:     by_value
      - .offset:         28
        .size:           4
        .value_kind:     by_value
      - .actual_access:  read_only
        .address_space:  global
        .offset:         32
        .size:           8
        .value_kind:     global_buffer
      - .actual_access:  read_only
        .address_space:  global
        .offset:         40
        .size:           8
        .value_kind:     global_buffer
      - .actual_access:  read_only
        .address_space:  global
        .offset:         48
        .size:           8
        .value_kind:     global_buffer
      - .offset:         56
        .size:           4
        .value_kind:     by_value
      - .actual_access:  read_only
        .address_space:  global
        .offset:         64
        .size:           8
        .value_kind:     global_buffer
      - .offset:         72
        .size:           4
        .value_kind:     by_value
      - .offset:         76
        .size:           4
        .value_kind:     by_value
      - .offset:         80
        .size:           4
        .value_kind:     by_value
      - .actual_access:  read_only
        .address_space:  global
        .offset:         88
        .size:           8
        .value_kind:     global_buffer
      - .actual_access:  read_only
        .address_space:  global
        .offset:         96
        .size:           8
        .value_kind:     global_buffer
      - .actual_access:  read_only
        .address_space:  global
        .offset:         104
        .size:           8
        .value_kind:     global_buffer
      - .actual_access:  read_only
        .address_space:  global
        .offset:         112
        .size:           8
        .value_kind:     global_buffer
      - .offset:         120
        .size:           4
        .value_kind:     by_value
      - .address_space:  global
        .offset:         128
        .size:           8
        .value_kind:     global_buffer
      - .address_space:  global
        .offset:         136
        .size:           8
        .value_kind:     global_buffer
      - .offset:         144
        .size:           4
        .value_kind:     hidden_block_count_x
      - .offset:         148
        .size:           4
        .value_kind:     hidden_block_count_y
      - .offset:         152
        .size:           4
        .value_kind:     hidden_block_count_z
      - .offset:         156
        .size:           2
        .value_kind:     hidden_group_size_x
      - .offset:         158
        .size:           2
        .value_kind:     hidden_group_size_y
      - .offset:         160
        .size:           2
        .value_kind:     hidden_group_size_z
      - .offset:         162
        .size:           2
        .value_kind:     hidden_remainder_x
      - .offset:         164
        .size:           2
        .value_kind:     hidden_remainder_y
      - .offset:         166
        .size:           2
        .value_kind:     hidden_remainder_z
      - .offset:         184
        .size:           8
        .value_kind:     hidden_global_offset_x
      - .offset:         192
        .size:           8
        .value_kind:     hidden_global_offset_y
      - .offset:         200
        .size:           8
        .value_kind:     hidden_global_offset_z
      - .offset:         208
        .size:           2
        .value_kind:     hidden_grid_dims
      - .offset:         224
        .size:           8
        .value_kind:     hidden_hostcall_buffer
    .group_segment_fixed_size: 0
    .kernarg_segment_align: 8
    .kernarg_segment_size: 400
    .language:       OpenCL C
    .language_version:
      - 2
      - 0
    .max_flat_workgroup_size: 256
    .name:           _Z39paged_attention_ll4mi_QKV_mfma16_kernelIDF16_DF16_LN4vllm18Fp8KVCacheDataTypeE0EhLi32ELi64ELi256ELb1ELi15EEvPKT_PKT0_S7_ifPKiS9_S9_iPKfiiiPfSC_PS2_PT2_iSB_SB_
    .private_segment_fixed_size: 64
    .sgpr_count:     36
    .sgpr_spill_count: 0
    .symbol:         _Z39paged_attention_ll4mi_QKV_mfma16_kernelIDF16_DF16_LN4vllm18Fp8KVCacheDataTypeE0EhLi32ELi64ELi256ELb1ELi15EEvPKT_PKT0_S7_ifPKiS9_S9_iPKfiiiPfSC_PS2_PT2_iSB_SB_.kd
    .uniform_work_group_size: 1
    .uses_dynamic_stack: false
    .vgpr_count:     51
    .vgpr_spill_count: 0
    .wavefront_size: 32
  - .args:
      - .actual_access:  read_only
        .address_space:  global
        .offset:         0
        .size:           8
        .value_kind:     global_buffer
      - .actual_access:  read_only
        .address_space:  global
        .offset:         8
        .size:           8
        .value_kind:     global_buffer
      - .actual_access:  read_only
        .address_space:  global
        .offset:         16
        .size:           8
        .value_kind:     global_buffer
      - .offset:         24
        .size:           4
        .value_kind:     by_value
      - .offset:         28
        .size:           4
        .value_kind:     by_value
      - .actual_access:  read_only
        .address_space:  global
        .offset:         32
        .size:           8
        .value_kind:     global_buffer
      - .actual_access:  read_only
        .address_space:  global
        .offset:         40
        .size:           8
        .value_kind:     global_buffer
      - .actual_access:  read_only
        .address_space:  global
        .offset:         48
        .size:           8
        .value_kind:     global_buffer
      - .offset:         56
        .size:           4
        .value_kind:     by_value
      - .actual_access:  read_only
        .address_space:  global
        .offset:         64
        .size:           8
        .value_kind:     global_buffer
      - .offset:         72
        .size:           4
        .value_kind:     by_value
      - .offset:         76
        .size:           4
        .value_kind:     by_value
      - .offset:         80
        .size:           4
        .value_kind:     by_value
      - .actual_access:  read_only
        .address_space:  global
        .offset:         88
        .size:           8
        .value_kind:     global_buffer
      - .actual_access:  read_only
        .address_space:  global
        .offset:         96
        .size:           8
        .value_kind:     global_buffer
      - .actual_access:  read_only
        .address_space:  global
        .offset:         104
        .size:           8
        .value_kind:     global_buffer
      - .actual_access:  read_only
        .address_space:  global
        .offset:         112
        .size:           8
        .value_kind:     global_buffer
      - .offset:         120
        .size:           4
        .value_kind:     by_value
      - .address_space:  global
        .offset:         128
        .size:           8
        .value_kind:     global_buffer
      - .address_space:  global
        .offset:         136
        .size:           8
        .value_kind:     global_buffer
      - .offset:         144
        .size:           4
        .value_kind:     hidden_block_count_x
      - .offset:         148
        .size:           4
        .value_kind:     hidden_block_count_y
      - .offset:         152
        .size:           4
        .value_kind:     hidden_block_count_z
      - .offset:         156
        .size:           2
        .value_kind:     hidden_group_size_x
      - .offset:         158
        .size:           2
        .value_kind:     hidden_group_size_y
      - .offset:         160
        .size:           2
        .value_kind:     hidden_group_size_z
      - .offset:         162
        .size:           2
        .value_kind:     hidden_remainder_x
      - .offset:         164
        .size:           2
        .value_kind:     hidden_remainder_y
      - .offset:         166
        .size:           2
        .value_kind:     hidden_remainder_z
      - .offset:         184
        .size:           8
        .value_kind:     hidden_global_offset_x
      - .offset:         192
        .size:           8
        .value_kind:     hidden_global_offset_y
      - .offset:         200
        .size:           8
        .value_kind:     hidden_global_offset_z
      - .offset:         208
        .size:           2
        .value_kind:     hidden_grid_dims
      - .offset:         224
        .size:           8
        .value_kind:     hidden_hostcall_buffer
    .group_segment_fixed_size: 0
    .kernarg_segment_align: 8
    .kernarg_segment_size: 400
    .language:       OpenCL C
    .language_version:
      - 2
      - 0
    .max_flat_workgroup_size: 256
    .name:           _Z39paged_attention_ll4mi_QKV_mfma16_kernelIDF16_DF16_LN4vllm18Fp8KVCacheDataTypeE0EhLi32ELi64ELi256ELb1ELi16EEvPKT_PKT0_S7_ifPKiS9_S9_iPKfiiiPfSC_PS2_PT2_iSB_SB_
    .private_segment_fixed_size: 64
    .sgpr_count:     36
    .sgpr_spill_count: 0
    .symbol:         _Z39paged_attention_ll4mi_QKV_mfma16_kernelIDF16_DF16_LN4vllm18Fp8KVCacheDataTypeE0EhLi32ELi64ELi256ELb1ELi16EEvPKT_PKT0_S7_ifPKiS9_S9_iPKfiiiPfSC_PS2_PT2_iSB_SB_.kd
    .uniform_work_group_size: 1
    .uses_dynamic_stack: false
    .vgpr_count:     51
    .vgpr_spill_count: 0
    .wavefront_size: 32
  - .args:
      - .actual_access:  read_only
        .address_space:  global
        .offset:         0
        .size:           8
        .value_kind:     global_buffer
      - .actual_access:  read_only
        .address_space:  global
        .offset:         8
        .size:           8
        .value_kind:     global_buffer
      - .actual_access:  read_only
        .address_space:  global
        .offset:         16
        .size:           8
        .value_kind:     global_buffer
      - .offset:         24
        .size:           4
        .value_kind:     by_value
      - .offset:         28
        .size:           4
        .value_kind:     by_value
      - .actual_access:  read_only
        .address_space:  global
        .offset:         32
        .size:           8
        .value_kind:     global_buffer
      - .actual_access:  read_only
        .address_space:  global
        .offset:         40
        .size:           8
        .value_kind:     global_buffer
      - .actual_access:  read_only
        .address_space:  global
        .offset:         48
        .size:           8
        .value_kind:     global_buffer
      - .offset:         56
        .size:           4
        .value_kind:     by_value
      - .actual_access:  read_only
        .address_space:  global
        .offset:         64
        .size:           8
        .value_kind:     global_buffer
      - .offset:         72
        .size:           4
        .value_kind:     by_value
      - .offset:         76
        .size:           4
        .value_kind:     by_value
      - .offset:         80
        .size:           4
        .value_kind:     by_value
      - .actual_access:  read_only
        .address_space:  global
        .offset:         88
        .size:           8
        .value_kind:     global_buffer
      - .actual_access:  read_only
        .address_space:  global
        .offset:         96
        .size:           8
        .value_kind:     global_buffer
      - .actual_access:  read_only
        .address_space:  global
        .offset:         104
        .size:           8
        .value_kind:     global_buffer
      - .actual_access:  read_only
        .address_space:  global
        .offset:         112
        .size:           8
        .value_kind:     global_buffer
      - .offset:         120
        .size:           4
        .value_kind:     by_value
      - .address_space:  global
        .offset:         128
        .size:           8
        .value_kind:     global_buffer
      - .address_space:  global
        .offset:         136
        .size:           8
        .value_kind:     global_buffer
      - .offset:         144
        .size:           4
        .value_kind:     hidden_block_count_x
      - .offset:         148
        .size:           4
        .value_kind:     hidden_block_count_y
      - .offset:         152
        .size:           4
        .value_kind:     hidden_block_count_z
      - .offset:         156
        .size:           2
        .value_kind:     hidden_group_size_x
      - .offset:         158
        .size:           2
        .value_kind:     hidden_group_size_y
      - .offset:         160
        .size:           2
        .value_kind:     hidden_group_size_z
      - .offset:         162
        .size:           2
        .value_kind:     hidden_remainder_x
      - .offset:         164
        .size:           2
        .value_kind:     hidden_remainder_y
      - .offset:         166
        .size:           2
        .value_kind:     hidden_remainder_z
      - .offset:         184
        .size:           8
        .value_kind:     hidden_global_offset_x
      - .offset:         192
        .size:           8
        .value_kind:     hidden_global_offset_y
      - .offset:         200
        .size:           8
        .value_kind:     hidden_global_offset_z
      - .offset:         208
        .size:           2
        .value_kind:     hidden_grid_dims
      - .offset:         224
        .size:           8
        .value_kind:     hidden_hostcall_buffer
    .group_segment_fixed_size: 0
    .kernarg_segment_align: 8
    .kernarg_segment_size: 400
    .language:       OpenCL C
    .language_version:
      - 2
      - 0
    .max_flat_workgroup_size: 256
    .name:           _Z39paged_attention_ll4mi_QKV_mfma16_kernelIDF16_DF16_LN4vllm18Fp8KVCacheDataTypeE0EhLi32ELi64ELi256ELb1ELi1EEvPKT_PKT0_S7_ifPKiS9_S9_iPKfiiiPfSC_PS2_PT2_iSB_SB_
    .private_segment_fixed_size: 64
    .sgpr_count:     36
    .sgpr_spill_count: 0
    .symbol:         _Z39paged_attention_ll4mi_QKV_mfma16_kernelIDF16_DF16_LN4vllm18Fp8KVCacheDataTypeE0EhLi32ELi64ELi256ELb1ELi1EEvPKT_PKT0_S7_ifPKiS9_S9_iPKfiiiPfSC_PS2_PT2_iSB_SB_.kd
    .uniform_work_group_size: 1
    .uses_dynamic_stack: false
    .vgpr_count:     51
    .vgpr_spill_count: 0
    .wavefront_size: 32
  - .args:
      - .actual_access:  read_only
        .address_space:  global
        .offset:         0
        .size:           8
        .value_kind:     global_buffer
      - .actual_access:  read_only
        .address_space:  global
        .offset:         8
        .size:           8
        .value_kind:     global_buffer
      - .actual_access:  read_only
        .address_space:  global
        .offset:         16
        .size:           8
        .value_kind:     global_buffer
      - .offset:         24
        .size:           4
        .value_kind:     by_value
      - .offset:         28
        .size:           4
        .value_kind:     by_value
      - .actual_access:  read_only
        .address_space:  global
        .offset:         32
        .size:           8
        .value_kind:     global_buffer
      - .actual_access:  read_only
        .address_space:  global
        .offset:         40
        .size:           8
        .value_kind:     global_buffer
      - .actual_access:  read_only
        .address_space:  global
        .offset:         48
        .size:           8
        .value_kind:     global_buffer
      - .offset:         56
        .size:           4
        .value_kind:     by_value
      - .actual_access:  read_only
        .address_space:  global
        .offset:         64
        .size:           8
        .value_kind:     global_buffer
      - .offset:         72
        .size:           4
        .value_kind:     by_value
      - .offset:         76
        .size:           4
        .value_kind:     by_value
      - .offset:         80
        .size:           4
        .value_kind:     by_value
      - .actual_access:  read_only
        .address_space:  global
        .offset:         88
        .size:           8
        .value_kind:     global_buffer
      - .actual_access:  read_only
        .address_space:  global
        .offset:         96
        .size:           8
        .value_kind:     global_buffer
      - .actual_access:  read_only
        .address_space:  global
        .offset:         104
        .size:           8
        .value_kind:     global_buffer
      - .actual_access:  read_only
        .address_space:  global
        .offset:         112
        .size:           8
        .value_kind:     global_buffer
      - .offset:         120
        .size:           4
        .value_kind:     by_value
      - .address_space:  global
        .offset:         128
        .size:           8
        .value_kind:     global_buffer
      - .address_space:  global
        .offset:         136
        .size:           8
        .value_kind:     global_buffer
      - .offset:         144
        .size:           4
        .value_kind:     hidden_block_count_x
      - .offset:         148
        .size:           4
        .value_kind:     hidden_block_count_y
      - .offset:         152
        .size:           4
        .value_kind:     hidden_block_count_z
      - .offset:         156
        .size:           2
        .value_kind:     hidden_group_size_x
      - .offset:         158
        .size:           2
        .value_kind:     hidden_group_size_y
      - .offset:         160
        .size:           2
        .value_kind:     hidden_group_size_z
      - .offset:         162
        .size:           2
        .value_kind:     hidden_remainder_x
      - .offset:         164
        .size:           2
        .value_kind:     hidden_remainder_y
      - .offset:         166
        .size:           2
        .value_kind:     hidden_remainder_z
      - .offset:         184
        .size:           8
        .value_kind:     hidden_global_offset_x
      - .offset:         192
        .size:           8
        .value_kind:     hidden_global_offset_y
      - .offset:         200
        .size:           8
        .value_kind:     hidden_global_offset_z
      - .offset:         208
        .size:           2
        .value_kind:     hidden_grid_dims
      - .offset:         224
        .size:           8
        .value_kind:     hidden_hostcall_buffer
    .group_segment_fixed_size: 0
    .kernarg_segment_align: 8
    .kernarg_segment_size: 400
    .language:       OpenCL C
    .language_version:
      - 2
      - 0
    .max_flat_workgroup_size: 256
    .name:           _Z39paged_attention_ll4mi_QKV_mfma16_kernelIDF16_DF16_LN4vllm18Fp8KVCacheDataTypeE0EhLi32ELi64ELi256ELb1ELi2EEvPKT_PKT0_S7_ifPKiS9_S9_iPKfiiiPfSC_PS2_PT2_iSB_SB_
    .private_segment_fixed_size: 64
    .sgpr_count:     36
    .sgpr_spill_count: 0
    .symbol:         _Z39paged_attention_ll4mi_QKV_mfma16_kernelIDF16_DF16_LN4vllm18Fp8KVCacheDataTypeE0EhLi32ELi64ELi256ELb1ELi2EEvPKT_PKT0_S7_ifPKiS9_S9_iPKfiiiPfSC_PS2_PT2_iSB_SB_.kd
    .uniform_work_group_size: 1
    .uses_dynamic_stack: false
    .vgpr_count:     51
    .vgpr_spill_count: 0
    .wavefront_size: 32
  - .args:
      - .actual_access:  read_only
        .address_space:  global
        .offset:         0
        .size:           8
        .value_kind:     global_buffer
      - .actual_access:  read_only
        .address_space:  global
        .offset:         8
        .size:           8
        .value_kind:     global_buffer
      - .actual_access:  read_only
        .address_space:  global
        .offset:         16
        .size:           8
        .value_kind:     global_buffer
      - .offset:         24
        .size:           4
        .value_kind:     by_value
      - .offset:         28
        .size:           4
        .value_kind:     by_value
      - .actual_access:  read_only
        .address_space:  global
        .offset:         32
        .size:           8
        .value_kind:     global_buffer
      - .actual_access:  read_only
        .address_space:  global
        .offset:         40
        .size:           8
        .value_kind:     global_buffer
      - .actual_access:  read_only
        .address_space:  global
        .offset:         48
        .size:           8
        .value_kind:     global_buffer
      - .offset:         56
        .size:           4
        .value_kind:     by_value
      - .actual_access:  read_only
        .address_space:  global
        .offset:         64
        .size:           8
        .value_kind:     global_buffer
      - .offset:         72
        .size:           4
        .value_kind:     by_value
      - .offset:         76
        .size:           4
        .value_kind:     by_value
      - .offset:         80
        .size:           4
        .value_kind:     by_value
      - .actual_access:  read_only
        .address_space:  global
        .offset:         88
        .size:           8
        .value_kind:     global_buffer
      - .actual_access:  read_only
        .address_space:  global
        .offset:         96
        .size:           8
        .value_kind:     global_buffer
      - .actual_access:  read_only
        .address_space:  global
        .offset:         104
        .size:           8
        .value_kind:     global_buffer
      - .actual_access:  read_only
        .address_space:  global
        .offset:         112
        .size:           8
        .value_kind:     global_buffer
      - .offset:         120
        .size:           4
        .value_kind:     by_value
      - .address_space:  global
        .offset:         128
        .size:           8
        .value_kind:     global_buffer
      - .address_space:  global
        .offset:         136
        .size:           8
        .value_kind:     global_buffer
      - .offset:         144
        .size:           4
        .value_kind:     hidden_block_count_x
      - .offset:         148
        .size:           4
        .value_kind:     hidden_block_count_y
      - .offset:         152
        .size:           4
        .value_kind:     hidden_block_count_z
      - .offset:         156
        .size:           2
        .value_kind:     hidden_group_size_x
      - .offset:         158
        .size:           2
        .value_kind:     hidden_group_size_y
      - .offset:         160
        .size:           2
        .value_kind:     hidden_group_size_z
      - .offset:         162
        .size:           2
        .value_kind:     hidden_remainder_x
      - .offset:         164
        .size:           2
        .value_kind:     hidden_remainder_y
      - .offset:         166
        .size:           2
        .value_kind:     hidden_remainder_z
      - .offset:         184
        .size:           8
        .value_kind:     hidden_global_offset_x
      - .offset:         192
        .size:           8
        .value_kind:     hidden_global_offset_y
      - .offset:         200
        .size:           8
        .value_kind:     hidden_global_offset_z
      - .offset:         208
        .size:           2
        .value_kind:     hidden_grid_dims
      - .offset:         224
        .size:           8
        .value_kind:     hidden_hostcall_buffer
    .group_segment_fixed_size: 0
    .kernarg_segment_align: 8
    .kernarg_segment_size: 400
    .language:       OpenCL C
    .language_version:
      - 2
      - 0
    .max_flat_workgroup_size: 256
    .name:           _Z39paged_attention_ll4mi_QKV_mfma16_kernelIDF16_DF16_LN4vllm18Fp8KVCacheDataTypeE0EhLi32ELi64ELi256ELb1ELi3EEvPKT_PKT0_S7_ifPKiS9_S9_iPKfiiiPfSC_PS2_PT2_iSB_SB_
    .private_segment_fixed_size: 64
    .sgpr_count:     36
    .sgpr_spill_count: 0
    .symbol:         _Z39paged_attention_ll4mi_QKV_mfma16_kernelIDF16_DF16_LN4vllm18Fp8KVCacheDataTypeE0EhLi32ELi64ELi256ELb1ELi3EEvPKT_PKT0_S7_ifPKiS9_S9_iPKfiiiPfSC_PS2_PT2_iSB_SB_.kd
    .uniform_work_group_size: 1
    .uses_dynamic_stack: false
    .vgpr_count:     51
    .vgpr_spill_count: 0
    .wavefront_size: 32
  - .args:
      - .actual_access:  read_only
        .address_space:  global
        .offset:         0
        .size:           8
        .value_kind:     global_buffer
      - .actual_access:  read_only
        .address_space:  global
        .offset:         8
        .size:           8
        .value_kind:     global_buffer
      - .actual_access:  read_only
        .address_space:  global
        .offset:         16
        .size:           8
        .value_kind:     global_buffer
      - .offset:         24
        .size:           4
        .value_kind:     by_value
      - .offset:         28
        .size:           4
        .value_kind:     by_value
      - .actual_access:  read_only
        .address_space:  global
        .offset:         32
        .size:           8
        .value_kind:     global_buffer
      - .actual_access:  read_only
        .address_space:  global
        .offset:         40
        .size:           8
        .value_kind:     global_buffer
      - .actual_access:  read_only
        .address_space:  global
        .offset:         48
        .size:           8
        .value_kind:     global_buffer
      - .offset:         56
        .size:           4
        .value_kind:     by_value
      - .actual_access:  read_only
        .address_space:  global
        .offset:         64
        .size:           8
        .value_kind:     global_buffer
      - .offset:         72
        .size:           4
        .value_kind:     by_value
      - .offset:         76
        .size:           4
        .value_kind:     by_value
      - .offset:         80
        .size:           4
        .value_kind:     by_value
      - .actual_access:  read_only
        .address_space:  global
        .offset:         88
        .size:           8
        .value_kind:     global_buffer
      - .actual_access:  read_only
        .address_space:  global
        .offset:         96
        .size:           8
        .value_kind:     global_buffer
      - .actual_access:  read_only
        .address_space:  global
        .offset:         104
        .size:           8
        .value_kind:     global_buffer
      - .actual_access:  read_only
        .address_space:  global
        .offset:         112
        .size:           8
        .value_kind:     global_buffer
      - .offset:         120
        .size:           4
        .value_kind:     by_value
      - .address_space:  global
        .offset:         128
        .size:           8
        .value_kind:     global_buffer
      - .address_space:  global
        .offset:         136
        .size:           8
        .value_kind:     global_buffer
      - .offset:         144
        .size:           4
        .value_kind:     hidden_block_count_x
      - .offset:         148
        .size:           4
        .value_kind:     hidden_block_count_y
      - .offset:         152
        .size:           4
        .value_kind:     hidden_block_count_z
      - .offset:         156
        .size:           2
        .value_kind:     hidden_group_size_x
      - .offset:         158
        .size:           2
        .value_kind:     hidden_group_size_y
      - .offset:         160
        .size:           2
        .value_kind:     hidden_group_size_z
      - .offset:         162
        .size:           2
        .value_kind:     hidden_remainder_x
      - .offset:         164
        .size:           2
        .value_kind:     hidden_remainder_y
      - .offset:         166
        .size:           2
        .value_kind:     hidden_remainder_z
      - .offset:         184
        .size:           8
        .value_kind:     hidden_global_offset_x
      - .offset:         192
        .size:           8
        .value_kind:     hidden_global_offset_y
      - .offset:         200
        .size:           8
        .value_kind:     hidden_global_offset_z
      - .offset:         208
        .size:           2
        .value_kind:     hidden_grid_dims
      - .offset:         224
        .size:           8
        .value_kind:     hidden_hostcall_buffer
    .group_segment_fixed_size: 0
    .kernarg_segment_align: 8
    .kernarg_segment_size: 400
    .language:       OpenCL C
    .language_version:
      - 2
      - 0
    .max_flat_workgroup_size: 256
    .name:           _Z39paged_attention_ll4mi_QKV_mfma16_kernelIDF16_DF16_LN4vllm18Fp8KVCacheDataTypeE0EhLi32ELi64ELi256ELb1ELi4EEvPKT_PKT0_S7_ifPKiS9_S9_iPKfiiiPfSC_PS2_PT2_iSB_SB_
    .private_segment_fixed_size: 64
    .sgpr_count:     36
    .sgpr_spill_count: 0
    .symbol:         _Z39paged_attention_ll4mi_QKV_mfma16_kernelIDF16_DF16_LN4vllm18Fp8KVCacheDataTypeE0EhLi32ELi64ELi256ELb1ELi4EEvPKT_PKT0_S7_ifPKiS9_S9_iPKfiiiPfSC_PS2_PT2_iSB_SB_.kd
    .uniform_work_group_size: 1
    .uses_dynamic_stack: false
    .vgpr_count:     51
    .vgpr_spill_count: 0
    .wavefront_size: 32
  - .args:
      - .actual_access:  read_only
        .address_space:  global
        .offset:         0
        .size:           8
        .value_kind:     global_buffer
      - .actual_access:  read_only
        .address_space:  global
        .offset:         8
        .size:           8
        .value_kind:     global_buffer
      - .actual_access:  read_only
        .address_space:  global
        .offset:         16
        .size:           8
        .value_kind:     global_buffer
      - .offset:         24
        .size:           4
        .value_kind:     by_value
      - .offset:         28
        .size:           4
        .value_kind:     by_value
      - .actual_access:  read_only
        .address_space:  global
        .offset:         32
        .size:           8
        .value_kind:     global_buffer
      - .actual_access:  read_only
        .address_space:  global
        .offset:         40
        .size:           8
        .value_kind:     global_buffer
      - .actual_access:  read_only
        .address_space:  global
        .offset:         48
        .size:           8
        .value_kind:     global_buffer
      - .offset:         56
        .size:           4
        .value_kind:     by_value
      - .actual_access:  read_only
        .address_space:  global
        .offset:         64
        .size:           8
        .value_kind:     global_buffer
      - .offset:         72
        .size:           4
        .value_kind:     by_value
      - .offset:         76
        .size:           4
        .value_kind:     by_value
      - .offset:         80
        .size:           4
        .value_kind:     by_value
      - .actual_access:  read_only
        .address_space:  global
        .offset:         88
        .size:           8
        .value_kind:     global_buffer
      - .actual_access:  read_only
        .address_space:  global
        .offset:         96
        .size:           8
        .value_kind:     global_buffer
      - .actual_access:  read_only
        .address_space:  global
        .offset:         104
        .size:           8
        .value_kind:     global_buffer
      - .actual_access:  read_only
        .address_space:  global
        .offset:         112
        .size:           8
        .value_kind:     global_buffer
      - .offset:         120
        .size:           4
        .value_kind:     by_value
      - .address_space:  global
        .offset:         128
        .size:           8
        .value_kind:     global_buffer
      - .address_space:  global
        .offset:         136
        .size:           8
        .value_kind:     global_buffer
      - .offset:         144
        .size:           4
        .value_kind:     hidden_block_count_x
      - .offset:         148
        .size:           4
        .value_kind:     hidden_block_count_y
      - .offset:         152
        .size:           4
        .value_kind:     hidden_block_count_z
      - .offset:         156
        .size:           2
        .value_kind:     hidden_group_size_x
      - .offset:         158
        .size:           2
        .value_kind:     hidden_group_size_y
      - .offset:         160
        .size:           2
        .value_kind:     hidden_group_size_z
      - .offset:         162
        .size:           2
        .value_kind:     hidden_remainder_x
      - .offset:         164
        .size:           2
        .value_kind:     hidden_remainder_y
      - .offset:         166
        .size:           2
        .value_kind:     hidden_remainder_z
      - .offset:         184
        .size:           8
        .value_kind:     hidden_global_offset_x
      - .offset:         192
        .size:           8
        .value_kind:     hidden_global_offset_y
      - .offset:         200
        .size:           8
        .value_kind:     hidden_global_offset_z
      - .offset:         208
        .size:           2
        .value_kind:     hidden_grid_dims
      - .offset:         224
        .size:           8
        .value_kind:     hidden_hostcall_buffer
    .group_segment_fixed_size: 0
    .kernarg_segment_align: 8
    .kernarg_segment_size: 400
    .language:       OpenCL C
    .language_version:
      - 2
      - 0
    .max_flat_workgroup_size: 256
    .name:           _Z38paged_attention_ll4mi_QKV_mfma4_kernelIDF16_DF16_LN4vllm18Fp8KVCacheDataTypeE0EhLi32ELi64ELi256ELb0ELi1EEvPKT_PKT0_S7_ifPKiS9_S9_iPKfiiiPfSC_PS2_PT2_iSB_SB_
    .private_segment_fixed_size: 64
    .sgpr_count:     36
    .sgpr_spill_count: 0
    .symbol:         _Z38paged_attention_ll4mi_QKV_mfma4_kernelIDF16_DF16_LN4vllm18Fp8KVCacheDataTypeE0EhLi32ELi64ELi256ELb0ELi1EEvPKT_PKT0_S7_ifPKiS9_S9_iPKfiiiPfSC_PS2_PT2_iSB_SB_.kd
    .uniform_work_group_size: 1
    .uses_dynamic_stack: false
    .vgpr_count:     51
    .vgpr_spill_count: 0
    .wavefront_size: 32
  - .args:
      - .actual_access:  read_only
        .address_space:  global
        .offset:         0
        .size:           8
        .value_kind:     global_buffer
      - .actual_access:  read_only
        .address_space:  global
        .offset:         8
        .size:           8
        .value_kind:     global_buffer
      - .actual_access:  read_only
        .address_space:  global
        .offset:         16
        .size:           8
        .value_kind:     global_buffer
      - .offset:         24
        .size:           4
        .value_kind:     by_value
      - .offset:         28
        .size:           4
        .value_kind:     by_value
      - .actual_access:  read_only
        .address_space:  global
        .offset:         32
        .size:           8
        .value_kind:     global_buffer
      - .actual_access:  read_only
        .address_space:  global
        .offset:         40
        .size:           8
        .value_kind:     global_buffer
      - .actual_access:  read_only
        .address_space:  global
        .offset:         48
        .size:           8
        .value_kind:     global_buffer
      - .offset:         56
        .size:           4
        .value_kind:     by_value
      - .actual_access:  read_only
        .address_space:  global
        .offset:         64
        .size:           8
        .value_kind:     global_buffer
      - .offset:         72
        .size:           4
        .value_kind:     by_value
      - .offset:         76
        .size:           4
        .value_kind:     by_value
      - .offset:         80
        .size:           4
        .value_kind:     by_value
      - .actual_access:  read_only
        .address_space:  global
        .offset:         88
        .size:           8
        .value_kind:     global_buffer
      - .actual_access:  read_only
        .address_space:  global
        .offset:         96
        .size:           8
        .value_kind:     global_buffer
      - .actual_access:  read_only
        .address_space:  global
        .offset:         104
        .size:           8
        .value_kind:     global_buffer
      - .actual_access:  read_only
        .address_space:  global
        .offset:         112
        .size:           8
        .value_kind:     global_buffer
      - .offset:         120
        .size:           4
        .value_kind:     by_value
      - .address_space:  global
        .offset:         128
        .size:           8
        .value_kind:     global_buffer
      - .address_space:  global
        .offset:         136
        .size:           8
        .value_kind:     global_buffer
      - .offset:         144
        .size:           4
        .value_kind:     hidden_block_count_x
      - .offset:         148
        .size:           4
        .value_kind:     hidden_block_count_y
      - .offset:         152
        .size:           4
        .value_kind:     hidden_block_count_z
      - .offset:         156
        .size:           2
        .value_kind:     hidden_group_size_x
      - .offset:         158
        .size:           2
        .value_kind:     hidden_group_size_y
      - .offset:         160
        .size:           2
        .value_kind:     hidden_group_size_z
      - .offset:         162
        .size:           2
        .value_kind:     hidden_remainder_x
      - .offset:         164
        .size:           2
        .value_kind:     hidden_remainder_y
      - .offset:         166
        .size:           2
        .value_kind:     hidden_remainder_z
      - .offset:         184
        .size:           8
        .value_kind:     hidden_global_offset_x
      - .offset:         192
        .size:           8
        .value_kind:     hidden_global_offset_y
      - .offset:         200
        .size:           8
        .value_kind:     hidden_global_offset_z
      - .offset:         208
        .size:           2
        .value_kind:     hidden_grid_dims
      - .offset:         224
        .size:           8
        .value_kind:     hidden_hostcall_buffer
    .group_segment_fixed_size: 0
    .kernarg_segment_align: 8
    .kernarg_segment_size: 400
    .language:       OpenCL C
    .language_version:
      - 2
      - 0
    .max_flat_workgroup_size: 256
    .name:           _Z38paged_attention_ll4mi_QKV_mfma4_kernelIDF16_DF16_LN4vllm18Fp8KVCacheDataTypeE0EhLi32ELi64ELi256ELb0ELi2EEvPKT_PKT0_S7_ifPKiS9_S9_iPKfiiiPfSC_PS2_PT2_iSB_SB_
    .private_segment_fixed_size: 64
    .sgpr_count:     36
    .sgpr_spill_count: 0
    .symbol:         _Z38paged_attention_ll4mi_QKV_mfma4_kernelIDF16_DF16_LN4vllm18Fp8KVCacheDataTypeE0EhLi32ELi64ELi256ELb0ELi2EEvPKT_PKT0_S7_ifPKiS9_S9_iPKfiiiPfSC_PS2_PT2_iSB_SB_.kd
    .uniform_work_group_size: 1
    .uses_dynamic_stack: false
    .vgpr_count:     51
    .vgpr_spill_count: 0
    .wavefront_size: 32
  - .args:
      - .actual_access:  read_only
        .address_space:  global
        .offset:         0
        .size:           8
        .value_kind:     global_buffer
      - .actual_access:  read_only
        .address_space:  global
        .offset:         8
        .size:           8
        .value_kind:     global_buffer
      - .actual_access:  read_only
        .address_space:  global
        .offset:         16
        .size:           8
        .value_kind:     global_buffer
      - .offset:         24
        .size:           4
        .value_kind:     by_value
      - .offset:         28
        .size:           4
        .value_kind:     by_value
      - .actual_access:  read_only
        .address_space:  global
        .offset:         32
        .size:           8
        .value_kind:     global_buffer
      - .actual_access:  read_only
        .address_space:  global
        .offset:         40
        .size:           8
        .value_kind:     global_buffer
      - .actual_access:  read_only
        .address_space:  global
        .offset:         48
        .size:           8
        .value_kind:     global_buffer
      - .offset:         56
        .size:           4
        .value_kind:     by_value
      - .actual_access:  read_only
        .address_space:  global
        .offset:         64
        .size:           8
        .value_kind:     global_buffer
      - .offset:         72
        .size:           4
        .value_kind:     by_value
      - .offset:         76
        .size:           4
        .value_kind:     by_value
      - .offset:         80
        .size:           4
        .value_kind:     by_value
      - .actual_access:  read_only
        .address_space:  global
        .offset:         88
        .size:           8
        .value_kind:     global_buffer
      - .actual_access:  read_only
        .address_space:  global
        .offset:         96
        .size:           8
        .value_kind:     global_buffer
      - .actual_access:  read_only
        .address_space:  global
        .offset:         104
        .size:           8
        .value_kind:     global_buffer
      - .actual_access:  read_only
        .address_space:  global
        .offset:         112
        .size:           8
        .value_kind:     global_buffer
      - .offset:         120
        .size:           4
        .value_kind:     by_value
      - .address_space:  global
        .offset:         128
        .size:           8
        .value_kind:     global_buffer
      - .address_space:  global
        .offset:         136
        .size:           8
        .value_kind:     global_buffer
      - .offset:         144
        .size:           4
        .value_kind:     hidden_block_count_x
      - .offset:         148
        .size:           4
        .value_kind:     hidden_block_count_y
      - .offset:         152
        .size:           4
        .value_kind:     hidden_block_count_z
      - .offset:         156
        .size:           2
        .value_kind:     hidden_group_size_x
      - .offset:         158
        .size:           2
        .value_kind:     hidden_group_size_y
      - .offset:         160
        .size:           2
        .value_kind:     hidden_group_size_z
      - .offset:         162
        .size:           2
        .value_kind:     hidden_remainder_x
      - .offset:         164
        .size:           2
        .value_kind:     hidden_remainder_y
      - .offset:         166
        .size:           2
        .value_kind:     hidden_remainder_z
      - .offset:         184
        .size:           8
        .value_kind:     hidden_global_offset_x
      - .offset:         192
        .size:           8
        .value_kind:     hidden_global_offset_y
      - .offset:         200
        .size:           8
        .value_kind:     hidden_global_offset_z
      - .offset:         208
        .size:           2
        .value_kind:     hidden_grid_dims
      - .offset:         224
        .size:           8
        .value_kind:     hidden_hostcall_buffer
    .group_segment_fixed_size: 0
    .kernarg_segment_align: 8
    .kernarg_segment_size: 400
    .language:       OpenCL C
    .language_version:
      - 2
      - 0
    .max_flat_workgroup_size: 256
    .name:           _Z38paged_attention_ll4mi_QKV_mfma4_kernelIDF16_DF16_LN4vllm18Fp8KVCacheDataTypeE0EhLi32ELi64ELi256ELb0ELi3EEvPKT_PKT0_S7_ifPKiS9_S9_iPKfiiiPfSC_PS2_PT2_iSB_SB_
    .private_segment_fixed_size: 64
    .sgpr_count:     36
    .sgpr_spill_count: 0
    .symbol:         _Z38paged_attention_ll4mi_QKV_mfma4_kernelIDF16_DF16_LN4vllm18Fp8KVCacheDataTypeE0EhLi32ELi64ELi256ELb0ELi3EEvPKT_PKT0_S7_ifPKiS9_S9_iPKfiiiPfSC_PS2_PT2_iSB_SB_.kd
    .uniform_work_group_size: 1
    .uses_dynamic_stack: false
    .vgpr_count:     51
    .vgpr_spill_count: 0
    .wavefront_size: 32
  - .args:
      - .actual_access:  read_only
        .address_space:  global
        .offset:         0
        .size:           8
        .value_kind:     global_buffer
      - .actual_access:  read_only
        .address_space:  global
        .offset:         8
        .size:           8
        .value_kind:     global_buffer
      - .actual_access:  read_only
        .address_space:  global
        .offset:         16
        .size:           8
        .value_kind:     global_buffer
      - .offset:         24
        .size:           4
        .value_kind:     by_value
      - .offset:         28
        .size:           4
        .value_kind:     by_value
      - .actual_access:  read_only
        .address_space:  global
        .offset:         32
        .size:           8
        .value_kind:     global_buffer
      - .actual_access:  read_only
        .address_space:  global
        .offset:         40
        .size:           8
        .value_kind:     global_buffer
      - .actual_access:  read_only
        .address_space:  global
        .offset:         48
        .size:           8
        .value_kind:     global_buffer
      - .offset:         56
        .size:           4
        .value_kind:     by_value
      - .actual_access:  read_only
        .address_space:  global
        .offset:         64
        .size:           8
        .value_kind:     global_buffer
      - .offset:         72
        .size:           4
        .value_kind:     by_value
      - .offset:         76
        .size:           4
        .value_kind:     by_value
      - .offset:         80
        .size:           4
        .value_kind:     by_value
      - .actual_access:  read_only
        .address_space:  global
        .offset:         88
        .size:           8
        .value_kind:     global_buffer
      - .actual_access:  read_only
        .address_space:  global
        .offset:         96
        .size:           8
        .value_kind:     global_buffer
      - .actual_access:  read_only
        .address_space:  global
        .offset:         104
        .size:           8
        .value_kind:     global_buffer
      - .actual_access:  read_only
        .address_space:  global
        .offset:         112
        .size:           8
        .value_kind:     global_buffer
      - .offset:         120
        .size:           4
        .value_kind:     by_value
      - .address_space:  global
        .offset:         128
        .size:           8
        .value_kind:     global_buffer
      - .address_space:  global
        .offset:         136
        .size:           8
        .value_kind:     global_buffer
      - .offset:         144
        .size:           4
        .value_kind:     hidden_block_count_x
      - .offset:         148
        .size:           4
        .value_kind:     hidden_block_count_y
      - .offset:         152
        .size:           4
        .value_kind:     hidden_block_count_z
      - .offset:         156
        .size:           2
        .value_kind:     hidden_group_size_x
      - .offset:         158
        .size:           2
        .value_kind:     hidden_group_size_y
      - .offset:         160
        .size:           2
        .value_kind:     hidden_group_size_z
      - .offset:         162
        .size:           2
        .value_kind:     hidden_remainder_x
      - .offset:         164
        .size:           2
        .value_kind:     hidden_remainder_y
      - .offset:         166
        .size:           2
        .value_kind:     hidden_remainder_z
      - .offset:         184
        .size:           8
        .value_kind:     hidden_global_offset_x
      - .offset:         192
        .size:           8
        .value_kind:     hidden_global_offset_y
      - .offset:         200
        .size:           8
        .value_kind:     hidden_global_offset_z
      - .offset:         208
        .size:           2
        .value_kind:     hidden_grid_dims
      - .offset:         224
        .size:           8
        .value_kind:     hidden_hostcall_buffer
    .group_segment_fixed_size: 0
    .kernarg_segment_align: 8
    .kernarg_segment_size: 400
    .language:       OpenCL C
    .language_version:
      - 2
      - 0
    .max_flat_workgroup_size: 256
    .name:           _Z38paged_attention_ll4mi_QKV_mfma4_kernelIDF16_DF16_LN4vllm18Fp8KVCacheDataTypeE0EhLi32ELi64ELi256ELb0ELi4EEvPKT_PKT0_S7_ifPKiS9_S9_iPKfiiiPfSC_PS2_PT2_iSB_SB_
    .private_segment_fixed_size: 64
    .sgpr_count:     36
    .sgpr_spill_count: 0
    .symbol:         _Z38paged_attention_ll4mi_QKV_mfma4_kernelIDF16_DF16_LN4vllm18Fp8KVCacheDataTypeE0EhLi32ELi64ELi256ELb0ELi4EEvPKT_PKT0_S7_ifPKiS9_S9_iPKfiiiPfSC_PS2_PT2_iSB_SB_.kd
    .uniform_work_group_size: 1
    .uses_dynamic_stack: false
    .vgpr_count:     51
    .vgpr_spill_count: 0
    .wavefront_size: 32
  - .args:
      - .actual_access:  read_only
        .address_space:  global
        .offset:         0
        .size:           8
        .value_kind:     global_buffer
      - .actual_access:  read_only
        .address_space:  global
        .offset:         8
        .size:           8
        .value_kind:     global_buffer
      - .actual_access:  read_only
        .address_space:  global
        .offset:         16
        .size:           8
        .value_kind:     global_buffer
      - .offset:         24
        .size:           4
        .value_kind:     by_value
      - .offset:         28
        .size:           4
        .value_kind:     by_value
      - .actual_access:  read_only
        .address_space:  global
        .offset:         32
        .size:           8
        .value_kind:     global_buffer
      - .actual_access:  read_only
        .address_space:  global
        .offset:         40
        .size:           8
        .value_kind:     global_buffer
      - .actual_access:  read_only
        .address_space:  global
        .offset:         48
        .size:           8
        .value_kind:     global_buffer
      - .offset:         56
        .size:           4
        .value_kind:     by_value
      - .actual_access:  read_only
        .address_space:  global
        .offset:         64
        .size:           8
        .value_kind:     global_buffer
      - .offset:         72
        .size:           4
        .value_kind:     by_value
      - .offset:         76
        .size:           4
        .value_kind:     by_value
      - .offset:         80
        .size:           4
        .value_kind:     by_value
      - .actual_access:  read_only
        .address_space:  global
        .offset:         88
        .size:           8
        .value_kind:     global_buffer
      - .actual_access:  read_only
        .address_space:  global
        .offset:         96
        .size:           8
        .value_kind:     global_buffer
      - .actual_access:  read_only
        .address_space:  global
        .offset:         104
        .size:           8
        .value_kind:     global_buffer
      - .actual_access:  read_only
        .address_space:  global
        .offset:         112
        .size:           8
        .value_kind:     global_buffer
      - .offset:         120
        .size:           4
        .value_kind:     by_value
      - .address_space:  global
        .offset:         128
        .size:           8
        .value_kind:     global_buffer
      - .address_space:  global
        .offset:         136
        .size:           8
        .value_kind:     global_buffer
      - .offset:         144
        .size:           4
        .value_kind:     hidden_block_count_x
      - .offset:         148
        .size:           4
        .value_kind:     hidden_block_count_y
      - .offset:         152
        .size:           4
        .value_kind:     hidden_block_count_z
      - .offset:         156
        .size:           2
        .value_kind:     hidden_group_size_x
      - .offset:         158
        .size:           2
        .value_kind:     hidden_group_size_y
      - .offset:         160
        .size:           2
        .value_kind:     hidden_group_size_z
      - .offset:         162
        .size:           2
        .value_kind:     hidden_remainder_x
      - .offset:         164
        .size:           2
        .value_kind:     hidden_remainder_y
      - .offset:         166
        .size:           2
        .value_kind:     hidden_remainder_z
      - .offset:         184
        .size:           8
        .value_kind:     hidden_global_offset_x
      - .offset:         192
        .size:           8
        .value_kind:     hidden_global_offset_y
      - .offset:         200
        .size:           8
        .value_kind:     hidden_global_offset_z
      - .offset:         208
        .size:           2
        .value_kind:     hidden_grid_dims
      - .offset:         224
        .size:           8
        .value_kind:     hidden_hostcall_buffer
    .group_segment_fixed_size: 0
    .kernarg_segment_align: 8
    .kernarg_segment_size: 400
    .language:       OpenCL C
    .language_version:
      - 2
      - 0
    .max_flat_workgroup_size: 256
    .name:           _Z39paged_attention_ll4mi_QKV_mfma16_kernelIDF16_DF16_LN4vllm18Fp8KVCacheDataTypeE0EhLi32ELi64ELi256ELb0ELi5EEvPKT_PKT0_S7_ifPKiS9_S9_iPKfiiiPfSC_PS2_PT2_iSB_SB_
    .private_segment_fixed_size: 64
    .sgpr_count:     36
    .sgpr_spill_count: 0
    .symbol:         _Z39paged_attention_ll4mi_QKV_mfma16_kernelIDF16_DF16_LN4vllm18Fp8KVCacheDataTypeE0EhLi32ELi64ELi256ELb0ELi5EEvPKT_PKT0_S7_ifPKiS9_S9_iPKfiiiPfSC_PS2_PT2_iSB_SB_.kd
    .uniform_work_group_size: 1
    .uses_dynamic_stack: false
    .vgpr_count:     51
    .vgpr_spill_count: 0
    .wavefront_size: 32
  - .args:
      - .actual_access:  read_only
        .address_space:  global
        .offset:         0
        .size:           8
        .value_kind:     global_buffer
      - .actual_access:  read_only
        .address_space:  global
        .offset:         8
        .size:           8
        .value_kind:     global_buffer
      - .actual_access:  read_only
        .address_space:  global
        .offset:         16
        .size:           8
        .value_kind:     global_buffer
      - .offset:         24
        .size:           4
        .value_kind:     by_value
      - .offset:         28
        .size:           4
        .value_kind:     by_value
      - .actual_access:  read_only
        .address_space:  global
        .offset:         32
        .size:           8
        .value_kind:     global_buffer
      - .actual_access:  read_only
        .address_space:  global
        .offset:         40
        .size:           8
        .value_kind:     global_buffer
      - .actual_access:  read_only
        .address_space:  global
        .offset:         48
        .size:           8
        .value_kind:     global_buffer
      - .offset:         56
        .size:           4
        .value_kind:     by_value
      - .actual_access:  read_only
        .address_space:  global
        .offset:         64
        .size:           8
        .value_kind:     global_buffer
      - .offset:         72
        .size:           4
        .value_kind:     by_value
      - .offset:         76
        .size:           4
        .value_kind:     by_value
      - .offset:         80
        .size:           4
        .value_kind:     by_value
      - .actual_access:  read_only
        .address_space:  global
        .offset:         88
        .size:           8
        .value_kind:     global_buffer
      - .actual_access:  read_only
        .address_space:  global
        .offset:         96
        .size:           8
        .value_kind:     global_buffer
      - .actual_access:  read_only
        .address_space:  global
        .offset:         104
        .size:           8
        .value_kind:     global_buffer
      - .actual_access:  read_only
        .address_space:  global
        .offset:         112
        .size:           8
        .value_kind:     global_buffer
      - .offset:         120
        .size:           4
        .value_kind:     by_value
      - .address_space:  global
        .offset:         128
        .size:           8
        .value_kind:     global_buffer
      - .address_space:  global
        .offset:         136
        .size:           8
        .value_kind:     global_buffer
      - .offset:         144
        .size:           4
        .value_kind:     hidden_block_count_x
      - .offset:         148
        .size:           4
        .value_kind:     hidden_block_count_y
      - .offset:         152
        .size:           4
        .value_kind:     hidden_block_count_z
      - .offset:         156
        .size:           2
        .value_kind:     hidden_group_size_x
      - .offset:         158
        .size:           2
        .value_kind:     hidden_group_size_y
      - .offset:         160
        .size:           2
        .value_kind:     hidden_group_size_z
      - .offset:         162
        .size:           2
        .value_kind:     hidden_remainder_x
      - .offset:         164
        .size:           2
        .value_kind:     hidden_remainder_y
      - .offset:         166
        .size:           2
        .value_kind:     hidden_remainder_z
      - .offset:         184
        .size:           8
        .value_kind:     hidden_global_offset_x
      - .offset:         192
        .size:           8
        .value_kind:     hidden_global_offset_y
      - .offset:         200
        .size:           8
        .value_kind:     hidden_global_offset_z
      - .offset:         208
        .size:           2
        .value_kind:     hidden_grid_dims
      - .offset:         224
        .size:           8
        .value_kind:     hidden_hostcall_buffer
    .group_segment_fixed_size: 0
    .kernarg_segment_align: 8
    .kernarg_segment_size: 400
    .language:       OpenCL C
    .language_version:
      - 2
      - 0
    .max_flat_workgroup_size: 256
    .name:           _Z39paged_attention_ll4mi_QKV_mfma16_kernelIDF16_DF16_LN4vllm18Fp8KVCacheDataTypeE0EhLi32ELi64ELi256ELb0ELi6EEvPKT_PKT0_S7_ifPKiS9_S9_iPKfiiiPfSC_PS2_PT2_iSB_SB_
    .private_segment_fixed_size: 64
    .sgpr_count:     36
    .sgpr_spill_count: 0
    .symbol:         _Z39paged_attention_ll4mi_QKV_mfma16_kernelIDF16_DF16_LN4vllm18Fp8KVCacheDataTypeE0EhLi32ELi64ELi256ELb0ELi6EEvPKT_PKT0_S7_ifPKiS9_S9_iPKfiiiPfSC_PS2_PT2_iSB_SB_.kd
    .uniform_work_group_size: 1
    .uses_dynamic_stack: false
    .vgpr_count:     51
    .vgpr_spill_count: 0
    .wavefront_size: 32
  - .args:
      - .actual_access:  read_only
        .address_space:  global
        .offset:         0
        .size:           8
        .value_kind:     global_buffer
      - .actual_access:  read_only
        .address_space:  global
        .offset:         8
        .size:           8
        .value_kind:     global_buffer
      - .actual_access:  read_only
        .address_space:  global
        .offset:         16
        .size:           8
        .value_kind:     global_buffer
      - .offset:         24
        .size:           4
        .value_kind:     by_value
      - .offset:         28
        .size:           4
        .value_kind:     by_value
      - .actual_access:  read_only
        .address_space:  global
        .offset:         32
        .size:           8
        .value_kind:     global_buffer
      - .actual_access:  read_only
        .address_space:  global
        .offset:         40
        .size:           8
        .value_kind:     global_buffer
      - .actual_access:  read_only
        .address_space:  global
        .offset:         48
        .size:           8
        .value_kind:     global_buffer
      - .offset:         56
        .size:           4
        .value_kind:     by_value
      - .actual_access:  read_only
        .address_space:  global
        .offset:         64
        .size:           8
        .value_kind:     global_buffer
      - .offset:         72
        .size:           4
        .value_kind:     by_value
      - .offset:         76
        .size:           4
        .value_kind:     by_value
      - .offset:         80
        .size:           4
        .value_kind:     by_value
      - .actual_access:  read_only
        .address_space:  global
        .offset:         88
        .size:           8
        .value_kind:     global_buffer
      - .actual_access:  read_only
        .address_space:  global
        .offset:         96
        .size:           8
        .value_kind:     global_buffer
      - .actual_access:  read_only
        .address_space:  global
        .offset:         104
        .size:           8
        .value_kind:     global_buffer
      - .actual_access:  read_only
        .address_space:  global
        .offset:         112
        .size:           8
        .value_kind:     global_buffer
      - .offset:         120
        .size:           4
        .value_kind:     by_value
      - .address_space:  global
        .offset:         128
        .size:           8
        .value_kind:     global_buffer
      - .address_space:  global
        .offset:         136
        .size:           8
        .value_kind:     global_buffer
      - .offset:         144
        .size:           4
        .value_kind:     hidden_block_count_x
      - .offset:         148
        .size:           4
        .value_kind:     hidden_block_count_y
      - .offset:         152
        .size:           4
        .value_kind:     hidden_block_count_z
      - .offset:         156
        .size:           2
        .value_kind:     hidden_group_size_x
      - .offset:         158
        .size:           2
        .value_kind:     hidden_group_size_y
      - .offset:         160
        .size:           2
        .value_kind:     hidden_group_size_z
      - .offset:         162
        .size:           2
        .value_kind:     hidden_remainder_x
      - .offset:         164
        .size:           2
        .value_kind:     hidden_remainder_y
      - .offset:         166
        .size:           2
        .value_kind:     hidden_remainder_z
      - .offset:         184
        .size:           8
        .value_kind:     hidden_global_offset_x
      - .offset:         192
        .size:           8
        .value_kind:     hidden_global_offset_y
      - .offset:         200
        .size:           8
        .value_kind:     hidden_global_offset_z
      - .offset:         208
        .size:           2
        .value_kind:     hidden_grid_dims
      - .offset:         224
        .size:           8
        .value_kind:     hidden_hostcall_buffer
    .group_segment_fixed_size: 0
    .kernarg_segment_align: 8
    .kernarg_segment_size: 400
    .language:       OpenCL C
    .language_version:
      - 2
      - 0
    .max_flat_workgroup_size: 256
    .name:           _Z39paged_attention_ll4mi_QKV_mfma16_kernelIDF16_DF16_LN4vllm18Fp8KVCacheDataTypeE0EhLi32ELi64ELi256ELb0ELi7EEvPKT_PKT0_S7_ifPKiS9_S9_iPKfiiiPfSC_PS2_PT2_iSB_SB_
    .private_segment_fixed_size: 64
    .sgpr_count:     36
    .sgpr_spill_count: 0
    .symbol:         _Z39paged_attention_ll4mi_QKV_mfma16_kernelIDF16_DF16_LN4vllm18Fp8KVCacheDataTypeE0EhLi32ELi64ELi256ELb0ELi7EEvPKT_PKT0_S7_ifPKiS9_S9_iPKfiiiPfSC_PS2_PT2_iSB_SB_.kd
    .uniform_work_group_size: 1
    .uses_dynamic_stack: false
    .vgpr_count:     51
    .vgpr_spill_count: 0
    .wavefront_size: 32
  - .args:
      - .actual_access:  read_only
        .address_space:  global
        .offset:         0
        .size:           8
        .value_kind:     global_buffer
      - .actual_access:  read_only
        .address_space:  global
        .offset:         8
        .size:           8
        .value_kind:     global_buffer
      - .actual_access:  read_only
        .address_space:  global
        .offset:         16
        .size:           8
        .value_kind:     global_buffer
      - .offset:         24
        .size:           4
        .value_kind:     by_value
      - .offset:         28
        .size:           4
        .value_kind:     by_value
      - .actual_access:  read_only
        .address_space:  global
        .offset:         32
        .size:           8
        .value_kind:     global_buffer
      - .actual_access:  read_only
        .address_space:  global
        .offset:         40
        .size:           8
        .value_kind:     global_buffer
      - .actual_access:  read_only
        .address_space:  global
        .offset:         48
        .size:           8
        .value_kind:     global_buffer
      - .offset:         56
        .size:           4
        .value_kind:     by_value
      - .actual_access:  read_only
        .address_space:  global
        .offset:         64
        .size:           8
        .value_kind:     global_buffer
      - .offset:         72
        .size:           4
        .value_kind:     by_value
      - .offset:         76
        .size:           4
        .value_kind:     by_value
      - .offset:         80
        .size:           4
        .value_kind:     by_value
      - .actual_access:  read_only
        .address_space:  global
        .offset:         88
        .size:           8
        .value_kind:     global_buffer
      - .actual_access:  read_only
        .address_space:  global
        .offset:         96
        .size:           8
        .value_kind:     global_buffer
      - .actual_access:  read_only
        .address_space:  global
        .offset:         104
        .size:           8
        .value_kind:     global_buffer
      - .actual_access:  read_only
        .address_space:  global
        .offset:         112
        .size:           8
        .value_kind:     global_buffer
      - .offset:         120
        .size:           4
        .value_kind:     by_value
      - .address_space:  global
        .offset:         128
        .size:           8
        .value_kind:     global_buffer
      - .address_space:  global
        .offset:         136
        .size:           8
        .value_kind:     global_buffer
      - .offset:         144
        .size:           4
        .value_kind:     hidden_block_count_x
      - .offset:         148
        .size:           4
        .value_kind:     hidden_block_count_y
      - .offset:         152
        .size:           4
        .value_kind:     hidden_block_count_z
      - .offset:         156
        .size:           2
        .value_kind:     hidden_group_size_x
      - .offset:         158
        .size:           2
        .value_kind:     hidden_group_size_y
      - .offset:         160
        .size:           2
        .value_kind:     hidden_group_size_z
      - .offset:         162
        .size:           2
        .value_kind:     hidden_remainder_x
      - .offset:         164
        .size:           2
        .value_kind:     hidden_remainder_y
      - .offset:         166
        .size:           2
        .value_kind:     hidden_remainder_z
      - .offset:         184
        .size:           8
        .value_kind:     hidden_global_offset_x
      - .offset:         192
        .size:           8
        .value_kind:     hidden_global_offset_y
      - .offset:         200
        .size:           8
        .value_kind:     hidden_global_offset_z
      - .offset:         208
        .size:           2
        .value_kind:     hidden_grid_dims
      - .offset:         224
        .size:           8
        .value_kind:     hidden_hostcall_buffer
    .group_segment_fixed_size: 0
    .kernarg_segment_align: 8
    .kernarg_segment_size: 400
    .language:       OpenCL C
    .language_version:
      - 2
      - 0
    .max_flat_workgroup_size: 256
    .name:           _Z39paged_attention_ll4mi_QKV_mfma16_kernelIDF16_DF16_LN4vllm18Fp8KVCacheDataTypeE0EhLi32ELi64ELi256ELb0ELi8EEvPKT_PKT0_S7_ifPKiS9_S9_iPKfiiiPfSC_PS2_PT2_iSB_SB_
    .private_segment_fixed_size: 64
    .sgpr_count:     36
    .sgpr_spill_count: 0
    .symbol:         _Z39paged_attention_ll4mi_QKV_mfma16_kernelIDF16_DF16_LN4vllm18Fp8KVCacheDataTypeE0EhLi32ELi64ELi256ELb0ELi8EEvPKT_PKT0_S7_ifPKiS9_S9_iPKfiiiPfSC_PS2_PT2_iSB_SB_.kd
    .uniform_work_group_size: 1
    .uses_dynamic_stack: false
    .vgpr_count:     51
    .vgpr_spill_count: 0
    .wavefront_size: 32
  - .args:
      - .actual_access:  read_only
        .address_space:  global
        .offset:         0
        .size:           8
        .value_kind:     global_buffer
      - .actual_access:  read_only
        .address_space:  global
        .offset:         8
        .size:           8
        .value_kind:     global_buffer
      - .actual_access:  read_only
        .address_space:  global
        .offset:         16
        .size:           8
        .value_kind:     global_buffer
      - .offset:         24
        .size:           4
        .value_kind:     by_value
      - .offset:         28
        .size:           4
        .value_kind:     by_value
      - .actual_access:  read_only
        .address_space:  global
        .offset:         32
        .size:           8
        .value_kind:     global_buffer
      - .actual_access:  read_only
        .address_space:  global
        .offset:         40
        .size:           8
        .value_kind:     global_buffer
      - .actual_access:  read_only
        .address_space:  global
        .offset:         48
        .size:           8
        .value_kind:     global_buffer
      - .offset:         56
        .size:           4
        .value_kind:     by_value
      - .actual_access:  read_only
        .address_space:  global
        .offset:         64
        .size:           8
        .value_kind:     global_buffer
      - .offset:         72
        .size:           4
        .value_kind:     by_value
      - .offset:         76
        .size:           4
        .value_kind:     by_value
      - .offset:         80
        .size:           4
        .value_kind:     by_value
      - .actual_access:  read_only
        .address_space:  global
        .offset:         88
        .size:           8
        .value_kind:     global_buffer
      - .actual_access:  read_only
        .address_space:  global
        .offset:         96
        .size:           8
        .value_kind:     global_buffer
      - .actual_access:  read_only
        .address_space:  global
        .offset:         104
        .size:           8
        .value_kind:     global_buffer
      - .actual_access:  read_only
        .address_space:  global
        .offset:         112
        .size:           8
        .value_kind:     global_buffer
      - .offset:         120
        .size:           4
        .value_kind:     by_value
      - .address_space:  global
        .offset:         128
        .size:           8
        .value_kind:     global_buffer
      - .address_space:  global
        .offset:         136
        .size:           8
        .value_kind:     global_buffer
      - .offset:         144
        .size:           4
        .value_kind:     hidden_block_count_x
      - .offset:         148
        .size:           4
        .value_kind:     hidden_block_count_y
      - .offset:         152
        .size:           4
        .value_kind:     hidden_block_count_z
      - .offset:         156
        .size:           2
        .value_kind:     hidden_group_size_x
      - .offset:         158
        .size:           2
        .value_kind:     hidden_group_size_y
      - .offset:         160
        .size:           2
        .value_kind:     hidden_group_size_z
      - .offset:         162
        .size:           2
        .value_kind:     hidden_remainder_x
      - .offset:         164
        .size:           2
        .value_kind:     hidden_remainder_y
      - .offset:         166
        .size:           2
        .value_kind:     hidden_remainder_z
      - .offset:         184
        .size:           8
        .value_kind:     hidden_global_offset_x
      - .offset:         192
        .size:           8
        .value_kind:     hidden_global_offset_y
      - .offset:         200
        .size:           8
        .value_kind:     hidden_global_offset_z
      - .offset:         208
        .size:           2
        .value_kind:     hidden_grid_dims
      - .offset:         224
        .size:           8
        .value_kind:     hidden_hostcall_buffer
    .group_segment_fixed_size: 0
    .kernarg_segment_align: 8
    .kernarg_segment_size: 400
    .language:       OpenCL C
    .language_version:
      - 2
      - 0
    .max_flat_workgroup_size: 256
    .name:           _Z39paged_attention_ll4mi_QKV_mfma16_kernelIDF16_DF16_LN4vllm18Fp8KVCacheDataTypeE0EhLi32ELi64ELi256ELb0ELi9EEvPKT_PKT0_S7_ifPKiS9_S9_iPKfiiiPfSC_PS2_PT2_iSB_SB_
    .private_segment_fixed_size: 64
    .sgpr_count:     36
    .sgpr_spill_count: 0
    .symbol:         _Z39paged_attention_ll4mi_QKV_mfma16_kernelIDF16_DF16_LN4vllm18Fp8KVCacheDataTypeE0EhLi32ELi64ELi256ELb0ELi9EEvPKT_PKT0_S7_ifPKiS9_S9_iPKfiiiPfSC_PS2_PT2_iSB_SB_.kd
    .uniform_work_group_size: 1
    .uses_dynamic_stack: false
    .vgpr_count:     51
    .vgpr_spill_count: 0
    .wavefront_size: 32
  - .args:
      - .actual_access:  read_only
        .address_space:  global
        .offset:         0
        .size:           8
        .value_kind:     global_buffer
      - .actual_access:  read_only
        .address_space:  global
        .offset:         8
        .size:           8
        .value_kind:     global_buffer
      - .actual_access:  read_only
        .address_space:  global
        .offset:         16
        .size:           8
        .value_kind:     global_buffer
      - .offset:         24
        .size:           4
        .value_kind:     by_value
      - .offset:         28
        .size:           4
        .value_kind:     by_value
      - .actual_access:  read_only
        .address_space:  global
        .offset:         32
        .size:           8
        .value_kind:     global_buffer
      - .actual_access:  read_only
        .address_space:  global
        .offset:         40
        .size:           8
        .value_kind:     global_buffer
      - .actual_access:  read_only
        .address_space:  global
        .offset:         48
        .size:           8
        .value_kind:     global_buffer
      - .offset:         56
        .size:           4
        .value_kind:     by_value
      - .actual_access:  read_only
        .address_space:  global
        .offset:         64
        .size:           8
        .value_kind:     global_buffer
      - .offset:         72
        .size:           4
        .value_kind:     by_value
      - .offset:         76
        .size:           4
        .value_kind:     by_value
      - .offset:         80
        .size:           4
        .value_kind:     by_value
      - .actual_access:  read_only
        .address_space:  global
        .offset:         88
        .size:           8
        .value_kind:     global_buffer
      - .actual_access:  read_only
        .address_space:  global
        .offset:         96
        .size:           8
        .value_kind:     global_buffer
      - .actual_access:  read_only
        .address_space:  global
        .offset:         104
        .size:           8
        .value_kind:     global_buffer
      - .actual_access:  read_only
        .address_space:  global
        .offset:         112
        .size:           8
        .value_kind:     global_buffer
      - .offset:         120
        .size:           4
        .value_kind:     by_value
      - .address_space:  global
        .offset:         128
        .size:           8
        .value_kind:     global_buffer
      - .address_space:  global
        .offset:         136
        .size:           8
        .value_kind:     global_buffer
      - .offset:         144
        .size:           4
        .value_kind:     hidden_block_count_x
      - .offset:         148
        .size:           4
        .value_kind:     hidden_block_count_y
      - .offset:         152
        .size:           4
        .value_kind:     hidden_block_count_z
      - .offset:         156
        .size:           2
        .value_kind:     hidden_group_size_x
      - .offset:         158
        .size:           2
        .value_kind:     hidden_group_size_y
      - .offset:         160
        .size:           2
        .value_kind:     hidden_group_size_z
      - .offset:         162
        .size:           2
        .value_kind:     hidden_remainder_x
      - .offset:         164
        .size:           2
        .value_kind:     hidden_remainder_y
      - .offset:         166
        .size:           2
        .value_kind:     hidden_remainder_z
      - .offset:         184
        .size:           8
        .value_kind:     hidden_global_offset_x
      - .offset:         192
        .size:           8
        .value_kind:     hidden_global_offset_y
      - .offset:         200
        .size:           8
        .value_kind:     hidden_global_offset_z
      - .offset:         208
        .size:           2
        .value_kind:     hidden_grid_dims
      - .offset:         224
        .size:           8
        .value_kind:     hidden_hostcall_buffer
    .group_segment_fixed_size: 0
    .kernarg_segment_align: 8
    .kernarg_segment_size: 400
    .language:       OpenCL C
    .language_version:
      - 2
      - 0
    .max_flat_workgroup_size: 256
    .name:           _Z39paged_attention_ll4mi_QKV_mfma16_kernelIDF16_DF16_LN4vllm18Fp8KVCacheDataTypeE0EhLi32ELi64ELi256ELb0ELi10EEvPKT_PKT0_S7_ifPKiS9_S9_iPKfiiiPfSC_PS2_PT2_iSB_SB_
    .private_segment_fixed_size: 64
    .sgpr_count:     36
    .sgpr_spill_count: 0
    .symbol:         _Z39paged_attention_ll4mi_QKV_mfma16_kernelIDF16_DF16_LN4vllm18Fp8KVCacheDataTypeE0EhLi32ELi64ELi256ELb0ELi10EEvPKT_PKT0_S7_ifPKiS9_S9_iPKfiiiPfSC_PS2_PT2_iSB_SB_.kd
    .uniform_work_group_size: 1
    .uses_dynamic_stack: false
    .vgpr_count:     51
    .vgpr_spill_count: 0
    .wavefront_size: 32
  - .args:
      - .actual_access:  read_only
        .address_space:  global
        .offset:         0
        .size:           8
        .value_kind:     global_buffer
      - .actual_access:  read_only
        .address_space:  global
        .offset:         8
        .size:           8
        .value_kind:     global_buffer
      - .actual_access:  read_only
        .address_space:  global
        .offset:         16
        .size:           8
        .value_kind:     global_buffer
      - .offset:         24
        .size:           4
        .value_kind:     by_value
      - .offset:         28
        .size:           4
        .value_kind:     by_value
      - .actual_access:  read_only
        .address_space:  global
        .offset:         32
        .size:           8
        .value_kind:     global_buffer
      - .actual_access:  read_only
        .address_space:  global
        .offset:         40
        .size:           8
        .value_kind:     global_buffer
      - .actual_access:  read_only
        .address_space:  global
        .offset:         48
        .size:           8
        .value_kind:     global_buffer
      - .offset:         56
        .size:           4
        .value_kind:     by_value
      - .actual_access:  read_only
        .address_space:  global
        .offset:         64
        .size:           8
        .value_kind:     global_buffer
      - .offset:         72
        .size:           4
        .value_kind:     by_value
      - .offset:         76
        .size:           4
        .value_kind:     by_value
      - .offset:         80
        .size:           4
        .value_kind:     by_value
      - .actual_access:  read_only
        .address_space:  global
        .offset:         88
        .size:           8
        .value_kind:     global_buffer
      - .actual_access:  read_only
        .address_space:  global
        .offset:         96
        .size:           8
        .value_kind:     global_buffer
      - .actual_access:  read_only
        .address_space:  global
        .offset:         104
        .size:           8
        .value_kind:     global_buffer
      - .actual_access:  read_only
        .address_space:  global
        .offset:         112
        .size:           8
        .value_kind:     global_buffer
      - .offset:         120
        .size:           4
        .value_kind:     by_value
      - .address_space:  global
        .offset:         128
        .size:           8
        .value_kind:     global_buffer
      - .address_space:  global
        .offset:         136
        .size:           8
        .value_kind:     global_buffer
      - .offset:         144
        .size:           4
        .value_kind:     hidden_block_count_x
      - .offset:         148
        .size:           4
        .value_kind:     hidden_block_count_y
      - .offset:         152
        .size:           4
        .value_kind:     hidden_block_count_z
      - .offset:         156
        .size:           2
        .value_kind:     hidden_group_size_x
      - .offset:         158
        .size:           2
        .value_kind:     hidden_group_size_y
      - .offset:         160
        .size:           2
        .value_kind:     hidden_group_size_z
      - .offset:         162
        .size:           2
        .value_kind:     hidden_remainder_x
      - .offset:         164
        .size:           2
        .value_kind:     hidden_remainder_y
      - .offset:         166
        .size:           2
        .value_kind:     hidden_remainder_z
      - .offset:         184
        .size:           8
        .value_kind:     hidden_global_offset_x
      - .offset:         192
        .size:           8
        .value_kind:     hidden_global_offset_y
      - .offset:         200
        .size:           8
        .value_kind:     hidden_global_offset_z
      - .offset:         208
        .size:           2
        .value_kind:     hidden_grid_dims
      - .offset:         224
        .size:           8
        .value_kind:     hidden_hostcall_buffer
    .group_segment_fixed_size: 0
    .kernarg_segment_align: 8
    .kernarg_segment_size: 400
    .language:       OpenCL C
    .language_version:
      - 2
      - 0
    .max_flat_workgroup_size: 256
    .name:           _Z39paged_attention_ll4mi_QKV_mfma16_kernelIDF16_DF16_LN4vllm18Fp8KVCacheDataTypeE0EhLi32ELi64ELi256ELb0ELi11EEvPKT_PKT0_S7_ifPKiS9_S9_iPKfiiiPfSC_PS2_PT2_iSB_SB_
    .private_segment_fixed_size: 64
    .sgpr_count:     36
    .sgpr_spill_count: 0
    .symbol:         _Z39paged_attention_ll4mi_QKV_mfma16_kernelIDF16_DF16_LN4vllm18Fp8KVCacheDataTypeE0EhLi32ELi64ELi256ELb0ELi11EEvPKT_PKT0_S7_ifPKiS9_S9_iPKfiiiPfSC_PS2_PT2_iSB_SB_.kd
    .uniform_work_group_size: 1
    .uses_dynamic_stack: false
    .vgpr_count:     51
    .vgpr_spill_count: 0
    .wavefront_size: 32
  - .args:
      - .actual_access:  read_only
        .address_space:  global
        .offset:         0
        .size:           8
        .value_kind:     global_buffer
      - .actual_access:  read_only
        .address_space:  global
        .offset:         8
        .size:           8
        .value_kind:     global_buffer
      - .actual_access:  read_only
        .address_space:  global
        .offset:         16
        .size:           8
        .value_kind:     global_buffer
      - .offset:         24
        .size:           4
        .value_kind:     by_value
      - .offset:         28
        .size:           4
        .value_kind:     by_value
      - .actual_access:  read_only
        .address_space:  global
        .offset:         32
        .size:           8
        .value_kind:     global_buffer
      - .actual_access:  read_only
        .address_space:  global
        .offset:         40
        .size:           8
        .value_kind:     global_buffer
      - .actual_access:  read_only
        .address_space:  global
        .offset:         48
        .size:           8
        .value_kind:     global_buffer
      - .offset:         56
        .size:           4
        .value_kind:     by_value
      - .actual_access:  read_only
        .address_space:  global
        .offset:         64
        .size:           8
        .value_kind:     global_buffer
      - .offset:         72
        .size:           4
        .value_kind:     by_value
      - .offset:         76
        .size:           4
        .value_kind:     by_value
      - .offset:         80
        .size:           4
        .value_kind:     by_value
      - .actual_access:  read_only
        .address_space:  global
        .offset:         88
        .size:           8
        .value_kind:     global_buffer
      - .actual_access:  read_only
        .address_space:  global
        .offset:         96
        .size:           8
        .value_kind:     global_buffer
      - .actual_access:  read_only
        .address_space:  global
        .offset:         104
        .size:           8
        .value_kind:     global_buffer
      - .actual_access:  read_only
        .address_space:  global
        .offset:         112
        .size:           8
        .value_kind:     global_buffer
      - .offset:         120
        .size:           4
        .value_kind:     by_value
      - .address_space:  global
        .offset:         128
        .size:           8
        .value_kind:     global_buffer
      - .address_space:  global
        .offset:         136
        .size:           8
        .value_kind:     global_buffer
      - .offset:         144
        .size:           4
        .value_kind:     hidden_block_count_x
      - .offset:         148
        .size:           4
        .value_kind:     hidden_block_count_y
      - .offset:         152
        .size:           4
        .value_kind:     hidden_block_count_z
      - .offset:         156
        .size:           2
        .value_kind:     hidden_group_size_x
      - .offset:         158
        .size:           2
        .value_kind:     hidden_group_size_y
      - .offset:         160
        .size:           2
        .value_kind:     hidden_group_size_z
      - .offset:         162
        .size:           2
        .value_kind:     hidden_remainder_x
      - .offset:         164
        .size:           2
        .value_kind:     hidden_remainder_y
      - .offset:         166
        .size:           2
        .value_kind:     hidden_remainder_z
      - .offset:         184
        .size:           8
        .value_kind:     hidden_global_offset_x
      - .offset:         192
        .size:           8
        .value_kind:     hidden_global_offset_y
      - .offset:         200
        .size:           8
        .value_kind:     hidden_global_offset_z
      - .offset:         208
        .size:           2
        .value_kind:     hidden_grid_dims
      - .offset:         224
        .size:           8
        .value_kind:     hidden_hostcall_buffer
    .group_segment_fixed_size: 0
    .kernarg_segment_align: 8
    .kernarg_segment_size: 400
    .language:       OpenCL C
    .language_version:
      - 2
      - 0
    .max_flat_workgroup_size: 256
    .name:           _Z39paged_attention_ll4mi_QKV_mfma16_kernelIDF16_DF16_LN4vllm18Fp8KVCacheDataTypeE0EhLi32ELi64ELi256ELb0ELi12EEvPKT_PKT0_S7_ifPKiS9_S9_iPKfiiiPfSC_PS2_PT2_iSB_SB_
    .private_segment_fixed_size: 64
    .sgpr_count:     36
    .sgpr_spill_count: 0
    .symbol:         _Z39paged_attention_ll4mi_QKV_mfma16_kernelIDF16_DF16_LN4vllm18Fp8KVCacheDataTypeE0EhLi32ELi64ELi256ELb0ELi12EEvPKT_PKT0_S7_ifPKiS9_S9_iPKfiiiPfSC_PS2_PT2_iSB_SB_.kd
    .uniform_work_group_size: 1
    .uses_dynamic_stack: false
    .vgpr_count:     51
    .vgpr_spill_count: 0
    .wavefront_size: 32
  - .args:
      - .actual_access:  read_only
        .address_space:  global
        .offset:         0
        .size:           8
        .value_kind:     global_buffer
      - .actual_access:  read_only
        .address_space:  global
        .offset:         8
        .size:           8
        .value_kind:     global_buffer
      - .actual_access:  read_only
        .address_space:  global
        .offset:         16
        .size:           8
        .value_kind:     global_buffer
      - .offset:         24
        .size:           4
        .value_kind:     by_value
      - .offset:         28
        .size:           4
        .value_kind:     by_value
      - .actual_access:  read_only
        .address_space:  global
        .offset:         32
        .size:           8
        .value_kind:     global_buffer
      - .actual_access:  read_only
        .address_space:  global
        .offset:         40
        .size:           8
        .value_kind:     global_buffer
      - .actual_access:  read_only
        .address_space:  global
        .offset:         48
        .size:           8
        .value_kind:     global_buffer
      - .offset:         56
        .size:           4
        .value_kind:     by_value
      - .actual_access:  read_only
        .address_space:  global
        .offset:         64
        .size:           8
        .value_kind:     global_buffer
      - .offset:         72
        .size:           4
        .value_kind:     by_value
      - .offset:         76
        .size:           4
        .value_kind:     by_value
      - .offset:         80
        .size:           4
        .value_kind:     by_value
      - .actual_access:  read_only
        .address_space:  global
        .offset:         88
        .size:           8
        .value_kind:     global_buffer
      - .actual_access:  read_only
        .address_space:  global
        .offset:         96
        .size:           8
        .value_kind:     global_buffer
      - .actual_access:  read_only
        .address_space:  global
        .offset:         104
        .size:           8
        .value_kind:     global_buffer
      - .actual_access:  read_only
        .address_space:  global
        .offset:         112
        .size:           8
        .value_kind:     global_buffer
      - .offset:         120
        .size:           4
        .value_kind:     by_value
      - .address_space:  global
        .offset:         128
        .size:           8
        .value_kind:     global_buffer
      - .address_space:  global
        .offset:         136
        .size:           8
        .value_kind:     global_buffer
      - .offset:         144
        .size:           4
        .value_kind:     hidden_block_count_x
      - .offset:         148
        .size:           4
        .value_kind:     hidden_block_count_y
      - .offset:         152
        .size:           4
        .value_kind:     hidden_block_count_z
      - .offset:         156
        .size:           2
        .value_kind:     hidden_group_size_x
      - .offset:         158
        .size:           2
        .value_kind:     hidden_group_size_y
      - .offset:         160
        .size:           2
        .value_kind:     hidden_group_size_z
      - .offset:         162
        .size:           2
        .value_kind:     hidden_remainder_x
      - .offset:         164
        .size:           2
        .value_kind:     hidden_remainder_y
      - .offset:         166
        .size:           2
        .value_kind:     hidden_remainder_z
      - .offset:         184
        .size:           8
        .value_kind:     hidden_global_offset_x
      - .offset:         192
        .size:           8
        .value_kind:     hidden_global_offset_y
      - .offset:         200
        .size:           8
        .value_kind:     hidden_global_offset_z
      - .offset:         208
        .size:           2
        .value_kind:     hidden_grid_dims
      - .offset:         224
        .size:           8
        .value_kind:     hidden_hostcall_buffer
    .group_segment_fixed_size: 0
    .kernarg_segment_align: 8
    .kernarg_segment_size: 400
    .language:       OpenCL C
    .language_version:
      - 2
      - 0
    .max_flat_workgroup_size: 256
    .name:           _Z39paged_attention_ll4mi_QKV_mfma16_kernelIDF16_DF16_LN4vllm18Fp8KVCacheDataTypeE0EhLi32ELi64ELi256ELb0ELi13EEvPKT_PKT0_S7_ifPKiS9_S9_iPKfiiiPfSC_PS2_PT2_iSB_SB_
    .private_segment_fixed_size: 64
    .sgpr_count:     36
    .sgpr_spill_count: 0
    .symbol:         _Z39paged_attention_ll4mi_QKV_mfma16_kernelIDF16_DF16_LN4vllm18Fp8KVCacheDataTypeE0EhLi32ELi64ELi256ELb0ELi13EEvPKT_PKT0_S7_ifPKiS9_S9_iPKfiiiPfSC_PS2_PT2_iSB_SB_.kd
    .uniform_work_group_size: 1
    .uses_dynamic_stack: false
    .vgpr_count:     51
    .vgpr_spill_count: 0
    .wavefront_size: 32
  - .args:
      - .actual_access:  read_only
        .address_space:  global
        .offset:         0
        .size:           8
        .value_kind:     global_buffer
      - .actual_access:  read_only
        .address_space:  global
        .offset:         8
        .size:           8
        .value_kind:     global_buffer
      - .actual_access:  read_only
        .address_space:  global
        .offset:         16
        .size:           8
        .value_kind:     global_buffer
      - .offset:         24
        .size:           4
        .value_kind:     by_value
      - .offset:         28
        .size:           4
        .value_kind:     by_value
      - .actual_access:  read_only
        .address_space:  global
        .offset:         32
        .size:           8
        .value_kind:     global_buffer
      - .actual_access:  read_only
        .address_space:  global
        .offset:         40
        .size:           8
        .value_kind:     global_buffer
      - .actual_access:  read_only
        .address_space:  global
        .offset:         48
        .size:           8
        .value_kind:     global_buffer
      - .offset:         56
        .size:           4
        .value_kind:     by_value
      - .actual_access:  read_only
        .address_space:  global
        .offset:         64
        .size:           8
        .value_kind:     global_buffer
      - .offset:         72
        .size:           4
        .value_kind:     by_value
      - .offset:         76
        .size:           4
        .value_kind:     by_value
      - .offset:         80
        .size:           4
        .value_kind:     by_value
      - .actual_access:  read_only
        .address_space:  global
        .offset:         88
        .size:           8
        .value_kind:     global_buffer
      - .actual_access:  read_only
        .address_space:  global
        .offset:         96
        .size:           8
        .value_kind:     global_buffer
      - .actual_access:  read_only
        .address_space:  global
        .offset:         104
        .size:           8
        .value_kind:     global_buffer
      - .actual_access:  read_only
        .address_space:  global
        .offset:         112
        .size:           8
        .value_kind:     global_buffer
      - .offset:         120
        .size:           4
        .value_kind:     by_value
      - .address_space:  global
        .offset:         128
        .size:           8
        .value_kind:     global_buffer
      - .address_space:  global
        .offset:         136
        .size:           8
        .value_kind:     global_buffer
      - .offset:         144
        .size:           4
        .value_kind:     hidden_block_count_x
      - .offset:         148
        .size:           4
        .value_kind:     hidden_block_count_y
      - .offset:         152
        .size:           4
        .value_kind:     hidden_block_count_z
      - .offset:         156
        .size:           2
        .value_kind:     hidden_group_size_x
      - .offset:         158
        .size:           2
        .value_kind:     hidden_group_size_y
      - .offset:         160
        .size:           2
        .value_kind:     hidden_group_size_z
      - .offset:         162
        .size:           2
        .value_kind:     hidden_remainder_x
      - .offset:         164
        .size:           2
        .value_kind:     hidden_remainder_y
      - .offset:         166
        .size:           2
        .value_kind:     hidden_remainder_z
      - .offset:         184
        .size:           8
        .value_kind:     hidden_global_offset_x
      - .offset:         192
        .size:           8
        .value_kind:     hidden_global_offset_y
      - .offset:         200
        .size:           8
        .value_kind:     hidden_global_offset_z
      - .offset:         208
        .size:           2
        .value_kind:     hidden_grid_dims
      - .offset:         224
        .size:           8
        .value_kind:     hidden_hostcall_buffer
    .group_segment_fixed_size: 0
    .kernarg_segment_align: 8
    .kernarg_segment_size: 400
    .language:       OpenCL C
    .language_version:
      - 2
      - 0
    .max_flat_workgroup_size: 256
    .name:           _Z39paged_attention_ll4mi_QKV_mfma16_kernelIDF16_DF16_LN4vllm18Fp8KVCacheDataTypeE0EhLi32ELi64ELi256ELb0ELi14EEvPKT_PKT0_S7_ifPKiS9_S9_iPKfiiiPfSC_PS2_PT2_iSB_SB_
    .private_segment_fixed_size: 64
    .sgpr_count:     36
    .sgpr_spill_count: 0
    .symbol:         _Z39paged_attention_ll4mi_QKV_mfma16_kernelIDF16_DF16_LN4vllm18Fp8KVCacheDataTypeE0EhLi32ELi64ELi256ELb0ELi14EEvPKT_PKT0_S7_ifPKiS9_S9_iPKfiiiPfSC_PS2_PT2_iSB_SB_.kd
    .uniform_work_group_size: 1
    .uses_dynamic_stack: false
    .vgpr_count:     51
    .vgpr_spill_count: 0
    .wavefront_size: 32
  - .args:
      - .actual_access:  read_only
        .address_space:  global
        .offset:         0
        .size:           8
        .value_kind:     global_buffer
      - .actual_access:  read_only
        .address_space:  global
        .offset:         8
        .size:           8
        .value_kind:     global_buffer
      - .actual_access:  read_only
        .address_space:  global
        .offset:         16
        .size:           8
        .value_kind:     global_buffer
      - .offset:         24
        .size:           4
        .value_kind:     by_value
      - .offset:         28
        .size:           4
        .value_kind:     by_value
      - .actual_access:  read_only
        .address_space:  global
        .offset:         32
        .size:           8
        .value_kind:     global_buffer
      - .actual_access:  read_only
        .address_space:  global
        .offset:         40
        .size:           8
        .value_kind:     global_buffer
      - .actual_access:  read_only
        .address_space:  global
        .offset:         48
        .size:           8
        .value_kind:     global_buffer
      - .offset:         56
        .size:           4
        .value_kind:     by_value
      - .actual_access:  read_only
        .address_space:  global
        .offset:         64
        .size:           8
        .value_kind:     global_buffer
      - .offset:         72
        .size:           4
        .value_kind:     by_value
      - .offset:         76
        .size:           4
        .value_kind:     by_value
      - .offset:         80
        .size:           4
        .value_kind:     by_value
      - .actual_access:  read_only
        .address_space:  global
        .offset:         88
        .size:           8
        .value_kind:     global_buffer
      - .actual_access:  read_only
        .address_space:  global
        .offset:         96
        .size:           8
        .value_kind:     global_buffer
      - .actual_access:  read_only
        .address_space:  global
        .offset:         104
        .size:           8
        .value_kind:     global_buffer
      - .actual_access:  read_only
        .address_space:  global
        .offset:         112
        .size:           8
        .value_kind:     global_buffer
      - .offset:         120
        .size:           4
        .value_kind:     by_value
      - .address_space:  global
        .offset:         128
        .size:           8
        .value_kind:     global_buffer
      - .address_space:  global
        .offset:         136
        .size:           8
        .value_kind:     global_buffer
      - .offset:         144
        .size:           4
        .value_kind:     hidden_block_count_x
      - .offset:         148
        .size:           4
        .value_kind:     hidden_block_count_y
      - .offset:         152
        .size:           4
        .value_kind:     hidden_block_count_z
      - .offset:         156
        .size:           2
        .value_kind:     hidden_group_size_x
      - .offset:         158
        .size:           2
        .value_kind:     hidden_group_size_y
      - .offset:         160
        .size:           2
        .value_kind:     hidden_group_size_z
      - .offset:         162
        .size:           2
        .value_kind:     hidden_remainder_x
      - .offset:         164
        .size:           2
        .value_kind:     hidden_remainder_y
      - .offset:         166
        .size:           2
        .value_kind:     hidden_remainder_z
      - .offset:         184
        .size:           8
        .value_kind:     hidden_global_offset_x
      - .offset:         192
        .size:           8
        .value_kind:     hidden_global_offset_y
      - .offset:         200
        .size:           8
        .value_kind:     hidden_global_offset_z
      - .offset:         208
        .size:           2
        .value_kind:     hidden_grid_dims
      - .offset:         224
        .size:           8
        .value_kind:     hidden_hostcall_buffer
    .group_segment_fixed_size: 0
    .kernarg_segment_align: 8
    .kernarg_segment_size: 400
    .language:       OpenCL C
    .language_version:
      - 2
      - 0
    .max_flat_workgroup_size: 256
    .name:           _Z39paged_attention_ll4mi_QKV_mfma16_kernelIDF16_DF16_LN4vllm18Fp8KVCacheDataTypeE0EhLi32ELi64ELi256ELb0ELi15EEvPKT_PKT0_S7_ifPKiS9_S9_iPKfiiiPfSC_PS2_PT2_iSB_SB_
    .private_segment_fixed_size: 64
    .sgpr_count:     36
    .sgpr_spill_count: 0
    .symbol:         _Z39paged_attention_ll4mi_QKV_mfma16_kernelIDF16_DF16_LN4vllm18Fp8KVCacheDataTypeE0EhLi32ELi64ELi256ELb0ELi15EEvPKT_PKT0_S7_ifPKiS9_S9_iPKfiiiPfSC_PS2_PT2_iSB_SB_.kd
    .uniform_work_group_size: 1
    .uses_dynamic_stack: false
    .vgpr_count:     51
    .vgpr_spill_count: 0
    .wavefront_size: 32
  - .args:
      - .actual_access:  read_only
        .address_space:  global
        .offset:         0
        .size:           8
        .value_kind:     global_buffer
      - .actual_access:  read_only
        .address_space:  global
        .offset:         8
        .size:           8
        .value_kind:     global_buffer
      - .actual_access:  read_only
        .address_space:  global
        .offset:         16
        .size:           8
        .value_kind:     global_buffer
      - .offset:         24
        .size:           4
        .value_kind:     by_value
      - .offset:         28
        .size:           4
        .value_kind:     by_value
      - .actual_access:  read_only
        .address_space:  global
        .offset:         32
        .size:           8
        .value_kind:     global_buffer
      - .actual_access:  read_only
        .address_space:  global
        .offset:         40
        .size:           8
        .value_kind:     global_buffer
      - .actual_access:  read_only
        .address_space:  global
        .offset:         48
        .size:           8
        .value_kind:     global_buffer
      - .offset:         56
        .size:           4
        .value_kind:     by_value
      - .actual_access:  read_only
        .address_space:  global
        .offset:         64
        .size:           8
        .value_kind:     global_buffer
      - .offset:         72
        .size:           4
        .value_kind:     by_value
      - .offset:         76
        .size:           4
        .value_kind:     by_value
      - .offset:         80
        .size:           4
        .value_kind:     by_value
      - .actual_access:  read_only
        .address_space:  global
        .offset:         88
        .size:           8
        .value_kind:     global_buffer
      - .actual_access:  read_only
        .address_space:  global
        .offset:         96
        .size:           8
        .value_kind:     global_buffer
      - .actual_access:  read_only
        .address_space:  global
        .offset:         104
        .size:           8
        .value_kind:     global_buffer
      - .actual_access:  read_only
        .address_space:  global
        .offset:         112
        .size:           8
        .value_kind:     global_buffer
      - .offset:         120
        .size:           4
        .value_kind:     by_value
      - .address_space:  global
        .offset:         128
        .size:           8
        .value_kind:     global_buffer
      - .address_space:  global
        .offset:         136
        .size:           8
        .value_kind:     global_buffer
      - .offset:         144
        .size:           4
        .value_kind:     hidden_block_count_x
      - .offset:         148
        .size:           4
        .value_kind:     hidden_block_count_y
      - .offset:         152
        .size:           4
        .value_kind:     hidden_block_count_z
      - .offset:         156
        .size:           2
        .value_kind:     hidden_group_size_x
      - .offset:         158
        .size:           2
        .value_kind:     hidden_group_size_y
      - .offset:         160
        .size:           2
        .value_kind:     hidden_group_size_z
      - .offset:         162
        .size:           2
        .value_kind:     hidden_remainder_x
      - .offset:         164
        .size:           2
        .value_kind:     hidden_remainder_y
      - .offset:         166
        .size:           2
        .value_kind:     hidden_remainder_z
      - .offset:         184
        .size:           8
        .value_kind:     hidden_global_offset_x
      - .offset:         192
        .size:           8
        .value_kind:     hidden_global_offset_y
      - .offset:         200
        .size:           8
        .value_kind:     hidden_global_offset_z
      - .offset:         208
        .size:           2
        .value_kind:     hidden_grid_dims
      - .offset:         224
        .size:           8
        .value_kind:     hidden_hostcall_buffer
    .group_segment_fixed_size: 0
    .kernarg_segment_align: 8
    .kernarg_segment_size: 400
    .language:       OpenCL C
    .language_version:
      - 2
      - 0
    .max_flat_workgroup_size: 256
    .name:           _Z39paged_attention_ll4mi_QKV_mfma16_kernelIDF16_DF16_LN4vllm18Fp8KVCacheDataTypeE0EhLi32ELi64ELi256ELb0ELi16EEvPKT_PKT0_S7_ifPKiS9_S9_iPKfiiiPfSC_PS2_PT2_iSB_SB_
    .private_segment_fixed_size: 64
    .sgpr_count:     36
    .sgpr_spill_count: 0
    .symbol:         _Z39paged_attention_ll4mi_QKV_mfma16_kernelIDF16_DF16_LN4vllm18Fp8KVCacheDataTypeE0EhLi32ELi64ELi256ELb0ELi16EEvPKT_PKT0_S7_ifPKiS9_S9_iPKfiiiPfSC_PS2_PT2_iSB_SB_.kd
    .uniform_work_group_size: 1
    .uses_dynamic_stack: false
    .vgpr_count:     51
    .vgpr_spill_count: 0
    .wavefront_size: 32
  - .args:
      - .actual_access:  read_only
        .address_space:  global
        .offset:         0
        .size:           8
        .value_kind:     global_buffer
      - .actual_access:  read_only
        .address_space:  global
        .offset:         8
        .size:           8
        .value_kind:     global_buffer
      - .actual_access:  read_only
        .address_space:  global
        .offset:         16
        .size:           8
        .value_kind:     global_buffer
      - .offset:         24
        .size:           4
        .value_kind:     by_value
      - .offset:         28
        .size:           4
        .value_kind:     by_value
      - .actual_access:  read_only
        .address_space:  global
        .offset:         32
        .size:           8
        .value_kind:     global_buffer
      - .actual_access:  read_only
        .address_space:  global
        .offset:         40
        .size:           8
        .value_kind:     global_buffer
      - .actual_access:  read_only
        .address_space:  global
        .offset:         48
        .size:           8
        .value_kind:     global_buffer
      - .offset:         56
        .size:           4
        .value_kind:     by_value
      - .actual_access:  read_only
        .address_space:  global
        .offset:         64
        .size:           8
        .value_kind:     global_buffer
      - .offset:         72
        .size:           4
        .value_kind:     by_value
      - .offset:         76
        .size:           4
        .value_kind:     by_value
      - .offset:         80
        .size:           4
        .value_kind:     by_value
      - .actual_access:  read_only
        .address_space:  global
        .offset:         88
        .size:           8
        .value_kind:     global_buffer
      - .actual_access:  read_only
        .address_space:  global
        .offset:         96
        .size:           8
        .value_kind:     global_buffer
      - .actual_access:  read_only
        .address_space:  global
        .offset:         104
        .size:           8
        .value_kind:     global_buffer
      - .actual_access:  read_only
        .address_space:  global
        .offset:         112
        .size:           8
        .value_kind:     global_buffer
      - .offset:         120
        .size:           4
        .value_kind:     by_value
      - .address_space:  global
        .offset:         128
        .size:           8
        .value_kind:     global_buffer
      - .address_space:  global
        .offset:         136
        .size:           8
        .value_kind:     global_buffer
      - .offset:         144
        .size:           4
        .value_kind:     hidden_block_count_x
      - .offset:         148
        .size:           4
        .value_kind:     hidden_block_count_y
      - .offset:         152
        .size:           4
        .value_kind:     hidden_block_count_z
      - .offset:         156
        .size:           2
        .value_kind:     hidden_group_size_x
      - .offset:         158
        .size:           2
        .value_kind:     hidden_group_size_y
      - .offset:         160
        .size:           2
        .value_kind:     hidden_group_size_z
      - .offset:         162
        .size:           2
        .value_kind:     hidden_remainder_x
      - .offset:         164
        .size:           2
        .value_kind:     hidden_remainder_y
      - .offset:         166
        .size:           2
        .value_kind:     hidden_remainder_z
      - .offset:         184
        .size:           8
        .value_kind:     hidden_global_offset_x
      - .offset:         192
        .size:           8
        .value_kind:     hidden_global_offset_y
      - .offset:         200
        .size:           8
        .value_kind:     hidden_global_offset_z
      - .offset:         208
        .size:           2
        .value_kind:     hidden_grid_dims
      - .offset:         224
        .size:           8
        .value_kind:     hidden_hostcall_buffer
    .group_segment_fixed_size: 0
    .kernarg_segment_align: 8
    .kernarg_segment_size: 400
    .language:       OpenCL C
    .language_version:
      - 2
      - 0
    .max_flat_workgroup_size: 256
    .name:           _Z39paged_attention_ll4mi_QKV_mfma16_kernelIDF16_DF16_LN4vllm18Fp8KVCacheDataTypeE0EhLi32ELi64ELi256ELb0ELi1EEvPKT_PKT0_S7_ifPKiS9_S9_iPKfiiiPfSC_PS2_PT2_iSB_SB_
    .private_segment_fixed_size: 64
    .sgpr_count:     36
    .sgpr_spill_count: 0
    .symbol:         _Z39paged_attention_ll4mi_QKV_mfma16_kernelIDF16_DF16_LN4vllm18Fp8KVCacheDataTypeE0EhLi32ELi64ELi256ELb0ELi1EEvPKT_PKT0_S7_ifPKiS9_S9_iPKfiiiPfSC_PS2_PT2_iSB_SB_.kd
    .uniform_work_group_size: 1
    .uses_dynamic_stack: false
    .vgpr_count:     51
    .vgpr_spill_count: 0
    .wavefront_size: 32
  - .args:
      - .actual_access:  read_only
        .address_space:  global
        .offset:         0
        .size:           8
        .value_kind:     global_buffer
      - .actual_access:  read_only
        .address_space:  global
        .offset:         8
        .size:           8
        .value_kind:     global_buffer
      - .actual_access:  read_only
        .address_space:  global
        .offset:         16
        .size:           8
        .value_kind:     global_buffer
      - .offset:         24
        .size:           4
        .value_kind:     by_value
      - .offset:         28
        .size:           4
        .value_kind:     by_value
      - .actual_access:  read_only
        .address_space:  global
        .offset:         32
        .size:           8
        .value_kind:     global_buffer
      - .actual_access:  read_only
        .address_space:  global
        .offset:         40
        .size:           8
        .value_kind:     global_buffer
      - .actual_access:  read_only
        .address_space:  global
        .offset:         48
        .size:           8
        .value_kind:     global_buffer
      - .offset:         56
        .size:           4
        .value_kind:     by_value
      - .actual_access:  read_only
        .address_space:  global
        .offset:         64
        .size:           8
        .value_kind:     global_buffer
      - .offset:         72
        .size:           4
        .value_kind:     by_value
      - .offset:         76
        .size:           4
        .value_kind:     by_value
      - .offset:         80
        .size:           4
        .value_kind:     by_value
      - .actual_access:  read_only
        .address_space:  global
        .offset:         88
        .size:           8
        .value_kind:     global_buffer
      - .actual_access:  read_only
        .address_space:  global
        .offset:         96
        .size:           8
        .value_kind:     global_buffer
      - .actual_access:  read_only
        .address_space:  global
        .offset:         104
        .size:           8
        .value_kind:     global_buffer
      - .actual_access:  read_only
        .address_space:  global
        .offset:         112
        .size:           8
        .value_kind:     global_buffer
      - .offset:         120
        .size:           4
        .value_kind:     by_value
      - .address_space:  global
        .offset:         128
        .size:           8
        .value_kind:     global_buffer
      - .address_space:  global
        .offset:         136
        .size:           8
        .value_kind:     global_buffer
      - .offset:         144
        .size:           4
        .value_kind:     hidden_block_count_x
      - .offset:         148
        .size:           4
        .value_kind:     hidden_block_count_y
      - .offset:         152
        .size:           4
        .value_kind:     hidden_block_count_z
      - .offset:         156
        .size:           2
        .value_kind:     hidden_group_size_x
      - .offset:         158
        .size:           2
        .value_kind:     hidden_group_size_y
      - .offset:         160
        .size:           2
        .value_kind:     hidden_group_size_z
      - .offset:         162
        .size:           2
        .value_kind:     hidden_remainder_x
      - .offset:         164
        .size:           2
        .value_kind:     hidden_remainder_y
      - .offset:         166
        .size:           2
        .value_kind:     hidden_remainder_z
      - .offset:         184
        .size:           8
        .value_kind:     hidden_global_offset_x
      - .offset:         192
        .size:           8
        .value_kind:     hidden_global_offset_y
      - .offset:         200
        .size:           8
        .value_kind:     hidden_global_offset_z
      - .offset:         208
        .size:           2
        .value_kind:     hidden_grid_dims
      - .offset:         224
        .size:           8
        .value_kind:     hidden_hostcall_buffer
    .group_segment_fixed_size: 0
    .kernarg_segment_align: 8
    .kernarg_segment_size: 400
    .language:       OpenCL C
    .language_version:
      - 2
      - 0
    .max_flat_workgroup_size: 256
    .name:           _Z39paged_attention_ll4mi_QKV_mfma16_kernelIDF16_DF16_LN4vllm18Fp8KVCacheDataTypeE0EhLi32ELi64ELi256ELb0ELi2EEvPKT_PKT0_S7_ifPKiS9_S9_iPKfiiiPfSC_PS2_PT2_iSB_SB_
    .private_segment_fixed_size: 64
    .sgpr_count:     36
    .sgpr_spill_count: 0
    .symbol:         _Z39paged_attention_ll4mi_QKV_mfma16_kernelIDF16_DF16_LN4vllm18Fp8KVCacheDataTypeE0EhLi32ELi64ELi256ELb0ELi2EEvPKT_PKT0_S7_ifPKiS9_S9_iPKfiiiPfSC_PS2_PT2_iSB_SB_.kd
    .uniform_work_group_size: 1
    .uses_dynamic_stack: false
    .vgpr_count:     51
    .vgpr_spill_count: 0
    .wavefront_size: 32
  - .args:
      - .actual_access:  read_only
        .address_space:  global
        .offset:         0
        .size:           8
        .value_kind:     global_buffer
      - .actual_access:  read_only
        .address_space:  global
        .offset:         8
        .size:           8
        .value_kind:     global_buffer
      - .actual_access:  read_only
        .address_space:  global
        .offset:         16
        .size:           8
        .value_kind:     global_buffer
      - .offset:         24
        .size:           4
        .value_kind:     by_value
      - .offset:         28
        .size:           4
        .value_kind:     by_value
      - .actual_access:  read_only
        .address_space:  global
        .offset:         32
        .size:           8
        .value_kind:     global_buffer
      - .actual_access:  read_only
        .address_space:  global
        .offset:         40
        .size:           8
        .value_kind:     global_buffer
      - .actual_access:  read_only
        .address_space:  global
        .offset:         48
        .size:           8
        .value_kind:     global_buffer
      - .offset:         56
        .size:           4
        .value_kind:     by_value
      - .actual_access:  read_only
        .address_space:  global
        .offset:         64
        .size:           8
        .value_kind:     global_buffer
      - .offset:         72
        .size:           4
        .value_kind:     by_value
      - .offset:         76
        .size:           4
        .value_kind:     by_value
      - .offset:         80
        .size:           4
        .value_kind:     by_value
      - .actual_access:  read_only
        .address_space:  global
        .offset:         88
        .size:           8
        .value_kind:     global_buffer
      - .actual_access:  read_only
        .address_space:  global
        .offset:         96
        .size:           8
        .value_kind:     global_buffer
      - .actual_access:  read_only
        .address_space:  global
        .offset:         104
        .size:           8
        .value_kind:     global_buffer
      - .actual_access:  read_only
        .address_space:  global
        .offset:         112
        .size:           8
        .value_kind:     global_buffer
      - .offset:         120
        .size:           4
        .value_kind:     by_value
      - .address_space:  global
        .offset:         128
        .size:           8
        .value_kind:     global_buffer
      - .address_space:  global
        .offset:         136
        .size:           8
        .value_kind:     global_buffer
      - .offset:         144
        .size:           4
        .value_kind:     hidden_block_count_x
      - .offset:         148
        .size:           4
        .value_kind:     hidden_block_count_y
      - .offset:         152
        .size:           4
        .value_kind:     hidden_block_count_z
      - .offset:         156
        .size:           2
        .value_kind:     hidden_group_size_x
      - .offset:         158
        .size:           2
        .value_kind:     hidden_group_size_y
      - .offset:         160
        .size:           2
        .value_kind:     hidden_group_size_z
      - .offset:         162
        .size:           2
        .value_kind:     hidden_remainder_x
      - .offset:         164
        .size:           2
        .value_kind:     hidden_remainder_y
      - .offset:         166
        .size:           2
        .value_kind:     hidden_remainder_z
      - .offset:         184
        .size:           8
        .value_kind:     hidden_global_offset_x
      - .offset:         192
        .size:           8
        .value_kind:     hidden_global_offset_y
      - .offset:         200
        .size:           8
        .value_kind:     hidden_global_offset_z
      - .offset:         208
        .size:           2
        .value_kind:     hidden_grid_dims
      - .offset:         224
        .size:           8
        .value_kind:     hidden_hostcall_buffer
    .group_segment_fixed_size: 0
    .kernarg_segment_align: 8
    .kernarg_segment_size: 400
    .language:       OpenCL C
    .language_version:
      - 2
      - 0
    .max_flat_workgroup_size: 256
    .name:           _Z39paged_attention_ll4mi_QKV_mfma16_kernelIDF16_DF16_LN4vllm18Fp8KVCacheDataTypeE0EhLi32ELi64ELi256ELb0ELi3EEvPKT_PKT0_S7_ifPKiS9_S9_iPKfiiiPfSC_PS2_PT2_iSB_SB_
    .private_segment_fixed_size: 64
    .sgpr_count:     36
    .sgpr_spill_count: 0
    .symbol:         _Z39paged_attention_ll4mi_QKV_mfma16_kernelIDF16_DF16_LN4vllm18Fp8KVCacheDataTypeE0EhLi32ELi64ELi256ELb0ELi3EEvPKT_PKT0_S7_ifPKiS9_S9_iPKfiiiPfSC_PS2_PT2_iSB_SB_.kd
    .uniform_work_group_size: 1
    .uses_dynamic_stack: false
    .vgpr_count:     51
    .vgpr_spill_count: 0
    .wavefront_size: 32
  - .args:
      - .actual_access:  read_only
        .address_space:  global
        .offset:         0
        .size:           8
        .value_kind:     global_buffer
      - .actual_access:  read_only
        .address_space:  global
        .offset:         8
        .size:           8
        .value_kind:     global_buffer
      - .actual_access:  read_only
        .address_space:  global
        .offset:         16
        .size:           8
        .value_kind:     global_buffer
      - .offset:         24
        .size:           4
        .value_kind:     by_value
      - .offset:         28
        .size:           4
        .value_kind:     by_value
      - .actual_access:  read_only
        .address_space:  global
        .offset:         32
        .size:           8
        .value_kind:     global_buffer
      - .actual_access:  read_only
        .address_space:  global
        .offset:         40
        .size:           8
        .value_kind:     global_buffer
      - .actual_access:  read_only
        .address_space:  global
        .offset:         48
        .size:           8
        .value_kind:     global_buffer
      - .offset:         56
        .size:           4
        .value_kind:     by_value
      - .actual_access:  read_only
        .address_space:  global
        .offset:         64
        .size:           8
        .value_kind:     global_buffer
      - .offset:         72
        .size:           4
        .value_kind:     by_value
      - .offset:         76
        .size:           4
        .value_kind:     by_value
      - .offset:         80
        .size:           4
        .value_kind:     by_value
      - .actual_access:  read_only
        .address_space:  global
        .offset:         88
        .size:           8
        .value_kind:     global_buffer
      - .actual_access:  read_only
        .address_space:  global
        .offset:         96
        .size:           8
        .value_kind:     global_buffer
      - .actual_access:  read_only
        .address_space:  global
        .offset:         104
        .size:           8
        .value_kind:     global_buffer
      - .actual_access:  read_only
        .address_space:  global
        .offset:         112
        .size:           8
        .value_kind:     global_buffer
      - .offset:         120
        .size:           4
        .value_kind:     by_value
      - .address_space:  global
        .offset:         128
        .size:           8
        .value_kind:     global_buffer
      - .address_space:  global
        .offset:         136
        .size:           8
        .value_kind:     global_buffer
      - .offset:         144
        .size:           4
        .value_kind:     hidden_block_count_x
      - .offset:         148
        .size:           4
        .value_kind:     hidden_block_count_y
      - .offset:         152
        .size:           4
        .value_kind:     hidden_block_count_z
      - .offset:         156
        .size:           2
        .value_kind:     hidden_group_size_x
      - .offset:         158
        .size:           2
        .value_kind:     hidden_group_size_y
      - .offset:         160
        .size:           2
        .value_kind:     hidden_group_size_z
      - .offset:         162
        .size:           2
        .value_kind:     hidden_remainder_x
      - .offset:         164
        .size:           2
        .value_kind:     hidden_remainder_y
      - .offset:         166
        .size:           2
        .value_kind:     hidden_remainder_z
      - .offset:         184
        .size:           8
        .value_kind:     hidden_global_offset_x
      - .offset:         192
        .size:           8
        .value_kind:     hidden_global_offset_y
      - .offset:         200
        .size:           8
        .value_kind:     hidden_global_offset_z
      - .offset:         208
        .size:           2
        .value_kind:     hidden_grid_dims
      - .offset:         224
        .size:           8
        .value_kind:     hidden_hostcall_buffer
    .group_segment_fixed_size: 0
    .kernarg_segment_align: 8
    .kernarg_segment_size: 400
    .language:       OpenCL C
    .language_version:
      - 2
      - 0
    .max_flat_workgroup_size: 256
    .name:           _Z39paged_attention_ll4mi_QKV_mfma16_kernelIDF16_DF16_LN4vllm18Fp8KVCacheDataTypeE0EhLi32ELi64ELi256ELb0ELi4EEvPKT_PKT0_S7_ifPKiS9_S9_iPKfiiiPfSC_PS2_PT2_iSB_SB_
    .private_segment_fixed_size: 64
    .sgpr_count:     36
    .sgpr_spill_count: 0
    .symbol:         _Z39paged_attention_ll4mi_QKV_mfma16_kernelIDF16_DF16_LN4vllm18Fp8KVCacheDataTypeE0EhLi32ELi64ELi256ELb0ELi4EEvPKT_PKT0_S7_ifPKiS9_S9_iPKfiiiPfSC_PS2_PT2_iSB_SB_.kd
    .uniform_work_group_size: 1
    .uses_dynamic_stack: false
    .vgpr_count:     51
    .vgpr_spill_count: 0
    .wavefront_size: 32
  - .args:
      - .actual_access:  read_only
        .address_space:  global
        .offset:         0
        .size:           8
        .value_kind:     global_buffer
      - .actual_access:  read_only
        .address_space:  global
        .offset:         8
        .size:           8
        .value_kind:     global_buffer
      - .actual_access:  read_only
        .address_space:  global
        .offset:         16
        .size:           8
        .value_kind:     global_buffer
      - .offset:         24
        .size:           4
        .value_kind:     by_value
      - .offset:         28
        .size:           4
        .value_kind:     by_value
      - .actual_access:  read_only
        .address_space:  global
        .offset:         32
        .size:           8
        .value_kind:     global_buffer
      - .actual_access:  read_only
        .address_space:  global
        .offset:         40
        .size:           8
        .value_kind:     global_buffer
      - .actual_access:  read_only
        .address_space:  global
        .offset:         48
        .size:           8
        .value_kind:     global_buffer
      - .offset:         56
        .size:           4
        .value_kind:     by_value
      - .actual_access:  read_only
        .address_space:  global
        .offset:         64
        .size:           8
        .value_kind:     global_buffer
      - .offset:         72
        .size:           4
        .value_kind:     by_value
      - .offset:         76
        .size:           4
        .value_kind:     by_value
      - .offset:         80
        .size:           4
        .value_kind:     by_value
      - .actual_access:  read_only
        .address_space:  global
        .offset:         88
        .size:           8
        .value_kind:     global_buffer
      - .actual_access:  read_only
        .address_space:  global
        .offset:         96
        .size:           8
        .value_kind:     global_buffer
      - .actual_access:  read_only
        .address_space:  global
        .offset:         104
        .size:           8
        .value_kind:     global_buffer
      - .actual_access:  read_only
        .address_space:  global
        .offset:         112
        .size:           8
        .value_kind:     global_buffer
      - .offset:         120
        .size:           4
        .value_kind:     by_value
      - .address_space:  global
        .offset:         128
        .size:           8
        .value_kind:     global_buffer
      - .address_space:  global
        .offset:         136
        .size:           8
        .value_kind:     global_buffer
      - .offset:         144
        .size:           4
        .value_kind:     hidden_block_count_x
      - .offset:         148
        .size:           4
        .value_kind:     hidden_block_count_y
      - .offset:         152
        .size:           4
        .value_kind:     hidden_block_count_z
      - .offset:         156
        .size:           2
        .value_kind:     hidden_group_size_x
      - .offset:         158
        .size:           2
        .value_kind:     hidden_group_size_y
      - .offset:         160
        .size:           2
        .value_kind:     hidden_group_size_z
      - .offset:         162
        .size:           2
        .value_kind:     hidden_remainder_x
      - .offset:         164
        .size:           2
        .value_kind:     hidden_remainder_y
      - .offset:         166
        .size:           2
        .value_kind:     hidden_remainder_z
      - .offset:         184
        .size:           8
        .value_kind:     hidden_global_offset_x
      - .offset:         192
        .size:           8
        .value_kind:     hidden_global_offset_y
      - .offset:         200
        .size:           8
        .value_kind:     hidden_global_offset_z
      - .offset:         208
        .size:           2
        .value_kind:     hidden_grid_dims
      - .offset:         224
        .size:           8
        .value_kind:     hidden_hostcall_buffer
    .group_segment_fixed_size: 0
    .kernarg_segment_align: 8
    .kernarg_segment_size: 400
    .language:       OpenCL C
    .language_version:
      - 2
      - 0
    .max_flat_workgroup_size: 256
    .name:           _Z38paged_attention_ll4mi_QKV_mfma4_kernelIDF16_DF16_LN4vllm18Fp8KVCacheDataTypeE0EDF16_Li32ELi64ELi256ELb1ELi1EEvPKT_PKT0_S7_ifPKiS9_S9_iPKfiiiPfSC_PS2_PT2_iSB_SB_
    .private_segment_fixed_size: 64
    .sgpr_count:     36
    .sgpr_spill_count: 0
    .symbol:         _Z38paged_attention_ll4mi_QKV_mfma4_kernelIDF16_DF16_LN4vllm18Fp8KVCacheDataTypeE0EDF16_Li32ELi64ELi256ELb1ELi1EEvPKT_PKT0_S7_ifPKiS9_S9_iPKfiiiPfSC_PS2_PT2_iSB_SB_.kd
    .uniform_work_group_size: 1
    .uses_dynamic_stack: false
    .vgpr_count:     51
    .vgpr_spill_count: 0
    .wavefront_size: 32
  - .args:
      - .actual_access:  read_only
        .address_space:  global
        .offset:         0
        .size:           8
        .value_kind:     global_buffer
      - .actual_access:  read_only
        .address_space:  global
        .offset:         8
        .size:           8
        .value_kind:     global_buffer
      - .actual_access:  read_only
        .address_space:  global
        .offset:         16
        .size:           8
        .value_kind:     global_buffer
      - .offset:         24
        .size:           4
        .value_kind:     by_value
      - .offset:         28
        .size:           4
        .value_kind:     by_value
      - .actual_access:  read_only
        .address_space:  global
        .offset:         32
        .size:           8
        .value_kind:     global_buffer
      - .actual_access:  read_only
        .address_space:  global
        .offset:         40
        .size:           8
        .value_kind:     global_buffer
      - .actual_access:  read_only
        .address_space:  global
        .offset:         48
        .size:           8
        .value_kind:     global_buffer
      - .offset:         56
        .size:           4
        .value_kind:     by_value
      - .actual_access:  read_only
        .address_space:  global
        .offset:         64
        .size:           8
        .value_kind:     global_buffer
      - .offset:         72
        .size:           4
        .value_kind:     by_value
      - .offset:         76
        .size:           4
        .value_kind:     by_value
      - .offset:         80
        .size:           4
        .value_kind:     by_value
      - .actual_access:  read_only
        .address_space:  global
        .offset:         88
        .size:           8
        .value_kind:     global_buffer
      - .actual_access:  read_only
        .address_space:  global
        .offset:         96
        .size:           8
        .value_kind:     global_buffer
      - .actual_access:  read_only
        .address_space:  global
        .offset:         104
        .size:           8
        .value_kind:     global_buffer
      - .actual_access:  read_only
        .address_space:  global
        .offset:         112
        .size:           8
        .value_kind:     global_buffer
      - .offset:         120
        .size:           4
        .value_kind:     by_value
      - .address_space:  global
        .offset:         128
        .size:           8
        .value_kind:     global_buffer
      - .address_space:  global
        .offset:         136
        .size:           8
        .value_kind:     global_buffer
      - .offset:         144
        .size:           4
        .value_kind:     hidden_block_count_x
      - .offset:         148
        .size:           4
        .value_kind:     hidden_block_count_y
      - .offset:         152
        .size:           4
        .value_kind:     hidden_block_count_z
      - .offset:         156
        .size:           2
        .value_kind:     hidden_group_size_x
      - .offset:         158
        .size:           2
        .value_kind:     hidden_group_size_y
      - .offset:         160
        .size:           2
        .value_kind:     hidden_group_size_z
      - .offset:         162
        .size:           2
        .value_kind:     hidden_remainder_x
      - .offset:         164
        .size:           2
        .value_kind:     hidden_remainder_y
      - .offset:         166
        .size:           2
        .value_kind:     hidden_remainder_z
      - .offset:         184
        .size:           8
        .value_kind:     hidden_global_offset_x
      - .offset:         192
        .size:           8
        .value_kind:     hidden_global_offset_y
      - .offset:         200
        .size:           8
        .value_kind:     hidden_global_offset_z
      - .offset:         208
        .size:           2
        .value_kind:     hidden_grid_dims
      - .offset:         224
        .size:           8
        .value_kind:     hidden_hostcall_buffer
    .group_segment_fixed_size: 0
    .kernarg_segment_align: 8
    .kernarg_segment_size: 400
    .language:       OpenCL C
    .language_version:
      - 2
      - 0
    .max_flat_workgroup_size: 256
    .name:           _Z38paged_attention_ll4mi_QKV_mfma4_kernelIDF16_DF16_LN4vllm18Fp8KVCacheDataTypeE0EDF16_Li32ELi64ELi256ELb1ELi2EEvPKT_PKT0_S7_ifPKiS9_S9_iPKfiiiPfSC_PS2_PT2_iSB_SB_
    .private_segment_fixed_size: 64
    .sgpr_count:     36
    .sgpr_spill_count: 0
    .symbol:         _Z38paged_attention_ll4mi_QKV_mfma4_kernelIDF16_DF16_LN4vllm18Fp8KVCacheDataTypeE0EDF16_Li32ELi64ELi256ELb1ELi2EEvPKT_PKT0_S7_ifPKiS9_S9_iPKfiiiPfSC_PS2_PT2_iSB_SB_.kd
    .uniform_work_group_size: 1
    .uses_dynamic_stack: false
    .vgpr_count:     51
    .vgpr_spill_count: 0
    .wavefront_size: 32
  - .args:
      - .actual_access:  read_only
        .address_space:  global
        .offset:         0
        .size:           8
        .value_kind:     global_buffer
      - .actual_access:  read_only
        .address_space:  global
        .offset:         8
        .size:           8
        .value_kind:     global_buffer
      - .actual_access:  read_only
        .address_space:  global
        .offset:         16
        .size:           8
        .value_kind:     global_buffer
      - .offset:         24
        .size:           4
        .value_kind:     by_value
      - .offset:         28
        .size:           4
        .value_kind:     by_value
      - .actual_access:  read_only
        .address_space:  global
        .offset:         32
        .size:           8
        .value_kind:     global_buffer
      - .actual_access:  read_only
        .address_space:  global
        .offset:         40
        .size:           8
        .value_kind:     global_buffer
      - .actual_access:  read_only
        .address_space:  global
        .offset:         48
        .size:           8
        .value_kind:     global_buffer
      - .offset:         56
        .size:           4
        .value_kind:     by_value
      - .actual_access:  read_only
        .address_space:  global
        .offset:         64
        .size:           8
        .value_kind:     global_buffer
      - .offset:         72
        .size:           4
        .value_kind:     by_value
      - .offset:         76
        .size:           4
        .value_kind:     by_value
      - .offset:         80
        .size:           4
        .value_kind:     by_value
      - .actual_access:  read_only
        .address_space:  global
        .offset:         88
        .size:           8
        .value_kind:     global_buffer
      - .actual_access:  read_only
        .address_space:  global
        .offset:         96
        .size:           8
        .value_kind:     global_buffer
      - .actual_access:  read_only
        .address_space:  global
        .offset:         104
        .size:           8
        .value_kind:     global_buffer
      - .actual_access:  read_only
        .address_space:  global
        .offset:         112
        .size:           8
        .value_kind:     global_buffer
      - .offset:         120
        .size:           4
        .value_kind:     by_value
      - .address_space:  global
        .offset:         128
        .size:           8
        .value_kind:     global_buffer
      - .address_space:  global
        .offset:         136
        .size:           8
        .value_kind:     global_buffer
      - .offset:         144
        .size:           4
        .value_kind:     hidden_block_count_x
      - .offset:         148
        .size:           4
        .value_kind:     hidden_block_count_y
      - .offset:         152
        .size:           4
        .value_kind:     hidden_block_count_z
      - .offset:         156
        .size:           2
        .value_kind:     hidden_group_size_x
      - .offset:         158
        .size:           2
        .value_kind:     hidden_group_size_y
      - .offset:         160
        .size:           2
        .value_kind:     hidden_group_size_z
      - .offset:         162
        .size:           2
        .value_kind:     hidden_remainder_x
      - .offset:         164
        .size:           2
        .value_kind:     hidden_remainder_y
      - .offset:         166
        .size:           2
        .value_kind:     hidden_remainder_z
      - .offset:         184
        .size:           8
        .value_kind:     hidden_global_offset_x
      - .offset:         192
        .size:           8
        .value_kind:     hidden_global_offset_y
      - .offset:         200
        .size:           8
        .value_kind:     hidden_global_offset_z
      - .offset:         208
        .size:           2
        .value_kind:     hidden_grid_dims
      - .offset:         224
        .size:           8
        .value_kind:     hidden_hostcall_buffer
    .group_segment_fixed_size: 0
    .kernarg_segment_align: 8
    .kernarg_segment_size: 400
    .language:       OpenCL C
    .language_version:
      - 2
      - 0
    .max_flat_workgroup_size: 256
    .name:           _Z38paged_attention_ll4mi_QKV_mfma4_kernelIDF16_DF16_LN4vllm18Fp8KVCacheDataTypeE0EDF16_Li32ELi64ELi256ELb1ELi3EEvPKT_PKT0_S7_ifPKiS9_S9_iPKfiiiPfSC_PS2_PT2_iSB_SB_
    .private_segment_fixed_size: 64
    .sgpr_count:     36
    .sgpr_spill_count: 0
    .symbol:         _Z38paged_attention_ll4mi_QKV_mfma4_kernelIDF16_DF16_LN4vllm18Fp8KVCacheDataTypeE0EDF16_Li32ELi64ELi256ELb1ELi3EEvPKT_PKT0_S7_ifPKiS9_S9_iPKfiiiPfSC_PS2_PT2_iSB_SB_.kd
    .uniform_work_group_size: 1
    .uses_dynamic_stack: false
    .vgpr_count:     51
    .vgpr_spill_count: 0
    .wavefront_size: 32
  - .args:
      - .actual_access:  read_only
        .address_space:  global
        .offset:         0
        .size:           8
        .value_kind:     global_buffer
      - .actual_access:  read_only
        .address_space:  global
        .offset:         8
        .size:           8
        .value_kind:     global_buffer
      - .actual_access:  read_only
        .address_space:  global
        .offset:         16
        .size:           8
        .value_kind:     global_buffer
      - .offset:         24
        .size:           4
        .value_kind:     by_value
      - .offset:         28
        .size:           4
        .value_kind:     by_value
      - .actual_access:  read_only
        .address_space:  global
        .offset:         32
        .size:           8
        .value_kind:     global_buffer
      - .actual_access:  read_only
        .address_space:  global
        .offset:         40
        .size:           8
        .value_kind:     global_buffer
      - .actual_access:  read_only
        .address_space:  global
        .offset:         48
        .size:           8
        .value_kind:     global_buffer
      - .offset:         56
        .size:           4
        .value_kind:     by_value
      - .actual_access:  read_only
        .address_space:  global
        .offset:         64
        .size:           8
        .value_kind:     global_buffer
      - .offset:         72
        .size:           4
        .value_kind:     by_value
      - .offset:         76
        .size:           4
        .value_kind:     by_value
      - .offset:         80
        .size:           4
        .value_kind:     by_value
      - .actual_access:  read_only
        .address_space:  global
        .offset:         88
        .size:           8
        .value_kind:     global_buffer
      - .actual_access:  read_only
        .address_space:  global
        .offset:         96
        .size:           8
        .value_kind:     global_buffer
      - .actual_access:  read_only
        .address_space:  global
        .offset:         104
        .size:           8
        .value_kind:     global_buffer
      - .actual_access:  read_only
        .address_space:  global
        .offset:         112
        .size:           8
        .value_kind:     global_buffer
      - .offset:         120
        .size:           4
        .value_kind:     by_value
      - .address_space:  global
        .offset:         128
        .size:           8
        .value_kind:     global_buffer
      - .address_space:  global
        .offset:         136
        .size:           8
        .value_kind:     global_buffer
      - .offset:         144
        .size:           4
        .value_kind:     hidden_block_count_x
      - .offset:         148
        .size:           4
        .value_kind:     hidden_block_count_y
      - .offset:         152
        .size:           4
        .value_kind:     hidden_block_count_z
      - .offset:         156
        .size:           2
        .value_kind:     hidden_group_size_x
      - .offset:         158
        .size:           2
        .value_kind:     hidden_group_size_y
      - .offset:         160
        .size:           2
        .value_kind:     hidden_group_size_z
      - .offset:         162
        .size:           2
        .value_kind:     hidden_remainder_x
      - .offset:         164
        .size:           2
        .value_kind:     hidden_remainder_y
      - .offset:         166
        .size:           2
        .value_kind:     hidden_remainder_z
      - .offset:         184
        .size:           8
        .value_kind:     hidden_global_offset_x
      - .offset:         192
        .size:           8
        .value_kind:     hidden_global_offset_y
      - .offset:         200
        .size:           8
        .value_kind:     hidden_global_offset_z
      - .offset:         208
        .size:           2
        .value_kind:     hidden_grid_dims
      - .offset:         224
        .size:           8
        .value_kind:     hidden_hostcall_buffer
    .group_segment_fixed_size: 0
    .kernarg_segment_align: 8
    .kernarg_segment_size: 400
    .language:       OpenCL C
    .language_version:
      - 2
      - 0
    .max_flat_workgroup_size: 256
    .name:           _Z38paged_attention_ll4mi_QKV_mfma4_kernelIDF16_DF16_LN4vllm18Fp8KVCacheDataTypeE0EDF16_Li32ELi64ELi256ELb1ELi4EEvPKT_PKT0_S7_ifPKiS9_S9_iPKfiiiPfSC_PS2_PT2_iSB_SB_
    .private_segment_fixed_size: 64
    .sgpr_count:     36
    .sgpr_spill_count: 0
    .symbol:         _Z38paged_attention_ll4mi_QKV_mfma4_kernelIDF16_DF16_LN4vllm18Fp8KVCacheDataTypeE0EDF16_Li32ELi64ELi256ELb1ELi4EEvPKT_PKT0_S7_ifPKiS9_S9_iPKfiiiPfSC_PS2_PT2_iSB_SB_.kd
    .uniform_work_group_size: 1
    .uses_dynamic_stack: false
    .vgpr_count:     51
    .vgpr_spill_count: 0
    .wavefront_size: 32
  - .args:
      - .actual_access:  read_only
        .address_space:  global
        .offset:         0
        .size:           8
        .value_kind:     global_buffer
      - .actual_access:  read_only
        .address_space:  global
        .offset:         8
        .size:           8
        .value_kind:     global_buffer
      - .actual_access:  read_only
        .address_space:  global
        .offset:         16
        .size:           8
        .value_kind:     global_buffer
      - .offset:         24
        .size:           4
        .value_kind:     by_value
      - .offset:         28
        .size:           4
        .value_kind:     by_value
      - .actual_access:  read_only
        .address_space:  global
        .offset:         32
        .size:           8
        .value_kind:     global_buffer
      - .actual_access:  read_only
        .address_space:  global
        .offset:         40
        .size:           8
        .value_kind:     global_buffer
      - .actual_access:  read_only
        .address_space:  global
        .offset:         48
        .size:           8
        .value_kind:     global_buffer
      - .offset:         56
        .size:           4
        .value_kind:     by_value
      - .actual_access:  read_only
        .address_space:  global
        .offset:         64
        .size:           8
        .value_kind:     global_buffer
      - .offset:         72
        .size:           4
        .value_kind:     by_value
      - .offset:         76
        .size:           4
        .value_kind:     by_value
      - .offset:         80
        .size:           4
        .value_kind:     by_value
      - .actual_access:  read_only
        .address_space:  global
        .offset:         88
        .size:           8
        .value_kind:     global_buffer
      - .actual_access:  read_only
        .address_space:  global
        .offset:         96
        .size:           8
        .value_kind:     global_buffer
      - .actual_access:  read_only
        .address_space:  global
        .offset:         104
        .size:           8
        .value_kind:     global_buffer
      - .actual_access:  read_only
        .address_space:  global
        .offset:         112
        .size:           8
        .value_kind:     global_buffer
      - .offset:         120
        .size:           4
        .value_kind:     by_value
      - .address_space:  global
        .offset:         128
        .size:           8
        .value_kind:     global_buffer
      - .address_space:  global
        .offset:         136
        .size:           8
        .value_kind:     global_buffer
      - .offset:         144
        .size:           4
        .value_kind:     hidden_block_count_x
      - .offset:         148
        .size:           4
        .value_kind:     hidden_block_count_y
      - .offset:         152
        .size:           4
        .value_kind:     hidden_block_count_z
      - .offset:         156
        .size:           2
        .value_kind:     hidden_group_size_x
      - .offset:         158
        .size:           2
        .value_kind:     hidden_group_size_y
      - .offset:         160
        .size:           2
        .value_kind:     hidden_group_size_z
      - .offset:         162
        .size:           2
        .value_kind:     hidden_remainder_x
      - .offset:         164
        .size:           2
        .value_kind:     hidden_remainder_y
      - .offset:         166
        .size:           2
        .value_kind:     hidden_remainder_z
      - .offset:         184
        .size:           8
        .value_kind:     hidden_global_offset_x
      - .offset:         192
        .size:           8
        .value_kind:     hidden_global_offset_y
      - .offset:         200
        .size:           8
        .value_kind:     hidden_global_offset_z
      - .offset:         208
        .size:           2
        .value_kind:     hidden_grid_dims
      - .offset:         224
        .size:           8
        .value_kind:     hidden_hostcall_buffer
    .group_segment_fixed_size: 0
    .kernarg_segment_align: 8
    .kernarg_segment_size: 400
    .language:       OpenCL C
    .language_version:
      - 2
      - 0
    .max_flat_workgroup_size: 256
    .name:           _Z39paged_attention_ll4mi_QKV_mfma16_kernelIDF16_DF16_LN4vllm18Fp8KVCacheDataTypeE0EDF16_Li32ELi64ELi256ELb1ELi5EEvPKT_PKT0_S7_ifPKiS9_S9_iPKfiiiPfSC_PS2_PT2_iSB_SB_
    .private_segment_fixed_size: 64
    .sgpr_count:     36
    .sgpr_spill_count: 0
    .symbol:         _Z39paged_attention_ll4mi_QKV_mfma16_kernelIDF16_DF16_LN4vllm18Fp8KVCacheDataTypeE0EDF16_Li32ELi64ELi256ELb1ELi5EEvPKT_PKT0_S7_ifPKiS9_S9_iPKfiiiPfSC_PS2_PT2_iSB_SB_.kd
    .uniform_work_group_size: 1
    .uses_dynamic_stack: false
    .vgpr_count:     51
    .vgpr_spill_count: 0
    .wavefront_size: 32
  - .args:
      - .actual_access:  read_only
        .address_space:  global
        .offset:         0
        .size:           8
        .value_kind:     global_buffer
      - .actual_access:  read_only
        .address_space:  global
        .offset:         8
        .size:           8
        .value_kind:     global_buffer
      - .actual_access:  read_only
        .address_space:  global
        .offset:         16
        .size:           8
        .value_kind:     global_buffer
      - .offset:         24
        .size:           4
        .value_kind:     by_value
      - .offset:         28
        .size:           4
        .value_kind:     by_value
      - .actual_access:  read_only
        .address_space:  global
        .offset:         32
        .size:           8
        .value_kind:     global_buffer
      - .actual_access:  read_only
        .address_space:  global
        .offset:         40
        .size:           8
        .value_kind:     global_buffer
      - .actual_access:  read_only
        .address_space:  global
        .offset:         48
        .size:           8
        .value_kind:     global_buffer
      - .offset:         56
        .size:           4
        .value_kind:     by_value
      - .actual_access:  read_only
        .address_space:  global
        .offset:         64
        .size:           8
        .value_kind:     global_buffer
      - .offset:         72
        .size:           4
        .value_kind:     by_value
      - .offset:         76
        .size:           4
        .value_kind:     by_value
      - .offset:         80
        .size:           4
        .value_kind:     by_value
      - .actual_access:  read_only
        .address_space:  global
        .offset:         88
        .size:           8
        .value_kind:     global_buffer
      - .actual_access:  read_only
        .address_space:  global
        .offset:         96
        .size:           8
        .value_kind:     global_buffer
      - .actual_access:  read_only
        .address_space:  global
        .offset:         104
        .size:           8
        .value_kind:     global_buffer
      - .actual_access:  read_only
        .address_space:  global
        .offset:         112
        .size:           8
        .value_kind:     global_buffer
      - .offset:         120
        .size:           4
        .value_kind:     by_value
      - .address_space:  global
        .offset:         128
        .size:           8
        .value_kind:     global_buffer
      - .address_space:  global
        .offset:         136
        .size:           8
        .value_kind:     global_buffer
      - .offset:         144
        .size:           4
        .value_kind:     hidden_block_count_x
      - .offset:         148
        .size:           4
        .value_kind:     hidden_block_count_y
      - .offset:         152
        .size:           4
        .value_kind:     hidden_block_count_z
      - .offset:         156
        .size:           2
        .value_kind:     hidden_group_size_x
      - .offset:         158
        .size:           2
        .value_kind:     hidden_group_size_y
      - .offset:         160
        .size:           2
        .value_kind:     hidden_group_size_z
      - .offset:         162
        .size:           2
        .value_kind:     hidden_remainder_x
      - .offset:         164
        .size:           2
        .value_kind:     hidden_remainder_y
      - .offset:         166
        .size:           2
        .value_kind:     hidden_remainder_z
      - .offset:         184
        .size:           8
        .value_kind:     hidden_global_offset_x
      - .offset:         192
        .size:           8
        .value_kind:     hidden_global_offset_y
      - .offset:         200
        .size:           8
        .value_kind:     hidden_global_offset_z
      - .offset:         208
        .size:           2
        .value_kind:     hidden_grid_dims
      - .offset:         224
        .size:           8
        .value_kind:     hidden_hostcall_buffer
    .group_segment_fixed_size: 0
    .kernarg_segment_align: 8
    .kernarg_segment_size: 400
    .language:       OpenCL C
    .language_version:
      - 2
      - 0
    .max_flat_workgroup_size: 256
    .name:           _Z39paged_attention_ll4mi_QKV_mfma16_kernelIDF16_DF16_LN4vllm18Fp8KVCacheDataTypeE0EDF16_Li32ELi64ELi256ELb1ELi6EEvPKT_PKT0_S7_ifPKiS9_S9_iPKfiiiPfSC_PS2_PT2_iSB_SB_
    .private_segment_fixed_size: 64
    .sgpr_count:     36
    .sgpr_spill_count: 0
    .symbol:         _Z39paged_attention_ll4mi_QKV_mfma16_kernelIDF16_DF16_LN4vllm18Fp8KVCacheDataTypeE0EDF16_Li32ELi64ELi256ELb1ELi6EEvPKT_PKT0_S7_ifPKiS9_S9_iPKfiiiPfSC_PS2_PT2_iSB_SB_.kd
    .uniform_work_group_size: 1
    .uses_dynamic_stack: false
    .vgpr_count:     51
    .vgpr_spill_count: 0
    .wavefront_size: 32
  - .args:
      - .actual_access:  read_only
        .address_space:  global
        .offset:         0
        .size:           8
        .value_kind:     global_buffer
      - .actual_access:  read_only
        .address_space:  global
        .offset:         8
        .size:           8
        .value_kind:     global_buffer
      - .actual_access:  read_only
        .address_space:  global
        .offset:         16
        .size:           8
        .value_kind:     global_buffer
      - .offset:         24
        .size:           4
        .value_kind:     by_value
      - .offset:         28
        .size:           4
        .value_kind:     by_value
      - .actual_access:  read_only
        .address_space:  global
        .offset:         32
        .size:           8
        .value_kind:     global_buffer
      - .actual_access:  read_only
        .address_space:  global
        .offset:         40
        .size:           8
        .value_kind:     global_buffer
      - .actual_access:  read_only
        .address_space:  global
        .offset:         48
        .size:           8
        .value_kind:     global_buffer
      - .offset:         56
        .size:           4
        .value_kind:     by_value
      - .actual_access:  read_only
        .address_space:  global
        .offset:         64
        .size:           8
        .value_kind:     global_buffer
      - .offset:         72
        .size:           4
        .value_kind:     by_value
      - .offset:         76
        .size:           4
        .value_kind:     by_value
      - .offset:         80
        .size:           4
        .value_kind:     by_value
      - .actual_access:  read_only
        .address_space:  global
        .offset:         88
        .size:           8
        .value_kind:     global_buffer
      - .actual_access:  read_only
        .address_space:  global
        .offset:         96
        .size:           8
        .value_kind:     global_buffer
      - .actual_access:  read_only
        .address_space:  global
        .offset:         104
        .size:           8
        .value_kind:     global_buffer
      - .actual_access:  read_only
        .address_space:  global
        .offset:         112
        .size:           8
        .value_kind:     global_buffer
      - .offset:         120
        .size:           4
        .value_kind:     by_value
      - .address_space:  global
        .offset:         128
        .size:           8
        .value_kind:     global_buffer
      - .address_space:  global
        .offset:         136
        .size:           8
        .value_kind:     global_buffer
      - .offset:         144
        .size:           4
        .value_kind:     hidden_block_count_x
      - .offset:         148
        .size:           4
        .value_kind:     hidden_block_count_y
      - .offset:         152
        .size:           4
        .value_kind:     hidden_block_count_z
      - .offset:         156
        .size:           2
        .value_kind:     hidden_group_size_x
      - .offset:         158
        .size:           2
        .value_kind:     hidden_group_size_y
      - .offset:         160
        .size:           2
        .value_kind:     hidden_group_size_z
      - .offset:         162
        .size:           2
        .value_kind:     hidden_remainder_x
      - .offset:         164
        .size:           2
        .value_kind:     hidden_remainder_y
      - .offset:         166
        .size:           2
        .value_kind:     hidden_remainder_z
      - .offset:         184
        .size:           8
        .value_kind:     hidden_global_offset_x
      - .offset:         192
        .size:           8
        .value_kind:     hidden_global_offset_y
      - .offset:         200
        .size:           8
        .value_kind:     hidden_global_offset_z
      - .offset:         208
        .size:           2
        .value_kind:     hidden_grid_dims
      - .offset:         224
        .size:           8
        .value_kind:     hidden_hostcall_buffer
    .group_segment_fixed_size: 0
    .kernarg_segment_align: 8
    .kernarg_segment_size: 400
    .language:       OpenCL C
    .language_version:
      - 2
      - 0
    .max_flat_workgroup_size: 256
    .name:           _Z39paged_attention_ll4mi_QKV_mfma16_kernelIDF16_DF16_LN4vllm18Fp8KVCacheDataTypeE0EDF16_Li32ELi64ELi256ELb1ELi7EEvPKT_PKT0_S7_ifPKiS9_S9_iPKfiiiPfSC_PS2_PT2_iSB_SB_
    .private_segment_fixed_size: 64
    .sgpr_count:     36
    .sgpr_spill_count: 0
    .symbol:         _Z39paged_attention_ll4mi_QKV_mfma16_kernelIDF16_DF16_LN4vllm18Fp8KVCacheDataTypeE0EDF16_Li32ELi64ELi256ELb1ELi7EEvPKT_PKT0_S7_ifPKiS9_S9_iPKfiiiPfSC_PS2_PT2_iSB_SB_.kd
    .uniform_work_group_size: 1
    .uses_dynamic_stack: false
    .vgpr_count:     51
    .vgpr_spill_count: 0
    .wavefront_size: 32
  - .args:
      - .actual_access:  read_only
        .address_space:  global
        .offset:         0
        .size:           8
        .value_kind:     global_buffer
      - .actual_access:  read_only
        .address_space:  global
        .offset:         8
        .size:           8
        .value_kind:     global_buffer
      - .actual_access:  read_only
        .address_space:  global
        .offset:         16
        .size:           8
        .value_kind:     global_buffer
      - .offset:         24
        .size:           4
        .value_kind:     by_value
      - .offset:         28
        .size:           4
        .value_kind:     by_value
      - .actual_access:  read_only
        .address_space:  global
        .offset:         32
        .size:           8
        .value_kind:     global_buffer
      - .actual_access:  read_only
        .address_space:  global
        .offset:         40
        .size:           8
        .value_kind:     global_buffer
      - .actual_access:  read_only
        .address_space:  global
        .offset:         48
        .size:           8
        .value_kind:     global_buffer
      - .offset:         56
        .size:           4
        .value_kind:     by_value
      - .actual_access:  read_only
        .address_space:  global
        .offset:         64
        .size:           8
        .value_kind:     global_buffer
      - .offset:         72
        .size:           4
        .value_kind:     by_value
      - .offset:         76
        .size:           4
        .value_kind:     by_value
      - .offset:         80
        .size:           4
        .value_kind:     by_value
      - .actual_access:  read_only
        .address_space:  global
        .offset:         88
        .size:           8
        .value_kind:     global_buffer
      - .actual_access:  read_only
        .address_space:  global
        .offset:         96
        .size:           8
        .value_kind:     global_buffer
      - .actual_access:  read_only
        .address_space:  global
        .offset:         104
        .size:           8
        .value_kind:     global_buffer
      - .actual_access:  read_only
        .address_space:  global
        .offset:         112
        .size:           8
        .value_kind:     global_buffer
      - .offset:         120
        .size:           4
        .value_kind:     by_value
      - .address_space:  global
        .offset:         128
        .size:           8
        .value_kind:     global_buffer
      - .address_space:  global
        .offset:         136
        .size:           8
        .value_kind:     global_buffer
      - .offset:         144
        .size:           4
        .value_kind:     hidden_block_count_x
      - .offset:         148
        .size:           4
        .value_kind:     hidden_block_count_y
      - .offset:         152
        .size:           4
        .value_kind:     hidden_block_count_z
      - .offset:         156
        .size:           2
        .value_kind:     hidden_group_size_x
      - .offset:         158
        .size:           2
        .value_kind:     hidden_group_size_y
      - .offset:         160
        .size:           2
        .value_kind:     hidden_group_size_z
      - .offset:         162
        .size:           2
        .value_kind:     hidden_remainder_x
      - .offset:         164
        .size:           2
        .value_kind:     hidden_remainder_y
      - .offset:         166
        .size:           2
        .value_kind:     hidden_remainder_z
      - .offset:         184
        .size:           8
        .value_kind:     hidden_global_offset_x
      - .offset:         192
        .size:           8
        .value_kind:     hidden_global_offset_y
      - .offset:         200
        .size:           8
        .value_kind:     hidden_global_offset_z
      - .offset:         208
        .size:           2
        .value_kind:     hidden_grid_dims
      - .offset:         224
        .size:           8
        .value_kind:     hidden_hostcall_buffer
    .group_segment_fixed_size: 0
    .kernarg_segment_align: 8
    .kernarg_segment_size: 400
    .language:       OpenCL C
    .language_version:
      - 2
      - 0
    .max_flat_workgroup_size: 256
    .name:           _Z39paged_attention_ll4mi_QKV_mfma16_kernelIDF16_DF16_LN4vllm18Fp8KVCacheDataTypeE0EDF16_Li32ELi64ELi256ELb1ELi8EEvPKT_PKT0_S7_ifPKiS9_S9_iPKfiiiPfSC_PS2_PT2_iSB_SB_
    .private_segment_fixed_size: 64
    .sgpr_count:     36
    .sgpr_spill_count: 0
    .symbol:         _Z39paged_attention_ll4mi_QKV_mfma16_kernelIDF16_DF16_LN4vllm18Fp8KVCacheDataTypeE0EDF16_Li32ELi64ELi256ELb1ELi8EEvPKT_PKT0_S7_ifPKiS9_S9_iPKfiiiPfSC_PS2_PT2_iSB_SB_.kd
    .uniform_work_group_size: 1
    .uses_dynamic_stack: false
    .vgpr_count:     51
    .vgpr_spill_count: 0
    .wavefront_size: 32
  - .args:
      - .actual_access:  read_only
        .address_space:  global
        .offset:         0
        .size:           8
        .value_kind:     global_buffer
      - .actual_access:  read_only
        .address_space:  global
        .offset:         8
        .size:           8
        .value_kind:     global_buffer
      - .actual_access:  read_only
        .address_space:  global
        .offset:         16
        .size:           8
        .value_kind:     global_buffer
      - .offset:         24
        .size:           4
        .value_kind:     by_value
      - .offset:         28
        .size:           4
        .value_kind:     by_value
      - .actual_access:  read_only
        .address_space:  global
        .offset:         32
        .size:           8
        .value_kind:     global_buffer
      - .actual_access:  read_only
        .address_space:  global
        .offset:         40
        .size:           8
        .value_kind:     global_buffer
      - .actual_access:  read_only
        .address_space:  global
        .offset:         48
        .size:           8
        .value_kind:     global_buffer
      - .offset:         56
        .size:           4
        .value_kind:     by_value
      - .actual_access:  read_only
        .address_space:  global
        .offset:         64
        .size:           8
        .value_kind:     global_buffer
      - .offset:         72
        .size:           4
        .value_kind:     by_value
      - .offset:         76
        .size:           4
        .value_kind:     by_value
      - .offset:         80
        .size:           4
        .value_kind:     by_value
      - .actual_access:  read_only
        .address_space:  global
        .offset:         88
        .size:           8
        .value_kind:     global_buffer
      - .actual_access:  read_only
        .address_space:  global
        .offset:         96
        .size:           8
        .value_kind:     global_buffer
      - .actual_access:  read_only
        .address_space:  global
        .offset:         104
        .size:           8
        .value_kind:     global_buffer
      - .actual_access:  read_only
        .address_space:  global
        .offset:         112
        .size:           8
        .value_kind:     global_buffer
      - .offset:         120
        .size:           4
        .value_kind:     by_value
      - .address_space:  global
        .offset:         128
        .size:           8
        .value_kind:     global_buffer
      - .address_space:  global
        .offset:         136
        .size:           8
        .value_kind:     global_buffer
      - .offset:         144
        .size:           4
        .value_kind:     hidden_block_count_x
      - .offset:         148
        .size:           4
        .value_kind:     hidden_block_count_y
      - .offset:         152
        .size:           4
        .value_kind:     hidden_block_count_z
      - .offset:         156
        .size:           2
        .value_kind:     hidden_group_size_x
      - .offset:         158
        .size:           2
        .value_kind:     hidden_group_size_y
      - .offset:         160
        .size:           2
        .value_kind:     hidden_group_size_z
      - .offset:         162
        .size:           2
        .value_kind:     hidden_remainder_x
      - .offset:         164
        .size:           2
        .value_kind:     hidden_remainder_y
      - .offset:         166
        .size:           2
        .value_kind:     hidden_remainder_z
      - .offset:         184
        .size:           8
        .value_kind:     hidden_global_offset_x
      - .offset:         192
        .size:           8
        .value_kind:     hidden_global_offset_y
      - .offset:         200
        .size:           8
        .value_kind:     hidden_global_offset_z
      - .offset:         208
        .size:           2
        .value_kind:     hidden_grid_dims
      - .offset:         224
        .size:           8
        .value_kind:     hidden_hostcall_buffer
    .group_segment_fixed_size: 0
    .kernarg_segment_align: 8
    .kernarg_segment_size: 400
    .language:       OpenCL C
    .language_version:
      - 2
      - 0
    .max_flat_workgroup_size: 256
    .name:           _Z39paged_attention_ll4mi_QKV_mfma16_kernelIDF16_DF16_LN4vllm18Fp8KVCacheDataTypeE0EDF16_Li32ELi64ELi256ELb1ELi9EEvPKT_PKT0_S7_ifPKiS9_S9_iPKfiiiPfSC_PS2_PT2_iSB_SB_
    .private_segment_fixed_size: 64
    .sgpr_count:     36
    .sgpr_spill_count: 0
    .symbol:         _Z39paged_attention_ll4mi_QKV_mfma16_kernelIDF16_DF16_LN4vllm18Fp8KVCacheDataTypeE0EDF16_Li32ELi64ELi256ELb1ELi9EEvPKT_PKT0_S7_ifPKiS9_S9_iPKfiiiPfSC_PS2_PT2_iSB_SB_.kd
    .uniform_work_group_size: 1
    .uses_dynamic_stack: false
    .vgpr_count:     51
    .vgpr_spill_count: 0
    .wavefront_size: 32
  - .args:
      - .actual_access:  read_only
        .address_space:  global
        .offset:         0
        .size:           8
        .value_kind:     global_buffer
      - .actual_access:  read_only
        .address_space:  global
        .offset:         8
        .size:           8
        .value_kind:     global_buffer
      - .actual_access:  read_only
        .address_space:  global
        .offset:         16
        .size:           8
        .value_kind:     global_buffer
      - .offset:         24
        .size:           4
        .value_kind:     by_value
      - .offset:         28
        .size:           4
        .value_kind:     by_value
      - .actual_access:  read_only
        .address_space:  global
        .offset:         32
        .size:           8
        .value_kind:     global_buffer
      - .actual_access:  read_only
        .address_space:  global
        .offset:         40
        .size:           8
        .value_kind:     global_buffer
      - .actual_access:  read_only
        .address_space:  global
        .offset:         48
        .size:           8
        .value_kind:     global_buffer
      - .offset:         56
        .size:           4
        .value_kind:     by_value
      - .actual_access:  read_only
        .address_space:  global
        .offset:         64
        .size:           8
        .value_kind:     global_buffer
      - .offset:         72
        .size:           4
        .value_kind:     by_value
      - .offset:         76
        .size:           4
        .value_kind:     by_value
      - .offset:         80
        .size:           4
        .value_kind:     by_value
      - .actual_access:  read_only
        .address_space:  global
        .offset:         88
        .size:           8
        .value_kind:     global_buffer
      - .actual_access:  read_only
        .address_space:  global
        .offset:         96
        .size:           8
        .value_kind:     global_buffer
      - .actual_access:  read_only
        .address_space:  global
        .offset:         104
        .size:           8
        .value_kind:     global_buffer
      - .actual_access:  read_only
        .address_space:  global
        .offset:         112
        .size:           8
        .value_kind:     global_buffer
      - .offset:         120
        .size:           4
        .value_kind:     by_value
      - .address_space:  global
        .offset:         128
        .size:           8
        .value_kind:     global_buffer
      - .address_space:  global
        .offset:         136
        .size:           8
        .value_kind:     global_buffer
      - .offset:         144
        .size:           4
        .value_kind:     hidden_block_count_x
      - .offset:         148
        .size:           4
        .value_kind:     hidden_block_count_y
      - .offset:         152
        .size:           4
        .value_kind:     hidden_block_count_z
      - .offset:         156
        .size:           2
        .value_kind:     hidden_group_size_x
      - .offset:         158
        .size:           2
        .value_kind:     hidden_group_size_y
      - .offset:         160
        .size:           2
        .value_kind:     hidden_group_size_z
      - .offset:         162
        .size:           2
        .value_kind:     hidden_remainder_x
      - .offset:         164
        .size:           2
        .value_kind:     hidden_remainder_y
      - .offset:         166
        .size:           2
        .value_kind:     hidden_remainder_z
      - .offset:         184
        .size:           8
        .value_kind:     hidden_global_offset_x
      - .offset:         192
        .size:           8
        .value_kind:     hidden_global_offset_y
      - .offset:         200
        .size:           8
        .value_kind:     hidden_global_offset_z
      - .offset:         208
        .size:           2
        .value_kind:     hidden_grid_dims
      - .offset:         224
        .size:           8
        .value_kind:     hidden_hostcall_buffer
    .group_segment_fixed_size: 0
    .kernarg_segment_align: 8
    .kernarg_segment_size: 400
    .language:       OpenCL C
    .language_version:
      - 2
      - 0
    .max_flat_workgroup_size: 256
    .name:           _Z39paged_attention_ll4mi_QKV_mfma16_kernelIDF16_DF16_LN4vllm18Fp8KVCacheDataTypeE0EDF16_Li32ELi64ELi256ELb1ELi10EEvPKT_PKT0_S7_ifPKiS9_S9_iPKfiiiPfSC_PS2_PT2_iSB_SB_
    .private_segment_fixed_size: 64
    .sgpr_count:     36
    .sgpr_spill_count: 0
    .symbol:         _Z39paged_attention_ll4mi_QKV_mfma16_kernelIDF16_DF16_LN4vllm18Fp8KVCacheDataTypeE0EDF16_Li32ELi64ELi256ELb1ELi10EEvPKT_PKT0_S7_ifPKiS9_S9_iPKfiiiPfSC_PS2_PT2_iSB_SB_.kd
    .uniform_work_group_size: 1
    .uses_dynamic_stack: false
    .vgpr_count:     51
    .vgpr_spill_count: 0
    .wavefront_size: 32
  - .args:
      - .actual_access:  read_only
        .address_space:  global
        .offset:         0
        .size:           8
        .value_kind:     global_buffer
      - .actual_access:  read_only
        .address_space:  global
        .offset:         8
        .size:           8
        .value_kind:     global_buffer
      - .actual_access:  read_only
        .address_space:  global
        .offset:         16
        .size:           8
        .value_kind:     global_buffer
      - .offset:         24
        .size:           4
        .value_kind:     by_value
      - .offset:         28
        .size:           4
        .value_kind:     by_value
      - .actual_access:  read_only
        .address_space:  global
        .offset:         32
        .size:           8
        .value_kind:     global_buffer
      - .actual_access:  read_only
        .address_space:  global
        .offset:         40
        .size:           8
        .value_kind:     global_buffer
      - .actual_access:  read_only
        .address_space:  global
        .offset:         48
        .size:           8
        .value_kind:     global_buffer
      - .offset:         56
        .size:           4
        .value_kind:     by_value
      - .actual_access:  read_only
        .address_space:  global
        .offset:         64
        .size:           8
        .value_kind:     global_buffer
      - .offset:         72
        .size:           4
        .value_kind:     by_value
      - .offset:         76
        .size:           4
        .value_kind:     by_value
      - .offset:         80
        .size:           4
        .value_kind:     by_value
      - .actual_access:  read_only
        .address_space:  global
        .offset:         88
        .size:           8
        .value_kind:     global_buffer
      - .actual_access:  read_only
        .address_space:  global
        .offset:         96
        .size:           8
        .value_kind:     global_buffer
      - .actual_access:  read_only
        .address_space:  global
        .offset:         104
        .size:           8
        .value_kind:     global_buffer
      - .actual_access:  read_only
        .address_space:  global
        .offset:         112
        .size:           8
        .value_kind:     global_buffer
      - .offset:         120
        .size:           4
        .value_kind:     by_value
      - .address_space:  global
        .offset:         128
        .size:           8
        .value_kind:     global_buffer
      - .address_space:  global
        .offset:         136
        .size:           8
        .value_kind:     global_buffer
      - .offset:         144
        .size:           4
        .value_kind:     hidden_block_count_x
      - .offset:         148
        .size:           4
        .value_kind:     hidden_block_count_y
      - .offset:         152
        .size:           4
        .value_kind:     hidden_block_count_z
      - .offset:         156
        .size:           2
        .value_kind:     hidden_group_size_x
      - .offset:         158
        .size:           2
        .value_kind:     hidden_group_size_y
      - .offset:         160
        .size:           2
        .value_kind:     hidden_group_size_z
      - .offset:         162
        .size:           2
        .value_kind:     hidden_remainder_x
      - .offset:         164
        .size:           2
        .value_kind:     hidden_remainder_y
      - .offset:         166
        .size:           2
        .value_kind:     hidden_remainder_z
      - .offset:         184
        .size:           8
        .value_kind:     hidden_global_offset_x
      - .offset:         192
        .size:           8
        .value_kind:     hidden_global_offset_y
      - .offset:         200
        .size:           8
        .value_kind:     hidden_global_offset_z
      - .offset:         208
        .size:           2
        .value_kind:     hidden_grid_dims
      - .offset:         224
        .size:           8
        .value_kind:     hidden_hostcall_buffer
    .group_segment_fixed_size: 0
    .kernarg_segment_align: 8
    .kernarg_segment_size: 400
    .language:       OpenCL C
    .language_version:
      - 2
      - 0
    .max_flat_workgroup_size: 256
    .name:           _Z39paged_attention_ll4mi_QKV_mfma16_kernelIDF16_DF16_LN4vllm18Fp8KVCacheDataTypeE0EDF16_Li32ELi64ELi256ELb1ELi11EEvPKT_PKT0_S7_ifPKiS9_S9_iPKfiiiPfSC_PS2_PT2_iSB_SB_
    .private_segment_fixed_size: 64
    .sgpr_count:     36
    .sgpr_spill_count: 0
    .symbol:         _Z39paged_attention_ll4mi_QKV_mfma16_kernelIDF16_DF16_LN4vllm18Fp8KVCacheDataTypeE0EDF16_Li32ELi64ELi256ELb1ELi11EEvPKT_PKT0_S7_ifPKiS9_S9_iPKfiiiPfSC_PS2_PT2_iSB_SB_.kd
    .uniform_work_group_size: 1
    .uses_dynamic_stack: false
    .vgpr_count:     51
    .vgpr_spill_count: 0
    .wavefront_size: 32
  - .args:
      - .actual_access:  read_only
        .address_space:  global
        .offset:         0
        .size:           8
        .value_kind:     global_buffer
      - .actual_access:  read_only
        .address_space:  global
        .offset:         8
        .size:           8
        .value_kind:     global_buffer
      - .actual_access:  read_only
        .address_space:  global
        .offset:         16
        .size:           8
        .value_kind:     global_buffer
      - .offset:         24
        .size:           4
        .value_kind:     by_value
      - .offset:         28
        .size:           4
        .value_kind:     by_value
      - .actual_access:  read_only
        .address_space:  global
        .offset:         32
        .size:           8
        .value_kind:     global_buffer
      - .actual_access:  read_only
        .address_space:  global
        .offset:         40
        .size:           8
        .value_kind:     global_buffer
      - .actual_access:  read_only
        .address_space:  global
        .offset:         48
        .size:           8
        .value_kind:     global_buffer
      - .offset:         56
        .size:           4
        .value_kind:     by_value
      - .actual_access:  read_only
        .address_space:  global
        .offset:         64
        .size:           8
        .value_kind:     global_buffer
      - .offset:         72
        .size:           4
        .value_kind:     by_value
      - .offset:         76
        .size:           4
        .value_kind:     by_value
      - .offset:         80
        .size:           4
        .value_kind:     by_value
      - .actual_access:  read_only
        .address_space:  global
        .offset:         88
        .size:           8
        .value_kind:     global_buffer
      - .actual_access:  read_only
        .address_space:  global
        .offset:         96
        .size:           8
        .value_kind:     global_buffer
      - .actual_access:  read_only
        .address_space:  global
        .offset:         104
        .size:           8
        .value_kind:     global_buffer
      - .actual_access:  read_only
        .address_space:  global
        .offset:         112
        .size:           8
        .value_kind:     global_buffer
      - .offset:         120
        .size:           4
        .value_kind:     by_value
      - .address_space:  global
        .offset:         128
        .size:           8
        .value_kind:     global_buffer
      - .address_space:  global
        .offset:         136
        .size:           8
        .value_kind:     global_buffer
      - .offset:         144
        .size:           4
        .value_kind:     hidden_block_count_x
      - .offset:         148
        .size:           4
        .value_kind:     hidden_block_count_y
      - .offset:         152
        .size:           4
        .value_kind:     hidden_block_count_z
      - .offset:         156
        .size:           2
        .value_kind:     hidden_group_size_x
      - .offset:         158
        .size:           2
        .value_kind:     hidden_group_size_y
      - .offset:         160
        .size:           2
        .value_kind:     hidden_group_size_z
      - .offset:         162
        .size:           2
        .value_kind:     hidden_remainder_x
      - .offset:         164
        .size:           2
        .value_kind:     hidden_remainder_y
      - .offset:         166
        .size:           2
        .value_kind:     hidden_remainder_z
      - .offset:         184
        .size:           8
        .value_kind:     hidden_global_offset_x
      - .offset:         192
        .size:           8
        .value_kind:     hidden_global_offset_y
      - .offset:         200
        .size:           8
        .value_kind:     hidden_global_offset_z
      - .offset:         208
        .size:           2
        .value_kind:     hidden_grid_dims
      - .offset:         224
        .size:           8
        .value_kind:     hidden_hostcall_buffer
    .group_segment_fixed_size: 0
    .kernarg_segment_align: 8
    .kernarg_segment_size: 400
    .language:       OpenCL C
    .language_version:
      - 2
      - 0
    .max_flat_workgroup_size: 256
    .name:           _Z39paged_attention_ll4mi_QKV_mfma16_kernelIDF16_DF16_LN4vllm18Fp8KVCacheDataTypeE0EDF16_Li32ELi64ELi256ELb1ELi12EEvPKT_PKT0_S7_ifPKiS9_S9_iPKfiiiPfSC_PS2_PT2_iSB_SB_
    .private_segment_fixed_size: 64
    .sgpr_count:     36
    .sgpr_spill_count: 0
    .symbol:         _Z39paged_attention_ll4mi_QKV_mfma16_kernelIDF16_DF16_LN4vllm18Fp8KVCacheDataTypeE0EDF16_Li32ELi64ELi256ELb1ELi12EEvPKT_PKT0_S7_ifPKiS9_S9_iPKfiiiPfSC_PS2_PT2_iSB_SB_.kd
    .uniform_work_group_size: 1
    .uses_dynamic_stack: false
    .vgpr_count:     51
    .vgpr_spill_count: 0
    .wavefront_size: 32
  - .args:
      - .actual_access:  read_only
        .address_space:  global
        .offset:         0
        .size:           8
        .value_kind:     global_buffer
      - .actual_access:  read_only
        .address_space:  global
        .offset:         8
        .size:           8
        .value_kind:     global_buffer
      - .actual_access:  read_only
        .address_space:  global
        .offset:         16
        .size:           8
        .value_kind:     global_buffer
      - .offset:         24
        .size:           4
        .value_kind:     by_value
      - .offset:         28
        .size:           4
        .value_kind:     by_value
      - .actual_access:  read_only
        .address_space:  global
        .offset:         32
        .size:           8
        .value_kind:     global_buffer
      - .actual_access:  read_only
        .address_space:  global
        .offset:         40
        .size:           8
        .value_kind:     global_buffer
      - .actual_access:  read_only
        .address_space:  global
        .offset:         48
        .size:           8
        .value_kind:     global_buffer
      - .offset:         56
        .size:           4
        .value_kind:     by_value
      - .actual_access:  read_only
        .address_space:  global
        .offset:         64
        .size:           8
        .value_kind:     global_buffer
      - .offset:         72
        .size:           4
        .value_kind:     by_value
      - .offset:         76
        .size:           4
        .value_kind:     by_value
      - .offset:         80
        .size:           4
        .value_kind:     by_value
      - .actual_access:  read_only
        .address_space:  global
        .offset:         88
        .size:           8
        .value_kind:     global_buffer
      - .actual_access:  read_only
        .address_space:  global
        .offset:         96
        .size:           8
        .value_kind:     global_buffer
      - .actual_access:  read_only
        .address_space:  global
        .offset:         104
        .size:           8
        .value_kind:     global_buffer
      - .actual_access:  read_only
        .address_space:  global
        .offset:         112
        .size:           8
        .value_kind:     global_buffer
      - .offset:         120
        .size:           4
        .value_kind:     by_value
      - .address_space:  global
        .offset:         128
        .size:           8
        .value_kind:     global_buffer
      - .address_space:  global
        .offset:         136
        .size:           8
        .value_kind:     global_buffer
      - .offset:         144
        .size:           4
        .value_kind:     hidden_block_count_x
      - .offset:         148
        .size:           4
        .value_kind:     hidden_block_count_y
      - .offset:         152
        .size:           4
        .value_kind:     hidden_block_count_z
      - .offset:         156
        .size:           2
        .value_kind:     hidden_group_size_x
      - .offset:         158
        .size:           2
        .value_kind:     hidden_group_size_y
      - .offset:         160
        .size:           2
        .value_kind:     hidden_group_size_z
      - .offset:         162
        .size:           2
        .value_kind:     hidden_remainder_x
      - .offset:         164
        .size:           2
        .value_kind:     hidden_remainder_y
      - .offset:         166
        .size:           2
        .value_kind:     hidden_remainder_z
      - .offset:         184
        .size:           8
        .value_kind:     hidden_global_offset_x
      - .offset:         192
        .size:           8
        .value_kind:     hidden_global_offset_y
      - .offset:         200
        .size:           8
        .value_kind:     hidden_global_offset_z
      - .offset:         208
        .size:           2
        .value_kind:     hidden_grid_dims
      - .offset:         224
        .size:           8
        .value_kind:     hidden_hostcall_buffer
    .group_segment_fixed_size: 0
    .kernarg_segment_align: 8
    .kernarg_segment_size: 400
    .language:       OpenCL C
    .language_version:
      - 2
      - 0
    .max_flat_workgroup_size: 256
    .name:           _Z39paged_attention_ll4mi_QKV_mfma16_kernelIDF16_DF16_LN4vllm18Fp8KVCacheDataTypeE0EDF16_Li32ELi64ELi256ELb1ELi13EEvPKT_PKT0_S7_ifPKiS9_S9_iPKfiiiPfSC_PS2_PT2_iSB_SB_
    .private_segment_fixed_size: 64
    .sgpr_count:     36
    .sgpr_spill_count: 0
    .symbol:         _Z39paged_attention_ll4mi_QKV_mfma16_kernelIDF16_DF16_LN4vllm18Fp8KVCacheDataTypeE0EDF16_Li32ELi64ELi256ELb1ELi13EEvPKT_PKT0_S7_ifPKiS9_S9_iPKfiiiPfSC_PS2_PT2_iSB_SB_.kd
    .uniform_work_group_size: 1
    .uses_dynamic_stack: false
    .vgpr_count:     51
    .vgpr_spill_count: 0
    .wavefront_size: 32
  - .args:
      - .actual_access:  read_only
        .address_space:  global
        .offset:         0
        .size:           8
        .value_kind:     global_buffer
      - .actual_access:  read_only
        .address_space:  global
        .offset:         8
        .size:           8
        .value_kind:     global_buffer
      - .actual_access:  read_only
        .address_space:  global
        .offset:         16
        .size:           8
        .value_kind:     global_buffer
      - .offset:         24
        .size:           4
        .value_kind:     by_value
      - .offset:         28
        .size:           4
        .value_kind:     by_value
      - .actual_access:  read_only
        .address_space:  global
        .offset:         32
        .size:           8
        .value_kind:     global_buffer
      - .actual_access:  read_only
        .address_space:  global
        .offset:         40
        .size:           8
        .value_kind:     global_buffer
      - .actual_access:  read_only
        .address_space:  global
        .offset:         48
        .size:           8
        .value_kind:     global_buffer
      - .offset:         56
        .size:           4
        .value_kind:     by_value
      - .actual_access:  read_only
        .address_space:  global
        .offset:         64
        .size:           8
        .value_kind:     global_buffer
      - .offset:         72
        .size:           4
        .value_kind:     by_value
      - .offset:         76
        .size:           4
        .value_kind:     by_value
      - .offset:         80
        .size:           4
        .value_kind:     by_value
      - .actual_access:  read_only
        .address_space:  global
        .offset:         88
        .size:           8
        .value_kind:     global_buffer
      - .actual_access:  read_only
        .address_space:  global
        .offset:         96
        .size:           8
        .value_kind:     global_buffer
      - .actual_access:  read_only
        .address_space:  global
        .offset:         104
        .size:           8
        .value_kind:     global_buffer
      - .actual_access:  read_only
        .address_space:  global
        .offset:         112
        .size:           8
        .value_kind:     global_buffer
      - .offset:         120
        .size:           4
        .value_kind:     by_value
      - .address_space:  global
        .offset:         128
        .size:           8
        .value_kind:     global_buffer
      - .address_space:  global
        .offset:         136
        .size:           8
        .value_kind:     global_buffer
      - .offset:         144
        .size:           4
        .value_kind:     hidden_block_count_x
      - .offset:         148
        .size:           4
        .value_kind:     hidden_block_count_y
      - .offset:         152
        .size:           4
        .value_kind:     hidden_block_count_z
      - .offset:         156
        .size:           2
        .value_kind:     hidden_group_size_x
      - .offset:         158
        .size:           2
        .value_kind:     hidden_group_size_y
      - .offset:         160
        .size:           2
        .value_kind:     hidden_group_size_z
      - .offset:         162
        .size:           2
        .value_kind:     hidden_remainder_x
      - .offset:         164
        .size:           2
        .value_kind:     hidden_remainder_y
      - .offset:         166
        .size:           2
        .value_kind:     hidden_remainder_z
      - .offset:         184
        .size:           8
        .value_kind:     hidden_global_offset_x
      - .offset:         192
        .size:           8
        .value_kind:     hidden_global_offset_y
      - .offset:         200
        .size:           8
        .value_kind:     hidden_global_offset_z
      - .offset:         208
        .size:           2
        .value_kind:     hidden_grid_dims
      - .offset:         224
        .size:           8
        .value_kind:     hidden_hostcall_buffer
    .group_segment_fixed_size: 0
    .kernarg_segment_align: 8
    .kernarg_segment_size: 400
    .language:       OpenCL C
    .language_version:
      - 2
      - 0
    .max_flat_workgroup_size: 256
    .name:           _Z39paged_attention_ll4mi_QKV_mfma16_kernelIDF16_DF16_LN4vllm18Fp8KVCacheDataTypeE0EDF16_Li32ELi64ELi256ELb1ELi14EEvPKT_PKT0_S7_ifPKiS9_S9_iPKfiiiPfSC_PS2_PT2_iSB_SB_
    .private_segment_fixed_size: 64
    .sgpr_count:     36
    .sgpr_spill_count: 0
    .symbol:         _Z39paged_attention_ll4mi_QKV_mfma16_kernelIDF16_DF16_LN4vllm18Fp8KVCacheDataTypeE0EDF16_Li32ELi64ELi256ELb1ELi14EEvPKT_PKT0_S7_ifPKiS9_S9_iPKfiiiPfSC_PS2_PT2_iSB_SB_.kd
    .uniform_work_group_size: 1
    .uses_dynamic_stack: false
    .vgpr_count:     51
    .vgpr_spill_count: 0
    .wavefront_size: 32
  - .args:
      - .actual_access:  read_only
        .address_space:  global
        .offset:         0
        .size:           8
        .value_kind:     global_buffer
      - .actual_access:  read_only
        .address_space:  global
        .offset:         8
        .size:           8
        .value_kind:     global_buffer
      - .actual_access:  read_only
        .address_space:  global
        .offset:         16
        .size:           8
        .value_kind:     global_buffer
      - .offset:         24
        .size:           4
        .value_kind:     by_value
      - .offset:         28
        .size:           4
        .value_kind:     by_value
      - .actual_access:  read_only
        .address_space:  global
        .offset:         32
        .size:           8
        .value_kind:     global_buffer
      - .actual_access:  read_only
        .address_space:  global
        .offset:         40
        .size:           8
        .value_kind:     global_buffer
      - .actual_access:  read_only
        .address_space:  global
        .offset:         48
        .size:           8
        .value_kind:     global_buffer
      - .offset:         56
        .size:           4
        .value_kind:     by_value
      - .actual_access:  read_only
        .address_space:  global
        .offset:         64
        .size:           8
        .value_kind:     global_buffer
      - .offset:         72
        .size:           4
        .value_kind:     by_value
      - .offset:         76
        .size:           4
        .value_kind:     by_value
      - .offset:         80
        .size:           4
        .value_kind:     by_value
      - .actual_access:  read_only
        .address_space:  global
        .offset:         88
        .size:           8
        .value_kind:     global_buffer
      - .actual_access:  read_only
        .address_space:  global
        .offset:         96
        .size:           8
        .value_kind:     global_buffer
      - .actual_access:  read_only
        .address_space:  global
        .offset:         104
        .size:           8
        .value_kind:     global_buffer
      - .actual_access:  read_only
        .address_space:  global
        .offset:         112
        .size:           8
        .value_kind:     global_buffer
      - .offset:         120
        .size:           4
        .value_kind:     by_value
      - .address_space:  global
        .offset:         128
        .size:           8
        .value_kind:     global_buffer
      - .address_space:  global
        .offset:         136
        .size:           8
        .value_kind:     global_buffer
      - .offset:         144
        .size:           4
        .value_kind:     hidden_block_count_x
      - .offset:         148
        .size:           4
        .value_kind:     hidden_block_count_y
      - .offset:         152
        .size:           4
        .value_kind:     hidden_block_count_z
      - .offset:         156
        .size:           2
        .value_kind:     hidden_group_size_x
      - .offset:         158
        .size:           2
        .value_kind:     hidden_group_size_y
      - .offset:         160
        .size:           2
        .value_kind:     hidden_group_size_z
      - .offset:         162
        .size:           2
        .value_kind:     hidden_remainder_x
      - .offset:         164
        .size:           2
        .value_kind:     hidden_remainder_y
      - .offset:         166
        .size:           2
        .value_kind:     hidden_remainder_z
      - .offset:         184
        .size:           8
        .value_kind:     hidden_global_offset_x
      - .offset:         192
        .size:           8
        .value_kind:     hidden_global_offset_y
      - .offset:         200
        .size:           8
        .value_kind:     hidden_global_offset_z
      - .offset:         208
        .size:           2
        .value_kind:     hidden_grid_dims
      - .offset:         224
        .size:           8
        .value_kind:     hidden_hostcall_buffer
    .group_segment_fixed_size: 0
    .kernarg_segment_align: 8
    .kernarg_segment_size: 400
    .language:       OpenCL C
    .language_version:
      - 2
      - 0
    .max_flat_workgroup_size: 256
    .name:           _Z39paged_attention_ll4mi_QKV_mfma16_kernelIDF16_DF16_LN4vllm18Fp8KVCacheDataTypeE0EDF16_Li32ELi64ELi256ELb1ELi15EEvPKT_PKT0_S7_ifPKiS9_S9_iPKfiiiPfSC_PS2_PT2_iSB_SB_
    .private_segment_fixed_size: 64
    .sgpr_count:     36
    .sgpr_spill_count: 0
    .symbol:         _Z39paged_attention_ll4mi_QKV_mfma16_kernelIDF16_DF16_LN4vllm18Fp8KVCacheDataTypeE0EDF16_Li32ELi64ELi256ELb1ELi15EEvPKT_PKT0_S7_ifPKiS9_S9_iPKfiiiPfSC_PS2_PT2_iSB_SB_.kd
    .uniform_work_group_size: 1
    .uses_dynamic_stack: false
    .vgpr_count:     51
    .vgpr_spill_count: 0
    .wavefront_size: 32
  - .args:
      - .actual_access:  read_only
        .address_space:  global
        .offset:         0
        .size:           8
        .value_kind:     global_buffer
      - .actual_access:  read_only
        .address_space:  global
        .offset:         8
        .size:           8
        .value_kind:     global_buffer
      - .actual_access:  read_only
        .address_space:  global
        .offset:         16
        .size:           8
        .value_kind:     global_buffer
      - .offset:         24
        .size:           4
        .value_kind:     by_value
      - .offset:         28
        .size:           4
        .value_kind:     by_value
      - .actual_access:  read_only
        .address_space:  global
        .offset:         32
        .size:           8
        .value_kind:     global_buffer
      - .actual_access:  read_only
        .address_space:  global
        .offset:         40
        .size:           8
        .value_kind:     global_buffer
      - .actual_access:  read_only
        .address_space:  global
        .offset:         48
        .size:           8
        .value_kind:     global_buffer
      - .offset:         56
        .size:           4
        .value_kind:     by_value
      - .actual_access:  read_only
        .address_space:  global
        .offset:         64
        .size:           8
        .value_kind:     global_buffer
      - .offset:         72
        .size:           4
        .value_kind:     by_value
      - .offset:         76
        .size:           4
        .value_kind:     by_value
      - .offset:         80
        .size:           4
        .value_kind:     by_value
      - .actual_access:  read_only
        .address_space:  global
        .offset:         88
        .size:           8
        .value_kind:     global_buffer
      - .actual_access:  read_only
        .address_space:  global
        .offset:         96
        .size:           8
        .value_kind:     global_buffer
      - .actual_access:  read_only
        .address_space:  global
        .offset:         104
        .size:           8
        .value_kind:     global_buffer
      - .actual_access:  read_only
        .address_space:  global
        .offset:         112
        .size:           8
        .value_kind:     global_buffer
      - .offset:         120
        .size:           4
        .value_kind:     by_value
      - .address_space:  global
        .offset:         128
        .size:           8
        .value_kind:     global_buffer
      - .address_space:  global
        .offset:         136
        .size:           8
        .value_kind:     global_buffer
      - .offset:         144
        .size:           4
        .value_kind:     hidden_block_count_x
      - .offset:         148
        .size:           4
        .value_kind:     hidden_block_count_y
      - .offset:         152
        .size:           4
        .value_kind:     hidden_block_count_z
      - .offset:         156
        .size:           2
        .value_kind:     hidden_group_size_x
      - .offset:         158
        .size:           2
        .value_kind:     hidden_group_size_y
      - .offset:         160
        .size:           2
        .value_kind:     hidden_group_size_z
      - .offset:         162
        .size:           2
        .value_kind:     hidden_remainder_x
      - .offset:         164
        .size:           2
        .value_kind:     hidden_remainder_y
      - .offset:         166
        .size:           2
        .value_kind:     hidden_remainder_z
      - .offset:         184
        .size:           8
        .value_kind:     hidden_global_offset_x
      - .offset:         192
        .size:           8
        .value_kind:     hidden_global_offset_y
      - .offset:         200
        .size:           8
        .value_kind:     hidden_global_offset_z
      - .offset:         208
        .size:           2
        .value_kind:     hidden_grid_dims
      - .offset:         224
        .size:           8
        .value_kind:     hidden_hostcall_buffer
    .group_segment_fixed_size: 0
    .kernarg_segment_align: 8
    .kernarg_segment_size: 400
    .language:       OpenCL C
    .language_version:
      - 2
      - 0
    .max_flat_workgroup_size: 256
    .name:           _Z39paged_attention_ll4mi_QKV_mfma16_kernelIDF16_DF16_LN4vllm18Fp8KVCacheDataTypeE0EDF16_Li32ELi64ELi256ELb1ELi16EEvPKT_PKT0_S7_ifPKiS9_S9_iPKfiiiPfSC_PS2_PT2_iSB_SB_
    .private_segment_fixed_size: 64
    .sgpr_count:     36
    .sgpr_spill_count: 0
    .symbol:         _Z39paged_attention_ll4mi_QKV_mfma16_kernelIDF16_DF16_LN4vllm18Fp8KVCacheDataTypeE0EDF16_Li32ELi64ELi256ELb1ELi16EEvPKT_PKT0_S7_ifPKiS9_S9_iPKfiiiPfSC_PS2_PT2_iSB_SB_.kd
    .uniform_work_group_size: 1
    .uses_dynamic_stack: false
    .vgpr_count:     51
    .vgpr_spill_count: 0
    .wavefront_size: 32
  - .args:
      - .actual_access:  read_only
        .address_space:  global
        .offset:         0
        .size:           8
        .value_kind:     global_buffer
      - .actual_access:  read_only
        .address_space:  global
        .offset:         8
        .size:           8
        .value_kind:     global_buffer
      - .actual_access:  read_only
        .address_space:  global
        .offset:         16
        .size:           8
        .value_kind:     global_buffer
      - .offset:         24
        .size:           4
        .value_kind:     by_value
      - .offset:         28
        .size:           4
        .value_kind:     by_value
      - .actual_access:  read_only
        .address_space:  global
        .offset:         32
        .size:           8
        .value_kind:     global_buffer
      - .actual_access:  read_only
        .address_space:  global
        .offset:         40
        .size:           8
        .value_kind:     global_buffer
      - .actual_access:  read_only
        .address_space:  global
        .offset:         48
        .size:           8
        .value_kind:     global_buffer
      - .offset:         56
        .size:           4
        .value_kind:     by_value
      - .actual_access:  read_only
        .address_space:  global
        .offset:         64
        .size:           8
        .value_kind:     global_buffer
      - .offset:         72
        .size:           4
        .value_kind:     by_value
      - .offset:         76
        .size:           4
        .value_kind:     by_value
      - .offset:         80
        .size:           4
        .value_kind:     by_value
      - .actual_access:  read_only
        .address_space:  global
        .offset:         88
        .size:           8
        .value_kind:     global_buffer
      - .actual_access:  read_only
        .address_space:  global
        .offset:         96
        .size:           8
        .value_kind:     global_buffer
      - .actual_access:  read_only
        .address_space:  global
        .offset:         104
        .size:           8
        .value_kind:     global_buffer
      - .actual_access:  read_only
        .address_space:  global
        .offset:         112
        .size:           8
        .value_kind:     global_buffer
      - .offset:         120
        .size:           4
        .value_kind:     by_value
      - .address_space:  global
        .offset:         128
        .size:           8
        .value_kind:     global_buffer
      - .address_space:  global
        .offset:         136
        .size:           8
        .value_kind:     global_buffer
      - .offset:         144
        .size:           4
        .value_kind:     hidden_block_count_x
      - .offset:         148
        .size:           4
        .value_kind:     hidden_block_count_y
      - .offset:         152
        .size:           4
        .value_kind:     hidden_block_count_z
      - .offset:         156
        .size:           2
        .value_kind:     hidden_group_size_x
      - .offset:         158
        .size:           2
        .value_kind:     hidden_group_size_y
      - .offset:         160
        .size:           2
        .value_kind:     hidden_group_size_z
      - .offset:         162
        .size:           2
        .value_kind:     hidden_remainder_x
      - .offset:         164
        .size:           2
        .value_kind:     hidden_remainder_y
      - .offset:         166
        .size:           2
        .value_kind:     hidden_remainder_z
      - .offset:         184
        .size:           8
        .value_kind:     hidden_global_offset_x
      - .offset:         192
        .size:           8
        .value_kind:     hidden_global_offset_y
      - .offset:         200
        .size:           8
        .value_kind:     hidden_global_offset_z
      - .offset:         208
        .size:           2
        .value_kind:     hidden_grid_dims
      - .offset:         224
        .size:           8
        .value_kind:     hidden_hostcall_buffer
    .group_segment_fixed_size: 0
    .kernarg_segment_align: 8
    .kernarg_segment_size: 400
    .language:       OpenCL C
    .language_version:
      - 2
      - 0
    .max_flat_workgroup_size: 256
    .name:           _Z39paged_attention_ll4mi_QKV_mfma16_kernelIDF16_DF16_LN4vllm18Fp8KVCacheDataTypeE0EDF16_Li32ELi64ELi256ELb1ELi1EEvPKT_PKT0_S7_ifPKiS9_S9_iPKfiiiPfSC_PS2_PT2_iSB_SB_
    .private_segment_fixed_size: 64
    .sgpr_count:     36
    .sgpr_spill_count: 0
    .symbol:         _Z39paged_attention_ll4mi_QKV_mfma16_kernelIDF16_DF16_LN4vllm18Fp8KVCacheDataTypeE0EDF16_Li32ELi64ELi256ELb1ELi1EEvPKT_PKT0_S7_ifPKiS9_S9_iPKfiiiPfSC_PS2_PT2_iSB_SB_.kd
    .uniform_work_group_size: 1
    .uses_dynamic_stack: false
    .vgpr_count:     51
    .vgpr_spill_count: 0
    .wavefront_size: 32
  - .args:
      - .actual_access:  read_only
        .address_space:  global
        .offset:         0
        .size:           8
        .value_kind:     global_buffer
      - .actual_access:  read_only
        .address_space:  global
        .offset:         8
        .size:           8
        .value_kind:     global_buffer
      - .actual_access:  read_only
        .address_space:  global
        .offset:         16
        .size:           8
        .value_kind:     global_buffer
      - .offset:         24
        .size:           4
        .value_kind:     by_value
      - .offset:         28
        .size:           4
        .value_kind:     by_value
      - .actual_access:  read_only
        .address_space:  global
        .offset:         32
        .size:           8
        .value_kind:     global_buffer
      - .actual_access:  read_only
        .address_space:  global
        .offset:         40
        .size:           8
        .value_kind:     global_buffer
      - .actual_access:  read_only
        .address_space:  global
        .offset:         48
        .size:           8
        .value_kind:     global_buffer
      - .offset:         56
        .size:           4
        .value_kind:     by_value
      - .actual_access:  read_only
        .address_space:  global
        .offset:         64
        .size:           8
        .value_kind:     global_buffer
      - .offset:         72
        .size:           4
        .value_kind:     by_value
      - .offset:         76
        .size:           4
        .value_kind:     by_value
      - .offset:         80
        .size:           4
        .value_kind:     by_value
      - .actual_access:  read_only
        .address_space:  global
        .offset:         88
        .size:           8
        .value_kind:     global_buffer
      - .actual_access:  read_only
        .address_space:  global
        .offset:         96
        .size:           8
        .value_kind:     global_buffer
      - .actual_access:  read_only
        .address_space:  global
        .offset:         104
        .size:           8
        .value_kind:     global_buffer
      - .actual_access:  read_only
        .address_space:  global
        .offset:         112
        .size:           8
        .value_kind:     global_buffer
      - .offset:         120
        .size:           4
        .value_kind:     by_value
      - .address_space:  global
        .offset:         128
        .size:           8
        .value_kind:     global_buffer
      - .address_space:  global
        .offset:         136
        .size:           8
        .value_kind:     global_buffer
      - .offset:         144
        .size:           4
        .value_kind:     hidden_block_count_x
      - .offset:         148
        .size:           4
        .value_kind:     hidden_block_count_y
      - .offset:         152
        .size:           4
        .value_kind:     hidden_block_count_z
      - .offset:         156
        .size:           2
        .value_kind:     hidden_group_size_x
      - .offset:         158
        .size:           2
        .value_kind:     hidden_group_size_y
      - .offset:         160
        .size:           2
        .value_kind:     hidden_group_size_z
      - .offset:         162
        .size:           2
        .value_kind:     hidden_remainder_x
      - .offset:         164
        .size:           2
        .value_kind:     hidden_remainder_y
      - .offset:         166
        .size:           2
        .value_kind:     hidden_remainder_z
      - .offset:         184
        .size:           8
        .value_kind:     hidden_global_offset_x
      - .offset:         192
        .size:           8
        .value_kind:     hidden_global_offset_y
      - .offset:         200
        .size:           8
        .value_kind:     hidden_global_offset_z
      - .offset:         208
        .size:           2
        .value_kind:     hidden_grid_dims
      - .offset:         224
        .size:           8
        .value_kind:     hidden_hostcall_buffer
    .group_segment_fixed_size: 0
    .kernarg_segment_align: 8
    .kernarg_segment_size: 400
    .language:       OpenCL C
    .language_version:
      - 2
      - 0
    .max_flat_workgroup_size: 256
    .name:           _Z39paged_attention_ll4mi_QKV_mfma16_kernelIDF16_DF16_LN4vllm18Fp8KVCacheDataTypeE0EDF16_Li32ELi64ELi256ELb1ELi2EEvPKT_PKT0_S7_ifPKiS9_S9_iPKfiiiPfSC_PS2_PT2_iSB_SB_
    .private_segment_fixed_size: 64
    .sgpr_count:     36
    .sgpr_spill_count: 0
    .symbol:         _Z39paged_attention_ll4mi_QKV_mfma16_kernelIDF16_DF16_LN4vllm18Fp8KVCacheDataTypeE0EDF16_Li32ELi64ELi256ELb1ELi2EEvPKT_PKT0_S7_ifPKiS9_S9_iPKfiiiPfSC_PS2_PT2_iSB_SB_.kd
    .uniform_work_group_size: 1
    .uses_dynamic_stack: false
    .vgpr_count:     51
    .vgpr_spill_count: 0
    .wavefront_size: 32
  - .args:
      - .actual_access:  read_only
        .address_space:  global
        .offset:         0
        .size:           8
        .value_kind:     global_buffer
      - .actual_access:  read_only
        .address_space:  global
        .offset:         8
        .size:           8
        .value_kind:     global_buffer
      - .actual_access:  read_only
        .address_space:  global
        .offset:         16
        .size:           8
        .value_kind:     global_buffer
      - .offset:         24
        .size:           4
        .value_kind:     by_value
      - .offset:         28
        .size:           4
        .value_kind:     by_value
      - .actual_access:  read_only
        .address_space:  global
        .offset:         32
        .size:           8
        .value_kind:     global_buffer
      - .actual_access:  read_only
        .address_space:  global
        .offset:         40
        .size:           8
        .value_kind:     global_buffer
      - .actual_access:  read_only
        .address_space:  global
        .offset:         48
        .size:           8
        .value_kind:     global_buffer
      - .offset:         56
        .size:           4
        .value_kind:     by_value
      - .actual_access:  read_only
        .address_space:  global
        .offset:         64
        .size:           8
        .value_kind:     global_buffer
      - .offset:         72
        .size:           4
        .value_kind:     by_value
      - .offset:         76
        .size:           4
        .value_kind:     by_value
      - .offset:         80
        .size:           4
        .value_kind:     by_value
      - .actual_access:  read_only
        .address_space:  global
        .offset:         88
        .size:           8
        .value_kind:     global_buffer
      - .actual_access:  read_only
        .address_space:  global
        .offset:         96
        .size:           8
        .value_kind:     global_buffer
      - .actual_access:  read_only
        .address_space:  global
        .offset:         104
        .size:           8
        .value_kind:     global_buffer
      - .actual_access:  read_only
        .address_space:  global
        .offset:         112
        .size:           8
        .value_kind:     global_buffer
      - .offset:         120
        .size:           4
        .value_kind:     by_value
      - .address_space:  global
        .offset:         128
        .size:           8
        .value_kind:     global_buffer
      - .address_space:  global
        .offset:         136
        .size:           8
        .value_kind:     global_buffer
      - .offset:         144
        .size:           4
        .value_kind:     hidden_block_count_x
      - .offset:         148
        .size:           4
        .value_kind:     hidden_block_count_y
      - .offset:         152
        .size:           4
        .value_kind:     hidden_block_count_z
      - .offset:         156
        .size:           2
        .value_kind:     hidden_group_size_x
      - .offset:         158
        .size:           2
        .value_kind:     hidden_group_size_y
      - .offset:         160
        .size:           2
        .value_kind:     hidden_group_size_z
      - .offset:         162
        .size:           2
        .value_kind:     hidden_remainder_x
      - .offset:         164
        .size:           2
        .value_kind:     hidden_remainder_y
      - .offset:         166
        .size:           2
        .value_kind:     hidden_remainder_z
      - .offset:         184
        .size:           8
        .value_kind:     hidden_global_offset_x
      - .offset:         192
        .size:           8
        .value_kind:     hidden_global_offset_y
      - .offset:         200
        .size:           8
        .value_kind:     hidden_global_offset_z
      - .offset:         208
        .size:           2
        .value_kind:     hidden_grid_dims
      - .offset:         224
        .size:           8
        .value_kind:     hidden_hostcall_buffer
    .group_segment_fixed_size: 0
    .kernarg_segment_align: 8
    .kernarg_segment_size: 400
    .language:       OpenCL C
    .language_version:
      - 2
      - 0
    .max_flat_workgroup_size: 256
    .name:           _Z39paged_attention_ll4mi_QKV_mfma16_kernelIDF16_DF16_LN4vllm18Fp8KVCacheDataTypeE0EDF16_Li32ELi64ELi256ELb1ELi3EEvPKT_PKT0_S7_ifPKiS9_S9_iPKfiiiPfSC_PS2_PT2_iSB_SB_
    .private_segment_fixed_size: 64
    .sgpr_count:     36
    .sgpr_spill_count: 0
    .symbol:         _Z39paged_attention_ll4mi_QKV_mfma16_kernelIDF16_DF16_LN4vllm18Fp8KVCacheDataTypeE0EDF16_Li32ELi64ELi256ELb1ELi3EEvPKT_PKT0_S7_ifPKiS9_S9_iPKfiiiPfSC_PS2_PT2_iSB_SB_.kd
    .uniform_work_group_size: 1
    .uses_dynamic_stack: false
    .vgpr_count:     51
    .vgpr_spill_count: 0
    .wavefront_size: 32
  - .args:
      - .actual_access:  read_only
        .address_space:  global
        .offset:         0
        .size:           8
        .value_kind:     global_buffer
      - .actual_access:  read_only
        .address_space:  global
        .offset:         8
        .size:           8
        .value_kind:     global_buffer
      - .actual_access:  read_only
        .address_space:  global
        .offset:         16
        .size:           8
        .value_kind:     global_buffer
      - .offset:         24
        .size:           4
        .value_kind:     by_value
      - .offset:         28
        .size:           4
        .value_kind:     by_value
      - .actual_access:  read_only
        .address_space:  global
        .offset:         32
        .size:           8
        .value_kind:     global_buffer
      - .actual_access:  read_only
        .address_space:  global
        .offset:         40
        .size:           8
        .value_kind:     global_buffer
      - .actual_access:  read_only
        .address_space:  global
        .offset:         48
        .size:           8
        .value_kind:     global_buffer
      - .offset:         56
        .size:           4
        .value_kind:     by_value
      - .actual_access:  read_only
        .address_space:  global
        .offset:         64
        .size:           8
        .value_kind:     global_buffer
      - .offset:         72
        .size:           4
        .value_kind:     by_value
      - .offset:         76
        .size:           4
        .value_kind:     by_value
      - .offset:         80
        .size:           4
        .value_kind:     by_value
      - .actual_access:  read_only
        .address_space:  global
        .offset:         88
        .size:           8
        .value_kind:     global_buffer
      - .actual_access:  read_only
        .address_space:  global
        .offset:         96
        .size:           8
        .value_kind:     global_buffer
      - .actual_access:  read_only
        .address_space:  global
        .offset:         104
        .size:           8
        .value_kind:     global_buffer
      - .actual_access:  read_only
        .address_space:  global
        .offset:         112
        .size:           8
        .value_kind:     global_buffer
      - .offset:         120
        .size:           4
        .value_kind:     by_value
      - .address_space:  global
        .offset:         128
        .size:           8
        .value_kind:     global_buffer
      - .address_space:  global
        .offset:         136
        .size:           8
        .value_kind:     global_buffer
      - .offset:         144
        .size:           4
        .value_kind:     hidden_block_count_x
      - .offset:         148
        .size:           4
        .value_kind:     hidden_block_count_y
      - .offset:         152
        .size:           4
        .value_kind:     hidden_block_count_z
      - .offset:         156
        .size:           2
        .value_kind:     hidden_group_size_x
      - .offset:         158
        .size:           2
        .value_kind:     hidden_group_size_y
      - .offset:         160
        .size:           2
        .value_kind:     hidden_group_size_z
      - .offset:         162
        .size:           2
        .value_kind:     hidden_remainder_x
      - .offset:         164
        .size:           2
        .value_kind:     hidden_remainder_y
      - .offset:         166
        .size:           2
        .value_kind:     hidden_remainder_z
      - .offset:         184
        .size:           8
        .value_kind:     hidden_global_offset_x
      - .offset:         192
        .size:           8
        .value_kind:     hidden_global_offset_y
      - .offset:         200
        .size:           8
        .value_kind:     hidden_global_offset_z
      - .offset:         208
        .size:           2
        .value_kind:     hidden_grid_dims
      - .offset:         224
        .size:           8
        .value_kind:     hidden_hostcall_buffer
    .group_segment_fixed_size: 0
    .kernarg_segment_align: 8
    .kernarg_segment_size: 400
    .language:       OpenCL C
    .language_version:
      - 2
      - 0
    .max_flat_workgroup_size: 256
    .name:           _Z39paged_attention_ll4mi_QKV_mfma16_kernelIDF16_DF16_LN4vllm18Fp8KVCacheDataTypeE0EDF16_Li32ELi64ELi256ELb1ELi4EEvPKT_PKT0_S7_ifPKiS9_S9_iPKfiiiPfSC_PS2_PT2_iSB_SB_
    .private_segment_fixed_size: 64
    .sgpr_count:     36
    .sgpr_spill_count: 0
    .symbol:         _Z39paged_attention_ll4mi_QKV_mfma16_kernelIDF16_DF16_LN4vllm18Fp8KVCacheDataTypeE0EDF16_Li32ELi64ELi256ELb1ELi4EEvPKT_PKT0_S7_ifPKiS9_S9_iPKfiiiPfSC_PS2_PT2_iSB_SB_.kd
    .uniform_work_group_size: 1
    .uses_dynamic_stack: false
    .vgpr_count:     51
    .vgpr_spill_count: 0
    .wavefront_size: 32
  - .args:
      - .actual_access:  read_only
        .address_space:  global
        .offset:         0
        .size:           8
        .value_kind:     global_buffer
      - .actual_access:  read_only
        .address_space:  global
        .offset:         8
        .size:           8
        .value_kind:     global_buffer
      - .actual_access:  read_only
        .address_space:  global
        .offset:         16
        .size:           8
        .value_kind:     global_buffer
      - .offset:         24
        .size:           4
        .value_kind:     by_value
      - .offset:         28
        .size:           4
        .value_kind:     by_value
      - .actual_access:  read_only
        .address_space:  global
        .offset:         32
        .size:           8
        .value_kind:     global_buffer
      - .actual_access:  read_only
        .address_space:  global
        .offset:         40
        .size:           8
        .value_kind:     global_buffer
      - .actual_access:  read_only
        .address_space:  global
        .offset:         48
        .size:           8
        .value_kind:     global_buffer
      - .offset:         56
        .size:           4
        .value_kind:     by_value
      - .actual_access:  read_only
        .address_space:  global
        .offset:         64
        .size:           8
        .value_kind:     global_buffer
      - .offset:         72
        .size:           4
        .value_kind:     by_value
      - .offset:         76
        .size:           4
        .value_kind:     by_value
      - .offset:         80
        .size:           4
        .value_kind:     by_value
      - .actual_access:  read_only
        .address_space:  global
        .offset:         88
        .size:           8
        .value_kind:     global_buffer
      - .actual_access:  read_only
        .address_space:  global
        .offset:         96
        .size:           8
        .value_kind:     global_buffer
      - .actual_access:  read_only
        .address_space:  global
        .offset:         104
        .size:           8
        .value_kind:     global_buffer
      - .actual_access:  read_only
        .address_space:  global
        .offset:         112
        .size:           8
        .value_kind:     global_buffer
      - .offset:         120
        .size:           4
        .value_kind:     by_value
      - .address_space:  global
        .offset:         128
        .size:           8
        .value_kind:     global_buffer
      - .address_space:  global
        .offset:         136
        .size:           8
        .value_kind:     global_buffer
      - .offset:         144
        .size:           4
        .value_kind:     hidden_block_count_x
      - .offset:         148
        .size:           4
        .value_kind:     hidden_block_count_y
      - .offset:         152
        .size:           4
        .value_kind:     hidden_block_count_z
      - .offset:         156
        .size:           2
        .value_kind:     hidden_group_size_x
      - .offset:         158
        .size:           2
        .value_kind:     hidden_group_size_y
      - .offset:         160
        .size:           2
        .value_kind:     hidden_group_size_z
      - .offset:         162
        .size:           2
        .value_kind:     hidden_remainder_x
      - .offset:         164
        .size:           2
        .value_kind:     hidden_remainder_y
      - .offset:         166
        .size:           2
        .value_kind:     hidden_remainder_z
      - .offset:         184
        .size:           8
        .value_kind:     hidden_global_offset_x
      - .offset:         192
        .size:           8
        .value_kind:     hidden_global_offset_y
      - .offset:         200
        .size:           8
        .value_kind:     hidden_global_offset_z
      - .offset:         208
        .size:           2
        .value_kind:     hidden_grid_dims
      - .offset:         224
        .size:           8
        .value_kind:     hidden_hostcall_buffer
    .group_segment_fixed_size: 0
    .kernarg_segment_align: 8
    .kernarg_segment_size: 400
    .language:       OpenCL C
    .language_version:
      - 2
      - 0
    .max_flat_workgroup_size: 256
    .name:           _Z38paged_attention_ll4mi_QKV_mfma4_kernelIDF16_DF16_LN4vllm18Fp8KVCacheDataTypeE0EDF16_Li32ELi64ELi256ELb0ELi1EEvPKT_PKT0_S7_ifPKiS9_S9_iPKfiiiPfSC_PS2_PT2_iSB_SB_
    .private_segment_fixed_size: 64
    .sgpr_count:     36
    .sgpr_spill_count: 0
    .symbol:         _Z38paged_attention_ll4mi_QKV_mfma4_kernelIDF16_DF16_LN4vllm18Fp8KVCacheDataTypeE0EDF16_Li32ELi64ELi256ELb0ELi1EEvPKT_PKT0_S7_ifPKiS9_S9_iPKfiiiPfSC_PS2_PT2_iSB_SB_.kd
    .uniform_work_group_size: 1
    .uses_dynamic_stack: false
    .vgpr_count:     51
    .vgpr_spill_count: 0
    .wavefront_size: 32
  - .args:
      - .actual_access:  read_only
        .address_space:  global
        .offset:         0
        .size:           8
        .value_kind:     global_buffer
      - .actual_access:  read_only
        .address_space:  global
        .offset:         8
        .size:           8
        .value_kind:     global_buffer
      - .actual_access:  read_only
        .address_space:  global
        .offset:         16
        .size:           8
        .value_kind:     global_buffer
      - .offset:         24
        .size:           4
        .value_kind:     by_value
      - .offset:         28
        .size:           4
        .value_kind:     by_value
      - .actual_access:  read_only
        .address_space:  global
        .offset:         32
        .size:           8
        .value_kind:     global_buffer
      - .actual_access:  read_only
        .address_space:  global
        .offset:         40
        .size:           8
        .value_kind:     global_buffer
      - .actual_access:  read_only
        .address_space:  global
        .offset:         48
        .size:           8
        .value_kind:     global_buffer
      - .offset:         56
        .size:           4
        .value_kind:     by_value
      - .actual_access:  read_only
        .address_space:  global
        .offset:         64
        .size:           8
        .value_kind:     global_buffer
      - .offset:         72
        .size:           4
        .value_kind:     by_value
      - .offset:         76
        .size:           4
        .value_kind:     by_value
      - .offset:         80
        .size:           4
        .value_kind:     by_value
      - .actual_access:  read_only
        .address_space:  global
        .offset:         88
        .size:           8
        .value_kind:     global_buffer
      - .actual_access:  read_only
        .address_space:  global
        .offset:         96
        .size:           8
        .value_kind:     global_buffer
      - .actual_access:  read_only
        .address_space:  global
        .offset:         104
        .size:           8
        .value_kind:     global_buffer
      - .actual_access:  read_only
        .address_space:  global
        .offset:         112
        .size:           8
        .value_kind:     global_buffer
      - .offset:         120
        .size:           4
        .value_kind:     by_value
      - .address_space:  global
        .offset:         128
        .size:           8
        .value_kind:     global_buffer
      - .address_space:  global
        .offset:         136
        .size:           8
        .value_kind:     global_buffer
      - .offset:         144
        .size:           4
        .value_kind:     hidden_block_count_x
      - .offset:         148
        .size:           4
        .value_kind:     hidden_block_count_y
      - .offset:         152
        .size:           4
        .value_kind:     hidden_block_count_z
      - .offset:         156
        .size:           2
        .value_kind:     hidden_group_size_x
      - .offset:         158
        .size:           2
        .value_kind:     hidden_group_size_y
      - .offset:         160
        .size:           2
        .value_kind:     hidden_group_size_z
      - .offset:         162
        .size:           2
        .value_kind:     hidden_remainder_x
      - .offset:         164
        .size:           2
        .value_kind:     hidden_remainder_y
      - .offset:         166
        .size:           2
        .value_kind:     hidden_remainder_z
      - .offset:         184
        .size:           8
        .value_kind:     hidden_global_offset_x
      - .offset:         192
        .size:           8
        .value_kind:     hidden_global_offset_y
      - .offset:         200
        .size:           8
        .value_kind:     hidden_global_offset_z
      - .offset:         208
        .size:           2
        .value_kind:     hidden_grid_dims
      - .offset:         224
        .size:           8
        .value_kind:     hidden_hostcall_buffer
    .group_segment_fixed_size: 0
    .kernarg_segment_align: 8
    .kernarg_segment_size: 400
    .language:       OpenCL C
    .language_version:
      - 2
      - 0
    .max_flat_workgroup_size: 256
    .name:           _Z38paged_attention_ll4mi_QKV_mfma4_kernelIDF16_DF16_LN4vllm18Fp8KVCacheDataTypeE0EDF16_Li32ELi64ELi256ELb0ELi2EEvPKT_PKT0_S7_ifPKiS9_S9_iPKfiiiPfSC_PS2_PT2_iSB_SB_
    .private_segment_fixed_size: 64
    .sgpr_count:     36
    .sgpr_spill_count: 0
    .symbol:         _Z38paged_attention_ll4mi_QKV_mfma4_kernelIDF16_DF16_LN4vllm18Fp8KVCacheDataTypeE0EDF16_Li32ELi64ELi256ELb0ELi2EEvPKT_PKT0_S7_ifPKiS9_S9_iPKfiiiPfSC_PS2_PT2_iSB_SB_.kd
    .uniform_work_group_size: 1
    .uses_dynamic_stack: false
    .vgpr_count:     51
    .vgpr_spill_count: 0
    .wavefront_size: 32
  - .args:
      - .actual_access:  read_only
        .address_space:  global
        .offset:         0
        .size:           8
        .value_kind:     global_buffer
      - .actual_access:  read_only
        .address_space:  global
        .offset:         8
        .size:           8
        .value_kind:     global_buffer
      - .actual_access:  read_only
        .address_space:  global
        .offset:         16
        .size:           8
        .value_kind:     global_buffer
      - .offset:         24
        .size:           4
        .value_kind:     by_value
      - .offset:         28
        .size:           4
        .value_kind:     by_value
      - .actual_access:  read_only
        .address_space:  global
        .offset:         32
        .size:           8
        .value_kind:     global_buffer
      - .actual_access:  read_only
        .address_space:  global
        .offset:         40
        .size:           8
        .value_kind:     global_buffer
      - .actual_access:  read_only
        .address_space:  global
        .offset:         48
        .size:           8
        .value_kind:     global_buffer
      - .offset:         56
        .size:           4
        .value_kind:     by_value
      - .actual_access:  read_only
        .address_space:  global
        .offset:         64
        .size:           8
        .value_kind:     global_buffer
      - .offset:         72
        .size:           4
        .value_kind:     by_value
      - .offset:         76
        .size:           4
        .value_kind:     by_value
      - .offset:         80
        .size:           4
        .value_kind:     by_value
      - .actual_access:  read_only
        .address_space:  global
        .offset:         88
        .size:           8
        .value_kind:     global_buffer
      - .actual_access:  read_only
        .address_space:  global
        .offset:         96
        .size:           8
        .value_kind:     global_buffer
      - .actual_access:  read_only
        .address_space:  global
        .offset:         104
        .size:           8
        .value_kind:     global_buffer
      - .actual_access:  read_only
        .address_space:  global
        .offset:         112
        .size:           8
        .value_kind:     global_buffer
      - .offset:         120
        .size:           4
        .value_kind:     by_value
      - .address_space:  global
        .offset:         128
        .size:           8
        .value_kind:     global_buffer
      - .address_space:  global
        .offset:         136
        .size:           8
        .value_kind:     global_buffer
      - .offset:         144
        .size:           4
        .value_kind:     hidden_block_count_x
      - .offset:         148
        .size:           4
        .value_kind:     hidden_block_count_y
      - .offset:         152
        .size:           4
        .value_kind:     hidden_block_count_z
      - .offset:         156
        .size:           2
        .value_kind:     hidden_group_size_x
      - .offset:         158
        .size:           2
        .value_kind:     hidden_group_size_y
      - .offset:         160
        .size:           2
        .value_kind:     hidden_group_size_z
      - .offset:         162
        .size:           2
        .value_kind:     hidden_remainder_x
      - .offset:         164
        .size:           2
        .value_kind:     hidden_remainder_y
      - .offset:         166
        .size:           2
        .value_kind:     hidden_remainder_z
      - .offset:         184
        .size:           8
        .value_kind:     hidden_global_offset_x
      - .offset:         192
        .size:           8
        .value_kind:     hidden_global_offset_y
      - .offset:         200
        .size:           8
        .value_kind:     hidden_global_offset_z
      - .offset:         208
        .size:           2
        .value_kind:     hidden_grid_dims
      - .offset:         224
        .size:           8
        .value_kind:     hidden_hostcall_buffer
    .group_segment_fixed_size: 0
    .kernarg_segment_align: 8
    .kernarg_segment_size: 400
    .language:       OpenCL C
    .language_version:
      - 2
      - 0
    .max_flat_workgroup_size: 256
    .name:           _Z38paged_attention_ll4mi_QKV_mfma4_kernelIDF16_DF16_LN4vllm18Fp8KVCacheDataTypeE0EDF16_Li32ELi64ELi256ELb0ELi3EEvPKT_PKT0_S7_ifPKiS9_S9_iPKfiiiPfSC_PS2_PT2_iSB_SB_
    .private_segment_fixed_size: 64
    .sgpr_count:     36
    .sgpr_spill_count: 0
    .symbol:         _Z38paged_attention_ll4mi_QKV_mfma4_kernelIDF16_DF16_LN4vllm18Fp8KVCacheDataTypeE0EDF16_Li32ELi64ELi256ELb0ELi3EEvPKT_PKT0_S7_ifPKiS9_S9_iPKfiiiPfSC_PS2_PT2_iSB_SB_.kd
    .uniform_work_group_size: 1
    .uses_dynamic_stack: false
    .vgpr_count:     51
    .vgpr_spill_count: 0
    .wavefront_size: 32
  - .args:
      - .actual_access:  read_only
        .address_space:  global
        .offset:         0
        .size:           8
        .value_kind:     global_buffer
      - .actual_access:  read_only
        .address_space:  global
        .offset:         8
        .size:           8
        .value_kind:     global_buffer
      - .actual_access:  read_only
        .address_space:  global
        .offset:         16
        .size:           8
        .value_kind:     global_buffer
      - .offset:         24
        .size:           4
        .value_kind:     by_value
      - .offset:         28
        .size:           4
        .value_kind:     by_value
      - .actual_access:  read_only
        .address_space:  global
        .offset:         32
        .size:           8
        .value_kind:     global_buffer
      - .actual_access:  read_only
        .address_space:  global
        .offset:         40
        .size:           8
        .value_kind:     global_buffer
      - .actual_access:  read_only
        .address_space:  global
        .offset:         48
        .size:           8
        .value_kind:     global_buffer
      - .offset:         56
        .size:           4
        .value_kind:     by_value
      - .actual_access:  read_only
        .address_space:  global
        .offset:         64
        .size:           8
        .value_kind:     global_buffer
      - .offset:         72
        .size:           4
        .value_kind:     by_value
      - .offset:         76
        .size:           4
        .value_kind:     by_value
      - .offset:         80
        .size:           4
        .value_kind:     by_value
      - .actual_access:  read_only
        .address_space:  global
        .offset:         88
        .size:           8
        .value_kind:     global_buffer
      - .actual_access:  read_only
        .address_space:  global
        .offset:         96
        .size:           8
        .value_kind:     global_buffer
      - .actual_access:  read_only
        .address_space:  global
        .offset:         104
        .size:           8
        .value_kind:     global_buffer
      - .actual_access:  read_only
        .address_space:  global
        .offset:         112
        .size:           8
        .value_kind:     global_buffer
      - .offset:         120
        .size:           4
        .value_kind:     by_value
      - .address_space:  global
        .offset:         128
        .size:           8
        .value_kind:     global_buffer
      - .address_space:  global
        .offset:         136
        .size:           8
        .value_kind:     global_buffer
      - .offset:         144
        .size:           4
        .value_kind:     hidden_block_count_x
      - .offset:         148
        .size:           4
        .value_kind:     hidden_block_count_y
      - .offset:         152
        .size:           4
        .value_kind:     hidden_block_count_z
      - .offset:         156
        .size:           2
        .value_kind:     hidden_group_size_x
      - .offset:         158
        .size:           2
        .value_kind:     hidden_group_size_y
      - .offset:         160
        .size:           2
        .value_kind:     hidden_group_size_z
      - .offset:         162
        .size:           2
        .value_kind:     hidden_remainder_x
      - .offset:         164
        .size:           2
        .value_kind:     hidden_remainder_y
      - .offset:         166
        .size:           2
        .value_kind:     hidden_remainder_z
      - .offset:         184
        .size:           8
        .value_kind:     hidden_global_offset_x
      - .offset:         192
        .size:           8
        .value_kind:     hidden_global_offset_y
      - .offset:         200
        .size:           8
        .value_kind:     hidden_global_offset_z
      - .offset:         208
        .size:           2
        .value_kind:     hidden_grid_dims
      - .offset:         224
        .size:           8
        .value_kind:     hidden_hostcall_buffer
    .group_segment_fixed_size: 0
    .kernarg_segment_align: 8
    .kernarg_segment_size: 400
    .language:       OpenCL C
    .language_version:
      - 2
      - 0
    .max_flat_workgroup_size: 256
    .name:           _Z38paged_attention_ll4mi_QKV_mfma4_kernelIDF16_DF16_LN4vllm18Fp8KVCacheDataTypeE0EDF16_Li32ELi64ELi256ELb0ELi4EEvPKT_PKT0_S7_ifPKiS9_S9_iPKfiiiPfSC_PS2_PT2_iSB_SB_
    .private_segment_fixed_size: 64
    .sgpr_count:     36
    .sgpr_spill_count: 0
    .symbol:         _Z38paged_attention_ll4mi_QKV_mfma4_kernelIDF16_DF16_LN4vllm18Fp8KVCacheDataTypeE0EDF16_Li32ELi64ELi256ELb0ELi4EEvPKT_PKT0_S7_ifPKiS9_S9_iPKfiiiPfSC_PS2_PT2_iSB_SB_.kd
    .uniform_work_group_size: 1
    .uses_dynamic_stack: false
    .vgpr_count:     51
    .vgpr_spill_count: 0
    .wavefront_size: 32
  - .args:
      - .actual_access:  read_only
        .address_space:  global
        .offset:         0
        .size:           8
        .value_kind:     global_buffer
      - .actual_access:  read_only
        .address_space:  global
        .offset:         8
        .size:           8
        .value_kind:     global_buffer
      - .actual_access:  read_only
        .address_space:  global
        .offset:         16
        .size:           8
        .value_kind:     global_buffer
      - .offset:         24
        .size:           4
        .value_kind:     by_value
      - .offset:         28
        .size:           4
        .value_kind:     by_value
      - .actual_access:  read_only
        .address_space:  global
        .offset:         32
        .size:           8
        .value_kind:     global_buffer
      - .actual_access:  read_only
        .address_space:  global
        .offset:         40
        .size:           8
        .value_kind:     global_buffer
      - .actual_access:  read_only
        .address_space:  global
        .offset:         48
        .size:           8
        .value_kind:     global_buffer
      - .offset:         56
        .size:           4
        .value_kind:     by_value
      - .actual_access:  read_only
        .address_space:  global
        .offset:         64
        .size:           8
        .value_kind:     global_buffer
      - .offset:         72
        .size:           4
        .value_kind:     by_value
      - .offset:         76
        .size:           4
        .value_kind:     by_value
      - .offset:         80
        .size:           4
        .value_kind:     by_value
      - .actual_access:  read_only
        .address_space:  global
        .offset:         88
        .size:           8
        .value_kind:     global_buffer
      - .actual_access:  read_only
        .address_space:  global
        .offset:         96
        .size:           8
        .value_kind:     global_buffer
      - .actual_access:  read_only
        .address_space:  global
        .offset:         104
        .size:           8
        .value_kind:     global_buffer
      - .actual_access:  read_only
        .address_space:  global
        .offset:         112
        .size:           8
        .value_kind:     global_buffer
      - .offset:         120
        .size:           4
        .value_kind:     by_value
      - .address_space:  global
        .offset:         128
        .size:           8
        .value_kind:     global_buffer
      - .address_space:  global
        .offset:         136
        .size:           8
        .value_kind:     global_buffer
      - .offset:         144
        .size:           4
        .value_kind:     hidden_block_count_x
      - .offset:         148
        .size:           4
        .value_kind:     hidden_block_count_y
      - .offset:         152
        .size:           4
        .value_kind:     hidden_block_count_z
      - .offset:         156
        .size:           2
        .value_kind:     hidden_group_size_x
      - .offset:         158
        .size:           2
        .value_kind:     hidden_group_size_y
      - .offset:         160
        .size:           2
        .value_kind:     hidden_group_size_z
      - .offset:         162
        .size:           2
        .value_kind:     hidden_remainder_x
      - .offset:         164
        .size:           2
        .value_kind:     hidden_remainder_y
      - .offset:         166
        .size:           2
        .value_kind:     hidden_remainder_z
      - .offset:         184
        .size:           8
        .value_kind:     hidden_global_offset_x
      - .offset:         192
        .size:           8
        .value_kind:     hidden_global_offset_y
      - .offset:         200
        .size:           8
        .value_kind:     hidden_global_offset_z
      - .offset:         208
        .size:           2
        .value_kind:     hidden_grid_dims
      - .offset:         224
        .size:           8
        .value_kind:     hidden_hostcall_buffer
    .group_segment_fixed_size: 0
    .kernarg_segment_align: 8
    .kernarg_segment_size: 400
    .language:       OpenCL C
    .language_version:
      - 2
      - 0
    .max_flat_workgroup_size: 256
    .name:           _Z39paged_attention_ll4mi_QKV_mfma16_kernelIDF16_DF16_LN4vllm18Fp8KVCacheDataTypeE0EDF16_Li32ELi64ELi256ELb0ELi5EEvPKT_PKT0_S7_ifPKiS9_S9_iPKfiiiPfSC_PS2_PT2_iSB_SB_
    .private_segment_fixed_size: 64
    .sgpr_count:     36
    .sgpr_spill_count: 0
    .symbol:         _Z39paged_attention_ll4mi_QKV_mfma16_kernelIDF16_DF16_LN4vllm18Fp8KVCacheDataTypeE0EDF16_Li32ELi64ELi256ELb0ELi5EEvPKT_PKT0_S7_ifPKiS9_S9_iPKfiiiPfSC_PS2_PT2_iSB_SB_.kd
    .uniform_work_group_size: 1
    .uses_dynamic_stack: false
    .vgpr_count:     51
    .vgpr_spill_count: 0
    .wavefront_size: 32
  - .args:
      - .actual_access:  read_only
        .address_space:  global
        .offset:         0
        .size:           8
        .value_kind:     global_buffer
      - .actual_access:  read_only
        .address_space:  global
        .offset:         8
        .size:           8
        .value_kind:     global_buffer
      - .actual_access:  read_only
        .address_space:  global
        .offset:         16
        .size:           8
        .value_kind:     global_buffer
      - .offset:         24
        .size:           4
        .value_kind:     by_value
      - .offset:         28
        .size:           4
        .value_kind:     by_value
      - .actual_access:  read_only
        .address_space:  global
        .offset:         32
        .size:           8
        .value_kind:     global_buffer
      - .actual_access:  read_only
        .address_space:  global
        .offset:         40
        .size:           8
        .value_kind:     global_buffer
      - .actual_access:  read_only
        .address_space:  global
        .offset:         48
        .size:           8
        .value_kind:     global_buffer
      - .offset:         56
        .size:           4
        .value_kind:     by_value
      - .actual_access:  read_only
        .address_space:  global
        .offset:         64
        .size:           8
        .value_kind:     global_buffer
      - .offset:         72
        .size:           4
        .value_kind:     by_value
      - .offset:         76
        .size:           4
        .value_kind:     by_value
      - .offset:         80
        .size:           4
        .value_kind:     by_value
      - .actual_access:  read_only
        .address_space:  global
        .offset:         88
        .size:           8
        .value_kind:     global_buffer
      - .actual_access:  read_only
        .address_space:  global
        .offset:         96
        .size:           8
        .value_kind:     global_buffer
      - .actual_access:  read_only
        .address_space:  global
        .offset:         104
        .size:           8
        .value_kind:     global_buffer
      - .actual_access:  read_only
        .address_space:  global
        .offset:         112
        .size:           8
        .value_kind:     global_buffer
      - .offset:         120
        .size:           4
        .value_kind:     by_value
      - .address_space:  global
        .offset:         128
        .size:           8
        .value_kind:     global_buffer
      - .address_space:  global
        .offset:         136
        .size:           8
        .value_kind:     global_buffer
      - .offset:         144
        .size:           4
        .value_kind:     hidden_block_count_x
      - .offset:         148
        .size:           4
        .value_kind:     hidden_block_count_y
      - .offset:         152
        .size:           4
        .value_kind:     hidden_block_count_z
      - .offset:         156
        .size:           2
        .value_kind:     hidden_group_size_x
      - .offset:         158
        .size:           2
        .value_kind:     hidden_group_size_y
      - .offset:         160
        .size:           2
        .value_kind:     hidden_group_size_z
      - .offset:         162
        .size:           2
        .value_kind:     hidden_remainder_x
      - .offset:         164
        .size:           2
        .value_kind:     hidden_remainder_y
      - .offset:         166
        .size:           2
        .value_kind:     hidden_remainder_z
      - .offset:         184
        .size:           8
        .value_kind:     hidden_global_offset_x
      - .offset:         192
        .size:           8
        .value_kind:     hidden_global_offset_y
      - .offset:         200
        .size:           8
        .value_kind:     hidden_global_offset_z
      - .offset:         208
        .size:           2
        .value_kind:     hidden_grid_dims
      - .offset:         224
        .size:           8
        .value_kind:     hidden_hostcall_buffer
    .group_segment_fixed_size: 0
    .kernarg_segment_align: 8
    .kernarg_segment_size: 400
    .language:       OpenCL C
    .language_version:
      - 2
      - 0
    .max_flat_workgroup_size: 256
    .name:           _Z39paged_attention_ll4mi_QKV_mfma16_kernelIDF16_DF16_LN4vllm18Fp8KVCacheDataTypeE0EDF16_Li32ELi64ELi256ELb0ELi6EEvPKT_PKT0_S7_ifPKiS9_S9_iPKfiiiPfSC_PS2_PT2_iSB_SB_
    .private_segment_fixed_size: 64
    .sgpr_count:     36
    .sgpr_spill_count: 0
    .symbol:         _Z39paged_attention_ll4mi_QKV_mfma16_kernelIDF16_DF16_LN4vllm18Fp8KVCacheDataTypeE0EDF16_Li32ELi64ELi256ELb0ELi6EEvPKT_PKT0_S7_ifPKiS9_S9_iPKfiiiPfSC_PS2_PT2_iSB_SB_.kd
    .uniform_work_group_size: 1
    .uses_dynamic_stack: false
    .vgpr_count:     51
    .vgpr_spill_count: 0
    .wavefront_size: 32
  - .args:
      - .actual_access:  read_only
        .address_space:  global
        .offset:         0
        .size:           8
        .value_kind:     global_buffer
      - .actual_access:  read_only
        .address_space:  global
        .offset:         8
        .size:           8
        .value_kind:     global_buffer
      - .actual_access:  read_only
        .address_space:  global
        .offset:         16
        .size:           8
        .value_kind:     global_buffer
      - .offset:         24
        .size:           4
        .value_kind:     by_value
      - .offset:         28
        .size:           4
        .value_kind:     by_value
      - .actual_access:  read_only
        .address_space:  global
        .offset:         32
        .size:           8
        .value_kind:     global_buffer
      - .actual_access:  read_only
        .address_space:  global
        .offset:         40
        .size:           8
        .value_kind:     global_buffer
      - .actual_access:  read_only
        .address_space:  global
        .offset:         48
        .size:           8
        .value_kind:     global_buffer
      - .offset:         56
        .size:           4
        .value_kind:     by_value
      - .actual_access:  read_only
        .address_space:  global
        .offset:         64
        .size:           8
        .value_kind:     global_buffer
      - .offset:         72
        .size:           4
        .value_kind:     by_value
      - .offset:         76
        .size:           4
        .value_kind:     by_value
      - .offset:         80
        .size:           4
        .value_kind:     by_value
      - .actual_access:  read_only
        .address_space:  global
        .offset:         88
        .size:           8
        .value_kind:     global_buffer
      - .actual_access:  read_only
        .address_space:  global
        .offset:         96
        .size:           8
        .value_kind:     global_buffer
      - .actual_access:  read_only
        .address_space:  global
        .offset:         104
        .size:           8
        .value_kind:     global_buffer
      - .actual_access:  read_only
        .address_space:  global
        .offset:         112
        .size:           8
        .value_kind:     global_buffer
      - .offset:         120
        .size:           4
        .value_kind:     by_value
      - .address_space:  global
        .offset:         128
        .size:           8
        .value_kind:     global_buffer
      - .address_space:  global
        .offset:         136
        .size:           8
        .value_kind:     global_buffer
      - .offset:         144
        .size:           4
        .value_kind:     hidden_block_count_x
      - .offset:         148
        .size:           4
        .value_kind:     hidden_block_count_y
      - .offset:         152
        .size:           4
        .value_kind:     hidden_block_count_z
      - .offset:         156
        .size:           2
        .value_kind:     hidden_group_size_x
      - .offset:         158
        .size:           2
        .value_kind:     hidden_group_size_y
      - .offset:         160
        .size:           2
        .value_kind:     hidden_group_size_z
      - .offset:         162
        .size:           2
        .value_kind:     hidden_remainder_x
      - .offset:         164
        .size:           2
        .value_kind:     hidden_remainder_y
      - .offset:         166
        .size:           2
        .value_kind:     hidden_remainder_z
      - .offset:         184
        .size:           8
        .value_kind:     hidden_global_offset_x
      - .offset:         192
        .size:           8
        .value_kind:     hidden_global_offset_y
      - .offset:         200
        .size:           8
        .value_kind:     hidden_global_offset_z
      - .offset:         208
        .size:           2
        .value_kind:     hidden_grid_dims
      - .offset:         224
        .size:           8
        .value_kind:     hidden_hostcall_buffer
    .group_segment_fixed_size: 0
    .kernarg_segment_align: 8
    .kernarg_segment_size: 400
    .language:       OpenCL C
    .language_version:
      - 2
      - 0
    .max_flat_workgroup_size: 256
    .name:           _Z39paged_attention_ll4mi_QKV_mfma16_kernelIDF16_DF16_LN4vllm18Fp8KVCacheDataTypeE0EDF16_Li32ELi64ELi256ELb0ELi7EEvPKT_PKT0_S7_ifPKiS9_S9_iPKfiiiPfSC_PS2_PT2_iSB_SB_
    .private_segment_fixed_size: 64
    .sgpr_count:     36
    .sgpr_spill_count: 0
    .symbol:         _Z39paged_attention_ll4mi_QKV_mfma16_kernelIDF16_DF16_LN4vllm18Fp8KVCacheDataTypeE0EDF16_Li32ELi64ELi256ELb0ELi7EEvPKT_PKT0_S7_ifPKiS9_S9_iPKfiiiPfSC_PS2_PT2_iSB_SB_.kd
    .uniform_work_group_size: 1
    .uses_dynamic_stack: false
    .vgpr_count:     51
    .vgpr_spill_count: 0
    .wavefront_size: 32
  - .args:
      - .actual_access:  read_only
        .address_space:  global
        .offset:         0
        .size:           8
        .value_kind:     global_buffer
      - .actual_access:  read_only
        .address_space:  global
        .offset:         8
        .size:           8
        .value_kind:     global_buffer
      - .actual_access:  read_only
        .address_space:  global
        .offset:         16
        .size:           8
        .value_kind:     global_buffer
      - .offset:         24
        .size:           4
        .value_kind:     by_value
      - .offset:         28
        .size:           4
        .value_kind:     by_value
      - .actual_access:  read_only
        .address_space:  global
        .offset:         32
        .size:           8
        .value_kind:     global_buffer
      - .actual_access:  read_only
        .address_space:  global
        .offset:         40
        .size:           8
        .value_kind:     global_buffer
      - .actual_access:  read_only
        .address_space:  global
        .offset:         48
        .size:           8
        .value_kind:     global_buffer
      - .offset:         56
        .size:           4
        .value_kind:     by_value
      - .actual_access:  read_only
        .address_space:  global
        .offset:         64
        .size:           8
        .value_kind:     global_buffer
      - .offset:         72
        .size:           4
        .value_kind:     by_value
      - .offset:         76
        .size:           4
        .value_kind:     by_value
      - .offset:         80
        .size:           4
        .value_kind:     by_value
      - .actual_access:  read_only
        .address_space:  global
        .offset:         88
        .size:           8
        .value_kind:     global_buffer
      - .actual_access:  read_only
        .address_space:  global
        .offset:         96
        .size:           8
        .value_kind:     global_buffer
      - .actual_access:  read_only
        .address_space:  global
        .offset:         104
        .size:           8
        .value_kind:     global_buffer
      - .actual_access:  read_only
        .address_space:  global
        .offset:         112
        .size:           8
        .value_kind:     global_buffer
      - .offset:         120
        .size:           4
        .value_kind:     by_value
      - .address_space:  global
        .offset:         128
        .size:           8
        .value_kind:     global_buffer
      - .address_space:  global
        .offset:         136
        .size:           8
        .value_kind:     global_buffer
      - .offset:         144
        .size:           4
        .value_kind:     hidden_block_count_x
      - .offset:         148
        .size:           4
        .value_kind:     hidden_block_count_y
      - .offset:         152
        .size:           4
        .value_kind:     hidden_block_count_z
      - .offset:         156
        .size:           2
        .value_kind:     hidden_group_size_x
      - .offset:         158
        .size:           2
        .value_kind:     hidden_group_size_y
      - .offset:         160
        .size:           2
        .value_kind:     hidden_group_size_z
      - .offset:         162
        .size:           2
        .value_kind:     hidden_remainder_x
      - .offset:         164
        .size:           2
        .value_kind:     hidden_remainder_y
      - .offset:         166
        .size:           2
        .value_kind:     hidden_remainder_z
      - .offset:         184
        .size:           8
        .value_kind:     hidden_global_offset_x
      - .offset:         192
        .size:           8
        .value_kind:     hidden_global_offset_y
      - .offset:         200
        .size:           8
        .value_kind:     hidden_global_offset_z
      - .offset:         208
        .size:           2
        .value_kind:     hidden_grid_dims
      - .offset:         224
        .size:           8
        .value_kind:     hidden_hostcall_buffer
    .group_segment_fixed_size: 0
    .kernarg_segment_align: 8
    .kernarg_segment_size: 400
    .language:       OpenCL C
    .language_version:
      - 2
      - 0
    .max_flat_workgroup_size: 256
    .name:           _Z39paged_attention_ll4mi_QKV_mfma16_kernelIDF16_DF16_LN4vllm18Fp8KVCacheDataTypeE0EDF16_Li32ELi64ELi256ELb0ELi8EEvPKT_PKT0_S7_ifPKiS9_S9_iPKfiiiPfSC_PS2_PT2_iSB_SB_
    .private_segment_fixed_size: 64
    .sgpr_count:     36
    .sgpr_spill_count: 0
    .symbol:         _Z39paged_attention_ll4mi_QKV_mfma16_kernelIDF16_DF16_LN4vllm18Fp8KVCacheDataTypeE0EDF16_Li32ELi64ELi256ELb0ELi8EEvPKT_PKT0_S7_ifPKiS9_S9_iPKfiiiPfSC_PS2_PT2_iSB_SB_.kd
    .uniform_work_group_size: 1
    .uses_dynamic_stack: false
    .vgpr_count:     51
    .vgpr_spill_count: 0
    .wavefront_size: 32
  - .args:
      - .actual_access:  read_only
        .address_space:  global
        .offset:         0
        .size:           8
        .value_kind:     global_buffer
      - .actual_access:  read_only
        .address_space:  global
        .offset:         8
        .size:           8
        .value_kind:     global_buffer
      - .actual_access:  read_only
        .address_space:  global
        .offset:         16
        .size:           8
        .value_kind:     global_buffer
      - .offset:         24
        .size:           4
        .value_kind:     by_value
      - .offset:         28
        .size:           4
        .value_kind:     by_value
      - .actual_access:  read_only
        .address_space:  global
        .offset:         32
        .size:           8
        .value_kind:     global_buffer
      - .actual_access:  read_only
        .address_space:  global
        .offset:         40
        .size:           8
        .value_kind:     global_buffer
      - .actual_access:  read_only
        .address_space:  global
        .offset:         48
        .size:           8
        .value_kind:     global_buffer
      - .offset:         56
        .size:           4
        .value_kind:     by_value
      - .actual_access:  read_only
        .address_space:  global
        .offset:         64
        .size:           8
        .value_kind:     global_buffer
      - .offset:         72
        .size:           4
        .value_kind:     by_value
      - .offset:         76
        .size:           4
        .value_kind:     by_value
      - .offset:         80
        .size:           4
        .value_kind:     by_value
      - .actual_access:  read_only
        .address_space:  global
        .offset:         88
        .size:           8
        .value_kind:     global_buffer
      - .actual_access:  read_only
        .address_space:  global
        .offset:         96
        .size:           8
        .value_kind:     global_buffer
      - .actual_access:  read_only
        .address_space:  global
        .offset:         104
        .size:           8
        .value_kind:     global_buffer
      - .actual_access:  read_only
        .address_space:  global
        .offset:         112
        .size:           8
        .value_kind:     global_buffer
      - .offset:         120
        .size:           4
        .value_kind:     by_value
      - .address_space:  global
        .offset:         128
        .size:           8
        .value_kind:     global_buffer
      - .address_space:  global
        .offset:         136
        .size:           8
        .value_kind:     global_buffer
      - .offset:         144
        .size:           4
        .value_kind:     hidden_block_count_x
      - .offset:         148
        .size:           4
        .value_kind:     hidden_block_count_y
      - .offset:         152
        .size:           4
        .value_kind:     hidden_block_count_z
      - .offset:         156
        .size:           2
        .value_kind:     hidden_group_size_x
      - .offset:         158
        .size:           2
        .value_kind:     hidden_group_size_y
      - .offset:         160
        .size:           2
        .value_kind:     hidden_group_size_z
      - .offset:         162
        .size:           2
        .value_kind:     hidden_remainder_x
      - .offset:         164
        .size:           2
        .value_kind:     hidden_remainder_y
      - .offset:         166
        .size:           2
        .value_kind:     hidden_remainder_z
      - .offset:         184
        .size:           8
        .value_kind:     hidden_global_offset_x
      - .offset:         192
        .size:           8
        .value_kind:     hidden_global_offset_y
      - .offset:         200
        .size:           8
        .value_kind:     hidden_global_offset_z
      - .offset:         208
        .size:           2
        .value_kind:     hidden_grid_dims
      - .offset:         224
        .size:           8
        .value_kind:     hidden_hostcall_buffer
    .group_segment_fixed_size: 0
    .kernarg_segment_align: 8
    .kernarg_segment_size: 400
    .language:       OpenCL C
    .language_version:
      - 2
      - 0
    .max_flat_workgroup_size: 256
    .name:           _Z39paged_attention_ll4mi_QKV_mfma16_kernelIDF16_DF16_LN4vllm18Fp8KVCacheDataTypeE0EDF16_Li32ELi64ELi256ELb0ELi9EEvPKT_PKT0_S7_ifPKiS9_S9_iPKfiiiPfSC_PS2_PT2_iSB_SB_
    .private_segment_fixed_size: 64
    .sgpr_count:     36
    .sgpr_spill_count: 0
    .symbol:         _Z39paged_attention_ll4mi_QKV_mfma16_kernelIDF16_DF16_LN4vllm18Fp8KVCacheDataTypeE0EDF16_Li32ELi64ELi256ELb0ELi9EEvPKT_PKT0_S7_ifPKiS9_S9_iPKfiiiPfSC_PS2_PT2_iSB_SB_.kd
    .uniform_work_group_size: 1
    .uses_dynamic_stack: false
    .vgpr_count:     51
    .vgpr_spill_count: 0
    .wavefront_size: 32
  - .args:
      - .actual_access:  read_only
        .address_space:  global
        .offset:         0
        .size:           8
        .value_kind:     global_buffer
      - .actual_access:  read_only
        .address_space:  global
        .offset:         8
        .size:           8
        .value_kind:     global_buffer
      - .actual_access:  read_only
        .address_space:  global
        .offset:         16
        .size:           8
        .value_kind:     global_buffer
      - .offset:         24
        .size:           4
        .value_kind:     by_value
      - .offset:         28
        .size:           4
        .value_kind:     by_value
      - .actual_access:  read_only
        .address_space:  global
        .offset:         32
        .size:           8
        .value_kind:     global_buffer
      - .actual_access:  read_only
        .address_space:  global
        .offset:         40
        .size:           8
        .value_kind:     global_buffer
      - .actual_access:  read_only
        .address_space:  global
        .offset:         48
        .size:           8
        .value_kind:     global_buffer
      - .offset:         56
        .size:           4
        .value_kind:     by_value
      - .actual_access:  read_only
        .address_space:  global
        .offset:         64
        .size:           8
        .value_kind:     global_buffer
      - .offset:         72
        .size:           4
        .value_kind:     by_value
      - .offset:         76
        .size:           4
        .value_kind:     by_value
      - .offset:         80
        .size:           4
        .value_kind:     by_value
      - .actual_access:  read_only
        .address_space:  global
        .offset:         88
        .size:           8
        .value_kind:     global_buffer
      - .actual_access:  read_only
        .address_space:  global
        .offset:         96
        .size:           8
        .value_kind:     global_buffer
      - .actual_access:  read_only
        .address_space:  global
        .offset:         104
        .size:           8
        .value_kind:     global_buffer
      - .actual_access:  read_only
        .address_space:  global
        .offset:         112
        .size:           8
        .value_kind:     global_buffer
      - .offset:         120
        .size:           4
        .value_kind:     by_value
      - .address_space:  global
        .offset:         128
        .size:           8
        .value_kind:     global_buffer
      - .address_space:  global
        .offset:         136
        .size:           8
        .value_kind:     global_buffer
      - .offset:         144
        .size:           4
        .value_kind:     hidden_block_count_x
      - .offset:         148
        .size:           4
        .value_kind:     hidden_block_count_y
      - .offset:         152
        .size:           4
        .value_kind:     hidden_block_count_z
      - .offset:         156
        .size:           2
        .value_kind:     hidden_group_size_x
      - .offset:         158
        .size:           2
        .value_kind:     hidden_group_size_y
      - .offset:         160
        .size:           2
        .value_kind:     hidden_group_size_z
      - .offset:         162
        .size:           2
        .value_kind:     hidden_remainder_x
      - .offset:         164
        .size:           2
        .value_kind:     hidden_remainder_y
      - .offset:         166
        .size:           2
        .value_kind:     hidden_remainder_z
      - .offset:         184
        .size:           8
        .value_kind:     hidden_global_offset_x
      - .offset:         192
        .size:           8
        .value_kind:     hidden_global_offset_y
      - .offset:         200
        .size:           8
        .value_kind:     hidden_global_offset_z
      - .offset:         208
        .size:           2
        .value_kind:     hidden_grid_dims
      - .offset:         224
        .size:           8
        .value_kind:     hidden_hostcall_buffer
    .group_segment_fixed_size: 0
    .kernarg_segment_align: 8
    .kernarg_segment_size: 400
    .language:       OpenCL C
    .language_version:
      - 2
      - 0
    .max_flat_workgroup_size: 256
    .name:           _Z39paged_attention_ll4mi_QKV_mfma16_kernelIDF16_DF16_LN4vllm18Fp8KVCacheDataTypeE0EDF16_Li32ELi64ELi256ELb0ELi10EEvPKT_PKT0_S7_ifPKiS9_S9_iPKfiiiPfSC_PS2_PT2_iSB_SB_
    .private_segment_fixed_size: 64
    .sgpr_count:     36
    .sgpr_spill_count: 0
    .symbol:         _Z39paged_attention_ll4mi_QKV_mfma16_kernelIDF16_DF16_LN4vllm18Fp8KVCacheDataTypeE0EDF16_Li32ELi64ELi256ELb0ELi10EEvPKT_PKT0_S7_ifPKiS9_S9_iPKfiiiPfSC_PS2_PT2_iSB_SB_.kd
    .uniform_work_group_size: 1
    .uses_dynamic_stack: false
    .vgpr_count:     51
    .vgpr_spill_count: 0
    .wavefront_size: 32
  - .args:
      - .actual_access:  read_only
        .address_space:  global
        .offset:         0
        .size:           8
        .value_kind:     global_buffer
      - .actual_access:  read_only
        .address_space:  global
        .offset:         8
        .size:           8
        .value_kind:     global_buffer
      - .actual_access:  read_only
        .address_space:  global
        .offset:         16
        .size:           8
        .value_kind:     global_buffer
      - .offset:         24
        .size:           4
        .value_kind:     by_value
      - .offset:         28
        .size:           4
        .value_kind:     by_value
      - .actual_access:  read_only
        .address_space:  global
        .offset:         32
        .size:           8
        .value_kind:     global_buffer
      - .actual_access:  read_only
        .address_space:  global
        .offset:         40
        .size:           8
        .value_kind:     global_buffer
      - .actual_access:  read_only
        .address_space:  global
        .offset:         48
        .size:           8
        .value_kind:     global_buffer
      - .offset:         56
        .size:           4
        .value_kind:     by_value
      - .actual_access:  read_only
        .address_space:  global
        .offset:         64
        .size:           8
        .value_kind:     global_buffer
      - .offset:         72
        .size:           4
        .value_kind:     by_value
      - .offset:         76
        .size:           4
        .value_kind:     by_value
      - .offset:         80
        .size:           4
        .value_kind:     by_value
      - .actual_access:  read_only
        .address_space:  global
        .offset:         88
        .size:           8
        .value_kind:     global_buffer
      - .actual_access:  read_only
        .address_space:  global
        .offset:         96
        .size:           8
        .value_kind:     global_buffer
      - .actual_access:  read_only
        .address_space:  global
        .offset:         104
        .size:           8
        .value_kind:     global_buffer
      - .actual_access:  read_only
        .address_space:  global
        .offset:         112
        .size:           8
        .value_kind:     global_buffer
      - .offset:         120
        .size:           4
        .value_kind:     by_value
      - .address_space:  global
        .offset:         128
        .size:           8
        .value_kind:     global_buffer
      - .address_space:  global
        .offset:         136
        .size:           8
        .value_kind:     global_buffer
      - .offset:         144
        .size:           4
        .value_kind:     hidden_block_count_x
      - .offset:         148
        .size:           4
        .value_kind:     hidden_block_count_y
      - .offset:         152
        .size:           4
        .value_kind:     hidden_block_count_z
      - .offset:         156
        .size:           2
        .value_kind:     hidden_group_size_x
      - .offset:         158
        .size:           2
        .value_kind:     hidden_group_size_y
      - .offset:         160
        .size:           2
        .value_kind:     hidden_group_size_z
      - .offset:         162
        .size:           2
        .value_kind:     hidden_remainder_x
      - .offset:         164
        .size:           2
        .value_kind:     hidden_remainder_y
      - .offset:         166
        .size:           2
        .value_kind:     hidden_remainder_z
      - .offset:         184
        .size:           8
        .value_kind:     hidden_global_offset_x
      - .offset:         192
        .size:           8
        .value_kind:     hidden_global_offset_y
      - .offset:         200
        .size:           8
        .value_kind:     hidden_global_offset_z
      - .offset:         208
        .size:           2
        .value_kind:     hidden_grid_dims
      - .offset:         224
        .size:           8
        .value_kind:     hidden_hostcall_buffer
    .group_segment_fixed_size: 0
    .kernarg_segment_align: 8
    .kernarg_segment_size: 400
    .language:       OpenCL C
    .language_version:
      - 2
      - 0
    .max_flat_workgroup_size: 256
    .name:           _Z39paged_attention_ll4mi_QKV_mfma16_kernelIDF16_DF16_LN4vllm18Fp8KVCacheDataTypeE0EDF16_Li32ELi64ELi256ELb0ELi11EEvPKT_PKT0_S7_ifPKiS9_S9_iPKfiiiPfSC_PS2_PT2_iSB_SB_
    .private_segment_fixed_size: 64
    .sgpr_count:     36
    .sgpr_spill_count: 0
    .symbol:         _Z39paged_attention_ll4mi_QKV_mfma16_kernelIDF16_DF16_LN4vllm18Fp8KVCacheDataTypeE0EDF16_Li32ELi64ELi256ELb0ELi11EEvPKT_PKT0_S7_ifPKiS9_S9_iPKfiiiPfSC_PS2_PT2_iSB_SB_.kd
    .uniform_work_group_size: 1
    .uses_dynamic_stack: false
    .vgpr_count:     51
    .vgpr_spill_count: 0
    .wavefront_size: 32
  - .args:
      - .actual_access:  read_only
        .address_space:  global
        .offset:         0
        .size:           8
        .value_kind:     global_buffer
      - .actual_access:  read_only
        .address_space:  global
        .offset:         8
        .size:           8
        .value_kind:     global_buffer
      - .actual_access:  read_only
        .address_space:  global
        .offset:         16
        .size:           8
        .value_kind:     global_buffer
      - .offset:         24
        .size:           4
        .value_kind:     by_value
      - .offset:         28
        .size:           4
        .value_kind:     by_value
      - .actual_access:  read_only
        .address_space:  global
        .offset:         32
        .size:           8
        .value_kind:     global_buffer
      - .actual_access:  read_only
        .address_space:  global
        .offset:         40
        .size:           8
        .value_kind:     global_buffer
      - .actual_access:  read_only
        .address_space:  global
        .offset:         48
        .size:           8
        .value_kind:     global_buffer
      - .offset:         56
        .size:           4
        .value_kind:     by_value
      - .actual_access:  read_only
        .address_space:  global
        .offset:         64
        .size:           8
        .value_kind:     global_buffer
      - .offset:         72
        .size:           4
        .value_kind:     by_value
      - .offset:         76
        .size:           4
        .value_kind:     by_value
      - .offset:         80
        .size:           4
        .value_kind:     by_value
      - .actual_access:  read_only
        .address_space:  global
        .offset:         88
        .size:           8
        .value_kind:     global_buffer
      - .actual_access:  read_only
        .address_space:  global
        .offset:         96
        .size:           8
        .value_kind:     global_buffer
      - .actual_access:  read_only
        .address_space:  global
        .offset:         104
        .size:           8
        .value_kind:     global_buffer
      - .actual_access:  read_only
        .address_space:  global
        .offset:         112
        .size:           8
        .value_kind:     global_buffer
      - .offset:         120
        .size:           4
        .value_kind:     by_value
      - .address_space:  global
        .offset:         128
        .size:           8
        .value_kind:     global_buffer
      - .address_space:  global
        .offset:         136
        .size:           8
        .value_kind:     global_buffer
      - .offset:         144
        .size:           4
        .value_kind:     hidden_block_count_x
      - .offset:         148
        .size:           4
        .value_kind:     hidden_block_count_y
      - .offset:         152
        .size:           4
        .value_kind:     hidden_block_count_z
      - .offset:         156
        .size:           2
        .value_kind:     hidden_group_size_x
      - .offset:         158
        .size:           2
        .value_kind:     hidden_group_size_y
      - .offset:         160
        .size:           2
        .value_kind:     hidden_group_size_z
      - .offset:         162
        .size:           2
        .value_kind:     hidden_remainder_x
      - .offset:         164
        .size:           2
        .value_kind:     hidden_remainder_y
      - .offset:         166
        .size:           2
        .value_kind:     hidden_remainder_z
      - .offset:         184
        .size:           8
        .value_kind:     hidden_global_offset_x
      - .offset:         192
        .size:           8
        .value_kind:     hidden_global_offset_y
      - .offset:         200
        .size:           8
        .value_kind:     hidden_global_offset_z
      - .offset:         208
        .size:           2
        .value_kind:     hidden_grid_dims
      - .offset:         224
        .size:           8
        .value_kind:     hidden_hostcall_buffer
    .group_segment_fixed_size: 0
    .kernarg_segment_align: 8
    .kernarg_segment_size: 400
    .language:       OpenCL C
    .language_version:
      - 2
      - 0
    .max_flat_workgroup_size: 256
    .name:           _Z39paged_attention_ll4mi_QKV_mfma16_kernelIDF16_DF16_LN4vllm18Fp8KVCacheDataTypeE0EDF16_Li32ELi64ELi256ELb0ELi12EEvPKT_PKT0_S7_ifPKiS9_S9_iPKfiiiPfSC_PS2_PT2_iSB_SB_
    .private_segment_fixed_size: 64
    .sgpr_count:     36
    .sgpr_spill_count: 0
    .symbol:         _Z39paged_attention_ll4mi_QKV_mfma16_kernelIDF16_DF16_LN4vllm18Fp8KVCacheDataTypeE0EDF16_Li32ELi64ELi256ELb0ELi12EEvPKT_PKT0_S7_ifPKiS9_S9_iPKfiiiPfSC_PS2_PT2_iSB_SB_.kd
    .uniform_work_group_size: 1
    .uses_dynamic_stack: false
    .vgpr_count:     51
    .vgpr_spill_count: 0
    .wavefront_size: 32
  - .args:
      - .actual_access:  read_only
        .address_space:  global
        .offset:         0
        .size:           8
        .value_kind:     global_buffer
      - .actual_access:  read_only
        .address_space:  global
        .offset:         8
        .size:           8
        .value_kind:     global_buffer
      - .actual_access:  read_only
        .address_space:  global
        .offset:         16
        .size:           8
        .value_kind:     global_buffer
      - .offset:         24
        .size:           4
        .value_kind:     by_value
      - .offset:         28
        .size:           4
        .value_kind:     by_value
      - .actual_access:  read_only
        .address_space:  global
        .offset:         32
        .size:           8
        .value_kind:     global_buffer
      - .actual_access:  read_only
        .address_space:  global
        .offset:         40
        .size:           8
        .value_kind:     global_buffer
      - .actual_access:  read_only
        .address_space:  global
        .offset:         48
        .size:           8
        .value_kind:     global_buffer
      - .offset:         56
        .size:           4
        .value_kind:     by_value
      - .actual_access:  read_only
        .address_space:  global
        .offset:         64
        .size:           8
        .value_kind:     global_buffer
      - .offset:         72
        .size:           4
        .value_kind:     by_value
      - .offset:         76
        .size:           4
        .value_kind:     by_value
      - .offset:         80
        .size:           4
        .value_kind:     by_value
      - .actual_access:  read_only
        .address_space:  global
        .offset:         88
        .size:           8
        .value_kind:     global_buffer
      - .actual_access:  read_only
        .address_space:  global
        .offset:         96
        .size:           8
        .value_kind:     global_buffer
      - .actual_access:  read_only
        .address_space:  global
        .offset:         104
        .size:           8
        .value_kind:     global_buffer
      - .actual_access:  read_only
        .address_space:  global
        .offset:         112
        .size:           8
        .value_kind:     global_buffer
      - .offset:         120
        .size:           4
        .value_kind:     by_value
      - .address_space:  global
        .offset:         128
        .size:           8
        .value_kind:     global_buffer
      - .address_space:  global
        .offset:         136
        .size:           8
        .value_kind:     global_buffer
      - .offset:         144
        .size:           4
        .value_kind:     hidden_block_count_x
      - .offset:         148
        .size:           4
        .value_kind:     hidden_block_count_y
      - .offset:         152
        .size:           4
        .value_kind:     hidden_block_count_z
      - .offset:         156
        .size:           2
        .value_kind:     hidden_group_size_x
      - .offset:         158
        .size:           2
        .value_kind:     hidden_group_size_y
      - .offset:         160
        .size:           2
        .value_kind:     hidden_group_size_z
      - .offset:         162
        .size:           2
        .value_kind:     hidden_remainder_x
      - .offset:         164
        .size:           2
        .value_kind:     hidden_remainder_y
      - .offset:         166
        .size:           2
        .value_kind:     hidden_remainder_z
      - .offset:         184
        .size:           8
        .value_kind:     hidden_global_offset_x
      - .offset:         192
        .size:           8
        .value_kind:     hidden_global_offset_y
      - .offset:         200
        .size:           8
        .value_kind:     hidden_global_offset_z
      - .offset:         208
        .size:           2
        .value_kind:     hidden_grid_dims
      - .offset:         224
        .size:           8
        .value_kind:     hidden_hostcall_buffer
    .group_segment_fixed_size: 0
    .kernarg_segment_align: 8
    .kernarg_segment_size: 400
    .language:       OpenCL C
    .language_version:
      - 2
      - 0
    .max_flat_workgroup_size: 256
    .name:           _Z39paged_attention_ll4mi_QKV_mfma16_kernelIDF16_DF16_LN4vllm18Fp8KVCacheDataTypeE0EDF16_Li32ELi64ELi256ELb0ELi13EEvPKT_PKT0_S7_ifPKiS9_S9_iPKfiiiPfSC_PS2_PT2_iSB_SB_
    .private_segment_fixed_size: 64
    .sgpr_count:     36
    .sgpr_spill_count: 0
    .symbol:         _Z39paged_attention_ll4mi_QKV_mfma16_kernelIDF16_DF16_LN4vllm18Fp8KVCacheDataTypeE0EDF16_Li32ELi64ELi256ELb0ELi13EEvPKT_PKT0_S7_ifPKiS9_S9_iPKfiiiPfSC_PS2_PT2_iSB_SB_.kd
    .uniform_work_group_size: 1
    .uses_dynamic_stack: false
    .vgpr_count:     51
    .vgpr_spill_count: 0
    .wavefront_size: 32
  - .args:
      - .actual_access:  read_only
        .address_space:  global
        .offset:         0
        .size:           8
        .value_kind:     global_buffer
      - .actual_access:  read_only
        .address_space:  global
        .offset:         8
        .size:           8
        .value_kind:     global_buffer
      - .actual_access:  read_only
        .address_space:  global
        .offset:         16
        .size:           8
        .value_kind:     global_buffer
      - .offset:         24
        .size:           4
        .value_kind:     by_value
      - .offset:         28
        .size:           4
        .value_kind:     by_value
      - .actual_access:  read_only
        .address_space:  global
        .offset:         32
        .size:           8
        .value_kind:     global_buffer
      - .actual_access:  read_only
        .address_space:  global
        .offset:         40
        .size:           8
        .value_kind:     global_buffer
      - .actual_access:  read_only
        .address_space:  global
        .offset:         48
        .size:           8
        .value_kind:     global_buffer
      - .offset:         56
        .size:           4
        .value_kind:     by_value
      - .actual_access:  read_only
        .address_space:  global
        .offset:         64
        .size:           8
        .value_kind:     global_buffer
      - .offset:         72
        .size:           4
        .value_kind:     by_value
      - .offset:         76
        .size:           4
        .value_kind:     by_value
      - .offset:         80
        .size:           4
        .value_kind:     by_value
      - .actual_access:  read_only
        .address_space:  global
        .offset:         88
        .size:           8
        .value_kind:     global_buffer
      - .actual_access:  read_only
        .address_space:  global
        .offset:         96
        .size:           8
        .value_kind:     global_buffer
      - .actual_access:  read_only
        .address_space:  global
        .offset:         104
        .size:           8
        .value_kind:     global_buffer
      - .actual_access:  read_only
        .address_space:  global
        .offset:         112
        .size:           8
        .value_kind:     global_buffer
      - .offset:         120
        .size:           4
        .value_kind:     by_value
      - .address_space:  global
        .offset:         128
        .size:           8
        .value_kind:     global_buffer
      - .address_space:  global
        .offset:         136
        .size:           8
        .value_kind:     global_buffer
      - .offset:         144
        .size:           4
        .value_kind:     hidden_block_count_x
      - .offset:         148
        .size:           4
        .value_kind:     hidden_block_count_y
      - .offset:         152
        .size:           4
        .value_kind:     hidden_block_count_z
      - .offset:         156
        .size:           2
        .value_kind:     hidden_group_size_x
      - .offset:         158
        .size:           2
        .value_kind:     hidden_group_size_y
      - .offset:         160
        .size:           2
        .value_kind:     hidden_group_size_z
      - .offset:         162
        .size:           2
        .value_kind:     hidden_remainder_x
      - .offset:         164
        .size:           2
        .value_kind:     hidden_remainder_y
      - .offset:         166
        .size:           2
        .value_kind:     hidden_remainder_z
      - .offset:         184
        .size:           8
        .value_kind:     hidden_global_offset_x
      - .offset:         192
        .size:           8
        .value_kind:     hidden_global_offset_y
      - .offset:         200
        .size:           8
        .value_kind:     hidden_global_offset_z
      - .offset:         208
        .size:           2
        .value_kind:     hidden_grid_dims
      - .offset:         224
        .size:           8
        .value_kind:     hidden_hostcall_buffer
    .group_segment_fixed_size: 0
    .kernarg_segment_align: 8
    .kernarg_segment_size: 400
    .language:       OpenCL C
    .language_version:
      - 2
      - 0
    .max_flat_workgroup_size: 256
    .name:           _Z39paged_attention_ll4mi_QKV_mfma16_kernelIDF16_DF16_LN4vllm18Fp8KVCacheDataTypeE0EDF16_Li32ELi64ELi256ELb0ELi14EEvPKT_PKT0_S7_ifPKiS9_S9_iPKfiiiPfSC_PS2_PT2_iSB_SB_
    .private_segment_fixed_size: 64
    .sgpr_count:     36
    .sgpr_spill_count: 0
    .symbol:         _Z39paged_attention_ll4mi_QKV_mfma16_kernelIDF16_DF16_LN4vllm18Fp8KVCacheDataTypeE0EDF16_Li32ELi64ELi256ELb0ELi14EEvPKT_PKT0_S7_ifPKiS9_S9_iPKfiiiPfSC_PS2_PT2_iSB_SB_.kd
    .uniform_work_group_size: 1
    .uses_dynamic_stack: false
    .vgpr_count:     51
    .vgpr_spill_count: 0
    .wavefront_size: 32
  - .args:
      - .actual_access:  read_only
        .address_space:  global
        .offset:         0
        .size:           8
        .value_kind:     global_buffer
      - .actual_access:  read_only
        .address_space:  global
        .offset:         8
        .size:           8
        .value_kind:     global_buffer
      - .actual_access:  read_only
        .address_space:  global
        .offset:         16
        .size:           8
        .value_kind:     global_buffer
      - .offset:         24
        .size:           4
        .value_kind:     by_value
      - .offset:         28
        .size:           4
        .value_kind:     by_value
      - .actual_access:  read_only
        .address_space:  global
        .offset:         32
        .size:           8
        .value_kind:     global_buffer
      - .actual_access:  read_only
        .address_space:  global
        .offset:         40
        .size:           8
        .value_kind:     global_buffer
      - .actual_access:  read_only
        .address_space:  global
        .offset:         48
        .size:           8
        .value_kind:     global_buffer
      - .offset:         56
        .size:           4
        .value_kind:     by_value
      - .actual_access:  read_only
        .address_space:  global
        .offset:         64
        .size:           8
        .value_kind:     global_buffer
      - .offset:         72
        .size:           4
        .value_kind:     by_value
      - .offset:         76
        .size:           4
        .value_kind:     by_value
      - .offset:         80
        .size:           4
        .value_kind:     by_value
      - .actual_access:  read_only
        .address_space:  global
        .offset:         88
        .size:           8
        .value_kind:     global_buffer
      - .actual_access:  read_only
        .address_space:  global
        .offset:         96
        .size:           8
        .value_kind:     global_buffer
      - .actual_access:  read_only
        .address_space:  global
        .offset:         104
        .size:           8
        .value_kind:     global_buffer
      - .actual_access:  read_only
        .address_space:  global
        .offset:         112
        .size:           8
        .value_kind:     global_buffer
      - .offset:         120
        .size:           4
        .value_kind:     by_value
      - .address_space:  global
        .offset:         128
        .size:           8
        .value_kind:     global_buffer
      - .address_space:  global
        .offset:         136
        .size:           8
        .value_kind:     global_buffer
      - .offset:         144
        .size:           4
        .value_kind:     hidden_block_count_x
      - .offset:         148
        .size:           4
        .value_kind:     hidden_block_count_y
      - .offset:         152
        .size:           4
        .value_kind:     hidden_block_count_z
      - .offset:         156
        .size:           2
        .value_kind:     hidden_group_size_x
      - .offset:         158
        .size:           2
        .value_kind:     hidden_group_size_y
      - .offset:         160
        .size:           2
        .value_kind:     hidden_group_size_z
      - .offset:         162
        .size:           2
        .value_kind:     hidden_remainder_x
      - .offset:         164
        .size:           2
        .value_kind:     hidden_remainder_y
      - .offset:         166
        .size:           2
        .value_kind:     hidden_remainder_z
      - .offset:         184
        .size:           8
        .value_kind:     hidden_global_offset_x
      - .offset:         192
        .size:           8
        .value_kind:     hidden_global_offset_y
      - .offset:         200
        .size:           8
        .value_kind:     hidden_global_offset_z
      - .offset:         208
        .size:           2
        .value_kind:     hidden_grid_dims
      - .offset:         224
        .size:           8
        .value_kind:     hidden_hostcall_buffer
    .group_segment_fixed_size: 0
    .kernarg_segment_align: 8
    .kernarg_segment_size: 400
    .language:       OpenCL C
    .language_version:
      - 2
      - 0
    .max_flat_workgroup_size: 256
    .name:           _Z39paged_attention_ll4mi_QKV_mfma16_kernelIDF16_DF16_LN4vllm18Fp8KVCacheDataTypeE0EDF16_Li32ELi64ELi256ELb0ELi15EEvPKT_PKT0_S7_ifPKiS9_S9_iPKfiiiPfSC_PS2_PT2_iSB_SB_
    .private_segment_fixed_size: 64
    .sgpr_count:     36
    .sgpr_spill_count: 0
    .symbol:         _Z39paged_attention_ll4mi_QKV_mfma16_kernelIDF16_DF16_LN4vllm18Fp8KVCacheDataTypeE0EDF16_Li32ELi64ELi256ELb0ELi15EEvPKT_PKT0_S7_ifPKiS9_S9_iPKfiiiPfSC_PS2_PT2_iSB_SB_.kd
    .uniform_work_group_size: 1
    .uses_dynamic_stack: false
    .vgpr_count:     51
    .vgpr_spill_count: 0
    .wavefront_size: 32
  - .args:
      - .actual_access:  read_only
        .address_space:  global
        .offset:         0
        .size:           8
        .value_kind:     global_buffer
      - .actual_access:  read_only
        .address_space:  global
        .offset:         8
        .size:           8
        .value_kind:     global_buffer
      - .actual_access:  read_only
        .address_space:  global
        .offset:         16
        .size:           8
        .value_kind:     global_buffer
      - .offset:         24
        .size:           4
        .value_kind:     by_value
      - .offset:         28
        .size:           4
        .value_kind:     by_value
      - .actual_access:  read_only
        .address_space:  global
        .offset:         32
        .size:           8
        .value_kind:     global_buffer
      - .actual_access:  read_only
        .address_space:  global
        .offset:         40
        .size:           8
        .value_kind:     global_buffer
      - .actual_access:  read_only
        .address_space:  global
        .offset:         48
        .size:           8
        .value_kind:     global_buffer
      - .offset:         56
        .size:           4
        .value_kind:     by_value
      - .actual_access:  read_only
        .address_space:  global
        .offset:         64
        .size:           8
        .value_kind:     global_buffer
      - .offset:         72
        .size:           4
        .value_kind:     by_value
      - .offset:         76
        .size:           4
        .value_kind:     by_value
      - .offset:         80
        .size:           4
        .value_kind:     by_value
      - .actual_access:  read_only
        .address_space:  global
        .offset:         88
        .size:           8
        .value_kind:     global_buffer
      - .actual_access:  read_only
        .address_space:  global
        .offset:         96
        .size:           8
        .value_kind:     global_buffer
      - .actual_access:  read_only
        .address_space:  global
        .offset:         104
        .size:           8
        .value_kind:     global_buffer
      - .actual_access:  read_only
        .address_space:  global
        .offset:         112
        .size:           8
        .value_kind:     global_buffer
      - .offset:         120
        .size:           4
        .value_kind:     by_value
      - .address_space:  global
        .offset:         128
        .size:           8
        .value_kind:     global_buffer
      - .address_space:  global
        .offset:         136
        .size:           8
        .value_kind:     global_buffer
      - .offset:         144
        .size:           4
        .value_kind:     hidden_block_count_x
      - .offset:         148
        .size:           4
        .value_kind:     hidden_block_count_y
      - .offset:         152
        .size:           4
        .value_kind:     hidden_block_count_z
      - .offset:         156
        .size:           2
        .value_kind:     hidden_group_size_x
      - .offset:         158
        .size:           2
        .value_kind:     hidden_group_size_y
      - .offset:         160
        .size:           2
        .value_kind:     hidden_group_size_z
      - .offset:         162
        .size:           2
        .value_kind:     hidden_remainder_x
      - .offset:         164
        .size:           2
        .value_kind:     hidden_remainder_y
      - .offset:         166
        .size:           2
        .value_kind:     hidden_remainder_z
      - .offset:         184
        .size:           8
        .value_kind:     hidden_global_offset_x
      - .offset:         192
        .size:           8
        .value_kind:     hidden_global_offset_y
      - .offset:         200
        .size:           8
        .value_kind:     hidden_global_offset_z
      - .offset:         208
        .size:           2
        .value_kind:     hidden_grid_dims
      - .offset:         224
        .size:           8
        .value_kind:     hidden_hostcall_buffer
    .group_segment_fixed_size: 0
    .kernarg_segment_align: 8
    .kernarg_segment_size: 400
    .language:       OpenCL C
    .language_version:
      - 2
      - 0
    .max_flat_workgroup_size: 256
    .name:           _Z39paged_attention_ll4mi_QKV_mfma16_kernelIDF16_DF16_LN4vllm18Fp8KVCacheDataTypeE0EDF16_Li32ELi64ELi256ELb0ELi16EEvPKT_PKT0_S7_ifPKiS9_S9_iPKfiiiPfSC_PS2_PT2_iSB_SB_
    .private_segment_fixed_size: 64
    .sgpr_count:     36
    .sgpr_spill_count: 0
    .symbol:         _Z39paged_attention_ll4mi_QKV_mfma16_kernelIDF16_DF16_LN4vllm18Fp8KVCacheDataTypeE0EDF16_Li32ELi64ELi256ELb0ELi16EEvPKT_PKT0_S7_ifPKiS9_S9_iPKfiiiPfSC_PS2_PT2_iSB_SB_.kd
    .uniform_work_group_size: 1
    .uses_dynamic_stack: false
    .vgpr_count:     51
    .vgpr_spill_count: 0
    .wavefront_size: 32
  - .args:
      - .actual_access:  read_only
        .address_space:  global
        .offset:         0
        .size:           8
        .value_kind:     global_buffer
      - .actual_access:  read_only
        .address_space:  global
        .offset:         8
        .size:           8
        .value_kind:     global_buffer
      - .actual_access:  read_only
        .address_space:  global
        .offset:         16
        .size:           8
        .value_kind:     global_buffer
      - .offset:         24
        .size:           4
        .value_kind:     by_value
      - .offset:         28
        .size:           4
        .value_kind:     by_value
      - .actual_access:  read_only
        .address_space:  global
        .offset:         32
        .size:           8
        .value_kind:     global_buffer
      - .actual_access:  read_only
        .address_space:  global
        .offset:         40
        .size:           8
        .value_kind:     global_buffer
      - .actual_access:  read_only
        .address_space:  global
        .offset:         48
        .size:           8
        .value_kind:     global_buffer
      - .offset:         56
        .size:           4
        .value_kind:     by_value
      - .actual_access:  read_only
        .address_space:  global
        .offset:         64
        .size:           8
        .value_kind:     global_buffer
      - .offset:         72
        .size:           4
        .value_kind:     by_value
      - .offset:         76
        .size:           4
        .value_kind:     by_value
      - .offset:         80
        .size:           4
        .value_kind:     by_value
      - .actual_access:  read_only
        .address_space:  global
        .offset:         88
        .size:           8
        .value_kind:     global_buffer
      - .actual_access:  read_only
        .address_space:  global
        .offset:         96
        .size:           8
        .value_kind:     global_buffer
      - .actual_access:  read_only
        .address_space:  global
        .offset:         104
        .size:           8
        .value_kind:     global_buffer
      - .actual_access:  read_only
        .address_space:  global
        .offset:         112
        .size:           8
        .value_kind:     global_buffer
      - .offset:         120
        .size:           4
        .value_kind:     by_value
      - .address_space:  global
        .offset:         128
        .size:           8
        .value_kind:     global_buffer
      - .address_space:  global
        .offset:         136
        .size:           8
        .value_kind:     global_buffer
      - .offset:         144
        .size:           4
        .value_kind:     hidden_block_count_x
      - .offset:         148
        .size:           4
        .value_kind:     hidden_block_count_y
      - .offset:         152
        .size:           4
        .value_kind:     hidden_block_count_z
      - .offset:         156
        .size:           2
        .value_kind:     hidden_group_size_x
      - .offset:         158
        .size:           2
        .value_kind:     hidden_group_size_y
      - .offset:         160
        .size:           2
        .value_kind:     hidden_group_size_z
      - .offset:         162
        .size:           2
        .value_kind:     hidden_remainder_x
      - .offset:         164
        .size:           2
        .value_kind:     hidden_remainder_y
      - .offset:         166
        .size:           2
        .value_kind:     hidden_remainder_z
      - .offset:         184
        .size:           8
        .value_kind:     hidden_global_offset_x
      - .offset:         192
        .size:           8
        .value_kind:     hidden_global_offset_y
      - .offset:         200
        .size:           8
        .value_kind:     hidden_global_offset_z
      - .offset:         208
        .size:           2
        .value_kind:     hidden_grid_dims
      - .offset:         224
        .size:           8
        .value_kind:     hidden_hostcall_buffer
    .group_segment_fixed_size: 0
    .kernarg_segment_align: 8
    .kernarg_segment_size: 400
    .language:       OpenCL C
    .language_version:
      - 2
      - 0
    .max_flat_workgroup_size: 256
    .name:           _Z39paged_attention_ll4mi_QKV_mfma16_kernelIDF16_DF16_LN4vllm18Fp8KVCacheDataTypeE0EDF16_Li32ELi64ELi256ELb0ELi1EEvPKT_PKT0_S7_ifPKiS9_S9_iPKfiiiPfSC_PS2_PT2_iSB_SB_
    .private_segment_fixed_size: 64
    .sgpr_count:     36
    .sgpr_spill_count: 0
    .symbol:         _Z39paged_attention_ll4mi_QKV_mfma16_kernelIDF16_DF16_LN4vllm18Fp8KVCacheDataTypeE0EDF16_Li32ELi64ELi256ELb0ELi1EEvPKT_PKT0_S7_ifPKiS9_S9_iPKfiiiPfSC_PS2_PT2_iSB_SB_.kd
    .uniform_work_group_size: 1
    .uses_dynamic_stack: false
    .vgpr_count:     51
    .vgpr_spill_count: 0
    .wavefront_size: 32
  - .args:
      - .actual_access:  read_only
        .address_space:  global
        .offset:         0
        .size:           8
        .value_kind:     global_buffer
      - .actual_access:  read_only
        .address_space:  global
        .offset:         8
        .size:           8
        .value_kind:     global_buffer
      - .actual_access:  read_only
        .address_space:  global
        .offset:         16
        .size:           8
        .value_kind:     global_buffer
      - .offset:         24
        .size:           4
        .value_kind:     by_value
      - .offset:         28
        .size:           4
        .value_kind:     by_value
      - .actual_access:  read_only
        .address_space:  global
        .offset:         32
        .size:           8
        .value_kind:     global_buffer
      - .actual_access:  read_only
        .address_space:  global
        .offset:         40
        .size:           8
        .value_kind:     global_buffer
      - .actual_access:  read_only
        .address_space:  global
        .offset:         48
        .size:           8
        .value_kind:     global_buffer
      - .offset:         56
        .size:           4
        .value_kind:     by_value
      - .actual_access:  read_only
        .address_space:  global
        .offset:         64
        .size:           8
        .value_kind:     global_buffer
      - .offset:         72
        .size:           4
        .value_kind:     by_value
      - .offset:         76
        .size:           4
        .value_kind:     by_value
      - .offset:         80
        .size:           4
        .value_kind:     by_value
      - .actual_access:  read_only
        .address_space:  global
        .offset:         88
        .size:           8
        .value_kind:     global_buffer
      - .actual_access:  read_only
        .address_space:  global
        .offset:         96
        .size:           8
        .value_kind:     global_buffer
      - .actual_access:  read_only
        .address_space:  global
        .offset:         104
        .size:           8
        .value_kind:     global_buffer
      - .actual_access:  read_only
        .address_space:  global
        .offset:         112
        .size:           8
        .value_kind:     global_buffer
      - .offset:         120
        .size:           4
        .value_kind:     by_value
      - .address_space:  global
        .offset:         128
        .size:           8
        .value_kind:     global_buffer
      - .address_space:  global
        .offset:         136
        .size:           8
        .value_kind:     global_buffer
      - .offset:         144
        .size:           4
        .value_kind:     hidden_block_count_x
      - .offset:         148
        .size:           4
        .value_kind:     hidden_block_count_y
      - .offset:         152
        .size:           4
        .value_kind:     hidden_block_count_z
      - .offset:         156
        .size:           2
        .value_kind:     hidden_group_size_x
      - .offset:         158
        .size:           2
        .value_kind:     hidden_group_size_y
      - .offset:         160
        .size:           2
        .value_kind:     hidden_group_size_z
      - .offset:         162
        .size:           2
        .value_kind:     hidden_remainder_x
      - .offset:         164
        .size:           2
        .value_kind:     hidden_remainder_y
      - .offset:         166
        .size:           2
        .value_kind:     hidden_remainder_z
      - .offset:         184
        .size:           8
        .value_kind:     hidden_global_offset_x
      - .offset:         192
        .size:           8
        .value_kind:     hidden_global_offset_y
      - .offset:         200
        .size:           8
        .value_kind:     hidden_global_offset_z
      - .offset:         208
        .size:           2
        .value_kind:     hidden_grid_dims
      - .offset:         224
        .size:           8
        .value_kind:     hidden_hostcall_buffer
    .group_segment_fixed_size: 0
    .kernarg_segment_align: 8
    .kernarg_segment_size: 400
    .language:       OpenCL C
    .language_version:
      - 2
      - 0
    .max_flat_workgroup_size: 256
    .name:           _Z39paged_attention_ll4mi_QKV_mfma16_kernelIDF16_DF16_LN4vllm18Fp8KVCacheDataTypeE0EDF16_Li32ELi64ELi256ELb0ELi2EEvPKT_PKT0_S7_ifPKiS9_S9_iPKfiiiPfSC_PS2_PT2_iSB_SB_
    .private_segment_fixed_size: 64
    .sgpr_count:     36
    .sgpr_spill_count: 0
    .symbol:         _Z39paged_attention_ll4mi_QKV_mfma16_kernelIDF16_DF16_LN4vllm18Fp8KVCacheDataTypeE0EDF16_Li32ELi64ELi256ELb0ELi2EEvPKT_PKT0_S7_ifPKiS9_S9_iPKfiiiPfSC_PS2_PT2_iSB_SB_.kd
    .uniform_work_group_size: 1
    .uses_dynamic_stack: false
    .vgpr_count:     51
    .vgpr_spill_count: 0
    .wavefront_size: 32
  - .args:
      - .actual_access:  read_only
        .address_space:  global
        .offset:         0
        .size:           8
        .value_kind:     global_buffer
      - .actual_access:  read_only
        .address_space:  global
        .offset:         8
        .size:           8
        .value_kind:     global_buffer
      - .actual_access:  read_only
        .address_space:  global
        .offset:         16
        .size:           8
        .value_kind:     global_buffer
      - .offset:         24
        .size:           4
        .value_kind:     by_value
      - .offset:         28
        .size:           4
        .value_kind:     by_value
      - .actual_access:  read_only
        .address_space:  global
        .offset:         32
        .size:           8
        .value_kind:     global_buffer
      - .actual_access:  read_only
        .address_space:  global
        .offset:         40
        .size:           8
        .value_kind:     global_buffer
      - .actual_access:  read_only
        .address_space:  global
        .offset:         48
        .size:           8
        .value_kind:     global_buffer
      - .offset:         56
        .size:           4
        .value_kind:     by_value
      - .actual_access:  read_only
        .address_space:  global
        .offset:         64
        .size:           8
        .value_kind:     global_buffer
      - .offset:         72
        .size:           4
        .value_kind:     by_value
      - .offset:         76
        .size:           4
        .value_kind:     by_value
      - .offset:         80
        .size:           4
        .value_kind:     by_value
      - .actual_access:  read_only
        .address_space:  global
        .offset:         88
        .size:           8
        .value_kind:     global_buffer
      - .actual_access:  read_only
        .address_space:  global
        .offset:         96
        .size:           8
        .value_kind:     global_buffer
      - .actual_access:  read_only
        .address_space:  global
        .offset:         104
        .size:           8
        .value_kind:     global_buffer
      - .actual_access:  read_only
        .address_space:  global
        .offset:         112
        .size:           8
        .value_kind:     global_buffer
      - .offset:         120
        .size:           4
        .value_kind:     by_value
      - .address_space:  global
        .offset:         128
        .size:           8
        .value_kind:     global_buffer
      - .address_space:  global
        .offset:         136
        .size:           8
        .value_kind:     global_buffer
      - .offset:         144
        .size:           4
        .value_kind:     hidden_block_count_x
      - .offset:         148
        .size:           4
        .value_kind:     hidden_block_count_y
      - .offset:         152
        .size:           4
        .value_kind:     hidden_block_count_z
      - .offset:         156
        .size:           2
        .value_kind:     hidden_group_size_x
      - .offset:         158
        .size:           2
        .value_kind:     hidden_group_size_y
      - .offset:         160
        .size:           2
        .value_kind:     hidden_group_size_z
      - .offset:         162
        .size:           2
        .value_kind:     hidden_remainder_x
      - .offset:         164
        .size:           2
        .value_kind:     hidden_remainder_y
      - .offset:         166
        .size:           2
        .value_kind:     hidden_remainder_z
      - .offset:         184
        .size:           8
        .value_kind:     hidden_global_offset_x
      - .offset:         192
        .size:           8
        .value_kind:     hidden_global_offset_y
      - .offset:         200
        .size:           8
        .value_kind:     hidden_global_offset_z
      - .offset:         208
        .size:           2
        .value_kind:     hidden_grid_dims
      - .offset:         224
        .size:           8
        .value_kind:     hidden_hostcall_buffer
    .group_segment_fixed_size: 0
    .kernarg_segment_align: 8
    .kernarg_segment_size: 400
    .language:       OpenCL C
    .language_version:
      - 2
      - 0
    .max_flat_workgroup_size: 256
    .name:           _Z39paged_attention_ll4mi_QKV_mfma16_kernelIDF16_DF16_LN4vllm18Fp8KVCacheDataTypeE0EDF16_Li32ELi64ELi256ELb0ELi3EEvPKT_PKT0_S7_ifPKiS9_S9_iPKfiiiPfSC_PS2_PT2_iSB_SB_
    .private_segment_fixed_size: 64
    .sgpr_count:     36
    .sgpr_spill_count: 0
    .symbol:         _Z39paged_attention_ll4mi_QKV_mfma16_kernelIDF16_DF16_LN4vllm18Fp8KVCacheDataTypeE0EDF16_Li32ELi64ELi256ELb0ELi3EEvPKT_PKT0_S7_ifPKiS9_S9_iPKfiiiPfSC_PS2_PT2_iSB_SB_.kd
    .uniform_work_group_size: 1
    .uses_dynamic_stack: false
    .vgpr_count:     51
    .vgpr_spill_count: 0
    .wavefront_size: 32
  - .args:
      - .actual_access:  read_only
        .address_space:  global
        .offset:         0
        .size:           8
        .value_kind:     global_buffer
      - .actual_access:  read_only
        .address_space:  global
        .offset:         8
        .size:           8
        .value_kind:     global_buffer
      - .actual_access:  read_only
        .address_space:  global
        .offset:         16
        .size:           8
        .value_kind:     global_buffer
      - .offset:         24
        .size:           4
        .value_kind:     by_value
      - .offset:         28
        .size:           4
        .value_kind:     by_value
      - .actual_access:  read_only
        .address_space:  global
        .offset:         32
        .size:           8
        .value_kind:     global_buffer
      - .actual_access:  read_only
        .address_space:  global
        .offset:         40
        .size:           8
        .value_kind:     global_buffer
      - .actual_access:  read_only
        .address_space:  global
        .offset:         48
        .size:           8
        .value_kind:     global_buffer
      - .offset:         56
        .size:           4
        .value_kind:     by_value
      - .actual_access:  read_only
        .address_space:  global
        .offset:         64
        .size:           8
        .value_kind:     global_buffer
      - .offset:         72
        .size:           4
        .value_kind:     by_value
      - .offset:         76
        .size:           4
        .value_kind:     by_value
      - .offset:         80
        .size:           4
        .value_kind:     by_value
      - .actual_access:  read_only
        .address_space:  global
        .offset:         88
        .size:           8
        .value_kind:     global_buffer
      - .actual_access:  read_only
        .address_space:  global
        .offset:         96
        .size:           8
        .value_kind:     global_buffer
      - .actual_access:  read_only
        .address_space:  global
        .offset:         104
        .size:           8
        .value_kind:     global_buffer
      - .actual_access:  read_only
        .address_space:  global
        .offset:         112
        .size:           8
        .value_kind:     global_buffer
      - .offset:         120
        .size:           4
        .value_kind:     by_value
      - .address_space:  global
        .offset:         128
        .size:           8
        .value_kind:     global_buffer
      - .address_space:  global
        .offset:         136
        .size:           8
        .value_kind:     global_buffer
      - .offset:         144
        .size:           4
        .value_kind:     hidden_block_count_x
      - .offset:         148
        .size:           4
        .value_kind:     hidden_block_count_y
      - .offset:         152
        .size:           4
        .value_kind:     hidden_block_count_z
      - .offset:         156
        .size:           2
        .value_kind:     hidden_group_size_x
      - .offset:         158
        .size:           2
        .value_kind:     hidden_group_size_y
      - .offset:         160
        .size:           2
        .value_kind:     hidden_group_size_z
      - .offset:         162
        .size:           2
        .value_kind:     hidden_remainder_x
      - .offset:         164
        .size:           2
        .value_kind:     hidden_remainder_y
      - .offset:         166
        .size:           2
        .value_kind:     hidden_remainder_z
      - .offset:         184
        .size:           8
        .value_kind:     hidden_global_offset_x
      - .offset:         192
        .size:           8
        .value_kind:     hidden_global_offset_y
      - .offset:         200
        .size:           8
        .value_kind:     hidden_global_offset_z
      - .offset:         208
        .size:           2
        .value_kind:     hidden_grid_dims
      - .offset:         224
        .size:           8
        .value_kind:     hidden_hostcall_buffer
    .group_segment_fixed_size: 0
    .kernarg_segment_align: 8
    .kernarg_segment_size: 400
    .language:       OpenCL C
    .language_version:
      - 2
      - 0
    .max_flat_workgroup_size: 256
    .name:           _Z39paged_attention_ll4mi_QKV_mfma16_kernelIDF16_DF16_LN4vllm18Fp8KVCacheDataTypeE0EDF16_Li32ELi64ELi256ELb0ELi4EEvPKT_PKT0_S7_ifPKiS9_S9_iPKfiiiPfSC_PS2_PT2_iSB_SB_
    .private_segment_fixed_size: 64
    .sgpr_count:     36
    .sgpr_spill_count: 0
    .symbol:         _Z39paged_attention_ll4mi_QKV_mfma16_kernelIDF16_DF16_LN4vllm18Fp8KVCacheDataTypeE0EDF16_Li32ELi64ELi256ELb0ELi4EEvPKT_PKT0_S7_ifPKiS9_S9_iPKfiiiPfSC_PS2_PT2_iSB_SB_.kd
    .uniform_work_group_size: 1
    .uses_dynamic_stack: false
    .vgpr_count:     51
    .vgpr_spill_count: 0
    .wavefront_size: 32
  - .args:
      - .actual_access:  read_only
        .address_space:  global
        .offset:         0
        .size:           8
        .value_kind:     global_buffer
      - .actual_access:  read_only
        .address_space:  global
        .offset:         8
        .size:           8
        .value_kind:     global_buffer
      - .actual_access:  read_only
        .address_space:  global
        .offset:         16
        .size:           8
        .value_kind:     global_buffer
      - .offset:         24
        .size:           4
        .value_kind:     by_value
      - .offset:         28
        .size:           4
        .value_kind:     by_value
      - .actual_access:  read_only
        .address_space:  global
        .offset:         32
        .size:           8
        .value_kind:     global_buffer
      - .actual_access:  read_only
        .address_space:  global
        .offset:         40
        .size:           8
        .value_kind:     global_buffer
      - .actual_access:  read_only
        .address_space:  global
        .offset:         48
        .size:           8
        .value_kind:     global_buffer
      - .offset:         56
        .size:           4
        .value_kind:     by_value
      - .actual_access:  read_only
        .address_space:  global
        .offset:         64
        .size:           8
        .value_kind:     global_buffer
      - .offset:         72
        .size:           4
        .value_kind:     by_value
      - .offset:         76
        .size:           4
        .value_kind:     by_value
      - .offset:         80
        .size:           4
        .value_kind:     by_value
      - .actual_access:  read_only
        .address_space:  global
        .offset:         88
        .size:           8
        .value_kind:     global_buffer
      - .actual_access:  read_only
        .address_space:  global
        .offset:         96
        .size:           8
        .value_kind:     global_buffer
      - .actual_access:  read_only
        .address_space:  global
        .offset:         104
        .size:           8
        .value_kind:     global_buffer
      - .actual_access:  read_only
        .address_space:  global
        .offset:         112
        .size:           8
        .value_kind:     global_buffer
      - .offset:         120
        .size:           4
        .value_kind:     by_value
      - .address_space:  global
        .offset:         128
        .size:           8
        .value_kind:     global_buffer
      - .address_space:  global
        .offset:         136
        .size:           8
        .value_kind:     global_buffer
      - .offset:         144
        .size:           4
        .value_kind:     hidden_block_count_x
      - .offset:         148
        .size:           4
        .value_kind:     hidden_block_count_y
      - .offset:         152
        .size:           4
        .value_kind:     hidden_block_count_z
      - .offset:         156
        .size:           2
        .value_kind:     hidden_group_size_x
      - .offset:         158
        .size:           2
        .value_kind:     hidden_group_size_y
      - .offset:         160
        .size:           2
        .value_kind:     hidden_group_size_z
      - .offset:         162
        .size:           2
        .value_kind:     hidden_remainder_x
      - .offset:         164
        .size:           2
        .value_kind:     hidden_remainder_y
      - .offset:         166
        .size:           2
        .value_kind:     hidden_remainder_z
      - .offset:         184
        .size:           8
        .value_kind:     hidden_global_offset_x
      - .offset:         192
        .size:           8
        .value_kind:     hidden_global_offset_y
      - .offset:         200
        .size:           8
        .value_kind:     hidden_global_offset_z
      - .offset:         208
        .size:           2
        .value_kind:     hidden_grid_dims
      - .offset:         224
        .size:           8
        .value_kind:     hidden_hostcall_buffer
    .group_segment_fixed_size: 0
    .kernarg_segment_align: 8
    .kernarg_segment_size: 400
    .language:       OpenCL C
    .language_version:
      - 2
      - 0
    .max_flat_workgroup_size: 256
    .name:           _Z38paged_attention_ll4mi_QKV_mfma4_kernelIDF16_DF16_LN4vllm18Fp8KVCacheDataTypeE0EhLi16ELi128ELi256ELb1ELi1EEvPKT_PKT0_S7_ifPKiS9_S9_iPKfiiiPfSC_PS2_PT2_iSB_SB_
    .private_segment_fixed_size: 64
    .sgpr_count:     36
    .sgpr_spill_count: 0
    .symbol:         _Z38paged_attention_ll4mi_QKV_mfma4_kernelIDF16_DF16_LN4vllm18Fp8KVCacheDataTypeE0EhLi16ELi128ELi256ELb1ELi1EEvPKT_PKT0_S7_ifPKiS9_S9_iPKfiiiPfSC_PS2_PT2_iSB_SB_.kd
    .uniform_work_group_size: 1
    .uses_dynamic_stack: false
    .vgpr_count:     51
    .vgpr_spill_count: 0
    .wavefront_size: 32
  - .args:
      - .actual_access:  read_only
        .address_space:  global
        .offset:         0
        .size:           8
        .value_kind:     global_buffer
      - .actual_access:  read_only
        .address_space:  global
        .offset:         8
        .size:           8
        .value_kind:     global_buffer
      - .actual_access:  read_only
        .address_space:  global
        .offset:         16
        .size:           8
        .value_kind:     global_buffer
      - .offset:         24
        .size:           4
        .value_kind:     by_value
      - .offset:         28
        .size:           4
        .value_kind:     by_value
      - .actual_access:  read_only
        .address_space:  global
        .offset:         32
        .size:           8
        .value_kind:     global_buffer
      - .actual_access:  read_only
        .address_space:  global
        .offset:         40
        .size:           8
        .value_kind:     global_buffer
      - .actual_access:  read_only
        .address_space:  global
        .offset:         48
        .size:           8
        .value_kind:     global_buffer
      - .offset:         56
        .size:           4
        .value_kind:     by_value
      - .actual_access:  read_only
        .address_space:  global
        .offset:         64
        .size:           8
        .value_kind:     global_buffer
      - .offset:         72
        .size:           4
        .value_kind:     by_value
      - .offset:         76
        .size:           4
        .value_kind:     by_value
      - .offset:         80
        .size:           4
        .value_kind:     by_value
      - .actual_access:  read_only
        .address_space:  global
        .offset:         88
        .size:           8
        .value_kind:     global_buffer
      - .actual_access:  read_only
        .address_space:  global
        .offset:         96
        .size:           8
        .value_kind:     global_buffer
      - .actual_access:  read_only
        .address_space:  global
        .offset:         104
        .size:           8
        .value_kind:     global_buffer
      - .actual_access:  read_only
        .address_space:  global
        .offset:         112
        .size:           8
        .value_kind:     global_buffer
      - .offset:         120
        .size:           4
        .value_kind:     by_value
      - .address_space:  global
        .offset:         128
        .size:           8
        .value_kind:     global_buffer
      - .address_space:  global
        .offset:         136
        .size:           8
        .value_kind:     global_buffer
      - .offset:         144
        .size:           4
        .value_kind:     hidden_block_count_x
      - .offset:         148
        .size:           4
        .value_kind:     hidden_block_count_y
      - .offset:         152
        .size:           4
        .value_kind:     hidden_block_count_z
      - .offset:         156
        .size:           2
        .value_kind:     hidden_group_size_x
      - .offset:         158
        .size:           2
        .value_kind:     hidden_group_size_y
      - .offset:         160
        .size:           2
        .value_kind:     hidden_group_size_z
      - .offset:         162
        .size:           2
        .value_kind:     hidden_remainder_x
      - .offset:         164
        .size:           2
        .value_kind:     hidden_remainder_y
      - .offset:         166
        .size:           2
        .value_kind:     hidden_remainder_z
      - .offset:         184
        .size:           8
        .value_kind:     hidden_global_offset_x
      - .offset:         192
        .size:           8
        .value_kind:     hidden_global_offset_y
      - .offset:         200
        .size:           8
        .value_kind:     hidden_global_offset_z
      - .offset:         208
        .size:           2
        .value_kind:     hidden_grid_dims
      - .offset:         224
        .size:           8
        .value_kind:     hidden_hostcall_buffer
    .group_segment_fixed_size: 0
    .kernarg_segment_align: 8
    .kernarg_segment_size: 400
    .language:       OpenCL C
    .language_version:
      - 2
      - 0
    .max_flat_workgroup_size: 256
    .name:           _Z38paged_attention_ll4mi_QKV_mfma4_kernelIDF16_DF16_LN4vllm18Fp8KVCacheDataTypeE0EhLi16ELi128ELi256ELb1ELi2EEvPKT_PKT0_S7_ifPKiS9_S9_iPKfiiiPfSC_PS2_PT2_iSB_SB_
    .private_segment_fixed_size: 64
    .sgpr_count:     36
    .sgpr_spill_count: 0
    .symbol:         _Z38paged_attention_ll4mi_QKV_mfma4_kernelIDF16_DF16_LN4vllm18Fp8KVCacheDataTypeE0EhLi16ELi128ELi256ELb1ELi2EEvPKT_PKT0_S7_ifPKiS9_S9_iPKfiiiPfSC_PS2_PT2_iSB_SB_.kd
    .uniform_work_group_size: 1
    .uses_dynamic_stack: false
    .vgpr_count:     51
    .vgpr_spill_count: 0
    .wavefront_size: 32
  - .args:
      - .actual_access:  read_only
        .address_space:  global
        .offset:         0
        .size:           8
        .value_kind:     global_buffer
      - .actual_access:  read_only
        .address_space:  global
        .offset:         8
        .size:           8
        .value_kind:     global_buffer
      - .actual_access:  read_only
        .address_space:  global
        .offset:         16
        .size:           8
        .value_kind:     global_buffer
      - .offset:         24
        .size:           4
        .value_kind:     by_value
      - .offset:         28
        .size:           4
        .value_kind:     by_value
      - .actual_access:  read_only
        .address_space:  global
        .offset:         32
        .size:           8
        .value_kind:     global_buffer
      - .actual_access:  read_only
        .address_space:  global
        .offset:         40
        .size:           8
        .value_kind:     global_buffer
      - .actual_access:  read_only
        .address_space:  global
        .offset:         48
        .size:           8
        .value_kind:     global_buffer
      - .offset:         56
        .size:           4
        .value_kind:     by_value
      - .actual_access:  read_only
        .address_space:  global
        .offset:         64
        .size:           8
        .value_kind:     global_buffer
      - .offset:         72
        .size:           4
        .value_kind:     by_value
      - .offset:         76
        .size:           4
        .value_kind:     by_value
      - .offset:         80
        .size:           4
        .value_kind:     by_value
      - .actual_access:  read_only
        .address_space:  global
        .offset:         88
        .size:           8
        .value_kind:     global_buffer
      - .actual_access:  read_only
        .address_space:  global
        .offset:         96
        .size:           8
        .value_kind:     global_buffer
      - .actual_access:  read_only
        .address_space:  global
        .offset:         104
        .size:           8
        .value_kind:     global_buffer
      - .actual_access:  read_only
        .address_space:  global
        .offset:         112
        .size:           8
        .value_kind:     global_buffer
      - .offset:         120
        .size:           4
        .value_kind:     by_value
      - .address_space:  global
        .offset:         128
        .size:           8
        .value_kind:     global_buffer
      - .address_space:  global
        .offset:         136
        .size:           8
        .value_kind:     global_buffer
      - .offset:         144
        .size:           4
        .value_kind:     hidden_block_count_x
      - .offset:         148
        .size:           4
        .value_kind:     hidden_block_count_y
      - .offset:         152
        .size:           4
        .value_kind:     hidden_block_count_z
      - .offset:         156
        .size:           2
        .value_kind:     hidden_group_size_x
      - .offset:         158
        .size:           2
        .value_kind:     hidden_group_size_y
      - .offset:         160
        .size:           2
        .value_kind:     hidden_group_size_z
      - .offset:         162
        .size:           2
        .value_kind:     hidden_remainder_x
      - .offset:         164
        .size:           2
        .value_kind:     hidden_remainder_y
      - .offset:         166
        .size:           2
        .value_kind:     hidden_remainder_z
      - .offset:         184
        .size:           8
        .value_kind:     hidden_global_offset_x
      - .offset:         192
        .size:           8
        .value_kind:     hidden_global_offset_y
      - .offset:         200
        .size:           8
        .value_kind:     hidden_global_offset_z
      - .offset:         208
        .size:           2
        .value_kind:     hidden_grid_dims
      - .offset:         224
        .size:           8
        .value_kind:     hidden_hostcall_buffer
    .group_segment_fixed_size: 0
    .kernarg_segment_align: 8
    .kernarg_segment_size: 400
    .language:       OpenCL C
    .language_version:
      - 2
      - 0
    .max_flat_workgroup_size: 256
    .name:           _Z38paged_attention_ll4mi_QKV_mfma4_kernelIDF16_DF16_LN4vllm18Fp8KVCacheDataTypeE0EhLi16ELi128ELi256ELb1ELi3EEvPKT_PKT0_S7_ifPKiS9_S9_iPKfiiiPfSC_PS2_PT2_iSB_SB_
    .private_segment_fixed_size: 64
    .sgpr_count:     36
    .sgpr_spill_count: 0
    .symbol:         _Z38paged_attention_ll4mi_QKV_mfma4_kernelIDF16_DF16_LN4vllm18Fp8KVCacheDataTypeE0EhLi16ELi128ELi256ELb1ELi3EEvPKT_PKT0_S7_ifPKiS9_S9_iPKfiiiPfSC_PS2_PT2_iSB_SB_.kd
    .uniform_work_group_size: 1
    .uses_dynamic_stack: false
    .vgpr_count:     51
    .vgpr_spill_count: 0
    .wavefront_size: 32
  - .args:
      - .actual_access:  read_only
        .address_space:  global
        .offset:         0
        .size:           8
        .value_kind:     global_buffer
      - .actual_access:  read_only
        .address_space:  global
        .offset:         8
        .size:           8
        .value_kind:     global_buffer
      - .actual_access:  read_only
        .address_space:  global
        .offset:         16
        .size:           8
        .value_kind:     global_buffer
      - .offset:         24
        .size:           4
        .value_kind:     by_value
      - .offset:         28
        .size:           4
        .value_kind:     by_value
      - .actual_access:  read_only
        .address_space:  global
        .offset:         32
        .size:           8
        .value_kind:     global_buffer
      - .actual_access:  read_only
        .address_space:  global
        .offset:         40
        .size:           8
        .value_kind:     global_buffer
      - .actual_access:  read_only
        .address_space:  global
        .offset:         48
        .size:           8
        .value_kind:     global_buffer
      - .offset:         56
        .size:           4
        .value_kind:     by_value
      - .actual_access:  read_only
        .address_space:  global
        .offset:         64
        .size:           8
        .value_kind:     global_buffer
      - .offset:         72
        .size:           4
        .value_kind:     by_value
      - .offset:         76
        .size:           4
        .value_kind:     by_value
      - .offset:         80
        .size:           4
        .value_kind:     by_value
      - .actual_access:  read_only
        .address_space:  global
        .offset:         88
        .size:           8
        .value_kind:     global_buffer
      - .actual_access:  read_only
        .address_space:  global
        .offset:         96
        .size:           8
        .value_kind:     global_buffer
      - .actual_access:  read_only
        .address_space:  global
        .offset:         104
        .size:           8
        .value_kind:     global_buffer
      - .actual_access:  read_only
        .address_space:  global
        .offset:         112
        .size:           8
        .value_kind:     global_buffer
      - .offset:         120
        .size:           4
        .value_kind:     by_value
      - .address_space:  global
        .offset:         128
        .size:           8
        .value_kind:     global_buffer
      - .address_space:  global
        .offset:         136
        .size:           8
        .value_kind:     global_buffer
      - .offset:         144
        .size:           4
        .value_kind:     hidden_block_count_x
      - .offset:         148
        .size:           4
        .value_kind:     hidden_block_count_y
      - .offset:         152
        .size:           4
        .value_kind:     hidden_block_count_z
      - .offset:         156
        .size:           2
        .value_kind:     hidden_group_size_x
      - .offset:         158
        .size:           2
        .value_kind:     hidden_group_size_y
      - .offset:         160
        .size:           2
        .value_kind:     hidden_group_size_z
      - .offset:         162
        .size:           2
        .value_kind:     hidden_remainder_x
      - .offset:         164
        .size:           2
        .value_kind:     hidden_remainder_y
      - .offset:         166
        .size:           2
        .value_kind:     hidden_remainder_z
      - .offset:         184
        .size:           8
        .value_kind:     hidden_global_offset_x
      - .offset:         192
        .size:           8
        .value_kind:     hidden_global_offset_y
      - .offset:         200
        .size:           8
        .value_kind:     hidden_global_offset_z
      - .offset:         208
        .size:           2
        .value_kind:     hidden_grid_dims
      - .offset:         224
        .size:           8
        .value_kind:     hidden_hostcall_buffer
    .group_segment_fixed_size: 0
    .kernarg_segment_align: 8
    .kernarg_segment_size: 400
    .language:       OpenCL C
    .language_version:
      - 2
      - 0
    .max_flat_workgroup_size: 256
    .name:           _Z38paged_attention_ll4mi_QKV_mfma4_kernelIDF16_DF16_LN4vllm18Fp8KVCacheDataTypeE0EhLi16ELi128ELi256ELb1ELi4EEvPKT_PKT0_S7_ifPKiS9_S9_iPKfiiiPfSC_PS2_PT2_iSB_SB_
    .private_segment_fixed_size: 64
    .sgpr_count:     36
    .sgpr_spill_count: 0
    .symbol:         _Z38paged_attention_ll4mi_QKV_mfma4_kernelIDF16_DF16_LN4vllm18Fp8KVCacheDataTypeE0EhLi16ELi128ELi256ELb1ELi4EEvPKT_PKT0_S7_ifPKiS9_S9_iPKfiiiPfSC_PS2_PT2_iSB_SB_.kd
    .uniform_work_group_size: 1
    .uses_dynamic_stack: false
    .vgpr_count:     51
    .vgpr_spill_count: 0
    .wavefront_size: 32
  - .args:
      - .actual_access:  read_only
        .address_space:  global
        .offset:         0
        .size:           8
        .value_kind:     global_buffer
      - .actual_access:  read_only
        .address_space:  global
        .offset:         8
        .size:           8
        .value_kind:     global_buffer
      - .actual_access:  read_only
        .address_space:  global
        .offset:         16
        .size:           8
        .value_kind:     global_buffer
      - .offset:         24
        .size:           4
        .value_kind:     by_value
      - .offset:         28
        .size:           4
        .value_kind:     by_value
      - .actual_access:  read_only
        .address_space:  global
        .offset:         32
        .size:           8
        .value_kind:     global_buffer
      - .actual_access:  read_only
        .address_space:  global
        .offset:         40
        .size:           8
        .value_kind:     global_buffer
      - .actual_access:  read_only
        .address_space:  global
        .offset:         48
        .size:           8
        .value_kind:     global_buffer
      - .offset:         56
        .size:           4
        .value_kind:     by_value
      - .actual_access:  read_only
        .address_space:  global
        .offset:         64
        .size:           8
        .value_kind:     global_buffer
      - .offset:         72
        .size:           4
        .value_kind:     by_value
      - .offset:         76
        .size:           4
        .value_kind:     by_value
      - .offset:         80
        .size:           4
        .value_kind:     by_value
      - .actual_access:  read_only
        .address_space:  global
        .offset:         88
        .size:           8
        .value_kind:     global_buffer
      - .actual_access:  read_only
        .address_space:  global
        .offset:         96
        .size:           8
        .value_kind:     global_buffer
      - .actual_access:  read_only
        .address_space:  global
        .offset:         104
        .size:           8
        .value_kind:     global_buffer
      - .actual_access:  read_only
        .address_space:  global
        .offset:         112
        .size:           8
        .value_kind:     global_buffer
      - .offset:         120
        .size:           4
        .value_kind:     by_value
      - .address_space:  global
        .offset:         128
        .size:           8
        .value_kind:     global_buffer
      - .address_space:  global
        .offset:         136
        .size:           8
        .value_kind:     global_buffer
      - .offset:         144
        .size:           4
        .value_kind:     hidden_block_count_x
      - .offset:         148
        .size:           4
        .value_kind:     hidden_block_count_y
      - .offset:         152
        .size:           4
        .value_kind:     hidden_block_count_z
      - .offset:         156
        .size:           2
        .value_kind:     hidden_group_size_x
      - .offset:         158
        .size:           2
        .value_kind:     hidden_group_size_y
      - .offset:         160
        .size:           2
        .value_kind:     hidden_group_size_z
      - .offset:         162
        .size:           2
        .value_kind:     hidden_remainder_x
      - .offset:         164
        .size:           2
        .value_kind:     hidden_remainder_y
      - .offset:         166
        .size:           2
        .value_kind:     hidden_remainder_z
      - .offset:         184
        .size:           8
        .value_kind:     hidden_global_offset_x
      - .offset:         192
        .size:           8
        .value_kind:     hidden_global_offset_y
      - .offset:         200
        .size:           8
        .value_kind:     hidden_global_offset_z
      - .offset:         208
        .size:           2
        .value_kind:     hidden_grid_dims
      - .offset:         224
        .size:           8
        .value_kind:     hidden_hostcall_buffer
    .group_segment_fixed_size: 0
    .kernarg_segment_align: 8
    .kernarg_segment_size: 400
    .language:       OpenCL C
    .language_version:
      - 2
      - 0
    .max_flat_workgroup_size: 256
    .name:           _Z39paged_attention_ll4mi_QKV_mfma16_kernelIDF16_DF16_LN4vllm18Fp8KVCacheDataTypeE0EhLi16ELi128ELi256ELb1ELi5EEvPKT_PKT0_S7_ifPKiS9_S9_iPKfiiiPfSC_PS2_PT2_iSB_SB_
    .private_segment_fixed_size: 64
    .sgpr_count:     36
    .sgpr_spill_count: 0
    .symbol:         _Z39paged_attention_ll4mi_QKV_mfma16_kernelIDF16_DF16_LN4vllm18Fp8KVCacheDataTypeE0EhLi16ELi128ELi256ELb1ELi5EEvPKT_PKT0_S7_ifPKiS9_S9_iPKfiiiPfSC_PS2_PT2_iSB_SB_.kd
    .uniform_work_group_size: 1
    .uses_dynamic_stack: false
    .vgpr_count:     51
    .vgpr_spill_count: 0
    .wavefront_size: 32
  - .args:
      - .actual_access:  read_only
        .address_space:  global
        .offset:         0
        .size:           8
        .value_kind:     global_buffer
      - .actual_access:  read_only
        .address_space:  global
        .offset:         8
        .size:           8
        .value_kind:     global_buffer
      - .actual_access:  read_only
        .address_space:  global
        .offset:         16
        .size:           8
        .value_kind:     global_buffer
      - .offset:         24
        .size:           4
        .value_kind:     by_value
      - .offset:         28
        .size:           4
        .value_kind:     by_value
      - .actual_access:  read_only
        .address_space:  global
        .offset:         32
        .size:           8
        .value_kind:     global_buffer
      - .actual_access:  read_only
        .address_space:  global
        .offset:         40
        .size:           8
        .value_kind:     global_buffer
      - .actual_access:  read_only
        .address_space:  global
        .offset:         48
        .size:           8
        .value_kind:     global_buffer
      - .offset:         56
        .size:           4
        .value_kind:     by_value
      - .actual_access:  read_only
        .address_space:  global
        .offset:         64
        .size:           8
        .value_kind:     global_buffer
      - .offset:         72
        .size:           4
        .value_kind:     by_value
      - .offset:         76
        .size:           4
        .value_kind:     by_value
      - .offset:         80
        .size:           4
        .value_kind:     by_value
      - .actual_access:  read_only
        .address_space:  global
        .offset:         88
        .size:           8
        .value_kind:     global_buffer
      - .actual_access:  read_only
        .address_space:  global
        .offset:         96
        .size:           8
        .value_kind:     global_buffer
      - .actual_access:  read_only
        .address_space:  global
        .offset:         104
        .size:           8
        .value_kind:     global_buffer
      - .actual_access:  read_only
        .address_space:  global
        .offset:         112
        .size:           8
        .value_kind:     global_buffer
      - .offset:         120
        .size:           4
        .value_kind:     by_value
      - .address_space:  global
        .offset:         128
        .size:           8
        .value_kind:     global_buffer
      - .address_space:  global
        .offset:         136
        .size:           8
        .value_kind:     global_buffer
      - .offset:         144
        .size:           4
        .value_kind:     hidden_block_count_x
      - .offset:         148
        .size:           4
        .value_kind:     hidden_block_count_y
      - .offset:         152
        .size:           4
        .value_kind:     hidden_block_count_z
      - .offset:         156
        .size:           2
        .value_kind:     hidden_group_size_x
      - .offset:         158
        .size:           2
        .value_kind:     hidden_group_size_y
      - .offset:         160
        .size:           2
        .value_kind:     hidden_group_size_z
      - .offset:         162
        .size:           2
        .value_kind:     hidden_remainder_x
      - .offset:         164
        .size:           2
        .value_kind:     hidden_remainder_y
      - .offset:         166
        .size:           2
        .value_kind:     hidden_remainder_z
      - .offset:         184
        .size:           8
        .value_kind:     hidden_global_offset_x
      - .offset:         192
        .size:           8
        .value_kind:     hidden_global_offset_y
      - .offset:         200
        .size:           8
        .value_kind:     hidden_global_offset_z
      - .offset:         208
        .size:           2
        .value_kind:     hidden_grid_dims
      - .offset:         224
        .size:           8
        .value_kind:     hidden_hostcall_buffer
    .group_segment_fixed_size: 0
    .kernarg_segment_align: 8
    .kernarg_segment_size: 400
    .language:       OpenCL C
    .language_version:
      - 2
      - 0
    .max_flat_workgroup_size: 256
    .name:           _Z39paged_attention_ll4mi_QKV_mfma16_kernelIDF16_DF16_LN4vllm18Fp8KVCacheDataTypeE0EhLi16ELi128ELi256ELb1ELi6EEvPKT_PKT0_S7_ifPKiS9_S9_iPKfiiiPfSC_PS2_PT2_iSB_SB_
    .private_segment_fixed_size: 64
    .sgpr_count:     36
    .sgpr_spill_count: 0
    .symbol:         _Z39paged_attention_ll4mi_QKV_mfma16_kernelIDF16_DF16_LN4vllm18Fp8KVCacheDataTypeE0EhLi16ELi128ELi256ELb1ELi6EEvPKT_PKT0_S7_ifPKiS9_S9_iPKfiiiPfSC_PS2_PT2_iSB_SB_.kd
    .uniform_work_group_size: 1
    .uses_dynamic_stack: false
    .vgpr_count:     51
    .vgpr_spill_count: 0
    .wavefront_size: 32
  - .args:
      - .actual_access:  read_only
        .address_space:  global
        .offset:         0
        .size:           8
        .value_kind:     global_buffer
      - .actual_access:  read_only
        .address_space:  global
        .offset:         8
        .size:           8
        .value_kind:     global_buffer
      - .actual_access:  read_only
        .address_space:  global
        .offset:         16
        .size:           8
        .value_kind:     global_buffer
      - .offset:         24
        .size:           4
        .value_kind:     by_value
      - .offset:         28
        .size:           4
        .value_kind:     by_value
      - .actual_access:  read_only
        .address_space:  global
        .offset:         32
        .size:           8
        .value_kind:     global_buffer
      - .actual_access:  read_only
        .address_space:  global
        .offset:         40
        .size:           8
        .value_kind:     global_buffer
      - .actual_access:  read_only
        .address_space:  global
        .offset:         48
        .size:           8
        .value_kind:     global_buffer
      - .offset:         56
        .size:           4
        .value_kind:     by_value
      - .actual_access:  read_only
        .address_space:  global
        .offset:         64
        .size:           8
        .value_kind:     global_buffer
      - .offset:         72
        .size:           4
        .value_kind:     by_value
      - .offset:         76
        .size:           4
        .value_kind:     by_value
      - .offset:         80
        .size:           4
        .value_kind:     by_value
      - .actual_access:  read_only
        .address_space:  global
        .offset:         88
        .size:           8
        .value_kind:     global_buffer
      - .actual_access:  read_only
        .address_space:  global
        .offset:         96
        .size:           8
        .value_kind:     global_buffer
      - .actual_access:  read_only
        .address_space:  global
        .offset:         104
        .size:           8
        .value_kind:     global_buffer
      - .actual_access:  read_only
        .address_space:  global
        .offset:         112
        .size:           8
        .value_kind:     global_buffer
      - .offset:         120
        .size:           4
        .value_kind:     by_value
      - .address_space:  global
        .offset:         128
        .size:           8
        .value_kind:     global_buffer
      - .address_space:  global
        .offset:         136
        .size:           8
        .value_kind:     global_buffer
      - .offset:         144
        .size:           4
        .value_kind:     hidden_block_count_x
      - .offset:         148
        .size:           4
        .value_kind:     hidden_block_count_y
      - .offset:         152
        .size:           4
        .value_kind:     hidden_block_count_z
      - .offset:         156
        .size:           2
        .value_kind:     hidden_group_size_x
      - .offset:         158
        .size:           2
        .value_kind:     hidden_group_size_y
      - .offset:         160
        .size:           2
        .value_kind:     hidden_group_size_z
      - .offset:         162
        .size:           2
        .value_kind:     hidden_remainder_x
      - .offset:         164
        .size:           2
        .value_kind:     hidden_remainder_y
      - .offset:         166
        .size:           2
        .value_kind:     hidden_remainder_z
      - .offset:         184
        .size:           8
        .value_kind:     hidden_global_offset_x
      - .offset:         192
        .size:           8
        .value_kind:     hidden_global_offset_y
      - .offset:         200
        .size:           8
        .value_kind:     hidden_global_offset_z
      - .offset:         208
        .size:           2
        .value_kind:     hidden_grid_dims
      - .offset:         224
        .size:           8
        .value_kind:     hidden_hostcall_buffer
    .group_segment_fixed_size: 0
    .kernarg_segment_align: 8
    .kernarg_segment_size: 400
    .language:       OpenCL C
    .language_version:
      - 2
      - 0
    .max_flat_workgroup_size: 256
    .name:           _Z39paged_attention_ll4mi_QKV_mfma16_kernelIDF16_DF16_LN4vllm18Fp8KVCacheDataTypeE0EhLi16ELi128ELi256ELb1ELi7EEvPKT_PKT0_S7_ifPKiS9_S9_iPKfiiiPfSC_PS2_PT2_iSB_SB_
    .private_segment_fixed_size: 64
    .sgpr_count:     36
    .sgpr_spill_count: 0
    .symbol:         _Z39paged_attention_ll4mi_QKV_mfma16_kernelIDF16_DF16_LN4vllm18Fp8KVCacheDataTypeE0EhLi16ELi128ELi256ELb1ELi7EEvPKT_PKT0_S7_ifPKiS9_S9_iPKfiiiPfSC_PS2_PT2_iSB_SB_.kd
    .uniform_work_group_size: 1
    .uses_dynamic_stack: false
    .vgpr_count:     51
    .vgpr_spill_count: 0
    .wavefront_size: 32
  - .args:
      - .actual_access:  read_only
        .address_space:  global
        .offset:         0
        .size:           8
        .value_kind:     global_buffer
      - .actual_access:  read_only
        .address_space:  global
        .offset:         8
        .size:           8
        .value_kind:     global_buffer
      - .actual_access:  read_only
        .address_space:  global
        .offset:         16
        .size:           8
        .value_kind:     global_buffer
      - .offset:         24
        .size:           4
        .value_kind:     by_value
      - .offset:         28
        .size:           4
        .value_kind:     by_value
      - .actual_access:  read_only
        .address_space:  global
        .offset:         32
        .size:           8
        .value_kind:     global_buffer
      - .actual_access:  read_only
        .address_space:  global
        .offset:         40
        .size:           8
        .value_kind:     global_buffer
      - .actual_access:  read_only
        .address_space:  global
        .offset:         48
        .size:           8
        .value_kind:     global_buffer
      - .offset:         56
        .size:           4
        .value_kind:     by_value
      - .actual_access:  read_only
        .address_space:  global
        .offset:         64
        .size:           8
        .value_kind:     global_buffer
      - .offset:         72
        .size:           4
        .value_kind:     by_value
      - .offset:         76
        .size:           4
        .value_kind:     by_value
      - .offset:         80
        .size:           4
        .value_kind:     by_value
      - .actual_access:  read_only
        .address_space:  global
        .offset:         88
        .size:           8
        .value_kind:     global_buffer
      - .actual_access:  read_only
        .address_space:  global
        .offset:         96
        .size:           8
        .value_kind:     global_buffer
      - .actual_access:  read_only
        .address_space:  global
        .offset:         104
        .size:           8
        .value_kind:     global_buffer
      - .actual_access:  read_only
        .address_space:  global
        .offset:         112
        .size:           8
        .value_kind:     global_buffer
      - .offset:         120
        .size:           4
        .value_kind:     by_value
      - .address_space:  global
        .offset:         128
        .size:           8
        .value_kind:     global_buffer
      - .address_space:  global
        .offset:         136
        .size:           8
        .value_kind:     global_buffer
      - .offset:         144
        .size:           4
        .value_kind:     hidden_block_count_x
      - .offset:         148
        .size:           4
        .value_kind:     hidden_block_count_y
      - .offset:         152
        .size:           4
        .value_kind:     hidden_block_count_z
      - .offset:         156
        .size:           2
        .value_kind:     hidden_group_size_x
      - .offset:         158
        .size:           2
        .value_kind:     hidden_group_size_y
      - .offset:         160
        .size:           2
        .value_kind:     hidden_group_size_z
      - .offset:         162
        .size:           2
        .value_kind:     hidden_remainder_x
      - .offset:         164
        .size:           2
        .value_kind:     hidden_remainder_y
      - .offset:         166
        .size:           2
        .value_kind:     hidden_remainder_z
      - .offset:         184
        .size:           8
        .value_kind:     hidden_global_offset_x
      - .offset:         192
        .size:           8
        .value_kind:     hidden_global_offset_y
      - .offset:         200
        .size:           8
        .value_kind:     hidden_global_offset_z
      - .offset:         208
        .size:           2
        .value_kind:     hidden_grid_dims
      - .offset:         224
        .size:           8
        .value_kind:     hidden_hostcall_buffer
    .group_segment_fixed_size: 0
    .kernarg_segment_align: 8
    .kernarg_segment_size: 400
    .language:       OpenCL C
    .language_version:
      - 2
      - 0
    .max_flat_workgroup_size: 256
    .name:           _Z39paged_attention_ll4mi_QKV_mfma16_kernelIDF16_DF16_LN4vllm18Fp8KVCacheDataTypeE0EhLi16ELi128ELi256ELb1ELi8EEvPKT_PKT0_S7_ifPKiS9_S9_iPKfiiiPfSC_PS2_PT2_iSB_SB_
    .private_segment_fixed_size: 64
    .sgpr_count:     36
    .sgpr_spill_count: 0
    .symbol:         _Z39paged_attention_ll4mi_QKV_mfma16_kernelIDF16_DF16_LN4vllm18Fp8KVCacheDataTypeE0EhLi16ELi128ELi256ELb1ELi8EEvPKT_PKT0_S7_ifPKiS9_S9_iPKfiiiPfSC_PS2_PT2_iSB_SB_.kd
    .uniform_work_group_size: 1
    .uses_dynamic_stack: false
    .vgpr_count:     51
    .vgpr_spill_count: 0
    .wavefront_size: 32
  - .args:
      - .actual_access:  read_only
        .address_space:  global
        .offset:         0
        .size:           8
        .value_kind:     global_buffer
      - .actual_access:  read_only
        .address_space:  global
        .offset:         8
        .size:           8
        .value_kind:     global_buffer
      - .actual_access:  read_only
        .address_space:  global
        .offset:         16
        .size:           8
        .value_kind:     global_buffer
      - .offset:         24
        .size:           4
        .value_kind:     by_value
      - .offset:         28
        .size:           4
        .value_kind:     by_value
      - .actual_access:  read_only
        .address_space:  global
        .offset:         32
        .size:           8
        .value_kind:     global_buffer
      - .actual_access:  read_only
        .address_space:  global
        .offset:         40
        .size:           8
        .value_kind:     global_buffer
      - .actual_access:  read_only
        .address_space:  global
        .offset:         48
        .size:           8
        .value_kind:     global_buffer
      - .offset:         56
        .size:           4
        .value_kind:     by_value
      - .actual_access:  read_only
        .address_space:  global
        .offset:         64
        .size:           8
        .value_kind:     global_buffer
      - .offset:         72
        .size:           4
        .value_kind:     by_value
      - .offset:         76
        .size:           4
        .value_kind:     by_value
      - .offset:         80
        .size:           4
        .value_kind:     by_value
      - .actual_access:  read_only
        .address_space:  global
        .offset:         88
        .size:           8
        .value_kind:     global_buffer
      - .actual_access:  read_only
        .address_space:  global
        .offset:         96
        .size:           8
        .value_kind:     global_buffer
      - .actual_access:  read_only
        .address_space:  global
        .offset:         104
        .size:           8
        .value_kind:     global_buffer
      - .actual_access:  read_only
        .address_space:  global
        .offset:         112
        .size:           8
        .value_kind:     global_buffer
      - .offset:         120
        .size:           4
        .value_kind:     by_value
      - .address_space:  global
        .offset:         128
        .size:           8
        .value_kind:     global_buffer
      - .address_space:  global
        .offset:         136
        .size:           8
        .value_kind:     global_buffer
      - .offset:         144
        .size:           4
        .value_kind:     hidden_block_count_x
      - .offset:         148
        .size:           4
        .value_kind:     hidden_block_count_y
      - .offset:         152
        .size:           4
        .value_kind:     hidden_block_count_z
      - .offset:         156
        .size:           2
        .value_kind:     hidden_group_size_x
      - .offset:         158
        .size:           2
        .value_kind:     hidden_group_size_y
      - .offset:         160
        .size:           2
        .value_kind:     hidden_group_size_z
      - .offset:         162
        .size:           2
        .value_kind:     hidden_remainder_x
      - .offset:         164
        .size:           2
        .value_kind:     hidden_remainder_y
      - .offset:         166
        .size:           2
        .value_kind:     hidden_remainder_z
      - .offset:         184
        .size:           8
        .value_kind:     hidden_global_offset_x
      - .offset:         192
        .size:           8
        .value_kind:     hidden_global_offset_y
      - .offset:         200
        .size:           8
        .value_kind:     hidden_global_offset_z
      - .offset:         208
        .size:           2
        .value_kind:     hidden_grid_dims
      - .offset:         224
        .size:           8
        .value_kind:     hidden_hostcall_buffer
    .group_segment_fixed_size: 0
    .kernarg_segment_align: 8
    .kernarg_segment_size: 400
    .language:       OpenCL C
    .language_version:
      - 2
      - 0
    .max_flat_workgroup_size: 256
    .name:           _Z39paged_attention_ll4mi_QKV_mfma16_kernelIDF16_DF16_LN4vllm18Fp8KVCacheDataTypeE0EhLi16ELi128ELi256ELb1ELi9EEvPKT_PKT0_S7_ifPKiS9_S9_iPKfiiiPfSC_PS2_PT2_iSB_SB_
    .private_segment_fixed_size: 64
    .sgpr_count:     36
    .sgpr_spill_count: 0
    .symbol:         _Z39paged_attention_ll4mi_QKV_mfma16_kernelIDF16_DF16_LN4vllm18Fp8KVCacheDataTypeE0EhLi16ELi128ELi256ELb1ELi9EEvPKT_PKT0_S7_ifPKiS9_S9_iPKfiiiPfSC_PS2_PT2_iSB_SB_.kd
    .uniform_work_group_size: 1
    .uses_dynamic_stack: false
    .vgpr_count:     51
    .vgpr_spill_count: 0
    .wavefront_size: 32
  - .args:
      - .actual_access:  read_only
        .address_space:  global
        .offset:         0
        .size:           8
        .value_kind:     global_buffer
      - .actual_access:  read_only
        .address_space:  global
        .offset:         8
        .size:           8
        .value_kind:     global_buffer
      - .actual_access:  read_only
        .address_space:  global
        .offset:         16
        .size:           8
        .value_kind:     global_buffer
      - .offset:         24
        .size:           4
        .value_kind:     by_value
      - .offset:         28
        .size:           4
        .value_kind:     by_value
      - .actual_access:  read_only
        .address_space:  global
        .offset:         32
        .size:           8
        .value_kind:     global_buffer
      - .actual_access:  read_only
        .address_space:  global
        .offset:         40
        .size:           8
        .value_kind:     global_buffer
      - .actual_access:  read_only
        .address_space:  global
        .offset:         48
        .size:           8
        .value_kind:     global_buffer
      - .offset:         56
        .size:           4
        .value_kind:     by_value
      - .actual_access:  read_only
        .address_space:  global
        .offset:         64
        .size:           8
        .value_kind:     global_buffer
      - .offset:         72
        .size:           4
        .value_kind:     by_value
      - .offset:         76
        .size:           4
        .value_kind:     by_value
      - .offset:         80
        .size:           4
        .value_kind:     by_value
      - .actual_access:  read_only
        .address_space:  global
        .offset:         88
        .size:           8
        .value_kind:     global_buffer
      - .actual_access:  read_only
        .address_space:  global
        .offset:         96
        .size:           8
        .value_kind:     global_buffer
      - .actual_access:  read_only
        .address_space:  global
        .offset:         104
        .size:           8
        .value_kind:     global_buffer
      - .actual_access:  read_only
        .address_space:  global
        .offset:         112
        .size:           8
        .value_kind:     global_buffer
      - .offset:         120
        .size:           4
        .value_kind:     by_value
      - .address_space:  global
        .offset:         128
        .size:           8
        .value_kind:     global_buffer
      - .address_space:  global
        .offset:         136
        .size:           8
        .value_kind:     global_buffer
      - .offset:         144
        .size:           4
        .value_kind:     hidden_block_count_x
      - .offset:         148
        .size:           4
        .value_kind:     hidden_block_count_y
      - .offset:         152
        .size:           4
        .value_kind:     hidden_block_count_z
      - .offset:         156
        .size:           2
        .value_kind:     hidden_group_size_x
      - .offset:         158
        .size:           2
        .value_kind:     hidden_group_size_y
      - .offset:         160
        .size:           2
        .value_kind:     hidden_group_size_z
      - .offset:         162
        .size:           2
        .value_kind:     hidden_remainder_x
      - .offset:         164
        .size:           2
        .value_kind:     hidden_remainder_y
      - .offset:         166
        .size:           2
        .value_kind:     hidden_remainder_z
      - .offset:         184
        .size:           8
        .value_kind:     hidden_global_offset_x
      - .offset:         192
        .size:           8
        .value_kind:     hidden_global_offset_y
      - .offset:         200
        .size:           8
        .value_kind:     hidden_global_offset_z
      - .offset:         208
        .size:           2
        .value_kind:     hidden_grid_dims
      - .offset:         224
        .size:           8
        .value_kind:     hidden_hostcall_buffer
    .group_segment_fixed_size: 0
    .kernarg_segment_align: 8
    .kernarg_segment_size: 400
    .language:       OpenCL C
    .language_version:
      - 2
      - 0
    .max_flat_workgroup_size: 256
    .name:           _Z39paged_attention_ll4mi_QKV_mfma16_kernelIDF16_DF16_LN4vllm18Fp8KVCacheDataTypeE0EhLi16ELi128ELi256ELb1ELi10EEvPKT_PKT0_S7_ifPKiS9_S9_iPKfiiiPfSC_PS2_PT2_iSB_SB_
    .private_segment_fixed_size: 64
    .sgpr_count:     36
    .sgpr_spill_count: 0
    .symbol:         _Z39paged_attention_ll4mi_QKV_mfma16_kernelIDF16_DF16_LN4vllm18Fp8KVCacheDataTypeE0EhLi16ELi128ELi256ELb1ELi10EEvPKT_PKT0_S7_ifPKiS9_S9_iPKfiiiPfSC_PS2_PT2_iSB_SB_.kd
    .uniform_work_group_size: 1
    .uses_dynamic_stack: false
    .vgpr_count:     51
    .vgpr_spill_count: 0
    .wavefront_size: 32
  - .args:
      - .actual_access:  read_only
        .address_space:  global
        .offset:         0
        .size:           8
        .value_kind:     global_buffer
      - .actual_access:  read_only
        .address_space:  global
        .offset:         8
        .size:           8
        .value_kind:     global_buffer
      - .actual_access:  read_only
        .address_space:  global
        .offset:         16
        .size:           8
        .value_kind:     global_buffer
      - .offset:         24
        .size:           4
        .value_kind:     by_value
      - .offset:         28
        .size:           4
        .value_kind:     by_value
      - .actual_access:  read_only
        .address_space:  global
        .offset:         32
        .size:           8
        .value_kind:     global_buffer
      - .actual_access:  read_only
        .address_space:  global
        .offset:         40
        .size:           8
        .value_kind:     global_buffer
      - .actual_access:  read_only
        .address_space:  global
        .offset:         48
        .size:           8
        .value_kind:     global_buffer
      - .offset:         56
        .size:           4
        .value_kind:     by_value
      - .actual_access:  read_only
        .address_space:  global
        .offset:         64
        .size:           8
        .value_kind:     global_buffer
      - .offset:         72
        .size:           4
        .value_kind:     by_value
      - .offset:         76
        .size:           4
        .value_kind:     by_value
      - .offset:         80
        .size:           4
        .value_kind:     by_value
      - .actual_access:  read_only
        .address_space:  global
        .offset:         88
        .size:           8
        .value_kind:     global_buffer
      - .actual_access:  read_only
        .address_space:  global
        .offset:         96
        .size:           8
        .value_kind:     global_buffer
      - .actual_access:  read_only
        .address_space:  global
        .offset:         104
        .size:           8
        .value_kind:     global_buffer
      - .actual_access:  read_only
        .address_space:  global
        .offset:         112
        .size:           8
        .value_kind:     global_buffer
      - .offset:         120
        .size:           4
        .value_kind:     by_value
      - .address_space:  global
        .offset:         128
        .size:           8
        .value_kind:     global_buffer
      - .address_space:  global
        .offset:         136
        .size:           8
        .value_kind:     global_buffer
      - .offset:         144
        .size:           4
        .value_kind:     hidden_block_count_x
      - .offset:         148
        .size:           4
        .value_kind:     hidden_block_count_y
      - .offset:         152
        .size:           4
        .value_kind:     hidden_block_count_z
      - .offset:         156
        .size:           2
        .value_kind:     hidden_group_size_x
      - .offset:         158
        .size:           2
        .value_kind:     hidden_group_size_y
      - .offset:         160
        .size:           2
        .value_kind:     hidden_group_size_z
      - .offset:         162
        .size:           2
        .value_kind:     hidden_remainder_x
      - .offset:         164
        .size:           2
        .value_kind:     hidden_remainder_y
      - .offset:         166
        .size:           2
        .value_kind:     hidden_remainder_z
      - .offset:         184
        .size:           8
        .value_kind:     hidden_global_offset_x
      - .offset:         192
        .size:           8
        .value_kind:     hidden_global_offset_y
      - .offset:         200
        .size:           8
        .value_kind:     hidden_global_offset_z
      - .offset:         208
        .size:           2
        .value_kind:     hidden_grid_dims
      - .offset:         224
        .size:           8
        .value_kind:     hidden_hostcall_buffer
    .group_segment_fixed_size: 0
    .kernarg_segment_align: 8
    .kernarg_segment_size: 400
    .language:       OpenCL C
    .language_version:
      - 2
      - 0
    .max_flat_workgroup_size: 256
    .name:           _Z39paged_attention_ll4mi_QKV_mfma16_kernelIDF16_DF16_LN4vllm18Fp8KVCacheDataTypeE0EhLi16ELi128ELi256ELb1ELi11EEvPKT_PKT0_S7_ifPKiS9_S9_iPKfiiiPfSC_PS2_PT2_iSB_SB_
    .private_segment_fixed_size: 64
    .sgpr_count:     36
    .sgpr_spill_count: 0
    .symbol:         _Z39paged_attention_ll4mi_QKV_mfma16_kernelIDF16_DF16_LN4vllm18Fp8KVCacheDataTypeE0EhLi16ELi128ELi256ELb1ELi11EEvPKT_PKT0_S7_ifPKiS9_S9_iPKfiiiPfSC_PS2_PT2_iSB_SB_.kd
    .uniform_work_group_size: 1
    .uses_dynamic_stack: false
    .vgpr_count:     51
    .vgpr_spill_count: 0
    .wavefront_size: 32
  - .args:
      - .actual_access:  read_only
        .address_space:  global
        .offset:         0
        .size:           8
        .value_kind:     global_buffer
      - .actual_access:  read_only
        .address_space:  global
        .offset:         8
        .size:           8
        .value_kind:     global_buffer
      - .actual_access:  read_only
        .address_space:  global
        .offset:         16
        .size:           8
        .value_kind:     global_buffer
      - .offset:         24
        .size:           4
        .value_kind:     by_value
      - .offset:         28
        .size:           4
        .value_kind:     by_value
      - .actual_access:  read_only
        .address_space:  global
        .offset:         32
        .size:           8
        .value_kind:     global_buffer
      - .actual_access:  read_only
        .address_space:  global
        .offset:         40
        .size:           8
        .value_kind:     global_buffer
      - .actual_access:  read_only
        .address_space:  global
        .offset:         48
        .size:           8
        .value_kind:     global_buffer
      - .offset:         56
        .size:           4
        .value_kind:     by_value
      - .actual_access:  read_only
        .address_space:  global
        .offset:         64
        .size:           8
        .value_kind:     global_buffer
      - .offset:         72
        .size:           4
        .value_kind:     by_value
      - .offset:         76
        .size:           4
        .value_kind:     by_value
      - .offset:         80
        .size:           4
        .value_kind:     by_value
      - .actual_access:  read_only
        .address_space:  global
        .offset:         88
        .size:           8
        .value_kind:     global_buffer
      - .actual_access:  read_only
        .address_space:  global
        .offset:         96
        .size:           8
        .value_kind:     global_buffer
      - .actual_access:  read_only
        .address_space:  global
        .offset:         104
        .size:           8
        .value_kind:     global_buffer
      - .actual_access:  read_only
        .address_space:  global
        .offset:         112
        .size:           8
        .value_kind:     global_buffer
      - .offset:         120
        .size:           4
        .value_kind:     by_value
      - .address_space:  global
        .offset:         128
        .size:           8
        .value_kind:     global_buffer
      - .address_space:  global
        .offset:         136
        .size:           8
        .value_kind:     global_buffer
      - .offset:         144
        .size:           4
        .value_kind:     hidden_block_count_x
      - .offset:         148
        .size:           4
        .value_kind:     hidden_block_count_y
      - .offset:         152
        .size:           4
        .value_kind:     hidden_block_count_z
      - .offset:         156
        .size:           2
        .value_kind:     hidden_group_size_x
      - .offset:         158
        .size:           2
        .value_kind:     hidden_group_size_y
      - .offset:         160
        .size:           2
        .value_kind:     hidden_group_size_z
      - .offset:         162
        .size:           2
        .value_kind:     hidden_remainder_x
      - .offset:         164
        .size:           2
        .value_kind:     hidden_remainder_y
      - .offset:         166
        .size:           2
        .value_kind:     hidden_remainder_z
      - .offset:         184
        .size:           8
        .value_kind:     hidden_global_offset_x
      - .offset:         192
        .size:           8
        .value_kind:     hidden_global_offset_y
      - .offset:         200
        .size:           8
        .value_kind:     hidden_global_offset_z
      - .offset:         208
        .size:           2
        .value_kind:     hidden_grid_dims
      - .offset:         224
        .size:           8
        .value_kind:     hidden_hostcall_buffer
    .group_segment_fixed_size: 0
    .kernarg_segment_align: 8
    .kernarg_segment_size: 400
    .language:       OpenCL C
    .language_version:
      - 2
      - 0
    .max_flat_workgroup_size: 256
    .name:           _Z39paged_attention_ll4mi_QKV_mfma16_kernelIDF16_DF16_LN4vllm18Fp8KVCacheDataTypeE0EhLi16ELi128ELi256ELb1ELi12EEvPKT_PKT0_S7_ifPKiS9_S9_iPKfiiiPfSC_PS2_PT2_iSB_SB_
    .private_segment_fixed_size: 64
    .sgpr_count:     36
    .sgpr_spill_count: 0
    .symbol:         _Z39paged_attention_ll4mi_QKV_mfma16_kernelIDF16_DF16_LN4vllm18Fp8KVCacheDataTypeE0EhLi16ELi128ELi256ELb1ELi12EEvPKT_PKT0_S7_ifPKiS9_S9_iPKfiiiPfSC_PS2_PT2_iSB_SB_.kd
    .uniform_work_group_size: 1
    .uses_dynamic_stack: false
    .vgpr_count:     51
    .vgpr_spill_count: 0
    .wavefront_size: 32
  - .args:
      - .actual_access:  read_only
        .address_space:  global
        .offset:         0
        .size:           8
        .value_kind:     global_buffer
      - .actual_access:  read_only
        .address_space:  global
        .offset:         8
        .size:           8
        .value_kind:     global_buffer
      - .actual_access:  read_only
        .address_space:  global
        .offset:         16
        .size:           8
        .value_kind:     global_buffer
      - .offset:         24
        .size:           4
        .value_kind:     by_value
      - .offset:         28
        .size:           4
        .value_kind:     by_value
      - .actual_access:  read_only
        .address_space:  global
        .offset:         32
        .size:           8
        .value_kind:     global_buffer
      - .actual_access:  read_only
        .address_space:  global
        .offset:         40
        .size:           8
        .value_kind:     global_buffer
      - .actual_access:  read_only
        .address_space:  global
        .offset:         48
        .size:           8
        .value_kind:     global_buffer
      - .offset:         56
        .size:           4
        .value_kind:     by_value
      - .actual_access:  read_only
        .address_space:  global
        .offset:         64
        .size:           8
        .value_kind:     global_buffer
      - .offset:         72
        .size:           4
        .value_kind:     by_value
      - .offset:         76
        .size:           4
        .value_kind:     by_value
      - .offset:         80
        .size:           4
        .value_kind:     by_value
      - .actual_access:  read_only
        .address_space:  global
        .offset:         88
        .size:           8
        .value_kind:     global_buffer
      - .actual_access:  read_only
        .address_space:  global
        .offset:         96
        .size:           8
        .value_kind:     global_buffer
      - .actual_access:  read_only
        .address_space:  global
        .offset:         104
        .size:           8
        .value_kind:     global_buffer
      - .actual_access:  read_only
        .address_space:  global
        .offset:         112
        .size:           8
        .value_kind:     global_buffer
      - .offset:         120
        .size:           4
        .value_kind:     by_value
      - .address_space:  global
        .offset:         128
        .size:           8
        .value_kind:     global_buffer
      - .address_space:  global
        .offset:         136
        .size:           8
        .value_kind:     global_buffer
      - .offset:         144
        .size:           4
        .value_kind:     hidden_block_count_x
      - .offset:         148
        .size:           4
        .value_kind:     hidden_block_count_y
      - .offset:         152
        .size:           4
        .value_kind:     hidden_block_count_z
      - .offset:         156
        .size:           2
        .value_kind:     hidden_group_size_x
      - .offset:         158
        .size:           2
        .value_kind:     hidden_group_size_y
      - .offset:         160
        .size:           2
        .value_kind:     hidden_group_size_z
      - .offset:         162
        .size:           2
        .value_kind:     hidden_remainder_x
      - .offset:         164
        .size:           2
        .value_kind:     hidden_remainder_y
      - .offset:         166
        .size:           2
        .value_kind:     hidden_remainder_z
      - .offset:         184
        .size:           8
        .value_kind:     hidden_global_offset_x
      - .offset:         192
        .size:           8
        .value_kind:     hidden_global_offset_y
      - .offset:         200
        .size:           8
        .value_kind:     hidden_global_offset_z
      - .offset:         208
        .size:           2
        .value_kind:     hidden_grid_dims
      - .offset:         224
        .size:           8
        .value_kind:     hidden_hostcall_buffer
    .group_segment_fixed_size: 0
    .kernarg_segment_align: 8
    .kernarg_segment_size: 400
    .language:       OpenCL C
    .language_version:
      - 2
      - 0
    .max_flat_workgroup_size: 256
    .name:           _Z39paged_attention_ll4mi_QKV_mfma16_kernelIDF16_DF16_LN4vllm18Fp8KVCacheDataTypeE0EhLi16ELi128ELi256ELb1ELi13EEvPKT_PKT0_S7_ifPKiS9_S9_iPKfiiiPfSC_PS2_PT2_iSB_SB_
    .private_segment_fixed_size: 64
    .sgpr_count:     36
    .sgpr_spill_count: 0
    .symbol:         _Z39paged_attention_ll4mi_QKV_mfma16_kernelIDF16_DF16_LN4vllm18Fp8KVCacheDataTypeE0EhLi16ELi128ELi256ELb1ELi13EEvPKT_PKT0_S7_ifPKiS9_S9_iPKfiiiPfSC_PS2_PT2_iSB_SB_.kd
    .uniform_work_group_size: 1
    .uses_dynamic_stack: false
    .vgpr_count:     51
    .vgpr_spill_count: 0
    .wavefront_size: 32
  - .args:
      - .actual_access:  read_only
        .address_space:  global
        .offset:         0
        .size:           8
        .value_kind:     global_buffer
      - .actual_access:  read_only
        .address_space:  global
        .offset:         8
        .size:           8
        .value_kind:     global_buffer
      - .actual_access:  read_only
        .address_space:  global
        .offset:         16
        .size:           8
        .value_kind:     global_buffer
      - .offset:         24
        .size:           4
        .value_kind:     by_value
      - .offset:         28
        .size:           4
        .value_kind:     by_value
      - .actual_access:  read_only
        .address_space:  global
        .offset:         32
        .size:           8
        .value_kind:     global_buffer
      - .actual_access:  read_only
        .address_space:  global
        .offset:         40
        .size:           8
        .value_kind:     global_buffer
      - .actual_access:  read_only
        .address_space:  global
        .offset:         48
        .size:           8
        .value_kind:     global_buffer
      - .offset:         56
        .size:           4
        .value_kind:     by_value
      - .actual_access:  read_only
        .address_space:  global
        .offset:         64
        .size:           8
        .value_kind:     global_buffer
      - .offset:         72
        .size:           4
        .value_kind:     by_value
      - .offset:         76
        .size:           4
        .value_kind:     by_value
      - .offset:         80
        .size:           4
        .value_kind:     by_value
      - .actual_access:  read_only
        .address_space:  global
        .offset:         88
        .size:           8
        .value_kind:     global_buffer
      - .actual_access:  read_only
        .address_space:  global
        .offset:         96
        .size:           8
        .value_kind:     global_buffer
      - .actual_access:  read_only
        .address_space:  global
        .offset:         104
        .size:           8
        .value_kind:     global_buffer
      - .actual_access:  read_only
        .address_space:  global
        .offset:         112
        .size:           8
        .value_kind:     global_buffer
      - .offset:         120
        .size:           4
        .value_kind:     by_value
      - .address_space:  global
        .offset:         128
        .size:           8
        .value_kind:     global_buffer
      - .address_space:  global
        .offset:         136
        .size:           8
        .value_kind:     global_buffer
      - .offset:         144
        .size:           4
        .value_kind:     hidden_block_count_x
      - .offset:         148
        .size:           4
        .value_kind:     hidden_block_count_y
      - .offset:         152
        .size:           4
        .value_kind:     hidden_block_count_z
      - .offset:         156
        .size:           2
        .value_kind:     hidden_group_size_x
      - .offset:         158
        .size:           2
        .value_kind:     hidden_group_size_y
      - .offset:         160
        .size:           2
        .value_kind:     hidden_group_size_z
      - .offset:         162
        .size:           2
        .value_kind:     hidden_remainder_x
      - .offset:         164
        .size:           2
        .value_kind:     hidden_remainder_y
      - .offset:         166
        .size:           2
        .value_kind:     hidden_remainder_z
      - .offset:         184
        .size:           8
        .value_kind:     hidden_global_offset_x
      - .offset:         192
        .size:           8
        .value_kind:     hidden_global_offset_y
      - .offset:         200
        .size:           8
        .value_kind:     hidden_global_offset_z
      - .offset:         208
        .size:           2
        .value_kind:     hidden_grid_dims
      - .offset:         224
        .size:           8
        .value_kind:     hidden_hostcall_buffer
    .group_segment_fixed_size: 0
    .kernarg_segment_align: 8
    .kernarg_segment_size: 400
    .language:       OpenCL C
    .language_version:
      - 2
      - 0
    .max_flat_workgroup_size: 256
    .name:           _Z39paged_attention_ll4mi_QKV_mfma16_kernelIDF16_DF16_LN4vllm18Fp8KVCacheDataTypeE0EhLi16ELi128ELi256ELb1ELi14EEvPKT_PKT0_S7_ifPKiS9_S9_iPKfiiiPfSC_PS2_PT2_iSB_SB_
    .private_segment_fixed_size: 64
    .sgpr_count:     36
    .sgpr_spill_count: 0
    .symbol:         _Z39paged_attention_ll4mi_QKV_mfma16_kernelIDF16_DF16_LN4vllm18Fp8KVCacheDataTypeE0EhLi16ELi128ELi256ELb1ELi14EEvPKT_PKT0_S7_ifPKiS9_S9_iPKfiiiPfSC_PS2_PT2_iSB_SB_.kd
    .uniform_work_group_size: 1
    .uses_dynamic_stack: false
    .vgpr_count:     51
    .vgpr_spill_count: 0
    .wavefront_size: 32
  - .args:
      - .actual_access:  read_only
        .address_space:  global
        .offset:         0
        .size:           8
        .value_kind:     global_buffer
      - .actual_access:  read_only
        .address_space:  global
        .offset:         8
        .size:           8
        .value_kind:     global_buffer
      - .actual_access:  read_only
        .address_space:  global
        .offset:         16
        .size:           8
        .value_kind:     global_buffer
      - .offset:         24
        .size:           4
        .value_kind:     by_value
      - .offset:         28
        .size:           4
        .value_kind:     by_value
      - .actual_access:  read_only
        .address_space:  global
        .offset:         32
        .size:           8
        .value_kind:     global_buffer
      - .actual_access:  read_only
        .address_space:  global
        .offset:         40
        .size:           8
        .value_kind:     global_buffer
      - .actual_access:  read_only
        .address_space:  global
        .offset:         48
        .size:           8
        .value_kind:     global_buffer
      - .offset:         56
        .size:           4
        .value_kind:     by_value
      - .actual_access:  read_only
        .address_space:  global
        .offset:         64
        .size:           8
        .value_kind:     global_buffer
      - .offset:         72
        .size:           4
        .value_kind:     by_value
      - .offset:         76
        .size:           4
        .value_kind:     by_value
      - .offset:         80
        .size:           4
        .value_kind:     by_value
      - .actual_access:  read_only
        .address_space:  global
        .offset:         88
        .size:           8
        .value_kind:     global_buffer
      - .actual_access:  read_only
        .address_space:  global
        .offset:         96
        .size:           8
        .value_kind:     global_buffer
      - .actual_access:  read_only
        .address_space:  global
        .offset:         104
        .size:           8
        .value_kind:     global_buffer
      - .actual_access:  read_only
        .address_space:  global
        .offset:         112
        .size:           8
        .value_kind:     global_buffer
      - .offset:         120
        .size:           4
        .value_kind:     by_value
      - .address_space:  global
        .offset:         128
        .size:           8
        .value_kind:     global_buffer
      - .address_space:  global
        .offset:         136
        .size:           8
        .value_kind:     global_buffer
      - .offset:         144
        .size:           4
        .value_kind:     hidden_block_count_x
      - .offset:         148
        .size:           4
        .value_kind:     hidden_block_count_y
      - .offset:         152
        .size:           4
        .value_kind:     hidden_block_count_z
      - .offset:         156
        .size:           2
        .value_kind:     hidden_group_size_x
      - .offset:         158
        .size:           2
        .value_kind:     hidden_group_size_y
      - .offset:         160
        .size:           2
        .value_kind:     hidden_group_size_z
      - .offset:         162
        .size:           2
        .value_kind:     hidden_remainder_x
      - .offset:         164
        .size:           2
        .value_kind:     hidden_remainder_y
      - .offset:         166
        .size:           2
        .value_kind:     hidden_remainder_z
      - .offset:         184
        .size:           8
        .value_kind:     hidden_global_offset_x
      - .offset:         192
        .size:           8
        .value_kind:     hidden_global_offset_y
      - .offset:         200
        .size:           8
        .value_kind:     hidden_global_offset_z
      - .offset:         208
        .size:           2
        .value_kind:     hidden_grid_dims
      - .offset:         224
        .size:           8
        .value_kind:     hidden_hostcall_buffer
    .group_segment_fixed_size: 0
    .kernarg_segment_align: 8
    .kernarg_segment_size: 400
    .language:       OpenCL C
    .language_version:
      - 2
      - 0
    .max_flat_workgroup_size: 256
    .name:           _Z39paged_attention_ll4mi_QKV_mfma16_kernelIDF16_DF16_LN4vllm18Fp8KVCacheDataTypeE0EhLi16ELi128ELi256ELb1ELi15EEvPKT_PKT0_S7_ifPKiS9_S9_iPKfiiiPfSC_PS2_PT2_iSB_SB_
    .private_segment_fixed_size: 64
    .sgpr_count:     36
    .sgpr_spill_count: 0
    .symbol:         _Z39paged_attention_ll4mi_QKV_mfma16_kernelIDF16_DF16_LN4vllm18Fp8KVCacheDataTypeE0EhLi16ELi128ELi256ELb1ELi15EEvPKT_PKT0_S7_ifPKiS9_S9_iPKfiiiPfSC_PS2_PT2_iSB_SB_.kd
    .uniform_work_group_size: 1
    .uses_dynamic_stack: false
    .vgpr_count:     51
    .vgpr_spill_count: 0
    .wavefront_size: 32
  - .args:
      - .actual_access:  read_only
        .address_space:  global
        .offset:         0
        .size:           8
        .value_kind:     global_buffer
      - .actual_access:  read_only
        .address_space:  global
        .offset:         8
        .size:           8
        .value_kind:     global_buffer
      - .actual_access:  read_only
        .address_space:  global
        .offset:         16
        .size:           8
        .value_kind:     global_buffer
      - .offset:         24
        .size:           4
        .value_kind:     by_value
      - .offset:         28
        .size:           4
        .value_kind:     by_value
      - .actual_access:  read_only
        .address_space:  global
        .offset:         32
        .size:           8
        .value_kind:     global_buffer
      - .actual_access:  read_only
        .address_space:  global
        .offset:         40
        .size:           8
        .value_kind:     global_buffer
      - .actual_access:  read_only
        .address_space:  global
        .offset:         48
        .size:           8
        .value_kind:     global_buffer
      - .offset:         56
        .size:           4
        .value_kind:     by_value
      - .actual_access:  read_only
        .address_space:  global
        .offset:         64
        .size:           8
        .value_kind:     global_buffer
      - .offset:         72
        .size:           4
        .value_kind:     by_value
      - .offset:         76
        .size:           4
        .value_kind:     by_value
      - .offset:         80
        .size:           4
        .value_kind:     by_value
      - .actual_access:  read_only
        .address_space:  global
        .offset:         88
        .size:           8
        .value_kind:     global_buffer
      - .actual_access:  read_only
        .address_space:  global
        .offset:         96
        .size:           8
        .value_kind:     global_buffer
      - .actual_access:  read_only
        .address_space:  global
        .offset:         104
        .size:           8
        .value_kind:     global_buffer
      - .actual_access:  read_only
        .address_space:  global
        .offset:         112
        .size:           8
        .value_kind:     global_buffer
      - .offset:         120
        .size:           4
        .value_kind:     by_value
      - .address_space:  global
        .offset:         128
        .size:           8
        .value_kind:     global_buffer
      - .address_space:  global
        .offset:         136
        .size:           8
        .value_kind:     global_buffer
      - .offset:         144
        .size:           4
        .value_kind:     hidden_block_count_x
      - .offset:         148
        .size:           4
        .value_kind:     hidden_block_count_y
      - .offset:         152
        .size:           4
        .value_kind:     hidden_block_count_z
      - .offset:         156
        .size:           2
        .value_kind:     hidden_group_size_x
      - .offset:         158
        .size:           2
        .value_kind:     hidden_group_size_y
      - .offset:         160
        .size:           2
        .value_kind:     hidden_group_size_z
      - .offset:         162
        .size:           2
        .value_kind:     hidden_remainder_x
      - .offset:         164
        .size:           2
        .value_kind:     hidden_remainder_y
      - .offset:         166
        .size:           2
        .value_kind:     hidden_remainder_z
      - .offset:         184
        .size:           8
        .value_kind:     hidden_global_offset_x
      - .offset:         192
        .size:           8
        .value_kind:     hidden_global_offset_y
      - .offset:         200
        .size:           8
        .value_kind:     hidden_global_offset_z
      - .offset:         208
        .size:           2
        .value_kind:     hidden_grid_dims
      - .offset:         224
        .size:           8
        .value_kind:     hidden_hostcall_buffer
    .group_segment_fixed_size: 0
    .kernarg_segment_align: 8
    .kernarg_segment_size: 400
    .language:       OpenCL C
    .language_version:
      - 2
      - 0
    .max_flat_workgroup_size: 256
    .name:           _Z39paged_attention_ll4mi_QKV_mfma16_kernelIDF16_DF16_LN4vllm18Fp8KVCacheDataTypeE0EhLi16ELi128ELi256ELb1ELi16EEvPKT_PKT0_S7_ifPKiS9_S9_iPKfiiiPfSC_PS2_PT2_iSB_SB_
    .private_segment_fixed_size: 64
    .sgpr_count:     36
    .sgpr_spill_count: 0
    .symbol:         _Z39paged_attention_ll4mi_QKV_mfma16_kernelIDF16_DF16_LN4vllm18Fp8KVCacheDataTypeE0EhLi16ELi128ELi256ELb1ELi16EEvPKT_PKT0_S7_ifPKiS9_S9_iPKfiiiPfSC_PS2_PT2_iSB_SB_.kd
    .uniform_work_group_size: 1
    .uses_dynamic_stack: false
    .vgpr_count:     51
    .vgpr_spill_count: 0
    .wavefront_size: 32
  - .args:
      - .actual_access:  read_only
        .address_space:  global
        .offset:         0
        .size:           8
        .value_kind:     global_buffer
      - .actual_access:  read_only
        .address_space:  global
        .offset:         8
        .size:           8
        .value_kind:     global_buffer
      - .actual_access:  read_only
        .address_space:  global
        .offset:         16
        .size:           8
        .value_kind:     global_buffer
      - .actual_access:  read_only
        .address_space:  global
        .offset:         24
        .size:           8
        .value_kind:     global_buffer
      - .actual_access:  read_only
        .address_space:  global
        .offset:         32
        .size:           8
        .value_kind:     global_buffer
      - .actual_access:  read_only
        .address_space:  global
        .offset:         40
        .size:           8
        .value_kind:     global_buffer
      - .offset:         48
        .size:           4
        .value_kind:     by_value
      - .actual_access:  read_only
        .address_space:  global
        .offset:         56
        .size:           8
        .value_kind:     global_buffer
      - .offset:         64
        .size:           4
        .value_kind:     hidden_block_count_x
      - .offset:         68
        .size:           4
        .value_kind:     hidden_block_count_y
      - .offset:         72
        .size:           4
        .value_kind:     hidden_block_count_z
      - .offset:         76
        .size:           2
        .value_kind:     hidden_group_size_x
      - .offset:         78
        .size:           2
        .value_kind:     hidden_group_size_y
      - .offset:         80
        .size:           2
        .value_kind:     hidden_group_size_z
      - .offset:         82
        .size:           2
        .value_kind:     hidden_remainder_x
      - .offset:         84
        .size:           2
        .value_kind:     hidden_remainder_y
      - .offset:         86
        .size:           2
        .value_kind:     hidden_remainder_z
      - .offset:         104
        .size:           8
        .value_kind:     hidden_global_offset_x
      - .offset:         112
        .size:           8
        .value_kind:     hidden_global_offset_y
      - .offset:         120
        .size:           8
        .value_kind:     hidden_global_offset_z
      - .offset:         128
        .size:           2
        .value_kind:     hidden_grid_dims
      - .offset:         144
        .size:           8
        .value_kind:     hidden_hostcall_buffer
    .group_segment_fixed_size: 0
    .kernarg_segment_align: 8
    .kernarg_segment_size: 320
    .language:       OpenCL C
    .language_version:
      - 2
      - 0
    .max_flat_workgroup_size: 128
    .name:           _Z35paged_attention_ll4mi_reduce_kernelIDF16_hLi128ELi128ELi256ELi1EEvPT0_PKfS3_PKT_PKiS8_iS3_
    .private_segment_fixed_size: 64
    .sgpr_count:     36
    .sgpr_spill_count: 0
    .symbol:         _Z35paged_attention_ll4mi_reduce_kernelIDF16_hLi128ELi128ELi256ELi1EEvPT0_PKfS3_PKT_PKiS8_iS3_.kd
    .uniform_work_group_size: 1
    .uses_dynamic_stack: false
    .vgpr_count:     51
    .vgpr_spill_count: 0
    .wavefront_size: 32
  - .args:
      - .actual_access:  read_only
        .address_space:  global
        .offset:         0
        .size:           8
        .value_kind:     global_buffer
      - .actual_access:  read_only
        .address_space:  global
        .offset:         8
        .size:           8
        .value_kind:     global_buffer
      - .actual_access:  read_only
        .address_space:  global
        .offset:         16
        .size:           8
        .value_kind:     global_buffer
      - .actual_access:  read_only
        .address_space:  global
        .offset:         24
        .size:           8
        .value_kind:     global_buffer
      - .actual_access:  read_only
        .address_space:  global
        .offset:         32
        .size:           8
        .value_kind:     global_buffer
      - .actual_access:  read_only
        .address_space:  global
        .offset:         40
        .size:           8
        .value_kind:     global_buffer
      - .offset:         48
        .size:           4
        .value_kind:     by_value
      - .actual_access:  read_only
        .address_space:  global
        .offset:         56
        .size:           8
        .value_kind:     global_buffer
      - .offset:         64
        .size:           4
        .value_kind:     hidden_block_count_x
      - .offset:         68
        .size:           4
        .value_kind:     hidden_block_count_y
      - .offset:         72
        .size:           4
        .value_kind:     hidden_block_count_z
      - .offset:         76
        .size:           2
        .value_kind:     hidden_group_size_x
      - .offset:         78
        .size:           2
        .value_kind:     hidden_group_size_y
      - .offset:         80
        .size:           2
        .value_kind:     hidden_group_size_z
      - .offset:         82
        .size:           2
        .value_kind:     hidden_remainder_x
      - .offset:         84
        .size:           2
        .value_kind:     hidden_remainder_y
      - .offset:         86
        .size:           2
        .value_kind:     hidden_remainder_z
      - .offset:         104
        .size:           8
        .value_kind:     hidden_global_offset_x
      - .offset:         112
        .size:           8
        .value_kind:     hidden_global_offset_y
      - .offset:         120
        .size:           8
        .value_kind:     hidden_global_offset_z
      - .offset:         128
        .size:           2
        .value_kind:     hidden_grid_dims
      - .offset:         144
        .size:           8
        .value_kind:     hidden_hostcall_buffer
    .group_segment_fixed_size: 0
    .kernarg_segment_align: 8
    .kernarg_segment_size: 320
    .language:       OpenCL C
    .language_version:
      - 2
      - 0
    .max_flat_workgroup_size: 128
    .name:           _Z35paged_attention_ll4mi_reduce_kernelIDF16_hLi128ELi128ELi256ELi2EEvPT0_PKfS3_PKT_PKiS8_iS3_
    .private_segment_fixed_size: 64
    .sgpr_count:     36
    .sgpr_spill_count: 0
    .symbol:         _Z35paged_attention_ll4mi_reduce_kernelIDF16_hLi128ELi128ELi256ELi2EEvPT0_PKfS3_PKT_PKiS8_iS3_.kd
    .uniform_work_group_size: 1
    .uses_dynamic_stack: false
    .vgpr_count:     51
    .vgpr_spill_count: 0
    .wavefront_size: 32
  - .args:
      - .actual_access:  read_only
        .address_space:  global
        .offset:         0
        .size:           8
        .value_kind:     global_buffer
      - .actual_access:  read_only
        .address_space:  global
        .offset:         8
        .size:           8
        .value_kind:     global_buffer
      - .actual_access:  read_only
        .address_space:  global
        .offset:         16
        .size:           8
        .value_kind:     global_buffer
      - .actual_access:  read_only
        .address_space:  global
        .offset:         24
        .size:           8
        .value_kind:     global_buffer
      - .actual_access:  read_only
        .address_space:  global
        .offset:         32
        .size:           8
        .value_kind:     global_buffer
      - .actual_access:  read_only
        .address_space:  global
        .offset:         40
        .size:           8
        .value_kind:     global_buffer
      - .offset:         48
        .size:           4
        .value_kind:     by_value
      - .actual_access:  read_only
        .address_space:  global
        .offset:         56
        .size:           8
        .value_kind:     global_buffer
      - .offset:         64
        .size:           4
        .value_kind:     hidden_block_count_x
      - .offset:         68
        .size:           4
        .value_kind:     hidden_block_count_y
      - .offset:         72
        .size:           4
        .value_kind:     hidden_block_count_z
      - .offset:         76
        .size:           2
        .value_kind:     hidden_group_size_x
      - .offset:         78
        .size:           2
        .value_kind:     hidden_group_size_y
      - .offset:         80
        .size:           2
        .value_kind:     hidden_group_size_z
      - .offset:         82
        .size:           2
        .value_kind:     hidden_remainder_x
      - .offset:         84
        .size:           2
        .value_kind:     hidden_remainder_y
      - .offset:         86
        .size:           2
        .value_kind:     hidden_remainder_z
      - .offset:         104
        .size:           8
        .value_kind:     hidden_global_offset_x
      - .offset:         112
        .size:           8
        .value_kind:     hidden_global_offset_y
      - .offset:         120
        .size:           8
        .value_kind:     hidden_global_offset_z
      - .offset:         128
        .size:           2
        .value_kind:     hidden_grid_dims
      - .offset:         144
        .size:           8
        .value_kind:     hidden_hostcall_buffer
    .group_segment_fixed_size: 0
    .kernarg_segment_align: 8
    .kernarg_segment_size: 320
    .language:       OpenCL C
    .language_version:
      - 2
      - 0
    .max_flat_workgroup_size: 128
    .name:           _Z35paged_attention_ll4mi_reduce_kernelIDF16_hLi128ELi128ELi256ELi3EEvPT0_PKfS3_PKT_PKiS8_iS3_
    .private_segment_fixed_size: 64
    .sgpr_count:     36
    .sgpr_spill_count: 0
    .symbol:         _Z35paged_attention_ll4mi_reduce_kernelIDF16_hLi128ELi128ELi256ELi3EEvPT0_PKfS3_PKT_PKiS8_iS3_.kd
    .uniform_work_group_size: 1
    .uses_dynamic_stack: false
    .vgpr_count:     51
    .vgpr_spill_count: 0
    .wavefront_size: 32
  - .args:
      - .actual_access:  read_only
        .address_space:  global
        .offset:         0
        .size:           8
        .value_kind:     global_buffer
      - .actual_access:  read_only
        .address_space:  global
        .offset:         8
        .size:           8
        .value_kind:     global_buffer
      - .actual_access:  read_only
        .address_space:  global
        .offset:         16
        .size:           8
        .value_kind:     global_buffer
      - .actual_access:  read_only
        .address_space:  global
        .offset:         24
        .size:           8
        .value_kind:     global_buffer
      - .actual_access:  read_only
        .address_space:  global
        .offset:         32
        .size:           8
        .value_kind:     global_buffer
      - .actual_access:  read_only
        .address_space:  global
        .offset:         40
        .size:           8
        .value_kind:     global_buffer
      - .offset:         48
        .size:           4
        .value_kind:     by_value
      - .actual_access:  read_only
        .address_space:  global
        .offset:         56
        .size:           8
        .value_kind:     global_buffer
      - .offset:         64
        .size:           4
        .value_kind:     hidden_block_count_x
      - .offset:         68
        .size:           4
        .value_kind:     hidden_block_count_y
      - .offset:         72
        .size:           4
        .value_kind:     hidden_block_count_z
      - .offset:         76
        .size:           2
        .value_kind:     hidden_group_size_x
      - .offset:         78
        .size:           2
        .value_kind:     hidden_group_size_y
      - .offset:         80
        .size:           2
        .value_kind:     hidden_group_size_z
      - .offset:         82
        .size:           2
        .value_kind:     hidden_remainder_x
      - .offset:         84
        .size:           2
        .value_kind:     hidden_remainder_y
      - .offset:         86
        .size:           2
        .value_kind:     hidden_remainder_z
      - .offset:         104
        .size:           8
        .value_kind:     hidden_global_offset_x
      - .offset:         112
        .size:           8
        .value_kind:     hidden_global_offset_y
      - .offset:         120
        .size:           8
        .value_kind:     hidden_global_offset_z
      - .offset:         128
        .size:           2
        .value_kind:     hidden_grid_dims
      - .offset:         144
        .size:           8
        .value_kind:     hidden_hostcall_buffer
    .group_segment_fixed_size: 0
    .kernarg_segment_align: 8
    .kernarg_segment_size: 320
    .language:       OpenCL C
    .language_version:
      - 2
      - 0
    .max_flat_workgroup_size: 128
    .name:           _Z35paged_attention_ll4mi_reduce_kernelIDF16_hLi128ELi128ELi256ELi4EEvPT0_PKfS3_PKT_PKiS8_iS3_
    .private_segment_fixed_size: 64
    .sgpr_count:     36
    .sgpr_spill_count: 0
    .symbol:         _Z35paged_attention_ll4mi_reduce_kernelIDF16_hLi128ELi128ELi256ELi4EEvPT0_PKfS3_PKT_PKiS8_iS3_.kd
    .uniform_work_group_size: 1
    .uses_dynamic_stack: false
    .vgpr_count:     51
    .vgpr_spill_count: 0
    .wavefront_size: 32
  - .args:
      - .actual_access:  read_only
        .address_space:  global
        .offset:         0
        .size:           8
        .value_kind:     global_buffer
      - .actual_access:  read_only
        .address_space:  global
        .offset:         8
        .size:           8
        .value_kind:     global_buffer
      - .actual_access:  read_only
        .address_space:  global
        .offset:         16
        .size:           8
        .value_kind:     global_buffer
      - .actual_access:  read_only
        .address_space:  global
        .offset:         24
        .size:           8
        .value_kind:     global_buffer
      - .actual_access:  read_only
        .address_space:  global
        .offset:         32
        .size:           8
        .value_kind:     global_buffer
      - .actual_access:  read_only
        .address_space:  global
        .offset:         40
        .size:           8
        .value_kind:     global_buffer
      - .offset:         48
        .size:           4
        .value_kind:     by_value
      - .actual_access:  read_only
        .address_space:  global
        .offset:         56
        .size:           8
        .value_kind:     global_buffer
      - .offset:         64
        .size:           4
        .value_kind:     hidden_block_count_x
      - .offset:         68
        .size:           4
        .value_kind:     hidden_block_count_y
      - .offset:         72
        .size:           4
        .value_kind:     hidden_block_count_z
      - .offset:         76
        .size:           2
        .value_kind:     hidden_group_size_x
      - .offset:         78
        .size:           2
        .value_kind:     hidden_group_size_y
      - .offset:         80
        .size:           2
        .value_kind:     hidden_group_size_z
      - .offset:         82
        .size:           2
        .value_kind:     hidden_remainder_x
      - .offset:         84
        .size:           2
        .value_kind:     hidden_remainder_y
      - .offset:         86
        .size:           2
        .value_kind:     hidden_remainder_z
      - .offset:         104
        .size:           8
        .value_kind:     hidden_global_offset_x
      - .offset:         112
        .size:           8
        .value_kind:     hidden_global_offset_y
      - .offset:         120
        .size:           8
        .value_kind:     hidden_global_offset_z
      - .offset:         128
        .size:           2
        .value_kind:     hidden_grid_dims
      - .offset:         144
        .size:           8
        .value_kind:     hidden_hostcall_buffer
    .group_segment_fixed_size: 0
    .kernarg_segment_align: 8
    .kernarg_segment_size: 320
    .language:       OpenCL C
    .language_version:
      - 2
      - 0
    .max_flat_workgroup_size: 128
    .name:           _Z35paged_attention_ll4mi_reduce_kernelIDF16_hLi128ELi128ELi256ELi5EEvPT0_PKfS3_PKT_PKiS8_iS3_
    .private_segment_fixed_size: 64
    .sgpr_count:     36
    .sgpr_spill_count: 0
    .symbol:         _Z35paged_attention_ll4mi_reduce_kernelIDF16_hLi128ELi128ELi256ELi5EEvPT0_PKfS3_PKT_PKiS8_iS3_.kd
    .uniform_work_group_size: 1
    .uses_dynamic_stack: false
    .vgpr_count:     51
    .vgpr_spill_count: 0
    .wavefront_size: 32
  - .args:
      - .actual_access:  read_only
        .address_space:  global
        .offset:         0
        .size:           8
        .value_kind:     global_buffer
      - .actual_access:  read_only
        .address_space:  global
        .offset:         8
        .size:           8
        .value_kind:     global_buffer
      - .actual_access:  read_only
        .address_space:  global
        .offset:         16
        .size:           8
        .value_kind:     global_buffer
      - .actual_access:  read_only
        .address_space:  global
        .offset:         24
        .size:           8
        .value_kind:     global_buffer
      - .actual_access:  read_only
        .address_space:  global
        .offset:         32
        .size:           8
        .value_kind:     global_buffer
      - .actual_access:  read_only
        .address_space:  global
        .offset:         40
        .size:           8
        .value_kind:     global_buffer
      - .offset:         48
        .size:           4
        .value_kind:     by_value
      - .actual_access:  read_only
        .address_space:  global
        .offset:         56
        .size:           8
        .value_kind:     global_buffer
      - .offset:         64
        .size:           4
        .value_kind:     hidden_block_count_x
      - .offset:         68
        .size:           4
        .value_kind:     hidden_block_count_y
      - .offset:         72
        .size:           4
        .value_kind:     hidden_block_count_z
      - .offset:         76
        .size:           2
        .value_kind:     hidden_group_size_x
      - .offset:         78
        .size:           2
        .value_kind:     hidden_group_size_y
      - .offset:         80
        .size:           2
        .value_kind:     hidden_group_size_z
      - .offset:         82
        .size:           2
        .value_kind:     hidden_remainder_x
      - .offset:         84
        .size:           2
        .value_kind:     hidden_remainder_y
      - .offset:         86
        .size:           2
        .value_kind:     hidden_remainder_z
      - .offset:         104
        .size:           8
        .value_kind:     hidden_global_offset_x
      - .offset:         112
        .size:           8
        .value_kind:     hidden_global_offset_y
      - .offset:         120
        .size:           8
        .value_kind:     hidden_global_offset_z
      - .offset:         128
        .size:           2
        .value_kind:     hidden_grid_dims
      - .offset:         144
        .size:           8
        .value_kind:     hidden_hostcall_buffer
    .group_segment_fixed_size: 0
    .kernarg_segment_align: 8
    .kernarg_segment_size: 320
    .language:       OpenCL C
    .language_version:
      - 2
      - 0
    .max_flat_workgroup_size: 128
    .name:           _Z35paged_attention_ll4mi_reduce_kernelIDF16_hLi128ELi128ELi256ELi6EEvPT0_PKfS3_PKT_PKiS8_iS3_
    .private_segment_fixed_size: 64
    .sgpr_count:     36
    .sgpr_spill_count: 0
    .symbol:         _Z35paged_attention_ll4mi_reduce_kernelIDF16_hLi128ELi128ELi256ELi6EEvPT0_PKfS3_PKT_PKiS8_iS3_.kd
    .uniform_work_group_size: 1
    .uses_dynamic_stack: false
    .vgpr_count:     51
    .vgpr_spill_count: 0
    .wavefront_size: 32
  - .args:
      - .actual_access:  read_only
        .address_space:  global
        .offset:         0
        .size:           8
        .value_kind:     global_buffer
      - .actual_access:  read_only
        .address_space:  global
        .offset:         8
        .size:           8
        .value_kind:     global_buffer
      - .actual_access:  read_only
        .address_space:  global
        .offset:         16
        .size:           8
        .value_kind:     global_buffer
      - .actual_access:  read_only
        .address_space:  global
        .offset:         24
        .size:           8
        .value_kind:     global_buffer
      - .actual_access:  read_only
        .address_space:  global
        .offset:         32
        .size:           8
        .value_kind:     global_buffer
      - .actual_access:  read_only
        .address_space:  global
        .offset:         40
        .size:           8
        .value_kind:     global_buffer
      - .offset:         48
        .size:           4
        .value_kind:     by_value
      - .actual_access:  read_only
        .address_space:  global
        .offset:         56
        .size:           8
        .value_kind:     global_buffer
      - .offset:         64
        .size:           4
        .value_kind:     hidden_block_count_x
      - .offset:         68
        .size:           4
        .value_kind:     hidden_block_count_y
      - .offset:         72
        .size:           4
        .value_kind:     hidden_block_count_z
      - .offset:         76
        .size:           2
        .value_kind:     hidden_group_size_x
      - .offset:         78
        .size:           2
        .value_kind:     hidden_group_size_y
      - .offset:         80
        .size:           2
        .value_kind:     hidden_group_size_z
      - .offset:         82
        .size:           2
        .value_kind:     hidden_remainder_x
      - .offset:         84
        .size:           2
        .value_kind:     hidden_remainder_y
      - .offset:         86
        .size:           2
        .value_kind:     hidden_remainder_z
      - .offset:         104
        .size:           8
        .value_kind:     hidden_global_offset_x
      - .offset:         112
        .size:           8
        .value_kind:     hidden_global_offset_y
      - .offset:         120
        .size:           8
        .value_kind:     hidden_global_offset_z
      - .offset:         128
        .size:           2
        .value_kind:     hidden_grid_dims
      - .offset:         144
        .size:           8
        .value_kind:     hidden_hostcall_buffer
    .group_segment_fixed_size: 0
    .kernarg_segment_align: 8
    .kernarg_segment_size: 320
    .language:       OpenCL C
    .language_version:
      - 2
      - 0
    .max_flat_workgroup_size: 128
    .name:           _Z35paged_attention_ll4mi_reduce_kernelIDF16_hLi128ELi128ELi256ELi7EEvPT0_PKfS3_PKT_PKiS8_iS3_
    .private_segment_fixed_size: 64
    .sgpr_count:     36
    .sgpr_spill_count: 0
    .symbol:         _Z35paged_attention_ll4mi_reduce_kernelIDF16_hLi128ELi128ELi256ELi7EEvPT0_PKfS3_PKT_PKiS8_iS3_.kd
    .uniform_work_group_size: 1
    .uses_dynamic_stack: false
    .vgpr_count:     51
    .vgpr_spill_count: 0
    .wavefront_size: 32
  - .args:
      - .actual_access:  read_only
        .address_space:  global
        .offset:         0
        .size:           8
        .value_kind:     global_buffer
      - .actual_access:  read_only
        .address_space:  global
        .offset:         8
        .size:           8
        .value_kind:     global_buffer
      - .actual_access:  read_only
        .address_space:  global
        .offset:         16
        .size:           8
        .value_kind:     global_buffer
      - .actual_access:  read_only
        .address_space:  global
        .offset:         24
        .size:           8
        .value_kind:     global_buffer
      - .actual_access:  read_only
        .address_space:  global
        .offset:         32
        .size:           8
        .value_kind:     global_buffer
      - .actual_access:  read_only
        .address_space:  global
        .offset:         40
        .size:           8
        .value_kind:     global_buffer
      - .offset:         48
        .size:           4
        .value_kind:     by_value
      - .actual_access:  read_only
        .address_space:  global
        .offset:         56
        .size:           8
        .value_kind:     global_buffer
      - .offset:         64
        .size:           4
        .value_kind:     hidden_block_count_x
      - .offset:         68
        .size:           4
        .value_kind:     hidden_block_count_y
      - .offset:         72
        .size:           4
        .value_kind:     hidden_block_count_z
      - .offset:         76
        .size:           2
        .value_kind:     hidden_group_size_x
      - .offset:         78
        .size:           2
        .value_kind:     hidden_group_size_y
      - .offset:         80
        .size:           2
        .value_kind:     hidden_group_size_z
      - .offset:         82
        .size:           2
        .value_kind:     hidden_remainder_x
      - .offset:         84
        .size:           2
        .value_kind:     hidden_remainder_y
      - .offset:         86
        .size:           2
        .value_kind:     hidden_remainder_z
      - .offset:         104
        .size:           8
        .value_kind:     hidden_global_offset_x
      - .offset:         112
        .size:           8
        .value_kind:     hidden_global_offset_y
      - .offset:         120
        .size:           8
        .value_kind:     hidden_global_offset_z
      - .offset:         128
        .size:           2
        .value_kind:     hidden_grid_dims
      - .offset:         144
        .size:           8
        .value_kind:     hidden_hostcall_buffer
    .group_segment_fixed_size: 0
    .kernarg_segment_align: 8
    .kernarg_segment_size: 320
    .language:       OpenCL C
    .language_version:
      - 2
      - 0
    .max_flat_workgroup_size: 128
    .name:           _Z35paged_attention_ll4mi_reduce_kernelIDF16_hLi128ELi128ELi256ELi8EEvPT0_PKfS3_PKT_PKiS8_iS3_
    .private_segment_fixed_size: 64
    .sgpr_count:     36
    .sgpr_spill_count: 0
    .symbol:         _Z35paged_attention_ll4mi_reduce_kernelIDF16_hLi128ELi128ELi256ELi8EEvPT0_PKfS3_PKT_PKiS8_iS3_.kd
    .uniform_work_group_size: 1
    .uses_dynamic_stack: false
    .vgpr_count:     51
    .vgpr_spill_count: 0
    .wavefront_size: 32
  - .args:
      - .actual_access:  read_only
        .address_space:  global
        .offset:         0
        .size:           8
        .value_kind:     global_buffer
      - .actual_access:  read_only
        .address_space:  global
        .offset:         8
        .size:           8
        .value_kind:     global_buffer
      - .actual_access:  read_only
        .address_space:  global
        .offset:         16
        .size:           8
        .value_kind:     global_buffer
      - .offset:         24
        .size:           4
        .value_kind:     by_value
      - .offset:         28
        .size:           4
        .value_kind:     by_value
      - .actual_access:  read_only
        .address_space:  global
        .offset:         32
        .size:           8
        .value_kind:     global_buffer
      - .actual_access:  read_only
        .address_space:  global
        .offset:         40
        .size:           8
        .value_kind:     global_buffer
      - .actual_access:  read_only
        .address_space:  global
        .offset:         48
        .size:           8
        .value_kind:     global_buffer
      - .offset:         56
        .size:           4
        .value_kind:     by_value
      - .actual_access:  read_only
        .address_space:  global
        .offset:         64
        .size:           8
        .value_kind:     global_buffer
      - .offset:         72
        .size:           4
        .value_kind:     by_value
      - .offset:         76
        .size:           4
        .value_kind:     by_value
      - .offset:         80
        .size:           4
        .value_kind:     by_value
      - .actual_access:  read_only
        .address_space:  global
        .offset:         88
        .size:           8
        .value_kind:     global_buffer
      - .actual_access:  read_only
        .address_space:  global
        .offset:         96
        .size:           8
        .value_kind:     global_buffer
      - .actual_access:  read_only
        .address_space:  global
        .offset:         104
        .size:           8
        .value_kind:     global_buffer
      - .actual_access:  read_only
        .address_space:  global
        .offset:         112
        .size:           8
        .value_kind:     global_buffer
      - .offset:         120
        .size:           4
        .value_kind:     by_value
      - .address_space:  global
        .offset:         128
        .size:           8
        .value_kind:     global_buffer
      - .address_space:  global
        .offset:         136
        .size:           8
        .value_kind:     global_buffer
      - .offset:         144
        .size:           4
        .value_kind:     hidden_block_count_x
      - .offset:         148
        .size:           4
        .value_kind:     hidden_block_count_y
      - .offset:         152
        .size:           4
        .value_kind:     hidden_block_count_z
      - .offset:         156
        .size:           2
        .value_kind:     hidden_group_size_x
      - .offset:         158
        .size:           2
        .value_kind:     hidden_group_size_y
      - .offset:         160
        .size:           2
        .value_kind:     hidden_group_size_z
      - .offset:         162
        .size:           2
        .value_kind:     hidden_remainder_x
      - .offset:         164
        .size:           2
        .value_kind:     hidden_remainder_y
      - .offset:         166
        .size:           2
        .value_kind:     hidden_remainder_z
      - .offset:         184
        .size:           8
        .value_kind:     hidden_global_offset_x
      - .offset:         192
        .size:           8
        .value_kind:     hidden_global_offset_y
      - .offset:         200
        .size:           8
        .value_kind:     hidden_global_offset_z
      - .offset:         208
        .size:           2
        .value_kind:     hidden_grid_dims
      - .offset:         224
        .size:           8
        .value_kind:     hidden_hostcall_buffer
    .group_segment_fixed_size: 0
    .kernarg_segment_align: 8
    .kernarg_segment_size: 400
    .language:       OpenCL C
    .language_version:
      - 2
      - 0
    .max_flat_workgroup_size: 256
    .name:           _Z39paged_attention_ll4mi_QKV_mfma16_kernelIDF16_DF16_LN4vllm18Fp8KVCacheDataTypeE0EhLi16ELi128ELi256ELb1ELi1EEvPKT_PKT0_S7_ifPKiS9_S9_iPKfiiiPfSC_PS2_PT2_iSB_SB_
    .private_segment_fixed_size: 64
    .sgpr_count:     36
    .sgpr_spill_count: 0
    .symbol:         _Z39paged_attention_ll4mi_QKV_mfma16_kernelIDF16_DF16_LN4vllm18Fp8KVCacheDataTypeE0EhLi16ELi128ELi256ELb1ELi1EEvPKT_PKT0_S7_ifPKiS9_S9_iPKfiiiPfSC_PS2_PT2_iSB_SB_.kd
    .uniform_work_group_size: 1
    .uses_dynamic_stack: false
    .vgpr_count:     51
    .vgpr_spill_count: 0
    .wavefront_size: 32
  - .args:
      - .actual_access:  read_only
        .address_space:  global
        .offset:         0
        .size:           8
        .value_kind:     global_buffer
      - .actual_access:  read_only
        .address_space:  global
        .offset:         8
        .size:           8
        .value_kind:     global_buffer
      - .actual_access:  read_only
        .address_space:  global
        .offset:         16
        .size:           8
        .value_kind:     global_buffer
      - .offset:         24
        .size:           4
        .value_kind:     by_value
      - .offset:         28
        .size:           4
        .value_kind:     by_value
      - .actual_access:  read_only
        .address_space:  global
        .offset:         32
        .size:           8
        .value_kind:     global_buffer
      - .actual_access:  read_only
        .address_space:  global
        .offset:         40
        .size:           8
        .value_kind:     global_buffer
      - .actual_access:  read_only
        .address_space:  global
        .offset:         48
        .size:           8
        .value_kind:     global_buffer
      - .offset:         56
        .size:           4
        .value_kind:     by_value
      - .actual_access:  read_only
        .address_space:  global
        .offset:         64
        .size:           8
        .value_kind:     global_buffer
      - .offset:         72
        .size:           4
        .value_kind:     by_value
      - .offset:         76
        .size:           4
        .value_kind:     by_value
      - .offset:         80
        .size:           4
        .value_kind:     by_value
      - .actual_access:  read_only
        .address_space:  global
        .offset:         88
        .size:           8
        .value_kind:     global_buffer
      - .actual_access:  read_only
        .address_space:  global
        .offset:         96
        .size:           8
        .value_kind:     global_buffer
      - .actual_access:  read_only
        .address_space:  global
        .offset:         104
        .size:           8
        .value_kind:     global_buffer
      - .actual_access:  read_only
        .address_space:  global
        .offset:         112
        .size:           8
        .value_kind:     global_buffer
      - .offset:         120
        .size:           4
        .value_kind:     by_value
      - .address_space:  global
        .offset:         128
        .size:           8
        .value_kind:     global_buffer
      - .address_space:  global
        .offset:         136
        .size:           8
        .value_kind:     global_buffer
      - .offset:         144
        .size:           4
        .value_kind:     hidden_block_count_x
      - .offset:         148
        .size:           4
        .value_kind:     hidden_block_count_y
      - .offset:         152
        .size:           4
        .value_kind:     hidden_block_count_z
      - .offset:         156
        .size:           2
        .value_kind:     hidden_group_size_x
      - .offset:         158
        .size:           2
        .value_kind:     hidden_group_size_y
      - .offset:         160
        .size:           2
        .value_kind:     hidden_group_size_z
      - .offset:         162
        .size:           2
        .value_kind:     hidden_remainder_x
      - .offset:         164
        .size:           2
        .value_kind:     hidden_remainder_y
      - .offset:         166
        .size:           2
        .value_kind:     hidden_remainder_z
      - .offset:         184
        .size:           8
        .value_kind:     hidden_global_offset_x
      - .offset:         192
        .size:           8
        .value_kind:     hidden_global_offset_y
      - .offset:         200
        .size:           8
        .value_kind:     hidden_global_offset_z
      - .offset:         208
        .size:           2
        .value_kind:     hidden_grid_dims
      - .offset:         224
        .size:           8
        .value_kind:     hidden_hostcall_buffer
    .group_segment_fixed_size: 0
    .kernarg_segment_align: 8
    .kernarg_segment_size: 400
    .language:       OpenCL C
    .language_version:
      - 2
      - 0
    .max_flat_workgroup_size: 256
    .name:           _Z39paged_attention_ll4mi_QKV_mfma16_kernelIDF16_DF16_LN4vllm18Fp8KVCacheDataTypeE0EhLi16ELi128ELi256ELb1ELi2EEvPKT_PKT0_S7_ifPKiS9_S9_iPKfiiiPfSC_PS2_PT2_iSB_SB_
    .private_segment_fixed_size: 64
    .sgpr_count:     36
    .sgpr_spill_count: 0
    .symbol:         _Z39paged_attention_ll4mi_QKV_mfma16_kernelIDF16_DF16_LN4vllm18Fp8KVCacheDataTypeE0EhLi16ELi128ELi256ELb1ELi2EEvPKT_PKT0_S7_ifPKiS9_S9_iPKfiiiPfSC_PS2_PT2_iSB_SB_.kd
    .uniform_work_group_size: 1
    .uses_dynamic_stack: false
    .vgpr_count:     51
    .vgpr_spill_count: 0
    .wavefront_size: 32
  - .args:
      - .actual_access:  read_only
        .address_space:  global
        .offset:         0
        .size:           8
        .value_kind:     global_buffer
      - .actual_access:  read_only
        .address_space:  global
        .offset:         8
        .size:           8
        .value_kind:     global_buffer
      - .actual_access:  read_only
        .address_space:  global
        .offset:         16
        .size:           8
        .value_kind:     global_buffer
      - .offset:         24
        .size:           4
        .value_kind:     by_value
      - .offset:         28
        .size:           4
        .value_kind:     by_value
      - .actual_access:  read_only
        .address_space:  global
        .offset:         32
        .size:           8
        .value_kind:     global_buffer
      - .actual_access:  read_only
        .address_space:  global
        .offset:         40
        .size:           8
        .value_kind:     global_buffer
      - .actual_access:  read_only
        .address_space:  global
        .offset:         48
        .size:           8
        .value_kind:     global_buffer
      - .offset:         56
        .size:           4
        .value_kind:     by_value
      - .actual_access:  read_only
        .address_space:  global
        .offset:         64
        .size:           8
        .value_kind:     global_buffer
      - .offset:         72
        .size:           4
        .value_kind:     by_value
      - .offset:         76
        .size:           4
        .value_kind:     by_value
      - .offset:         80
        .size:           4
        .value_kind:     by_value
      - .actual_access:  read_only
        .address_space:  global
        .offset:         88
        .size:           8
        .value_kind:     global_buffer
      - .actual_access:  read_only
        .address_space:  global
        .offset:         96
        .size:           8
        .value_kind:     global_buffer
      - .actual_access:  read_only
        .address_space:  global
        .offset:         104
        .size:           8
        .value_kind:     global_buffer
      - .actual_access:  read_only
        .address_space:  global
        .offset:         112
        .size:           8
        .value_kind:     global_buffer
      - .offset:         120
        .size:           4
        .value_kind:     by_value
      - .address_space:  global
        .offset:         128
        .size:           8
        .value_kind:     global_buffer
      - .address_space:  global
        .offset:         136
        .size:           8
        .value_kind:     global_buffer
      - .offset:         144
        .size:           4
        .value_kind:     hidden_block_count_x
      - .offset:         148
        .size:           4
        .value_kind:     hidden_block_count_y
      - .offset:         152
        .size:           4
        .value_kind:     hidden_block_count_z
      - .offset:         156
        .size:           2
        .value_kind:     hidden_group_size_x
      - .offset:         158
        .size:           2
        .value_kind:     hidden_group_size_y
      - .offset:         160
        .size:           2
        .value_kind:     hidden_group_size_z
      - .offset:         162
        .size:           2
        .value_kind:     hidden_remainder_x
      - .offset:         164
        .size:           2
        .value_kind:     hidden_remainder_y
      - .offset:         166
        .size:           2
        .value_kind:     hidden_remainder_z
      - .offset:         184
        .size:           8
        .value_kind:     hidden_global_offset_x
      - .offset:         192
        .size:           8
        .value_kind:     hidden_global_offset_y
      - .offset:         200
        .size:           8
        .value_kind:     hidden_global_offset_z
      - .offset:         208
        .size:           2
        .value_kind:     hidden_grid_dims
      - .offset:         224
        .size:           8
        .value_kind:     hidden_hostcall_buffer
    .group_segment_fixed_size: 0
    .kernarg_segment_align: 8
    .kernarg_segment_size: 400
    .language:       OpenCL C
    .language_version:
      - 2
      - 0
    .max_flat_workgroup_size: 256
    .name:           _Z39paged_attention_ll4mi_QKV_mfma16_kernelIDF16_DF16_LN4vllm18Fp8KVCacheDataTypeE0EhLi16ELi128ELi256ELb1ELi3EEvPKT_PKT0_S7_ifPKiS9_S9_iPKfiiiPfSC_PS2_PT2_iSB_SB_
    .private_segment_fixed_size: 64
    .sgpr_count:     36
    .sgpr_spill_count: 0
    .symbol:         _Z39paged_attention_ll4mi_QKV_mfma16_kernelIDF16_DF16_LN4vllm18Fp8KVCacheDataTypeE0EhLi16ELi128ELi256ELb1ELi3EEvPKT_PKT0_S7_ifPKiS9_S9_iPKfiiiPfSC_PS2_PT2_iSB_SB_.kd
    .uniform_work_group_size: 1
    .uses_dynamic_stack: false
    .vgpr_count:     51
    .vgpr_spill_count: 0
    .wavefront_size: 32
  - .args:
      - .actual_access:  read_only
        .address_space:  global
        .offset:         0
        .size:           8
        .value_kind:     global_buffer
      - .actual_access:  read_only
        .address_space:  global
        .offset:         8
        .size:           8
        .value_kind:     global_buffer
      - .actual_access:  read_only
        .address_space:  global
        .offset:         16
        .size:           8
        .value_kind:     global_buffer
      - .offset:         24
        .size:           4
        .value_kind:     by_value
      - .offset:         28
        .size:           4
        .value_kind:     by_value
      - .actual_access:  read_only
        .address_space:  global
        .offset:         32
        .size:           8
        .value_kind:     global_buffer
      - .actual_access:  read_only
        .address_space:  global
        .offset:         40
        .size:           8
        .value_kind:     global_buffer
      - .actual_access:  read_only
        .address_space:  global
        .offset:         48
        .size:           8
        .value_kind:     global_buffer
      - .offset:         56
        .size:           4
        .value_kind:     by_value
      - .actual_access:  read_only
        .address_space:  global
        .offset:         64
        .size:           8
        .value_kind:     global_buffer
      - .offset:         72
        .size:           4
        .value_kind:     by_value
      - .offset:         76
        .size:           4
        .value_kind:     by_value
      - .offset:         80
        .size:           4
        .value_kind:     by_value
      - .actual_access:  read_only
        .address_space:  global
        .offset:         88
        .size:           8
        .value_kind:     global_buffer
      - .actual_access:  read_only
        .address_space:  global
        .offset:         96
        .size:           8
        .value_kind:     global_buffer
      - .actual_access:  read_only
        .address_space:  global
        .offset:         104
        .size:           8
        .value_kind:     global_buffer
      - .actual_access:  read_only
        .address_space:  global
        .offset:         112
        .size:           8
        .value_kind:     global_buffer
      - .offset:         120
        .size:           4
        .value_kind:     by_value
      - .address_space:  global
        .offset:         128
        .size:           8
        .value_kind:     global_buffer
      - .address_space:  global
        .offset:         136
        .size:           8
        .value_kind:     global_buffer
      - .offset:         144
        .size:           4
        .value_kind:     hidden_block_count_x
      - .offset:         148
        .size:           4
        .value_kind:     hidden_block_count_y
      - .offset:         152
        .size:           4
        .value_kind:     hidden_block_count_z
      - .offset:         156
        .size:           2
        .value_kind:     hidden_group_size_x
      - .offset:         158
        .size:           2
        .value_kind:     hidden_group_size_y
      - .offset:         160
        .size:           2
        .value_kind:     hidden_group_size_z
      - .offset:         162
        .size:           2
        .value_kind:     hidden_remainder_x
      - .offset:         164
        .size:           2
        .value_kind:     hidden_remainder_y
      - .offset:         166
        .size:           2
        .value_kind:     hidden_remainder_z
      - .offset:         184
        .size:           8
        .value_kind:     hidden_global_offset_x
      - .offset:         192
        .size:           8
        .value_kind:     hidden_global_offset_y
      - .offset:         200
        .size:           8
        .value_kind:     hidden_global_offset_z
      - .offset:         208
        .size:           2
        .value_kind:     hidden_grid_dims
      - .offset:         224
        .size:           8
        .value_kind:     hidden_hostcall_buffer
    .group_segment_fixed_size: 0
    .kernarg_segment_align: 8
    .kernarg_segment_size: 400
    .language:       OpenCL C
    .language_version:
      - 2
      - 0
    .max_flat_workgroup_size: 256
    .name:           _Z39paged_attention_ll4mi_QKV_mfma16_kernelIDF16_DF16_LN4vllm18Fp8KVCacheDataTypeE0EhLi16ELi128ELi256ELb1ELi4EEvPKT_PKT0_S7_ifPKiS9_S9_iPKfiiiPfSC_PS2_PT2_iSB_SB_
    .private_segment_fixed_size: 64
    .sgpr_count:     36
    .sgpr_spill_count: 0
    .symbol:         _Z39paged_attention_ll4mi_QKV_mfma16_kernelIDF16_DF16_LN4vllm18Fp8KVCacheDataTypeE0EhLi16ELi128ELi256ELb1ELi4EEvPKT_PKT0_S7_ifPKiS9_S9_iPKfiiiPfSC_PS2_PT2_iSB_SB_.kd
    .uniform_work_group_size: 1
    .uses_dynamic_stack: false
    .vgpr_count:     51
    .vgpr_spill_count: 0
    .wavefront_size: 32
  - .args:
      - .actual_access:  read_only
        .address_space:  global
        .offset:         0
        .size:           8
        .value_kind:     global_buffer
      - .actual_access:  read_only
        .address_space:  global
        .offset:         8
        .size:           8
        .value_kind:     global_buffer
      - .actual_access:  read_only
        .address_space:  global
        .offset:         16
        .size:           8
        .value_kind:     global_buffer
      - .actual_access:  read_only
        .address_space:  global
        .offset:         24
        .size:           8
        .value_kind:     global_buffer
      - .actual_access:  read_only
        .address_space:  global
        .offset:         32
        .size:           8
        .value_kind:     global_buffer
      - .actual_access:  read_only
        .address_space:  global
        .offset:         40
        .size:           8
        .value_kind:     global_buffer
      - .offset:         48
        .size:           4
        .value_kind:     by_value
      - .actual_access:  read_only
        .address_space:  global
        .offset:         56
        .size:           8
        .value_kind:     global_buffer
      - .offset:         64
        .size:           4
        .value_kind:     hidden_block_count_x
      - .offset:         68
        .size:           4
        .value_kind:     hidden_block_count_y
      - .offset:         72
        .size:           4
        .value_kind:     hidden_block_count_z
      - .offset:         76
        .size:           2
        .value_kind:     hidden_group_size_x
      - .offset:         78
        .size:           2
        .value_kind:     hidden_group_size_y
      - .offset:         80
        .size:           2
        .value_kind:     hidden_group_size_z
      - .offset:         82
        .size:           2
        .value_kind:     hidden_remainder_x
      - .offset:         84
        .size:           2
        .value_kind:     hidden_remainder_y
      - .offset:         86
        .size:           2
        .value_kind:     hidden_remainder_z
      - .offset:         104
        .size:           8
        .value_kind:     hidden_global_offset_x
      - .offset:         112
        .size:           8
        .value_kind:     hidden_global_offset_y
      - .offset:         120
        .size:           8
        .value_kind:     hidden_global_offset_z
      - .offset:         128
        .size:           2
        .value_kind:     hidden_grid_dims
      - .offset:         144
        .size:           8
        .value_kind:     hidden_hostcall_buffer
    .group_segment_fixed_size: 0
    .kernarg_segment_align: 8
    .kernarg_segment_size: 320
    .language:       OpenCL C
    .language_version:
      - 2
      - 0
    .max_flat_workgroup_size: 128
    .name:           _Z35paged_attention_ll4mi_reduce_kernelIDF16_hLi128ELi128ELi256ELi9EEvPT0_PKfS3_PKT_PKiS8_iS3_
    .private_segment_fixed_size: 64
    .sgpr_count:     36
    .sgpr_spill_count: 0
    .symbol:         _Z35paged_attention_ll4mi_reduce_kernelIDF16_hLi128ELi128ELi256ELi9EEvPT0_PKfS3_PKT_PKiS8_iS3_.kd
    .uniform_work_group_size: 1
    .uses_dynamic_stack: false
    .vgpr_count:     51
    .vgpr_spill_count: 0
    .wavefront_size: 32
  - .args:
      - .actual_access:  read_only
        .address_space:  global
        .offset:         0
        .size:           8
        .value_kind:     global_buffer
      - .actual_access:  read_only
        .address_space:  global
        .offset:         8
        .size:           8
        .value_kind:     global_buffer
      - .actual_access:  read_only
        .address_space:  global
        .offset:         16
        .size:           8
        .value_kind:     global_buffer
      - .actual_access:  read_only
        .address_space:  global
        .offset:         24
        .size:           8
        .value_kind:     global_buffer
      - .actual_access:  read_only
        .address_space:  global
        .offset:         32
        .size:           8
        .value_kind:     global_buffer
      - .actual_access:  read_only
        .address_space:  global
        .offset:         40
        .size:           8
        .value_kind:     global_buffer
      - .offset:         48
        .size:           4
        .value_kind:     by_value
      - .actual_access:  read_only
        .address_space:  global
        .offset:         56
        .size:           8
        .value_kind:     global_buffer
      - .offset:         64
        .size:           4
        .value_kind:     hidden_block_count_x
      - .offset:         68
        .size:           4
        .value_kind:     hidden_block_count_y
      - .offset:         72
        .size:           4
        .value_kind:     hidden_block_count_z
      - .offset:         76
        .size:           2
        .value_kind:     hidden_group_size_x
      - .offset:         78
        .size:           2
        .value_kind:     hidden_group_size_y
      - .offset:         80
        .size:           2
        .value_kind:     hidden_group_size_z
      - .offset:         82
        .size:           2
        .value_kind:     hidden_remainder_x
      - .offset:         84
        .size:           2
        .value_kind:     hidden_remainder_y
      - .offset:         86
        .size:           2
        .value_kind:     hidden_remainder_z
      - .offset:         104
        .size:           8
        .value_kind:     hidden_global_offset_x
      - .offset:         112
        .size:           8
        .value_kind:     hidden_global_offset_y
      - .offset:         120
        .size:           8
        .value_kind:     hidden_global_offset_z
      - .offset:         128
        .size:           2
        .value_kind:     hidden_grid_dims
      - .offset:         144
        .size:           8
        .value_kind:     hidden_hostcall_buffer
    .group_segment_fixed_size: 0
    .kernarg_segment_align: 8
    .kernarg_segment_size: 320
    .language:       OpenCL C
    .language_version:
      - 2
      - 0
    .max_flat_workgroup_size: 128
    .name:           _Z35paged_attention_ll4mi_reduce_kernelIDF16_hLi128ELi128ELi256ELi10EEvPT0_PKfS3_PKT_PKiS8_iS3_
    .private_segment_fixed_size: 64
    .sgpr_count:     36
    .sgpr_spill_count: 0
    .symbol:         _Z35paged_attention_ll4mi_reduce_kernelIDF16_hLi128ELi128ELi256ELi10EEvPT0_PKfS3_PKT_PKiS8_iS3_.kd
    .uniform_work_group_size: 1
    .uses_dynamic_stack: false
    .vgpr_count:     51
    .vgpr_spill_count: 0
    .wavefront_size: 32
  - .args:
      - .actual_access:  read_only
        .address_space:  global
        .offset:         0
        .size:           8
        .value_kind:     global_buffer
      - .actual_access:  read_only
        .address_space:  global
        .offset:         8
        .size:           8
        .value_kind:     global_buffer
      - .actual_access:  read_only
        .address_space:  global
        .offset:         16
        .size:           8
        .value_kind:     global_buffer
      - .actual_access:  read_only
        .address_space:  global
        .offset:         24
        .size:           8
        .value_kind:     global_buffer
      - .actual_access:  read_only
        .address_space:  global
        .offset:         32
        .size:           8
        .value_kind:     global_buffer
      - .actual_access:  read_only
        .address_space:  global
        .offset:         40
        .size:           8
        .value_kind:     global_buffer
      - .offset:         48
        .size:           4
        .value_kind:     by_value
      - .actual_access:  read_only
        .address_space:  global
        .offset:         56
        .size:           8
        .value_kind:     global_buffer
      - .offset:         64
        .size:           4
        .value_kind:     hidden_block_count_x
      - .offset:         68
        .size:           4
        .value_kind:     hidden_block_count_y
      - .offset:         72
        .size:           4
        .value_kind:     hidden_block_count_z
      - .offset:         76
        .size:           2
        .value_kind:     hidden_group_size_x
      - .offset:         78
        .size:           2
        .value_kind:     hidden_group_size_y
      - .offset:         80
        .size:           2
        .value_kind:     hidden_group_size_z
      - .offset:         82
        .size:           2
        .value_kind:     hidden_remainder_x
      - .offset:         84
        .size:           2
        .value_kind:     hidden_remainder_y
      - .offset:         86
        .size:           2
        .value_kind:     hidden_remainder_z
      - .offset:         104
        .size:           8
        .value_kind:     hidden_global_offset_x
      - .offset:         112
        .size:           8
        .value_kind:     hidden_global_offset_y
      - .offset:         120
        .size:           8
        .value_kind:     hidden_global_offset_z
      - .offset:         128
        .size:           2
        .value_kind:     hidden_grid_dims
      - .offset:         144
        .size:           8
        .value_kind:     hidden_hostcall_buffer
    .group_segment_fixed_size: 0
    .kernarg_segment_align: 8
    .kernarg_segment_size: 320
    .language:       OpenCL C
    .language_version:
      - 2
      - 0
    .max_flat_workgroup_size: 128
    .name:           _Z35paged_attention_ll4mi_reduce_kernelIDF16_hLi128ELi128ELi256ELi11EEvPT0_PKfS3_PKT_PKiS8_iS3_
    .private_segment_fixed_size: 64
    .sgpr_count:     36
    .sgpr_spill_count: 0
    .symbol:         _Z35paged_attention_ll4mi_reduce_kernelIDF16_hLi128ELi128ELi256ELi11EEvPT0_PKfS3_PKT_PKiS8_iS3_.kd
    .uniform_work_group_size: 1
    .uses_dynamic_stack: false
    .vgpr_count:     51
    .vgpr_spill_count: 0
    .wavefront_size: 32
  - .args:
      - .actual_access:  read_only
        .address_space:  global
        .offset:         0
        .size:           8
        .value_kind:     global_buffer
      - .actual_access:  read_only
        .address_space:  global
        .offset:         8
        .size:           8
        .value_kind:     global_buffer
      - .actual_access:  read_only
        .address_space:  global
        .offset:         16
        .size:           8
        .value_kind:     global_buffer
      - .actual_access:  read_only
        .address_space:  global
        .offset:         24
        .size:           8
        .value_kind:     global_buffer
      - .actual_access:  read_only
        .address_space:  global
        .offset:         32
        .size:           8
        .value_kind:     global_buffer
      - .actual_access:  read_only
        .address_space:  global
        .offset:         40
        .size:           8
        .value_kind:     global_buffer
      - .offset:         48
        .size:           4
        .value_kind:     by_value
      - .actual_access:  read_only
        .address_space:  global
        .offset:         56
        .size:           8
        .value_kind:     global_buffer
      - .offset:         64
        .size:           4
        .value_kind:     hidden_block_count_x
      - .offset:         68
        .size:           4
        .value_kind:     hidden_block_count_y
      - .offset:         72
        .size:           4
        .value_kind:     hidden_block_count_z
      - .offset:         76
        .size:           2
        .value_kind:     hidden_group_size_x
      - .offset:         78
        .size:           2
        .value_kind:     hidden_group_size_y
      - .offset:         80
        .size:           2
        .value_kind:     hidden_group_size_z
      - .offset:         82
        .size:           2
        .value_kind:     hidden_remainder_x
      - .offset:         84
        .size:           2
        .value_kind:     hidden_remainder_y
      - .offset:         86
        .size:           2
        .value_kind:     hidden_remainder_z
      - .offset:         104
        .size:           8
        .value_kind:     hidden_global_offset_x
      - .offset:         112
        .size:           8
        .value_kind:     hidden_global_offset_y
      - .offset:         120
        .size:           8
        .value_kind:     hidden_global_offset_z
      - .offset:         128
        .size:           2
        .value_kind:     hidden_grid_dims
      - .offset:         144
        .size:           8
        .value_kind:     hidden_hostcall_buffer
    .group_segment_fixed_size: 0
    .kernarg_segment_align: 8
    .kernarg_segment_size: 320
    .language:       OpenCL C
    .language_version:
      - 2
      - 0
    .max_flat_workgroup_size: 128
    .name:           _Z35paged_attention_ll4mi_reduce_kernelIDF16_hLi128ELi128ELi256ELi12EEvPT0_PKfS3_PKT_PKiS8_iS3_
    .private_segment_fixed_size: 64
    .sgpr_count:     36
    .sgpr_spill_count: 0
    .symbol:         _Z35paged_attention_ll4mi_reduce_kernelIDF16_hLi128ELi128ELi256ELi12EEvPT0_PKfS3_PKT_PKiS8_iS3_.kd
    .uniform_work_group_size: 1
    .uses_dynamic_stack: false
    .vgpr_count:     51
    .vgpr_spill_count: 0
    .wavefront_size: 32
  - .args:
      - .actual_access:  read_only
        .address_space:  global
        .offset:         0
        .size:           8
        .value_kind:     global_buffer
      - .actual_access:  read_only
        .address_space:  global
        .offset:         8
        .size:           8
        .value_kind:     global_buffer
      - .actual_access:  read_only
        .address_space:  global
        .offset:         16
        .size:           8
        .value_kind:     global_buffer
      - .actual_access:  read_only
        .address_space:  global
        .offset:         24
        .size:           8
        .value_kind:     global_buffer
      - .actual_access:  read_only
        .address_space:  global
        .offset:         32
        .size:           8
        .value_kind:     global_buffer
      - .actual_access:  read_only
        .address_space:  global
        .offset:         40
        .size:           8
        .value_kind:     global_buffer
      - .offset:         48
        .size:           4
        .value_kind:     by_value
      - .actual_access:  read_only
        .address_space:  global
        .offset:         56
        .size:           8
        .value_kind:     global_buffer
      - .offset:         64
        .size:           4
        .value_kind:     hidden_block_count_x
      - .offset:         68
        .size:           4
        .value_kind:     hidden_block_count_y
      - .offset:         72
        .size:           4
        .value_kind:     hidden_block_count_z
      - .offset:         76
        .size:           2
        .value_kind:     hidden_group_size_x
      - .offset:         78
        .size:           2
        .value_kind:     hidden_group_size_y
      - .offset:         80
        .size:           2
        .value_kind:     hidden_group_size_z
      - .offset:         82
        .size:           2
        .value_kind:     hidden_remainder_x
      - .offset:         84
        .size:           2
        .value_kind:     hidden_remainder_y
      - .offset:         86
        .size:           2
        .value_kind:     hidden_remainder_z
      - .offset:         104
        .size:           8
        .value_kind:     hidden_global_offset_x
      - .offset:         112
        .size:           8
        .value_kind:     hidden_global_offset_y
      - .offset:         120
        .size:           8
        .value_kind:     hidden_global_offset_z
      - .offset:         128
        .size:           2
        .value_kind:     hidden_grid_dims
      - .offset:         144
        .size:           8
        .value_kind:     hidden_hostcall_buffer
    .group_segment_fixed_size: 0
    .kernarg_segment_align: 8
    .kernarg_segment_size: 320
    .language:       OpenCL C
    .language_version:
      - 2
      - 0
    .max_flat_workgroup_size: 128
    .name:           _Z35paged_attention_ll4mi_reduce_kernelIDF16_hLi128ELi128ELi256ELi13EEvPT0_PKfS3_PKT_PKiS8_iS3_
    .private_segment_fixed_size: 64
    .sgpr_count:     36
    .sgpr_spill_count: 0
    .symbol:         _Z35paged_attention_ll4mi_reduce_kernelIDF16_hLi128ELi128ELi256ELi13EEvPT0_PKfS3_PKT_PKiS8_iS3_.kd
    .uniform_work_group_size: 1
    .uses_dynamic_stack: false
    .vgpr_count:     51
    .vgpr_spill_count: 0
    .wavefront_size: 32
  - .args:
      - .actual_access:  read_only
        .address_space:  global
        .offset:         0
        .size:           8
        .value_kind:     global_buffer
      - .actual_access:  read_only
        .address_space:  global
        .offset:         8
        .size:           8
        .value_kind:     global_buffer
      - .actual_access:  read_only
        .address_space:  global
        .offset:         16
        .size:           8
        .value_kind:     global_buffer
      - .actual_access:  read_only
        .address_space:  global
        .offset:         24
        .size:           8
        .value_kind:     global_buffer
      - .actual_access:  read_only
        .address_space:  global
        .offset:         32
        .size:           8
        .value_kind:     global_buffer
      - .actual_access:  read_only
        .address_space:  global
        .offset:         40
        .size:           8
        .value_kind:     global_buffer
      - .offset:         48
        .size:           4
        .value_kind:     by_value
      - .actual_access:  read_only
        .address_space:  global
        .offset:         56
        .size:           8
        .value_kind:     global_buffer
      - .offset:         64
        .size:           4
        .value_kind:     hidden_block_count_x
      - .offset:         68
        .size:           4
        .value_kind:     hidden_block_count_y
      - .offset:         72
        .size:           4
        .value_kind:     hidden_block_count_z
      - .offset:         76
        .size:           2
        .value_kind:     hidden_group_size_x
      - .offset:         78
        .size:           2
        .value_kind:     hidden_group_size_y
      - .offset:         80
        .size:           2
        .value_kind:     hidden_group_size_z
      - .offset:         82
        .size:           2
        .value_kind:     hidden_remainder_x
      - .offset:         84
        .size:           2
        .value_kind:     hidden_remainder_y
      - .offset:         86
        .size:           2
        .value_kind:     hidden_remainder_z
      - .offset:         104
        .size:           8
        .value_kind:     hidden_global_offset_x
      - .offset:         112
        .size:           8
        .value_kind:     hidden_global_offset_y
      - .offset:         120
        .size:           8
        .value_kind:     hidden_global_offset_z
      - .offset:         128
        .size:           2
        .value_kind:     hidden_grid_dims
      - .offset:         144
        .size:           8
        .value_kind:     hidden_hostcall_buffer
    .group_segment_fixed_size: 0
    .kernarg_segment_align: 8
    .kernarg_segment_size: 320
    .language:       OpenCL C
    .language_version:
      - 2
      - 0
    .max_flat_workgroup_size: 128
    .name:           _Z35paged_attention_ll4mi_reduce_kernelIDF16_hLi128ELi128ELi256ELi14EEvPT0_PKfS3_PKT_PKiS8_iS3_
    .private_segment_fixed_size: 64
    .sgpr_count:     36
    .sgpr_spill_count: 0
    .symbol:         _Z35paged_attention_ll4mi_reduce_kernelIDF16_hLi128ELi128ELi256ELi14EEvPT0_PKfS3_PKT_PKiS8_iS3_.kd
    .uniform_work_group_size: 1
    .uses_dynamic_stack: false
    .vgpr_count:     51
    .vgpr_spill_count: 0
    .wavefront_size: 32
  - .args:
      - .actual_access:  read_only
        .address_space:  global
        .offset:         0
        .size:           8
        .value_kind:     global_buffer
      - .actual_access:  read_only
        .address_space:  global
        .offset:         8
        .size:           8
        .value_kind:     global_buffer
      - .actual_access:  read_only
        .address_space:  global
        .offset:         16
        .size:           8
        .value_kind:     global_buffer
      - .actual_access:  read_only
        .address_space:  global
        .offset:         24
        .size:           8
        .value_kind:     global_buffer
      - .actual_access:  read_only
        .address_space:  global
        .offset:         32
        .size:           8
        .value_kind:     global_buffer
      - .actual_access:  read_only
        .address_space:  global
        .offset:         40
        .size:           8
        .value_kind:     global_buffer
      - .offset:         48
        .size:           4
        .value_kind:     by_value
      - .actual_access:  read_only
        .address_space:  global
        .offset:         56
        .size:           8
        .value_kind:     global_buffer
      - .offset:         64
        .size:           4
        .value_kind:     hidden_block_count_x
      - .offset:         68
        .size:           4
        .value_kind:     hidden_block_count_y
      - .offset:         72
        .size:           4
        .value_kind:     hidden_block_count_z
      - .offset:         76
        .size:           2
        .value_kind:     hidden_group_size_x
      - .offset:         78
        .size:           2
        .value_kind:     hidden_group_size_y
      - .offset:         80
        .size:           2
        .value_kind:     hidden_group_size_z
      - .offset:         82
        .size:           2
        .value_kind:     hidden_remainder_x
      - .offset:         84
        .size:           2
        .value_kind:     hidden_remainder_y
      - .offset:         86
        .size:           2
        .value_kind:     hidden_remainder_z
      - .offset:         104
        .size:           8
        .value_kind:     hidden_global_offset_x
      - .offset:         112
        .size:           8
        .value_kind:     hidden_global_offset_y
      - .offset:         120
        .size:           8
        .value_kind:     hidden_global_offset_z
      - .offset:         128
        .size:           2
        .value_kind:     hidden_grid_dims
      - .offset:         144
        .size:           8
        .value_kind:     hidden_hostcall_buffer
    .group_segment_fixed_size: 0
    .kernarg_segment_align: 8
    .kernarg_segment_size: 320
    .language:       OpenCL C
    .language_version:
      - 2
      - 0
    .max_flat_workgroup_size: 128
    .name:           _Z35paged_attention_ll4mi_reduce_kernelIDF16_hLi128ELi128ELi256ELi15EEvPT0_PKfS3_PKT_PKiS8_iS3_
    .private_segment_fixed_size: 64
    .sgpr_count:     36
    .sgpr_spill_count: 0
    .symbol:         _Z35paged_attention_ll4mi_reduce_kernelIDF16_hLi128ELi128ELi256ELi15EEvPT0_PKfS3_PKT_PKiS8_iS3_.kd
    .uniform_work_group_size: 1
    .uses_dynamic_stack: false
    .vgpr_count:     51
    .vgpr_spill_count: 0
    .wavefront_size: 32
  - .args:
      - .actual_access:  read_only
        .address_space:  global
        .offset:         0
        .size:           8
        .value_kind:     global_buffer
      - .actual_access:  read_only
        .address_space:  global
        .offset:         8
        .size:           8
        .value_kind:     global_buffer
      - .actual_access:  read_only
        .address_space:  global
        .offset:         16
        .size:           8
        .value_kind:     global_buffer
      - .actual_access:  read_only
        .address_space:  global
        .offset:         24
        .size:           8
        .value_kind:     global_buffer
      - .actual_access:  read_only
        .address_space:  global
        .offset:         32
        .size:           8
        .value_kind:     global_buffer
      - .actual_access:  read_only
        .address_space:  global
        .offset:         40
        .size:           8
        .value_kind:     global_buffer
      - .offset:         48
        .size:           4
        .value_kind:     by_value
      - .actual_access:  read_only
        .address_space:  global
        .offset:         56
        .size:           8
        .value_kind:     global_buffer
      - .offset:         64
        .size:           4
        .value_kind:     hidden_block_count_x
      - .offset:         68
        .size:           4
        .value_kind:     hidden_block_count_y
      - .offset:         72
        .size:           4
        .value_kind:     hidden_block_count_z
      - .offset:         76
        .size:           2
        .value_kind:     hidden_group_size_x
      - .offset:         78
        .size:           2
        .value_kind:     hidden_group_size_y
      - .offset:         80
        .size:           2
        .value_kind:     hidden_group_size_z
      - .offset:         82
        .size:           2
        .value_kind:     hidden_remainder_x
      - .offset:         84
        .size:           2
        .value_kind:     hidden_remainder_y
      - .offset:         86
        .size:           2
        .value_kind:     hidden_remainder_z
      - .offset:         104
        .size:           8
        .value_kind:     hidden_global_offset_x
      - .offset:         112
        .size:           8
        .value_kind:     hidden_global_offset_y
      - .offset:         120
        .size:           8
        .value_kind:     hidden_global_offset_z
      - .offset:         128
        .size:           2
        .value_kind:     hidden_grid_dims
      - .offset:         144
        .size:           8
        .value_kind:     hidden_hostcall_buffer
    .group_segment_fixed_size: 0
    .kernarg_segment_align: 8
    .kernarg_segment_size: 320
    .language:       OpenCL C
    .language_version:
      - 2
      - 0
    .max_flat_workgroup_size: 128
    .name:           _Z35paged_attention_ll4mi_reduce_kernelIDF16_hLi128ELi128ELi256ELi16EEvPT0_PKfS3_PKT_PKiS8_iS3_
    .private_segment_fixed_size: 64
    .sgpr_count:     36
    .sgpr_spill_count: 0
    .symbol:         _Z35paged_attention_ll4mi_reduce_kernelIDF16_hLi128ELi128ELi256ELi16EEvPT0_PKfS3_PKT_PKiS8_iS3_.kd
    .uniform_work_group_size: 1
    .uses_dynamic_stack: false
    .vgpr_count:     51
    .vgpr_spill_count: 0
    .wavefront_size: 32
  - .args:
      - .actual_access:  read_only
        .address_space:  global
        .offset:         0
        .size:           8
        .value_kind:     global_buffer
      - .actual_access:  read_only
        .address_space:  global
        .offset:         8
        .size:           8
        .value_kind:     global_buffer
      - .actual_access:  read_only
        .address_space:  global
        .offset:         16
        .size:           8
        .value_kind:     global_buffer
      - .offset:         24
        .size:           4
        .value_kind:     by_value
      - .offset:         28
        .size:           4
        .value_kind:     by_value
      - .actual_access:  read_only
        .address_space:  global
        .offset:         32
        .size:           8
        .value_kind:     global_buffer
      - .actual_access:  read_only
        .address_space:  global
        .offset:         40
        .size:           8
        .value_kind:     global_buffer
      - .actual_access:  read_only
        .address_space:  global
        .offset:         48
        .size:           8
        .value_kind:     global_buffer
      - .offset:         56
        .size:           4
        .value_kind:     by_value
      - .actual_access:  read_only
        .address_space:  global
        .offset:         64
        .size:           8
        .value_kind:     global_buffer
      - .offset:         72
        .size:           4
        .value_kind:     by_value
      - .offset:         76
        .size:           4
        .value_kind:     by_value
      - .offset:         80
        .size:           4
        .value_kind:     by_value
      - .actual_access:  read_only
        .address_space:  global
        .offset:         88
        .size:           8
        .value_kind:     global_buffer
      - .actual_access:  read_only
        .address_space:  global
        .offset:         96
        .size:           8
        .value_kind:     global_buffer
      - .actual_access:  read_only
        .address_space:  global
        .offset:         104
        .size:           8
        .value_kind:     global_buffer
      - .actual_access:  read_only
        .address_space:  global
        .offset:         112
        .size:           8
        .value_kind:     global_buffer
      - .offset:         120
        .size:           4
        .value_kind:     by_value
      - .address_space:  global
        .offset:         128
        .size:           8
        .value_kind:     global_buffer
      - .address_space:  global
        .offset:         136
        .size:           8
        .value_kind:     global_buffer
      - .offset:         144
        .size:           4
        .value_kind:     hidden_block_count_x
      - .offset:         148
        .size:           4
        .value_kind:     hidden_block_count_y
      - .offset:         152
        .size:           4
        .value_kind:     hidden_block_count_z
      - .offset:         156
        .size:           2
        .value_kind:     hidden_group_size_x
      - .offset:         158
        .size:           2
        .value_kind:     hidden_group_size_y
      - .offset:         160
        .size:           2
        .value_kind:     hidden_group_size_z
      - .offset:         162
        .size:           2
        .value_kind:     hidden_remainder_x
      - .offset:         164
        .size:           2
        .value_kind:     hidden_remainder_y
      - .offset:         166
        .size:           2
        .value_kind:     hidden_remainder_z
      - .offset:         184
        .size:           8
        .value_kind:     hidden_global_offset_x
      - .offset:         192
        .size:           8
        .value_kind:     hidden_global_offset_y
      - .offset:         200
        .size:           8
        .value_kind:     hidden_global_offset_z
      - .offset:         208
        .size:           2
        .value_kind:     hidden_grid_dims
      - .offset:         224
        .size:           8
        .value_kind:     hidden_hostcall_buffer
    .group_segment_fixed_size: 0
    .kernarg_segment_align: 8
    .kernarg_segment_size: 400
    .language:       OpenCL C
    .language_version:
      - 2
      - 0
    .max_flat_workgroup_size: 256
    .name:           _Z38paged_attention_ll4mi_QKV_mfma4_kernelIDF16_DF16_LN4vllm18Fp8KVCacheDataTypeE0EhLi16ELi128ELi256ELb0ELi1EEvPKT_PKT0_S7_ifPKiS9_S9_iPKfiiiPfSC_PS2_PT2_iSB_SB_
    .private_segment_fixed_size: 64
    .sgpr_count:     36
    .sgpr_spill_count: 0
    .symbol:         _Z38paged_attention_ll4mi_QKV_mfma4_kernelIDF16_DF16_LN4vllm18Fp8KVCacheDataTypeE0EhLi16ELi128ELi256ELb0ELi1EEvPKT_PKT0_S7_ifPKiS9_S9_iPKfiiiPfSC_PS2_PT2_iSB_SB_.kd
    .uniform_work_group_size: 1
    .uses_dynamic_stack: false
    .vgpr_count:     51
    .vgpr_spill_count: 0
    .wavefront_size: 32
  - .args:
      - .actual_access:  read_only
        .address_space:  global
        .offset:         0
        .size:           8
        .value_kind:     global_buffer
      - .actual_access:  read_only
        .address_space:  global
        .offset:         8
        .size:           8
        .value_kind:     global_buffer
      - .actual_access:  read_only
        .address_space:  global
        .offset:         16
        .size:           8
        .value_kind:     global_buffer
      - .offset:         24
        .size:           4
        .value_kind:     by_value
      - .offset:         28
        .size:           4
        .value_kind:     by_value
      - .actual_access:  read_only
        .address_space:  global
        .offset:         32
        .size:           8
        .value_kind:     global_buffer
      - .actual_access:  read_only
        .address_space:  global
        .offset:         40
        .size:           8
        .value_kind:     global_buffer
      - .actual_access:  read_only
        .address_space:  global
        .offset:         48
        .size:           8
        .value_kind:     global_buffer
      - .offset:         56
        .size:           4
        .value_kind:     by_value
      - .actual_access:  read_only
        .address_space:  global
        .offset:         64
        .size:           8
        .value_kind:     global_buffer
      - .offset:         72
        .size:           4
        .value_kind:     by_value
      - .offset:         76
        .size:           4
        .value_kind:     by_value
      - .offset:         80
        .size:           4
        .value_kind:     by_value
      - .actual_access:  read_only
        .address_space:  global
        .offset:         88
        .size:           8
        .value_kind:     global_buffer
      - .actual_access:  read_only
        .address_space:  global
        .offset:         96
        .size:           8
        .value_kind:     global_buffer
      - .actual_access:  read_only
        .address_space:  global
        .offset:         104
        .size:           8
        .value_kind:     global_buffer
      - .actual_access:  read_only
        .address_space:  global
        .offset:         112
        .size:           8
        .value_kind:     global_buffer
      - .offset:         120
        .size:           4
        .value_kind:     by_value
      - .address_space:  global
        .offset:         128
        .size:           8
        .value_kind:     global_buffer
      - .address_space:  global
        .offset:         136
        .size:           8
        .value_kind:     global_buffer
      - .offset:         144
        .size:           4
        .value_kind:     hidden_block_count_x
      - .offset:         148
        .size:           4
        .value_kind:     hidden_block_count_y
      - .offset:         152
        .size:           4
        .value_kind:     hidden_block_count_z
      - .offset:         156
        .size:           2
        .value_kind:     hidden_group_size_x
      - .offset:         158
        .size:           2
        .value_kind:     hidden_group_size_y
      - .offset:         160
        .size:           2
        .value_kind:     hidden_group_size_z
      - .offset:         162
        .size:           2
        .value_kind:     hidden_remainder_x
      - .offset:         164
        .size:           2
        .value_kind:     hidden_remainder_y
      - .offset:         166
        .size:           2
        .value_kind:     hidden_remainder_z
      - .offset:         184
        .size:           8
        .value_kind:     hidden_global_offset_x
      - .offset:         192
        .size:           8
        .value_kind:     hidden_global_offset_y
      - .offset:         200
        .size:           8
        .value_kind:     hidden_global_offset_z
      - .offset:         208
        .size:           2
        .value_kind:     hidden_grid_dims
      - .offset:         224
        .size:           8
        .value_kind:     hidden_hostcall_buffer
    .group_segment_fixed_size: 0
    .kernarg_segment_align: 8
    .kernarg_segment_size: 400
    .language:       OpenCL C
    .language_version:
      - 2
      - 0
    .max_flat_workgroup_size: 256
    .name:           _Z38paged_attention_ll4mi_QKV_mfma4_kernelIDF16_DF16_LN4vllm18Fp8KVCacheDataTypeE0EhLi16ELi128ELi256ELb0ELi2EEvPKT_PKT0_S7_ifPKiS9_S9_iPKfiiiPfSC_PS2_PT2_iSB_SB_
    .private_segment_fixed_size: 64
    .sgpr_count:     36
    .sgpr_spill_count: 0
    .symbol:         _Z38paged_attention_ll4mi_QKV_mfma4_kernelIDF16_DF16_LN4vllm18Fp8KVCacheDataTypeE0EhLi16ELi128ELi256ELb0ELi2EEvPKT_PKT0_S7_ifPKiS9_S9_iPKfiiiPfSC_PS2_PT2_iSB_SB_.kd
    .uniform_work_group_size: 1
    .uses_dynamic_stack: false
    .vgpr_count:     51
    .vgpr_spill_count: 0
    .wavefront_size: 32
  - .args:
      - .actual_access:  read_only
        .address_space:  global
        .offset:         0
        .size:           8
        .value_kind:     global_buffer
      - .actual_access:  read_only
        .address_space:  global
        .offset:         8
        .size:           8
        .value_kind:     global_buffer
      - .actual_access:  read_only
        .address_space:  global
        .offset:         16
        .size:           8
        .value_kind:     global_buffer
      - .offset:         24
        .size:           4
        .value_kind:     by_value
      - .offset:         28
        .size:           4
        .value_kind:     by_value
      - .actual_access:  read_only
        .address_space:  global
        .offset:         32
        .size:           8
        .value_kind:     global_buffer
      - .actual_access:  read_only
        .address_space:  global
        .offset:         40
        .size:           8
        .value_kind:     global_buffer
      - .actual_access:  read_only
        .address_space:  global
        .offset:         48
        .size:           8
        .value_kind:     global_buffer
      - .offset:         56
        .size:           4
        .value_kind:     by_value
      - .actual_access:  read_only
        .address_space:  global
        .offset:         64
        .size:           8
        .value_kind:     global_buffer
      - .offset:         72
        .size:           4
        .value_kind:     by_value
      - .offset:         76
        .size:           4
        .value_kind:     by_value
      - .offset:         80
        .size:           4
        .value_kind:     by_value
      - .actual_access:  read_only
        .address_space:  global
        .offset:         88
        .size:           8
        .value_kind:     global_buffer
      - .actual_access:  read_only
        .address_space:  global
        .offset:         96
        .size:           8
        .value_kind:     global_buffer
      - .actual_access:  read_only
        .address_space:  global
        .offset:         104
        .size:           8
        .value_kind:     global_buffer
      - .actual_access:  read_only
        .address_space:  global
        .offset:         112
        .size:           8
        .value_kind:     global_buffer
      - .offset:         120
        .size:           4
        .value_kind:     by_value
      - .address_space:  global
        .offset:         128
        .size:           8
        .value_kind:     global_buffer
      - .address_space:  global
        .offset:         136
        .size:           8
        .value_kind:     global_buffer
      - .offset:         144
        .size:           4
        .value_kind:     hidden_block_count_x
      - .offset:         148
        .size:           4
        .value_kind:     hidden_block_count_y
      - .offset:         152
        .size:           4
        .value_kind:     hidden_block_count_z
      - .offset:         156
        .size:           2
        .value_kind:     hidden_group_size_x
      - .offset:         158
        .size:           2
        .value_kind:     hidden_group_size_y
      - .offset:         160
        .size:           2
        .value_kind:     hidden_group_size_z
      - .offset:         162
        .size:           2
        .value_kind:     hidden_remainder_x
      - .offset:         164
        .size:           2
        .value_kind:     hidden_remainder_y
      - .offset:         166
        .size:           2
        .value_kind:     hidden_remainder_z
      - .offset:         184
        .size:           8
        .value_kind:     hidden_global_offset_x
      - .offset:         192
        .size:           8
        .value_kind:     hidden_global_offset_y
      - .offset:         200
        .size:           8
        .value_kind:     hidden_global_offset_z
      - .offset:         208
        .size:           2
        .value_kind:     hidden_grid_dims
      - .offset:         224
        .size:           8
        .value_kind:     hidden_hostcall_buffer
    .group_segment_fixed_size: 0
    .kernarg_segment_align: 8
    .kernarg_segment_size: 400
    .language:       OpenCL C
    .language_version:
      - 2
      - 0
    .max_flat_workgroup_size: 256
    .name:           _Z38paged_attention_ll4mi_QKV_mfma4_kernelIDF16_DF16_LN4vllm18Fp8KVCacheDataTypeE0EhLi16ELi128ELi256ELb0ELi3EEvPKT_PKT0_S7_ifPKiS9_S9_iPKfiiiPfSC_PS2_PT2_iSB_SB_
    .private_segment_fixed_size: 64
    .sgpr_count:     36
    .sgpr_spill_count: 0
    .symbol:         _Z38paged_attention_ll4mi_QKV_mfma4_kernelIDF16_DF16_LN4vllm18Fp8KVCacheDataTypeE0EhLi16ELi128ELi256ELb0ELi3EEvPKT_PKT0_S7_ifPKiS9_S9_iPKfiiiPfSC_PS2_PT2_iSB_SB_.kd
    .uniform_work_group_size: 1
    .uses_dynamic_stack: false
    .vgpr_count:     51
    .vgpr_spill_count: 0
    .wavefront_size: 32
  - .args:
      - .actual_access:  read_only
        .address_space:  global
        .offset:         0
        .size:           8
        .value_kind:     global_buffer
      - .actual_access:  read_only
        .address_space:  global
        .offset:         8
        .size:           8
        .value_kind:     global_buffer
      - .actual_access:  read_only
        .address_space:  global
        .offset:         16
        .size:           8
        .value_kind:     global_buffer
      - .offset:         24
        .size:           4
        .value_kind:     by_value
      - .offset:         28
        .size:           4
        .value_kind:     by_value
      - .actual_access:  read_only
        .address_space:  global
        .offset:         32
        .size:           8
        .value_kind:     global_buffer
      - .actual_access:  read_only
        .address_space:  global
        .offset:         40
        .size:           8
        .value_kind:     global_buffer
      - .actual_access:  read_only
        .address_space:  global
        .offset:         48
        .size:           8
        .value_kind:     global_buffer
      - .offset:         56
        .size:           4
        .value_kind:     by_value
      - .actual_access:  read_only
        .address_space:  global
        .offset:         64
        .size:           8
        .value_kind:     global_buffer
      - .offset:         72
        .size:           4
        .value_kind:     by_value
      - .offset:         76
        .size:           4
        .value_kind:     by_value
      - .offset:         80
        .size:           4
        .value_kind:     by_value
      - .actual_access:  read_only
        .address_space:  global
        .offset:         88
        .size:           8
        .value_kind:     global_buffer
      - .actual_access:  read_only
        .address_space:  global
        .offset:         96
        .size:           8
        .value_kind:     global_buffer
      - .actual_access:  read_only
        .address_space:  global
        .offset:         104
        .size:           8
        .value_kind:     global_buffer
      - .actual_access:  read_only
        .address_space:  global
        .offset:         112
        .size:           8
        .value_kind:     global_buffer
      - .offset:         120
        .size:           4
        .value_kind:     by_value
      - .address_space:  global
        .offset:         128
        .size:           8
        .value_kind:     global_buffer
      - .address_space:  global
        .offset:         136
        .size:           8
        .value_kind:     global_buffer
      - .offset:         144
        .size:           4
        .value_kind:     hidden_block_count_x
      - .offset:         148
        .size:           4
        .value_kind:     hidden_block_count_y
      - .offset:         152
        .size:           4
        .value_kind:     hidden_block_count_z
      - .offset:         156
        .size:           2
        .value_kind:     hidden_group_size_x
      - .offset:         158
        .size:           2
        .value_kind:     hidden_group_size_y
      - .offset:         160
        .size:           2
        .value_kind:     hidden_group_size_z
      - .offset:         162
        .size:           2
        .value_kind:     hidden_remainder_x
      - .offset:         164
        .size:           2
        .value_kind:     hidden_remainder_y
      - .offset:         166
        .size:           2
        .value_kind:     hidden_remainder_z
      - .offset:         184
        .size:           8
        .value_kind:     hidden_global_offset_x
      - .offset:         192
        .size:           8
        .value_kind:     hidden_global_offset_y
      - .offset:         200
        .size:           8
        .value_kind:     hidden_global_offset_z
      - .offset:         208
        .size:           2
        .value_kind:     hidden_grid_dims
      - .offset:         224
        .size:           8
        .value_kind:     hidden_hostcall_buffer
    .group_segment_fixed_size: 0
    .kernarg_segment_align: 8
    .kernarg_segment_size: 400
    .language:       OpenCL C
    .language_version:
      - 2
      - 0
    .max_flat_workgroup_size: 256
    .name:           _Z38paged_attention_ll4mi_QKV_mfma4_kernelIDF16_DF16_LN4vllm18Fp8KVCacheDataTypeE0EhLi16ELi128ELi256ELb0ELi4EEvPKT_PKT0_S7_ifPKiS9_S9_iPKfiiiPfSC_PS2_PT2_iSB_SB_
    .private_segment_fixed_size: 64
    .sgpr_count:     36
    .sgpr_spill_count: 0
    .symbol:         _Z38paged_attention_ll4mi_QKV_mfma4_kernelIDF16_DF16_LN4vllm18Fp8KVCacheDataTypeE0EhLi16ELi128ELi256ELb0ELi4EEvPKT_PKT0_S7_ifPKiS9_S9_iPKfiiiPfSC_PS2_PT2_iSB_SB_.kd
    .uniform_work_group_size: 1
    .uses_dynamic_stack: false
    .vgpr_count:     51
    .vgpr_spill_count: 0
    .wavefront_size: 32
  - .args:
      - .actual_access:  read_only
        .address_space:  global
        .offset:         0
        .size:           8
        .value_kind:     global_buffer
      - .actual_access:  read_only
        .address_space:  global
        .offset:         8
        .size:           8
        .value_kind:     global_buffer
      - .actual_access:  read_only
        .address_space:  global
        .offset:         16
        .size:           8
        .value_kind:     global_buffer
      - .offset:         24
        .size:           4
        .value_kind:     by_value
      - .offset:         28
        .size:           4
        .value_kind:     by_value
      - .actual_access:  read_only
        .address_space:  global
        .offset:         32
        .size:           8
        .value_kind:     global_buffer
      - .actual_access:  read_only
        .address_space:  global
        .offset:         40
        .size:           8
        .value_kind:     global_buffer
      - .actual_access:  read_only
        .address_space:  global
        .offset:         48
        .size:           8
        .value_kind:     global_buffer
      - .offset:         56
        .size:           4
        .value_kind:     by_value
      - .actual_access:  read_only
        .address_space:  global
        .offset:         64
        .size:           8
        .value_kind:     global_buffer
      - .offset:         72
        .size:           4
        .value_kind:     by_value
      - .offset:         76
        .size:           4
        .value_kind:     by_value
      - .offset:         80
        .size:           4
        .value_kind:     by_value
      - .actual_access:  read_only
        .address_space:  global
        .offset:         88
        .size:           8
        .value_kind:     global_buffer
      - .actual_access:  read_only
        .address_space:  global
        .offset:         96
        .size:           8
        .value_kind:     global_buffer
      - .actual_access:  read_only
        .address_space:  global
        .offset:         104
        .size:           8
        .value_kind:     global_buffer
      - .actual_access:  read_only
        .address_space:  global
        .offset:         112
        .size:           8
        .value_kind:     global_buffer
      - .offset:         120
        .size:           4
        .value_kind:     by_value
      - .address_space:  global
        .offset:         128
        .size:           8
        .value_kind:     global_buffer
      - .address_space:  global
        .offset:         136
        .size:           8
        .value_kind:     global_buffer
      - .offset:         144
        .size:           4
        .value_kind:     hidden_block_count_x
      - .offset:         148
        .size:           4
        .value_kind:     hidden_block_count_y
      - .offset:         152
        .size:           4
        .value_kind:     hidden_block_count_z
      - .offset:         156
        .size:           2
        .value_kind:     hidden_group_size_x
      - .offset:         158
        .size:           2
        .value_kind:     hidden_group_size_y
      - .offset:         160
        .size:           2
        .value_kind:     hidden_group_size_z
      - .offset:         162
        .size:           2
        .value_kind:     hidden_remainder_x
      - .offset:         164
        .size:           2
        .value_kind:     hidden_remainder_y
      - .offset:         166
        .size:           2
        .value_kind:     hidden_remainder_z
      - .offset:         184
        .size:           8
        .value_kind:     hidden_global_offset_x
      - .offset:         192
        .size:           8
        .value_kind:     hidden_global_offset_y
      - .offset:         200
        .size:           8
        .value_kind:     hidden_global_offset_z
      - .offset:         208
        .size:           2
        .value_kind:     hidden_grid_dims
      - .offset:         224
        .size:           8
        .value_kind:     hidden_hostcall_buffer
    .group_segment_fixed_size: 0
    .kernarg_segment_align: 8
    .kernarg_segment_size: 400
    .language:       OpenCL C
    .language_version:
      - 2
      - 0
    .max_flat_workgroup_size: 256
    .name:           _Z39paged_attention_ll4mi_QKV_mfma16_kernelIDF16_DF16_LN4vllm18Fp8KVCacheDataTypeE0EhLi16ELi128ELi256ELb0ELi5EEvPKT_PKT0_S7_ifPKiS9_S9_iPKfiiiPfSC_PS2_PT2_iSB_SB_
    .private_segment_fixed_size: 64
    .sgpr_count:     36
    .sgpr_spill_count: 0
    .symbol:         _Z39paged_attention_ll4mi_QKV_mfma16_kernelIDF16_DF16_LN4vllm18Fp8KVCacheDataTypeE0EhLi16ELi128ELi256ELb0ELi5EEvPKT_PKT0_S7_ifPKiS9_S9_iPKfiiiPfSC_PS2_PT2_iSB_SB_.kd
    .uniform_work_group_size: 1
    .uses_dynamic_stack: false
    .vgpr_count:     51
    .vgpr_spill_count: 0
    .wavefront_size: 32
  - .args:
      - .actual_access:  read_only
        .address_space:  global
        .offset:         0
        .size:           8
        .value_kind:     global_buffer
      - .actual_access:  read_only
        .address_space:  global
        .offset:         8
        .size:           8
        .value_kind:     global_buffer
      - .actual_access:  read_only
        .address_space:  global
        .offset:         16
        .size:           8
        .value_kind:     global_buffer
      - .offset:         24
        .size:           4
        .value_kind:     by_value
      - .offset:         28
        .size:           4
        .value_kind:     by_value
      - .actual_access:  read_only
        .address_space:  global
        .offset:         32
        .size:           8
        .value_kind:     global_buffer
      - .actual_access:  read_only
        .address_space:  global
        .offset:         40
        .size:           8
        .value_kind:     global_buffer
      - .actual_access:  read_only
        .address_space:  global
        .offset:         48
        .size:           8
        .value_kind:     global_buffer
      - .offset:         56
        .size:           4
        .value_kind:     by_value
      - .actual_access:  read_only
        .address_space:  global
        .offset:         64
        .size:           8
        .value_kind:     global_buffer
      - .offset:         72
        .size:           4
        .value_kind:     by_value
      - .offset:         76
        .size:           4
        .value_kind:     by_value
      - .offset:         80
        .size:           4
        .value_kind:     by_value
      - .actual_access:  read_only
        .address_space:  global
        .offset:         88
        .size:           8
        .value_kind:     global_buffer
      - .actual_access:  read_only
        .address_space:  global
        .offset:         96
        .size:           8
        .value_kind:     global_buffer
      - .actual_access:  read_only
        .address_space:  global
        .offset:         104
        .size:           8
        .value_kind:     global_buffer
      - .actual_access:  read_only
        .address_space:  global
        .offset:         112
        .size:           8
        .value_kind:     global_buffer
      - .offset:         120
        .size:           4
        .value_kind:     by_value
      - .address_space:  global
        .offset:         128
        .size:           8
        .value_kind:     global_buffer
      - .address_space:  global
        .offset:         136
        .size:           8
        .value_kind:     global_buffer
      - .offset:         144
        .size:           4
        .value_kind:     hidden_block_count_x
      - .offset:         148
        .size:           4
        .value_kind:     hidden_block_count_y
      - .offset:         152
        .size:           4
        .value_kind:     hidden_block_count_z
      - .offset:         156
        .size:           2
        .value_kind:     hidden_group_size_x
      - .offset:         158
        .size:           2
        .value_kind:     hidden_group_size_y
      - .offset:         160
        .size:           2
        .value_kind:     hidden_group_size_z
      - .offset:         162
        .size:           2
        .value_kind:     hidden_remainder_x
      - .offset:         164
        .size:           2
        .value_kind:     hidden_remainder_y
      - .offset:         166
        .size:           2
        .value_kind:     hidden_remainder_z
      - .offset:         184
        .size:           8
        .value_kind:     hidden_global_offset_x
      - .offset:         192
        .size:           8
        .value_kind:     hidden_global_offset_y
      - .offset:         200
        .size:           8
        .value_kind:     hidden_global_offset_z
      - .offset:         208
        .size:           2
        .value_kind:     hidden_grid_dims
      - .offset:         224
        .size:           8
        .value_kind:     hidden_hostcall_buffer
    .group_segment_fixed_size: 0
    .kernarg_segment_align: 8
    .kernarg_segment_size: 400
    .language:       OpenCL C
    .language_version:
      - 2
      - 0
    .max_flat_workgroup_size: 256
    .name:           _Z39paged_attention_ll4mi_QKV_mfma16_kernelIDF16_DF16_LN4vllm18Fp8KVCacheDataTypeE0EhLi16ELi128ELi256ELb0ELi6EEvPKT_PKT0_S7_ifPKiS9_S9_iPKfiiiPfSC_PS2_PT2_iSB_SB_
    .private_segment_fixed_size: 64
    .sgpr_count:     36
    .sgpr_spill_count: 0
    .symbol:         _Z39paged_attention_ll4mi_QKV_mfma16_kernelIDF16_DF16_LN4vllm18Fp8KVCacheDataTypeE0EhLi16ELi128ELi256ELb0ELi6EEvPKT_PKT0_S7_ifPKiS9_S9_iPKfiiiPfSC_PS2_PT2_iSB_SB_.kd
    .uniform_work_group_size: 1
    .uses_dynamic_stack: false
    .vgpr_count:     51
    .vgpr_spill_count: 0
    .wavefront_size: 32
  - .args:
      - .actual_access:  read_only
        .address_space:  global
        .offset:         0
        .size:           8
        .value_kind:     global_buffer
      - .actual_access:  read_only
        .address_space:  global
        .offset:         8
        .size:           8
        .value_kind:     global_buffer
      - .actual_access:  read_only
        .address_space:  global
        .offset:         16
        .size:           8
        .value_kind:     global_buffer
      - .offset:         24
        .size:           4
        .value_kind:     by_value
      - .offset:         28
        .size:           4
        .value_kind:     by_value
      - .actual_access:  read_only
        .address_space:  global
        .offset:         32
        .size:           8
        .value_kind:     global_buffer
      - .actual_access:  read_only
        .address_space:  global
        .offset:         40
        .size:           8
        .value_kind:     global_buffer
      - .actual_access:  read_only
        .address_space:  global
        .offset:         48
        .size:           8
        .value_kind:     global_buffer
      - .offset:         56
        .size:           4
        .value_kind:     by_value
      - .actual_access:  read_only
        .address_space:  global
        .offset:         64
        .size:           8
        .value_kind:     global_buffer
      - .offset:         72
        .size:           4
        .value_kind:     by_value
      - .offset:         76
        .size:           4
        .value_kind:     by_value
      - .offset:         80
        .size:           4
        .value_kind:     by_value
      - .actual_access:  read_only
        .address_space:  global
        .offset:         88
        .size:           8
        .value_kind:     global_buffer
      - .actual_access:  read_only
        .address_space:  global
        .offset:         96
        .size:           8
        .value_kind:     global_buffer
      - .actual_access:  read_only
        .address_space:  global
        .offset:         104
        .size:           8
        .value_kind:     global_buffer
      - .actual_access:  read_only
        .address_space:  global
        .offset:         112
        .size:           8
        .value_kind:     global_buffer
      - .offset:         120
        .size:           4
        .value_kind:     by_value
      - .address_space:  global
        .offset:         128
        .size:           8
        .value_kind:     global_buffer
      - .address_space:  global
        .offset:         136
        .size:           8
        .value_kind:     global_buffer
      - .offset:         144
        .size:           4
        .value_kind:     hidden_block_count_x
      - .offset:         148
        .size:           4
        .value_kind:     hidden_block_count_y
      - .offset:         152
        .size:           4
        .value_kind:     hidden_block_count_z
      - .offset:         156
        .size:           2
        .value_kind:     hidden_group_size_x
      - .offset:         158
        .size:           2
        .value_kind:     hidden_group_size_y
      - .offset:         160
        .size:           2
        .value_kind:     hidden_group_size_z
      - .offset:         162
        .size:           2
        .value_kind:     hidden_remainder_x
      - .offset:         164
        .size:           2
        .value_kind:     hidden_remainder_y
      - .offset:         166
        .size:           2
        .value_kind:     hidden_remainder_z
      - .offset:         184
        .size:           8
        .value_kind:     hidden_global_offset_x
      - .offset:         192
        .size:           8
        .value_kind:     hidden_global_offset_y
      - .offset:         200
        .size:           8
        .value_kind:     hidden_global_offset_z
      - .offset:         208
        .size:           2
        .value_kind:     hidden_grid_dims
      - .offset:         224
        .size:           8
        .value_kind:     hidden_hostcall_buffer
    .group_segment_fixed_size: 0
    .kernarg_segment_align: 8
    .kernarg_segment_size: 400
    .language:       OpenCL C
    .language_version:
      - 2
      - 0
    .max_flat_workgroup_size: 256
    .name:           _Z39paged_attention_ll4mi_QKV_mfma16_kernelIDF16_DF16_LN4vllm18Fp8KVCacheDataTypeE0EhLi16ELi128ELi256ELb0ELi7EEvPKT_PKT0_S7_ifPKiS9_S9_iPKfiiiPfSC_PS2_PT2_iSB_SB_
    .private_segment_fixed_size: 64
    .sgpr_count:     36
    .sgpr_spill_count: 0
    .symbol:         _Z39paged_attention_ll4mi_QKV_mfma16_kernelIDF16_DF16_LN4vllm18Fp8KVCacheDataTypeE0EhLi16ELi128ELi256ELb0ELi7EEvPKT_PKT0_S7_ifPKiS9_S9_iPKfiiiPfSC_PS2_PT2_iSB_SB_.kd
    .uniform_work_group_size: 1
    .uses_dynamic_stack: false
    .vgpr_count:     51
    .vgpr_spill_count: 0
    .wavefront_size: 32
  - .args:
      - .actual_access:  read_only
        .address_space:  global
        .offset:         0
        .size:           8
        .value_kind:     global_buffer
      - .actual_access:  read_only
        .address_space:  global
        .offset:         8
        .size:           8
        .value_kind:     global_buffer
      - .actual_access:  read_only
        .address_space:  global
        .offset:         16
        .size:           8
        .value_kind:     global_buffer
      - .offset:         24
        .size:           4
        .value_kind:     by_value
      - .offset:         28
        .size:           4
        .value_kind:     by_value
      - .actual_access:  read_only
        .address_space:  global
        .offset:         32
        .size:           8
        .value_kind:     global_buffer
      - .actual_access:  read_only
        .address_space:  global
        .offset:         40
        .size:           8
        .value_kind:     global_buffer
      - .actual_access:  read_only
        .address_space:  global
        .offset:         48
        .size:           8
        .value_kind:     global_buffer
      - .offset:         56
        .size:           4
        .value_kind:     by_value
      - .actual_access:  read_only
        .address_space:  global
        .offset:         64
        .size:           8
        .value_kind:     global_buffer
      - .offset:         72
        .size:           4
        .value_kind:     by_value
      - .offset:         76
        .size:           4
        .value_kind:     by_value
      - .offset:         80
        .size:           4
        .value_kind:     by_value
      - .actual_access:  read_only
        .address_space:  global
        .offset:         88
        .size:           8
        .value_kind:     global_buffer
      - .actual_access:  read_only
        .address_space:  global
        .offset:         96
        .size:           8
        .value_kind:     global_buffer
      - .actual_access:  read_only
        .address_space:  global
        .offset:         104
        .size:           8
        .value_kind:     global_buffer
      - .actual_access:  read_only
        .address_space:  global
        .offset:         112
        .size:           8
        .value_kind:     global_buffer
      - .offset:         120
        .size:           4
        .value_kind:     by_value
      - .address_space:  global
        .offset:         128
        .size:           8
        .value_kind:     global_buffer
      - .address_space:  global
        .offset:         136
        .size:           8
        .value_kind:     global_buffer
      - .offset:         144
        .size:           4
        .value_kind:     hidden_block_count_x
      - .offset:         148
        .size:           4
        .value_kind:     hidden_block_count_y
      - .offset:         152
        .size:           4
        .value_kind:     hidden_block_count_z
      - .offset:         156
        .size:           2
        .value_kind:     hidden_group_size_x
      - .offset:         158
        .size:           2
        .value_kind:     hidden_group_size_y
      - .offset:         160
        .size:           2
        .value_kind:     hidden_group_size_z
      - .offset:         162
        .size:           2
        .value_kind:     hidden_remainder_x
      - .offset:         164
        .size:           2
        .value_kind:     hidden_remainder_y
      - .offset:         166
        .size:           2
        .value_kind:     hidden_remainder_z
      - .offset:         184
        .size:           8
        .value_kind:     hidden_global_offset_x
      - .offset:         192
        .size:           8
        .value_kind:     hidden_global_offset_y
      - .offset:         200
        .size:           8
        .value_kind:     hidden_global_offset_z
      - .offset:         208
        .size:           2
        .value_kind:     hidden_grid_dims
      - .offset:         224
        .size:           8
        .value_kind:     hidden_hostcall_buffer
    .group_segment_fixed_size: 0
    .kernarg_segment_align: 8
    .kernarg_segment_size: 400
    .language:       OpenCL C
    .language_version:
      - 2
      - 0
    .max_flat_workgroup_size: 256
    .name:           _Z39paged_attention_ll4mi_QKV_mfma16_kernelIDF16_DF16_LN4vllm18Fp8KVCacheDataTypeE0EhLi16ELi128ELi256ELb0ELi8EEvPKT_PKT0_S7_ifPKiS9_S9_iPKfiiiPfSC_PS2_PT2_iSB_SB_
    .private_segment_fixed_size: 64
    .sgpr_count:     36
    .sgpr_spill_count: 0
    .symbol:         _Z39paged_attention_ll4mi_QKV_mfma16_kernelIDF16_DF16_LN4vllm18Fp8KVCacheDataTypeE0EhLi16ELi128ELi256ELb0ELi8EEvPKT_PKT0_S7_ifPKiS9_S9_iPKfiiiPfSC_PS2_PT2_iSB_SB_.kd
    .uniform_work_group_size: 1
    .uses_dynamic_stack: false
    .vgpr_count:     51
    .vgpr_spill_count: 0
    .wavefront_size: 32
  - .args:
      - .actual_access:  read_only
        .address_space:  global
        .offset:         0
        .size:           8
        .value_kind:     global_buffer
      - .actual_access:  read_only
        .address_space:  global
        .offset:         8
        .size:           8
        .value_kind:     global_buffer
      - .actual_access:  read_only
        .address_space:  global
        .offset:         16
        .size:           8
        .value_kind:     global_buffer
      - .offset:         24
        .size:           4
        .value_kind:     by_value
      - .offset:         28
        .size:           4
        .value_kind:     by_value
      - .actual_access:  read_only
        .address_space:  global
        .offset:         32
        .size:           8
        .value_kind:     global_buffer
      - .actual_access:  read_only
        .address_space:  global
        .offset:         40
        .size:           8
        .value_kind:     global_buffer
      - .actual_access:  read_only
        .address_space:  global
        .offset:         48
        .size:           8
        .value_kind:     global_buffer
      - .offset:         56
        .size:           4
        .value_kind:     by_value
      - .actual_access:  read_only
        .address_space:  global
        .offset:         64
        .size:           8
        .value_kind:     global_buffer
      - .offset:         72
        .size:           4
        .value_kind:     by_value
      - .offset:         76
        .size:           4
        .value_kind:     by_value
      - .offset:         80
        .size:           4
        .value_kind:     by_value
      - .actual_access:  read_only
        .address_space:  global
        .offset:         88
        .size:           8
        .value_kind:     global_buffer
      - .actual_access:  read_only
        .address_space:  global
        .offset:         96
        .size:           8
        .value_kind:     global_buffer
      - .actual_access:  read_only
        .address_space:  global
        .offset:         104
        .size:           8
        .value_kind:     global_buffer
      - .actual_access:  read_only
        .address_space:  global
        .offset:         112
        .size:           8
        .value_kind:     global_buffer
      - .offset:         120
        .size:           4
        .value_kind:     by_value
      - .address_space:  global
        .offset:         128
        .size:           8
        .value_kind:     global_buffer
      - .address_space:  global
        .offset:         136
        .size:           8
        .value_kind:     global_buffer
      - .offset:         144
        .size:           4
        .value_kind:     hidden_block_count_x
      - .offset:         148
        .size:           4
        .value_kind:     hidden_block_count_y
      - .offset:         152
        .size:           4
        .value_kind:     hidden_block_count_z
      - .offset:         156
        .size:           2
        .value_kind:     hidden_group_size_x
      - .offset:         158
        .size:           2
        .value_kind:     hidden_group_size_y
      - .offset:         160
        .size:           2
        .value_kind:     hidden_group_size_z
      - .offset:         162
        .size:           2
        .value_kind:     hidden_remainder_x
      - .offset:         164
        .size:           2
        .value_kind:     hidden_remainder_y
      - .offset:         166
        .size:           2
        .value_kind:     hidden_remainder_z
      - .offset:         184
        .size:           8
        .value_kind:     hidden_global_offset_x
      - .offset:         192
        .size:           8
        .value_kind:     hidden_global_offset_y
      - .offset:         200
        .size:           8
        .value_kind:     hidden_global_offset_z
      - .offset:         208
        .size:           2
        .value_kind:     hidden_grid_dims
      - .offset:         224
        .size:           8
        .value_kind:     hidden_hostcall_buffer
    .group_segment_fixed_size: 0
    .kernarg_segment_align: 8
    .kernarg_segment_size: 400
    .language:       OpenCL C
    .language_version:
      - 2
      - 0
    .max_flat_workgroup_size: 256
    .name:           _Z39paged_attention_ll4mi_QKV_mfma16_kernelIDF16_DF16_LN4vllm18Fp8KVCacheDataTypeE0EhLi16ELi128ELi256ELb0ELi9EEvPKT_PKT0_S7_ifPKiS9_S9_iPKfiiiPfSC_PS2_PT2_iSB_SB_
    .private_segment_fixed_size: 64
    .sgpr_count:     36
    .sgpr_spill_count: 0
    .symbol:         _Z39paged_attention_ll4mi_QKV_mfma16_kernelIDF16_DF16_LN4vllm18Fp8KVCacheDataTypeE0EhLi16ELi128ELi256ELb0ELi9EEvPKT_PKT0_S7_ifPKiS9_S9_iPKfiiiPfSC_PS2_PT2_iSB_SB_.kd
    .uniform_work_group_size: 1
    .uses_dynamic_stack: false
    .vgpr_count:     51
    .vgpr_spill_count: 0
    .wavefront_size: 32
  - .args:
      - .actual_access:  read_only
        .address_space:  global
        .offset:         0
        .size:           8
        .value_kind:     global_buffer
      - .actual_access:  read_only
        .address_space:  global
        .offset:         8
        .size:           8
        .value_kind:     global_buffer
      - .actual_access:  read_only
        .address_space:  global
        .offset:         16
        .size:           8
        .value_kind:     global_buffer
      - .offset:         24
        .size:           4
        .value_kind:     by_value
      - .offset:         28
        .size:           4
        .value_kind:     by_value
      - .actual_access:  read_only
        .address_space:  global
        .offset:         32
        .size:           8
        .value_kind:     global_buffer
      - .actual_access:  read_only
        .address_space:  global
        .offset:         40
        .size:           8
        .value_kind:     global_buffer
      - .actual_access:  read_only
        .address_space:  global
        .offset:         48
        .size:           8
        .value_kind:     global_buffer
      - .offset:         56
        .size:           4
        .value_kind:     by_value
      - .actual_access:  read_only
        .address_space:  global
        .offset:         64
        .size:           8
        .value_kind:     global_buffer
      - .offset:         72
        .size:           4
        .value_kind:     by_value
      - .offset:         76
        .size:           4
        .value_kind:     by_value
      - .offset:         80
        .size:           4
        .value_kind:     by_value
      - .actual_access:  read_only
        .address_space:  global
        .offset:         88
        .size:           8
        .value_kind:     global_buffer
      - .actual_access:  read_only
        .address_space:  global
        .offset:         96
        .size:           8
        .value_kind:     global_buffer
      - .actual_access:  read_only
        .address_space:  global
        .offset:         104
        .size:           8
        .value_kind:     global_buffer
      - .actual_access:  read_only
        .address_space:  global
        .offset:         112
        .size:           8
        .value_kind:     global_buffer
      - .offset:         120
        .size:           4
        .value_kind:     by_value
      - .address_space:  global
        .offset:         128
        .size:           8
        .value_kind:     global_buffer
      - .address_space:  global
        .offset:         136
        .size:           8
        .value_kind:     global_buffer
      - .offset:         144
        .size:           4
        .value_kind:     hidden_block_count_x
      - .offset:         148
        .size:           4
        .value_kind:     hidden_block_count_y
      - .offset:         152
        .size:           4
        .value_kind:     hidden_block_count_z
      - .offset:         156
        .size:           2
        .value_kind:     hidden_group_size_x
      - .offset:         158
        .size:           2
        .value_kind:     hidden_group_size_y
      - .offset:         160
        .size:           2
        .value_kind:     hidden_group_size_z
      - .offset:         162
        .size:           2
        .value_kind:     hidden_remainder_x
      - .offset:         164
        .size:           2
        .value_kind:     hidden_remainder_y
      - .offset:         166
        .size:           2
        .value_kind:     hidden_remainder_z
      - .offset:         184
        .size:           8
        .value_kind:     hidden_global_offset_x
      - .offset:         192
        .size:           8
        .value_kind:     hidden_global_offset_y
      - .offset:         200
        .size:           8
        .value_kind:     hidden_global_offset_z
      - .offset:         208
        .size:           2
        .value_kind:     hidden_grid_dims
      - .offset:         224
        .size:           8
        .value_kind:     hidden_hostcall_buffer
    .group_segment_fixed_size: 0
    .kernarg_segment_align: 8
    .kernarg_segment_size: 400
    .language:       OpenCL C
    .language_version:
      - 2
      - 0
    .max_flat_workgroup_size: 256
    .name:           _Z39paged_attention_ll4mi_QKV_mfma16_kernelIDF16_DF16_LN4vllm18Fp8KVCacheDataTypeE0EhLi16ELi128ELi256ELb0ELi10EEvPKT_PKT0_S7_ifPKiS9_S9_iPKfiiiPfSC_PS2_PT2_iSB_SB_
    .private_segment_fixed_size: 64
    .sgpr_count:     36
    .sgpr_spill_count: 0
    .symbol:         _Z39paged_attention_ll4mi_QKV_mfma16_kernelIDF16_DF16_LN4vllm18Fp8KVCacheDataTypeE0EhLi16ELi128ELi256ELb0ELi10EEvPKT_PKT0_S7_ifPKiS9_S9_iPKfiiiPfSC_PS2_PT2_iSB_SB_.kd
    .uniform_work_group_size: 1
    .uses_dynamic_stack: false
    .vgpr_count:     51
    .vgpr_spill_count: 0
    .wavefront_size: 32
  - .args:
      - .actual_access:  read_only
        .address_space:  global
        .offset:         0
        .size:           8
        .value_kind:     global_buffer
      - .actual_access:  read_only
        .address_space:  global
        .offset:         8
        .size:           8
        .value_kind:     global_buffer
      - .actual_access:  read_only
        .address_space:  global
        .offset:         16
        .size:           8
        .value_kind:     global_buffer
      - .offset:         24
        .size:           4
        .value_kind:     by_value
      - .offset:         28
        .size:           4
        .value_kind:     by_value
      - .actual_access:  read_only
        .address_space:  global
        .offset:         32
        .size:           8
        .value_kind:     global_buffer
      - .actual_access:  read_only
        .address_space:  global
        .offset:         40
        .size:           8
        .value_kind:     global_buffer
      - .actual_access:  read_only
        .address_space:  global
        .offset:         48
        .size:           8
        .value_kind:     global_buffer
      - .offset:         56
        .size:           4
        .value_kind:     by_value
      - .actual_access:  read_only
        .address_space:  global
        .offset:         64
        .size:           8
        .value_kind:     global_buffer
      - .offset:         72
        .size:           4
        .value_kind:     by_value
      - .offset:         76
        .size:           4
        .value_kind:     by_value
      - .offset:         80
        .size:           4
        .value_kind:     by_value
      - .actual_access:  read_only
        .address_space:  global
        .offset:         88
        .size:           8
        .value_kind:     global_buffer
      - .actual_access:  read_only
        .address_space:  global
        .offset:         96
        .size:           8
        .value_kind:     global_buffer
      - .actual_access:  read_only
        .address_space:  global
        .offset:         104
        .size:           8
        .value_kind:     global_buffer
      - .actual_access:  read_only
        .address_space:  global
        .offset:         112
        .size:           8
        .value_kind:     global_buffer
      - .offset:         120
        .size:           4
        .value_kind:     by_value
      - .address_space:  global
        .offset:         128
        .size:           8
        .value_kind:     global_buffer
      - .address_space:  global
        .offset:         136
        .size:           8
        .value_kind:     global_buffer
      - .offset:         144
        .size:           4
        .value_kind:     hidden_block_count_x
      - .offset:         148
        .size:           4
        .value_kind:     hidden_block_count_y
      - .offset:         152
        .size:           4
        .value_kind:     hidden_block_count_z
      - .offset:         156
        .size:           2
        .value_kind:     hidden_group_size_x
      - .offset:         158
        .size:           2
        .value_kind:     hidden_group_size_y
      - .offset:         160
        .size:           2
        .value_kind:     hidden_group_size_z
      - .offset:         162
        .size:           2
        .value_kind:     hidden_remainder_x
      - .offset:         164
        .size:           2
        .value_kind:     hidden_remainder_y
      - .offset:         166
        .size:           2
        .value_kind:     hidden_remainder_z
      - .offset:         184
        .size:           8
        .value_kind:     hidden_global_offset_x
      - .offset:         192
        .size:           8
        .value_kind:     hidden_global_offset_y
      - .offset:         200
        .size:           8
        .value_kind:     hidden_global_offset_z
      - .offset:         208
        .size:           2
        .value_kind:     hidden_grid_dims
      - .offset:         224
        .size:           8
        .value_kind:     hidden_hostcall_buffer
    .group_segment_fixed_size: 0
    .kernarg_segment_align: 8
    .kernarg_segment_size: 400
    .language:       OpenCL C
    .language_version:
      - 2
      - 0
    .max_flat_workgroup_size: 256
    .name:           _Z39paged_attention_ll4mi_QKV_mfma16_kernelIDF16_DF16_LN4vllm18Fp8KVCacheDataTypeE0EhLi16ELi128ELi256ELb0ELi11EEvPKT_PKT0_S7_ifPKiS9_S9_iPKfiiiPfSC_PS2_PT2_iSB_SB_
    .private_segment_fixed_size: 64
    .sgpr_count:     36
    .sgpr_spill_count: 0
    .symbol:         _Z39paged_attention_ll4mi_QKV_mfma16_kernelIDF16_DF16_LN4vllm18Fp8KVCacheDataTypeE0EhLi16ELi128ELi256ELb0ELi11EEvPKT_PKT0_S7_ifPKiS9_S9_iPKfiiiPfSC_PS2_PT2_iSB_SB_.kd
    .uniform_work_group_size: 1
    .uses_dynamic_stack: false
    .vgpr_count:     51
    .vgpr_spill_count: 0
    .wavefront_size: 32
  - .args:
      - .actual_access:  read_only
        .address_space:  global
        .offset:         0
        .size:           8
        .value_kind:     global_buffer
      - .actual_access:  read_only
        .address_space:  global
        .offset:         8
        .size:           8
        .value_kind:     global_buffer
      - .actual_access:  read_only
        .address_space:  global
        .offset:         16
        .size:           8
        .value_kind:     global_buffer
      - .offset:         24
        .size:           4
        .value_kind:     by_value
      - .offset:         28
        .size:           4
        .value_kind:     by_value
      - .actual_access:  read_only
        .address_space:  global
        .offset:         32
        .size:           8
        .value_kind:     global_buffer
      - .actual_access:  read_only
        .address_space:  global
        .offset:         40
        .size:           8
        .value_kind:     global_buffer
      - .actual_access:  read_only
        .address_space:  global
        .offset:         48
        .size:           8
        .value_kind:     global_buffer
      - .offset:         56
        .size:           4
        .value_kind:     by_value
      - .actual_access:  read_only
        .address_space:  global
        .offset:         64
        .size:           8
        .value_kind:     global_buffer
      - .offset:         72
        .size:           4
        .value_kind:     by_value
      - .offset:         76
        .size:           4
        .value_kind:     by_value
      - .offset:         80
        .size:           4
        .value_kind:     by_value
      - .actual_access:  read_only
        .address_space:  global
        .offset:         88
        .size:           8
        .value_kind:     global_buffer
      - .actual_access:  read_only
        .address_space:  global
        .offset:         96
        .size:           8
        .value_kind:     global_buffer
      - .actual_access:  read_only
        .address_space:  global
        .offset:         104
        .size:           8
        .value_kind:     global_buffer
      - .actual_access:  read_only
        .address_space:  global
        .offset:         112
        .size:           8
        .value_kind:     global_buffer
      - .offset:         120
        .size:           4
        .value_kind:     by_value
      - .address_space:  global
        .offset:         128
        .size:           8
        .value_kind:     global_buffer
      - .address_space:  global
        .offset:         136
        .size:           8
        .value_kind:     global_buffer
      - .offset:         144
        .size:           4
        .value_kind:     hidden_block_count_x
      - .offset:         148
        .size:           4
        .value_kind:     hidden_block_count_y
      - .offset:         152
        .size:           4
        .value_kind:     hidden_block_count_z
      - .offset:         156
        .size:           2
        .value_kind:     hidden_group_size_x
      - .offset:         158
        .size:           2
        .value_kind:     hidden_group_size_y
      - .offset:         160
        .size:           2
        .value_kind:     hidden_group_size_z
      - .offset:         162
        .size:           2
        .value_kind:     hidden_remainder_x
      - .offset:         164
        .size:           2
        .value_kind:     hidden_remainder_y
      - .offset:         166
        .size:           2
        .value_kind:     hidden_remainder_z
      - .offset:         184
        .size:           8
        .value_kind:     hidden_global_offset_x
      - .offset:         192
        .size:           8
        .value_kind:     hidden_global_offset_y
      - .offset:         200
        .size:           8
        .value_kind:     hidden_global_offset_z
      - .offset:         208
        .size:           2
        .value_kind:     hidden_grid_dims
      - .offset:         224
        .size:           8
        .value_kind:     hidden_hostcall_buffer
    .group_segment_fixed_size: 0
    .kernarg_segment_align: 8
    .kernarg_segment_size: 400
    .language:       OpenCL C
    .language_version:
      - 2
      - 0
    .max_flat_workgroup_size: 256
    .name:           _Z39paged_attention_ll4mi_QKV_mfma16_kernelIDF16_DF16_LN4vllm18Fp8KVCacheDataTypeE0EhLi16ELi128ELi256ELb0ELi12EEvPKT_PKT0_S7_ifPKiS9_S9_iPKfiiiPfSC_PS2_PT2_iSB_SB_
    .private_segment_fixed_size: 64
    .sgpr_count:     36
    .sgpr_spill_count: 0
    .symbol:         _Z39paged_attention_ll4mi_QKV_mfma16_kernelIDF16_DF16_LN4vllm18Fp8KVCacheDataTypeE0EhLi16ELi128ELi256ELb0ELi12EEvPKT_PKT0_S7_ifPKiS9_S9_iPKfiiiPfSC_PS2_PT2_iSB_SB_.kd
    .uniform_work_group_size: 1
    .uses_dynamic_stack: false
    .vgpr_count:     51
    .vgpr_spill_count: 0
    .wavefront_size: 32
  - .args:
      - .actual_access:  read_only
        .address_space:  global
        .offset:         0
        .size:           8
        .value_kind:     global_buffer
      - .actual_access:  read_only
        .address_space:  global
        .offset:         8
        .size:           8
        .value_kind:     global_buffer
      - .actual_access:  read_only
        .address_space:  global
        .offset:         16
        .size:           8
        .value_kind:     global_buffer
      - .offset:         24
        .size:           4
        .value_kind:     by_value
      - .offset:         28
        .size:           4
        .value_kind:     by_value
      - .actual_access:  read_only
        .address_space:  global
        .offset:         32
        .size:           8
        .value_kind:     global_buffer
      - .actual_access:  read_only
        .address_space:  global
        .offset:         40
        .size:           8
        .value_kind:     global_buffer
      - .actual_access:  read_only
        .address_space:  global
        .offset:         48
        .size:           8
        .value_kind:     global_buffer
      - .offset:         56
        .size:           4
        .value_kind:     by_value
      - .actual_access:  read_only
        .address_space:  global
        .offset:         64
        .size:           8
        .value_kind:     global_buffer
      - .offset:         72
        .size:           4
        .value_kind:     by_value
      - .offset:         76
        .size:           4
        .value_kind:     by_value
      - .offset:         80
        .size:           4
        .value_kind:     by_value
      - .actual_access:  read_only
        .address_space:  global
        .offset:         88
        .size:           8
        .value_kind:     global_buffer
      - .actual_access:  read_only
        .address_space:  global
        .offset:         96
        .size:           8
        .value_kind:     global_buffer
      - .actual_access:  read_only
        .address_space:  global
        .offset:         104
        .size:           8
        .value_kind:     global_buffer
      - .actual_access:  read_only
        .address_space:  global
        .offset:         112
        .size:           8
        .value_kind:     global_buffer
      - .offset:         120
        .size:           4
        .value_kind:     by_value
      - .address_space:  global
        .offset:         128
        .size:           8
        .value_kind:     global_buffer
      - .address_space:  global
        .offset:         136
        .size:           8
        .value_kind:     global_buffer
      - .offset:         144
        .size:           4
        .value_kind:     hidden_block_count_x
      - .offset:         148
        .size:           4
        .value_kind:     hidden_block_count_y
      - .offset:         152
        .size:           4
        .value_kind:     hidden_block_count_z
      - .offset:         156
        .size:           2
        .value_kind:     hidden_group_size_x
      - .offset:         158
        .size:           2
        .value_kind:     hidden_group_size_y
      - .offset:         160
        .size:           2
        .value_kind:     hidden_group_size_z
      - .offset:         162
        .size:           2
        .value_kind:     hidden_remainder_x
      - .offset:         164
        .size:           2
        .value_kind:     hidden_remainder_y
      - .offset:         166
        .size:           2
        .value_kind:     hidden_remainder_z
      - .offset:         184
        .size:           8
        .value_kind:     hidden_global_offset_x
      - .offset:         192
        .size:           8
        .value_kind:     hidden_global_offset_y
      - .offset:         200
        .size:           8
        .value_kind:     hidden_global_offset_z
      - .offset:         208
        .size:           2
        .value_kind:     hidden_grid_dims
      - .offset:         224
        .size:           8
        .value_kind:     hidden_hostcall_buffer
    .group_segment_fixed_size: 0
    .kernarg_segment_align: 8
    .kernarg_segment_size: 400
    .language:       OpenCL C
    .language_version:
      - 2
      - 0
    .max_flat_workgroup_size: 256
    .name:           _Z39paged_attention_ll4mi_QKV_mfma16_kernelIDF16_DF16_LN4vllm18Fp8KVCacheDataTypeE0EhLi16ELi128ELi256ELb0ELi13EEvPKT_PKT0_S7_ifPKiS9_S9_iPKfiiiPfSC_PS2_PT2_iSB_SB_
    .private_segment_fixed_size: 64
    .sgpr_count:     36
    .sgpr_spill_count: 0
    .symbol:         _Z39paged_attention_ll4mi_QKV_mfma16_kernelIDF16_DF16_LN4vllm18Fp8KVCacheDataTypeE0EhLi16ELi128ELi256ELb0ELi13EEvPKT_PKT0_S7_ifPKiS9_S9_iPKfiiiPfSC_PS2_PT2_iSB_SB_.kd
    .uniform_work_group_size: 1
    .uses_dynamic_stack: false
    .vgpr_count:     51
    .vgpr_spill_count: 0
    .wavefront_size: 32
  - .args:
      - .actual_access:  read_only
        .address_space:  global
        .offset:         0
        .size:           8
        .value_kind:     global_buffer
      - .actual_access:  read_only
        .address_space:  global
        .offset:         8
        .size:           8
        .value_kind:     global_buffer
      - .actual_access:  read_only
        .address_space:  global
        .offset:         16
        .size:           8
        .value_kind:     global_buffer
      - .offset:         24
        .size:           4
        .value_kind:     by_value
      - .offset:         28
        .size:           4
        .value_kind:     by_value
      - .actual_access:  read_only
        .address_space:  global
        .offset:         32
        .size:           8
        .value_kind:     global_buffer
      - .actual_access:  read_only
        .address_space:  global
        .offset:         40
        .size:           8
        .value_kind:     global_buffer
      - .actual_access:  read_only
        .address_space:  global
        .offset:         48
        .size:           8
        .value_kind:     global_buffer
      - .offset:         56
        .size:           4
        .value_kind:     by_value
      - .actual_access:  read_only
        .address_space:  global
        .offset:         64
        .size:           8
        .value_kind:     global_buffer
      - .offset:         72
        .size:           4
        .value_kind:     by_value
      - .offset:         76
        .size:           4
        .value_kind:     by_value
      - .offset:         80
        .size:           4
        .value_kind:     by_value
      - .actual_access:  read_only
        .address_space:  global
        .offset:         88
        .size:           8
        .value_kind:     global_buffer
      - .actual_access:  read_only
        .address_space:  global
        .offset:         96
        .size:           8
        .value_kind:     global_buffer
      - .actual_access:  read_only
        .address_space:  global
        .offset:         104
        .size:           8
        .value_kind:     global_buffer
      - .actual_access:  read_only
        .address_space:  global
        .offset:         112
        .size:           8
        .value_kind:     global_buffer
      - .offset:         120
        .size:           4
        .value_kind:     by_value
      - .address_space:  global
        .offset:         128
        .size:           8
        .value_kind:     global_buffer
      - .address_space:  global
        .offset:         136
        .size:           8
        .value_kind:     global_buffer
      - .offset:         144
        .size:           4
        .value_kind:     hidden_block_count_x
      - .offset:         148
        .size:           4
        .value_kind:     hidden_block_count_y
      - .offset:         152
        .size:           4
        .value_kind:     hidden_block_count_z
      - .offset:         156
        .size:           2
        .value_kind:     hidden_group_size_x
      - .offset:         158
        .size:           2
        .value_kind:     hidden_group_size_y
      - .offset:         160
        .size:           2
        .value_kind:     hidden_group_size_z
      - .offset:         162
        .size:           2
        .value_kind:     hidden_remainder_x
      - .offset:         164
        .size:           2
        .value_kind:     hidden_remainder_y
      - .offset:         166
        .size:           2
        .value_kind:     hidden_remainder_z
      - .offset:         184
        .size:           8
        .value_kind:     hidden_global_offset_x
      - .offset:         192
        .size:           8
        .value_kind:     hidden_global_offset_y
      - .offset:         200
        .size:           8
        .value_kind:     hidden_global_offset_z
      - .offset:         208
        .size:           2
        .value_kind:     hidden_grid_dims
      - .offset:         224
        .size:           8
        .value_kind:     hidden_hostcall_buffer
    .group_segment_fixed_size: 0
    .kernarg_segment_align: 8
    .kernarg_segment_size: 400
    .language:       OpenCL C
    .language_version:
      - 2
      - 0
    .max_flat_workgroup_size: 256
    .name:           _Z39paged_attention_ll4mi_QKV_mfma16_kernelIDF16_DF16_LN4vllm18Fp8KVCacheDataTypeE0EhLi16ELi128ELi256ELb0ELi14EEvPKT_PKT0_S7_ifPKiS9_S9_iPKfiiiPfSC_PS2_PT2_iSB_SB_
    .private_segment_fixed_size: 64
    .sgpr_count:     36
    .sgpr_spill_count: 0
    .symbol:         _Z39paged_attention_ll4mi_QKV_mfma16_kernelIDF16_DF16_LN4vllm18Fp8KVCacheDataTypeE0EhLi16ELi128ELi256ELb0ELi14EEvPKT_PKT0_S7_ifPKiS9_S9_iPKfiiiPfSC_PS2_PT2_iSB_SB_.kd
    .uniform_work_group_size: 1
    .uses_dynamic_stack: false
    .vgpr_count:     51
    .vgpr_spill_count: 0
    .wavefront_size: 32
  - .args:
      - .actual_access:  read_only
        .address_space:  global
        .offset:         0
        .size:           8
        .value_kind:     global_buffer
      - .actual_access:  read_only
        .address_space:  global
        .offset:         8
        .size:           8
        .value_kind:     global_buffer
      - .actual_access:  read_only
        .address_space:  global
        .offset:         16
        .size:           8
        .value_kind:     global_buffer
      - .offset:         24
        .size:           4
        .value_kind:     by_value
      - .offset:         28
        .size:           4
        .value_kind:     by_value
      - .actual_access:  read_only
        .address_space:  global
        .offset:         32
        .size:           8
        .value_kind:     global_buffer
      - .actual_access:  read_only
        .address_space:  global
        .offset:         40
        .size:           8
        .value_kind:     global_buffer
      - .actual_access:  read_only
        .address_space:  global
        .offset:         48
        .size:           8
        .value_kind:     global_buffer
      - .offset:         56
        .size:           4
        .value_kind:     by_value
      - .actual_access:  read_only
        .address_space:  global
        .offset:         64
        .size:           8
        .value_kind:     global_buffer
      - .offset:         72
        .size:           4
        .value_kind:     by_value
      - .offset:         76
        .size:           4
        .value_kind:     by_value
      - .offset:         80
        .size:           4
        .value_kind:     by_value
      - .actual_access:  read_only
        .address_space:  global
        .offset:         88
        .size:           8
        .value_kind:     global_buffer
      - .actual_access:  read_only
        .address_space:  global
        .offset:         96
        .size:           8
        .value_kind:     global_buffer
      - .actual_access:  read_only
        .address_space:  global
        .offset:         104
        .size:           8
        .value_kind:     global_buffer
      - .actual_access:  read_only
        .address_space:  global
        .offset:         112
        .size:           8
        .value_kind:     global_buffer
      - .offset:         120
        .size:           4
        .value_kind:     by_value
      - .address_space:  global
        .offset:         128
        .size:           8
        .value_kind:     global_buffer
      - .address_space:  global
        .offset:         136
        .size:           8
        .value_kind:     global_buffer
      - .offset:         144
        .size:           4
        .value_kind:     hidden_block_count_x
      - .offset:         148
        .size:           4
        .value_kind:     hidden_block_count_y
      - .offset:         152
        .size:           4
        .value_kind:     hidden_block_count_z
      - .offset:         156
        .size:           2
        .value_kind:     hidden_group_size_x
      - .offset:         158
        .size:           2
        .value_kind:     hidden_group_size_y
      - .offset:         160
        .size:           2
        .value_kind:     hidden_group_size_z
      - .offset:         162
        .size:           2
        .value_kind:     hidden_remainder_x
      - .offset:         164
        .size:           2
        .value_kind:     hidden_remainder_y
      - .offset:         166
        .size:           2
        .value_kind:     hidden_remainder_z
      - .offset:         184
        .size:           8
        .value_kind:     hidden_global_offset_x
      - .offset:         192
        .size:           8
        .value_kind:     hidden_global_offset_y
      - .offset:         200
        .size:           8
        .value_kind:     hidden_global_offset_z
      - .offset:         208
        .size:           2
        .value_kind:     hidden_grid_dims
      - .offset:         224
        .size:           8
        .value_kind:     hidden_hostcall_buffer
    .group_segment_fixed_size: 0
    .kernarg_segment_align: 8
    .kernarg_segment_size: 400
    .language:       OpenCL C
    .language_version:
      - 2
      - 0
    .max_flat_workgroup_size: 256
    .name:           _Z39paged_attention_ll4mi_QKV_mfma16_kernelIDF16_DF16_LN4vllm18Fp8KVCacheDataTypeE0EhLi16ELi128ELi256ELb0ELi15EEvPKT_PKT0_S7_ifPKiS9_S9_iPKfiiiPfSC_PS2_PT2_iSB_SB_
    .private_segment_fixed_size: 64
    .sgpr_count:     36
    .sgpr_spill_count: 0
    .symbol:         _Z39paged_attention_ll4mi_QKV_mfma16_kernelIDF16_DF16_LN4vllm18Fp8KVCacheDataTypeE0EhLi16ELi128ELi256ELb0ELi15EEvPKT_PKT0_S7_ifPKiS9_S9_iPKfiiiPfSC_PS2_PT2_iSB_SB_.kd
    .uniform_work_group_size: 1
    .uses_dynamic_stack: false
    .vgpr_count:     51
    .vgpr_spill_count: 0
    .wavefront_size: 32
  - .args:
      - .actual_access:  read_only
        .address_space:  global
        .offset:         0
        .size:           8
        .value_kind:     global_buffer
      - .actual_access:  read_only
        .address_space:  global
        .offset:         8
        .size:           8
        .value_kind:     global_buffer
      - .actual_access:  read_only
        .address_space:  global
        .offset:         16
        .size:           8
        .value_kind:     global_buffer
      - .offset:         24
        .size:           4
        .value_kind:     by_value
      - .offset:         28
        .size:           4
        .value_kind:     by_value
      - .actual_access:  read_only
        .address_space:  global
        .offset:         32
        .size:           8
        .value_kind:     global_buffer
      - .actual_access:  read_only
        .address_space:  global
        .offset:         40
        .size:           8
        .value_kind:     global_buffer
      - .actual_access:  read_only
        .address_space:  global
        .offset:         48
        .size:           8
        .value_kind:     global_buffer
      - .offset:         56
        .size:           4
        .value_kind:     by_value
      - .actual_access:  read_only
        .address_space:  global
        .offset:         64
        .size:           8
        .value_kind:     global_buffer
      - .offset:         72
        .size:           4
        .value_kind:     by_value
      - .offset:         76
        .size:           4
        .value_kind:     by_value
      - .offset:         80
        .size:           4
        .value_kind:     by_value
      - .actual_access:  read_only
        .address_space:  global
        .offset:         88
        .size:           8
        .value_kind:     global_buffer
      - .actual_access:  read_only
        .address_space:  global
        .offset:         96
        .size:           8
        .value_kind:     global_buffer
      - .actual_access:  read_only
        .address_space:  global
        .offset:         104
        .size:           8
        .value_kind:     global_buffer
      - .actual_access:  read_only
        .address_space:  global
        .offset:         112
        .size:           8
        .value_kind:     global_buffer
      - .offset:         120
        .size:           4
        .value_kind:     by_value
      - .address_space:  global
        .offset:         128
        .size:           8
        .value_kind:     global_buffer
      - .address_space:  global
        .offset:         136
        .size:           8
        .value_kind:     global_buffer
      - .offset:         144
        .size:           4
        .value_kind:     hidden_block_count_x
      - .offset:         148
        .size:           4
        .value_kind:     hidden_block_count_y
      - .offset:         152
        .size:           4
        .value_kind:     hidden_block_count_z
      - .offset:         156
        .size:           2
        .value_kind:     hidden_group_size_x
      - .offset:         158
        .size:           2
        .value_kind:     hidden_group_size_y
      - .offset:         160
        .size:           2
        .value_kind:     hidden_group_size_z
      - .offset:         162
        .size:           2
        .value_kind:     hidden_remainder_x
      - .offset:         164
        .size:           2
        .value_kind:     hidden_remainder_y
      - .offset:         166
        .size:           2
        .value_kind:     hidden_remainder_z
      - .offset:         184
        .size:           8
        .value_kind:     hidden_global_offset_x
      - .offset:         192
        .size:           8
        .value_kind:     hidden_global_offset_y
      - .offset:         200
        .size:           8
        .value_kind:     hidden_global_offset_z
      - .offset:         208
        .size:           2
        .value_kind:     hidden_grid_dims
      - .offset:         224
        .size:           8
        .value_kind:     hidden_hostcall_buffer
    .group_segment_fixed_size: 0
    .kernarg_segment_align: 8
    .kernarg_segment_size: 400
    .language:       OpenCL C
    .language_version:
      - 2
      - 0
    .max_flat_workgroup_size: 256
    .name:           _Z39paged_attention_ll4mi_QKV_mfma16_kernelIDF16_DF16_LN4vllm18Fp8KVCacheDataTypeE0EhLi16ELi128ELi256ELb0ELi16EEvPKT_PKT0_S7_ifPKiS9_S9_iPKfiiiPfSC_PS2_PT2_iSB_SB_
    .private_segment_fixed_size: 64
    .sgpr_count:     36
    .sgpr_spill_count: 0
    .symbol:         _Z39paged_attention_ll4mi_QKV_mfma16_kernelIDF16_DF16_LN4vllm18Fp8KVCacheDataTypeE0EhLi16ELi128ELi256ELb0ELi16EEvPKT_PKT0_S7_ifPKiS9_S9_iPKfiiiPfSC_PS2_PT2_iSB_SB_.kd
    .uniform_work_group_size: 1
    .uses_dynamic_stack: false
    .vgpr_count:     51
    .vgpr_spill_count: 0
    .wavefront_size: 32
  - .args:
      - .actual_access:  read_only
        .address_space:  global
        .offset:         0
        .size:           8
        .value_kind:     global_buffer
      - .actual_access:  read_only
        .address_space:  global
        .offset:         8
        .size:           8
        .value_kind:     global_buffer
      - .actual_access:  read_only
        .address_space:  global
        .offset:         16
        .size:           8
        .value_kind:     global_buffer
      - .offset:         24
        .size:           4
        .value_kind:     by_value
      - .offset:         28
        .size:           4
        .value_kind:     by_value
      - .actual_access:  read_only
        .address_space:  global
        .offset:         32
        .size:           8
        .value_kind:     global_buffer
      - .actual_access:  read_only
        .address_space:  global
        .offset:         40
        .size:           8
        .value_kind:     global_buffer
      - .actual_access:  read_only
        .address_space:  global
        .offset:         48
        .size:           8
        .value_kind:     global_buffer
      - .offset:         56
        .size:           4
        .value_kind:     by_value
      - .actual_access:  read_only
        .address_space:  global
        .offset:         64
        .size:           8
        .value_kind:     global_buffer
      - .offset:         72
        .size:           4
        .value_kind:     by_value
      - .offset:         76
        .size:           4
        .value_kind:     by_value
      - .offset:         80
        .size:           4
        .value_kind:     by_value
      - .actual_access:  read_only
        .address_space:  global
        .offset:         88
        .size:           8
        .value_kind:     global_buffer
      - .actual_access:  read_only
        .address_space:  global
        .offset:         96
        .size:           8
        .value_kind:     global_buffer
      - .actual_access:  read_only
        .address_space:  global
        .offset:         104
        .size:           8
        .value_kind:     global_buffer
      - .actual_access:  read_only
        .address_space:  global
        .offset:         112
        .size:           8
        .value_kind:     global_buffer
      - .offset:         120
        .size:           4
        .value_kind:     by_value
      - .address_space:  global
        .offset:         128
        .size:           8
        .value_kind:     global_buffer
      - .address_space:  global
        .offset:         136
        .size:           8
        .value_kind:     global_buffer
      - .offset:         144
        .size:           4
        .value_kind:     hidden_block_count_x
      - .offset:         148
        .size:           4
        .value_kind:     hidden_block_count_y
      - .offset:         152
        .size:           4
        .value_kind:     hidden_block_count_z
      - .offset:         156
        .size:           2
        .value_kind:     hidden_group_size_x
      - .offset:         158
        .size:           2
        .value_kind:     hidden_group_size_y
      - .offset:         160
        .size:           2
        .value_kind:     hidden_group_size_z
      - .offset:         162
        .size:           2
        .value_kind:     hidden_remainder_x
      - .offset:         164
        .size:           2
        .value_kind:     hidden_remainder_y
      - .offset:         166
        .size:           2
        .value_kind:     hidden_remainder_z
      - .offset:         184
        .size:           8
        .value_kind:     hidden_global_offset_x
      - .offset:         192
        .size:           8
        .value_kind:     hidden_global_offset_y
      - .offset:         200
        .size:           8
        .value_kind:     hidden_global_offset_z
      - .offset:         208
        .size:           2
        .value_kind:     hidden_grid_dims
      - .offset:         224
        .size:           8
        .value_kind:     hidden_hostcall_buffer
    .group_segment_fixed_size: 0
    .kernarg_segment_align: 8
    .kernarg_segment_size: 400
    .language:       OpenCL C
    .language_version:
      - 2
      - 0
    .max_flat_workgroup_size: 256
    .name:           _Z39paged_attention_ll4mi_QKV_mfma16_kernelIDF16_DF16_LN4vllm18Fp8KVCacheDataTypeE0EhLi16ELi128ELi256ELb0ELi1EEvPKT_PKT0_S7_ifPKiS9_S9_iPKfiiiPfSC_PS2_PT2_iSB_SB_
    .private_segment_fixed_size: 64
    .sgpr_count:     36
    .sgpr_spill_count: 0
    .symbol:         _Z39paged_attention_ll4mi_QKV_mfma16_kernelIDF16_DF16_LN4vllm18Fp8KVCacheDataTypeE0EhLi16ELi128ELi256ELb0ELi1EEvPKT_PKT0_S7_ifPKiS9_S9_iPKfiiiPfSC_PS2_PT2_iSB_SB_.kd
    .uniform_work_group_size: 1
    .uses_dynamic_stack: false
    .vgpr_count:     51
    .vgpr_spill_count: 0
    .wavefront_size: 32
  - .args:
      - .actual_access:  read_only
        .address_space:  global
        .offset:         0
        .size:           8
        .value_kind:     global_buffer
      - .actual_access:  read_only
        .address_space:  global
        .offset:         8
        .size:           8
        .value_kind:     global_buffer
      - .actual_access:  read_only
        .address_space:  global
        .offset:         16
        .size:           8
        .value_kind:     global_buffer
      - .offset:         24
        .size:           4
        .value_kind:     by_value
      - .offset:         28
        .size:           4
        .value_kind:     by_value
      - .actual_access:  read_only
        .address_space:  global
        .offset:         32
        .size:           8
        .value_kind:     global_buffer
      - .actual_access:  read_only
        .address_space:  global
        .offset:         40
        .size:           8
        .value_kind:     global_buffer
      - .actual_access:  read_only
        .address_space:  global
        .offset:         48
        .size:           8
        .value_kind:     global_buffer
      - .offset:         56
        .size:           4
        .value_kind:     by_value
      - .actual_access:  read_only
        .address_space:  global
        .offset:         64
        .size:           8
        .value_kind:     global_buffer
      - .offset:         72
        .size:           4
        .value_kind:     by_value
      - .offset:         76
        .size:           4
        .value_kind:     by_value
      - .offset:         80
        .size:           4
        .value_kind:     by_value
      - .actual_access:  read_only
        .address_space:  global
        .offset:         88
        .size:           8
        .value_kind:     global_buffer
      - .actual_access:  read_only
        .address_space:  global
        .offset:         96
        .size:           8
        .value_kind:     global_buffer
      - .actual_access:  read_only
        .address_space:  global
        .offset:         104
        .size:           8
        .value_kind:     global_buffer
      - .actual_access:  read_only
        .address_space:  global
        .offset:         112
        .size:           8
        .value_kind:     global_buffer
      - .offset:         120
        .size:           4
        .value_kind:     by_value
      - .address_space:  global
        .offset:         128
        .size:           8
        .value_kind:     global_buffer
      - .address_space:  global
        .offset:         136
        .size:           8
        .value_kind:     global_buffer
      - .offset:         144
        .size:           4
        .value_kind:     hidden_block_count_x
      - .offset:         148
        .size:           4
        .value_kind:     hidden_block_count_y
      - .offset:         152
        .size:           4
        .value_kind:     hidden_block_count_z
      - .offset:         156
        .size:           2
        .value_kind:     hidden_group_size_x
      - .offset:         158
        .size:           2
        .value_kind:     hidden_group_size_y
      - .offset:         160
        .size:           2
        .value_kind:     hidden_group_size_z
      - .offset:         162
        .size:           2
        .value_kind:     hidden_remainder_x
      - .offset:         164
        .size:           2
        .value_kind:     hidden_remainder_y
      - .offset:         166
        .size:           2
        .value_kind:     hidden_remainder_z
      - .offset:         184
        .size:           8
        .value_kind:     hidden_global_offset_x
      - .offset:         192
        .size:           8
        .value_kind:     hidden_global_offset_y
      - .offset:         200
        .size:           8
        .value_kind:     hidden_global_offset_z
      - .offset:         208
        .size:           2
        .value_kind:     hidden_grid_dims
      - .offset:         224
        .size:           8
        .value_kind:     hidden_hostcall_buffer
    .group_segment_fixed_size: 0
    .kernarg_segment_align: 8
    .kernarg_segment_size: 400
    .language:       OpenCL C
    .language_version:
      - 2
      - 0
    .max_flat_workgroup_size: 256
    .name:           _Z39paged_attention_ll4mi_QKV_mfma16_kernelIDF16_DF16_LN4vllm18Fp8KVCacheDataTypeE0EhLi16ELi128ELi256ELb0ELi2EEvPKT_PKT0_S7_ifPKiS9_S9_iPKfiiiPfSC_PS2_PT2_iSB_SB_
    .private_segment_fixed_size: 64
    .sgpr_count:     36
    .sgpr_spill_count: 0
    .symbol:         _Z39paged_attention_ll4mi_QKV_mfma16_kernelIDF16_DF16_LN4vllm18Fp8KVCacheDataTypeE0EhLi16ELi128ELi256ELb0ELi2EEvPKT_PKT0_S7_ifPKiS9_S9_iPKfiiiPfSC_PS2_PT2_iSB_SB_.kd
    .uniform_work_group_size: 1
    .uses_dynamic_stack: false
    .vgpr_count:     51
    .vgpr_spill_count: 0
    .wavefront_size: 32
  - .args:
      - .actual_access:  read_only
        .address_space:  global
        .offset:         0
        .size:           8
        .value_kind:     global_buffer
      - .actual_access:  read_only
        .address_space:  global
        .offset:         8
        .size:           8
        .value_kind:     global_buffer
      - .actual_access:  read_only
        .address_space:  global
        .offset:         16
        .size:           8
        .value_kind:     global_buffer
      - .offset:         24
        .size:           4
        .value_kind:     by_value
      - .offset:         28
        .size:           4
        .value_kind:     by_value
      - .actual_access:  read_only
        .address_space:  global
        .offset:         32
        .size:           8
        .value_kind:     global_buffer
      - .actual_access:  read_only
        .address_space:  global
        .offset:         40
        .size:           8
        .value_kind:     global_buffer
      - .actual_access:  read_only
        .address_space:  global
        .offset:         48
        .size:           8
        .value_kind:     global_buffer
      - .offset:         56
        .size:           4
        .value_kind:     by_value
      - .actual_access:  read_only
        .address_space:  global
        .offset:         64
        .size:           8
        .value_kind:     global_buffer
      - .offset:         72
        .size:           4
        .value_kind:     by_value
      - .offset:         76
        .size:           4
        .value_kind:     by_value
      - .offset:         80
        .size:           4
        .value_kind:     by_value
      - .actual_access:  read_only
        .address_space:  global
        .offset:         88
        .size:           8
        .value_kind:     global_buffer
      - .actual_access:  read_only
        .address_space:  global
        .offset:         96
        .size:           8
        .value_kind:     global_buffer
      - .actual_access:  read_only
        .address_space:  global
        .offset:         104
        .size:           8
        .value_kind:     global_buffer
      - .actual_access:  read_only
        .address_space:  global
        .offset:         112
        .size:           8
        .value_kind:     global_buffer
      - .offset:         120
        .size:           4
        .value_kind:     by_value
      - .address_space:  global
        .offset:         128
        .size:           8
        .value_kind:     global_buffer
      - .address_space:  global
        .offset:         136
        .size:           8
        .value_kind:     global_buffer
      - .offset:         144
        .size:           4
        .value_kind:     hidden_block_count_x
      - .offset:         148
        .size:           4
        .value_kind:     hidden_block_count_y
      - .offset:         152
        .size:           4
        .value_kind:     hidden_block_count_z
      - .offset:         156
        .size:           2
        .value_kind:     hidden_group_size_x
      - .offset:         158
        .size:           2
        .value_kind:     hidden_group_size_y
      - .offset:         160
        .size:           2
        .value_kind:     hidden_group_size_z
      - .offset:         162
        .size:           2
        .value_kind:     hidden_remainder_x
      - .offset:         164
        .size:           2
        .value_kind:     hidden_remainder_y
      - .offset:         166
        .size:           2
        .value_kind:     hidden_remainder_z
      - .offset:         184
        .size:           8
        .value_kind:     hidden_global_offset_x
      - .offset:         192
        .size:           8
        .value_kind:     hidden_global_offset_y
      - .offset:         200
        .size:           8
        .value_kind:     hidden_global_offset_z
      - .offset:         208
        .size:           2
        .value_kind:     hidden_grid_dims
      - .offset:         224
        .size:           8
        .value_kind:     hidden_hostcall_buffer
    .group_segment_fixed_size: 0
    .kernarg_segment_align: 8
    .kernarg_segment_size: 400
    .language:       OpenCL C
    .language_version:
      - 2
      - 0
    .max_flat_workgroup_size: 256
    .name:           _Z39paged_attention_ll4mi_QKV_mfma16_kernelIDF16_DF16_LN4vllm18Fp8KVCacheDataTypeE0EhLi16ELi128ELi256ELb0ELi3EEvPKT_PKT0_S7_ifPKiS9_S9_iPKfiiiPfSC_PS2_PT2_iSB_SB_
    .private_segment_fixed_size: 64
    .sgpr_count:     36
    .sgpr_spill_count: 0
    .symbol:         _Z39paged_attention_ll4mi_QKV_mfma16_kernelIDF16_DF16_LN4vllm18Fp8KVCacheDataTypeE0EhLi16ELi128ELi256ELb0ELi3EEvPKT_PKT0_S7_ifPKiS9_S9_iPKfiiiPfSC_PS2_PT2_iSB_SB_.kd
    .uniform_work_group_size: 1
    .uses_dynamic_stack: false
    .vgpr_count:     51
    .vgpr_spill_count: 0
    .wavefront_size: 32
  - .args:
      - .actual_access:  read_only
        .address_space:  global
        .offset:         0
        .size:           8
        .value_kind:     global_buffer
      - .actual_access:  read_only
        .address_space:  global
        .offset:         8
        .size:           8
        .value_kind:     global_buffer
      - .actual_access:  read_only
        .address_space:  global
        .offset:         16
        .size:           8
        .value_kind:     global_buffer
      - .offset:         24
        .size:           4
        .value_kind:     by_value
      - .offset:         28
        .size:           4
        .value_kind:     by_value
      - .actual_access:  read_only
        .address_space:  global
        .offset:         32
        .size:           8
        .value_kind:     global_buffer
      - .actual_access:  read_only
        .address_space:  global
        .offset:         40
        .size:           8
        .value_kind:     global_buffer
      - .actual_access:  read_only
        .address_space:  global
        .offset:         48
        .size:           8
        .value_kind:     global_buffer
      - .offset:         56
        .size:           4
        .value_kind:     by_value
      - .actual_access:  read_only
        .address_space:  global
        .offset:         64
        .size:           8
        .value_kind:     global_buffer
      - .offset:         72
        .size:           4
        .value_kind:     by_value
      - .offset:         76
        .size:           4
        .value_kind:     by_value
      - .offset:         80
        .size:           4
        .value_kind:     by_value
      - .actual_access:  read_only
        .address_space:  global
        .offset:         88
        .size:           8
        .value_kind:     global_buffer
      - .actual_access:  read_only
        .address_space:  global
        .offset:         96
        .size:           8
        .value_kind:     global_buffer
      - .actual_access:  read_only
        .address_space:  global
        .offset:         104
        .size:           8
        .value_kind:     global_buffer
      - .actual_access:  read_only
        .address_space:  global
        .offset:         112
        .size:           8
        .value_kind:     global_buffer
      - .offset:         120
        .size:           4
        .value_kind:     by_value
      - .address_space:  global
        .offset:         128
        .size:           8
        .value_kind:     global_buffer
      - .address_space:  global
        .offset:         136
        .size:           8
        .value_kind:     global_buffer
      - .offset:         144
        .size:           4
        .value_kind:     hidden_block_count_x
      - .offset:         148
        .size:           4
        .value_kind:     hidden_block_count_y
      - .offset:         152
        .size:           4
        .value_kind:     hidden_block_count_z
      - .offset:         156
        .size:           2
        .value_kind:     hidden_group_size_x
      - .offset:         158
        .size:           2
        .value_kind:     hidden_group_size_y
      - .offset:         160
        .size:           2
        .value_kind:     hidden_group_size_z
      - .offset:         162
        .size:           2
        .value_kind:     hidden_remainder_x
      - .offset:         164
        .size:           2
        .value_kind:     hidden_remainder_y
      - .offset:         166
        .size:           2
        .value_kind:     hidden_remainder_z
      - .offset:         184
        .size:           8
        .value_kind:     hidden_global_offset_x
      - .offset:         192
        .size:           8
        .value_kind:     hidden_global_offset_y
      - .offset:         200
        .size:           8
        .value_kind:     hidden_global_offset_z
      - .offset:         208
        .size:           2
        .value_kind:     hidden_grid_dims
      - .offset:         224
        .size:           8
        .value_kind:     hidden_hostcall_buffer
    .group_segment_fixed_size: 0
    .kernarg_segment_align: 8
    .kernarg_segment_size: 400
    .language:       OpenCL C
    .language_version:
      - 2
      - 0
    .max_flat_workgroup_size: 256
    .name:           _Z39paged_attention_ll4mi_QKV_mfma16_kernelIDF16_DF16_LN4vllm18Fp8KVCacheDataTypeE0EhLi16ELi128ELi256ELb0ELi4EEvPKT_PKT0_S7_ifPKiS9_S9_iPKfiiiPfSC_PS2_PT2_iSB_SB_
    .private_segment_fixed_size: 64
    .sgpr_count:     36
    .sgpr_spill_count: 0
    .symbol:         _Z39paged_attention_ll4mi_QKV_mfma16_kernelIDF16_DF16_LN4vllm18Fp8KVCacheDataTypeE0EhLi16ELi128ELi256ELb0ELi4EEvPKT_PKT0_S7_ifPKiS9_S9_iPKfiiiPfSC_PS2_PT2_iSB_SB_.kd
    .uniform_work_group_size: 1
    .uses_dynamic_stack: false
    .vgpr_count:     51
    .vgpr_spill_count: 0
    .wavefront_size: 32
  - .args:
      - .actual_access:  read_only
        .address_space:  global
        .offset:         0
        .size:           8
        .value_kind:     global_buffer
      - .actual_access:  read_only
        .address_space:  global
        .offset:         8
        .size:           8
        .value_kind:     global_buffer
      - .actual_access:  read_only
        .address_space:  global
        .offset:         16
        .size:           8
        .value_kind:     global_buffer
      - .offset:         24
        .size:           4
        .value_kind:     by_value
      - .offset:         28
        .size:           4
        .value_kind:     by_value
      - .actual_access:  read_only
        .address_space:  global
        .offset:         32
        .size:           8
        .value_kind:     global_buffer
      - .actual_access:  read_only
        .address_space:  global
        .offset:         40
        .size:           8
        .value_kind:     global_buffer
      - .actual_access:  read_only
        .address_space:  global
        .offset:         48
        .size:           8
        .value_kind:     global_buffer
      - .offset:         56
        .size:           4
        .value_kind:     by_value
      - .actual_access:  read_only
        .address_space:  global
        .offset:         64
        .size:           8
        .value_kind:     global_buffer
      - .offset:         72
        .size:           4
        .value_kind:     by_value
      - .offset:         76
        .size:           4
        .value_kind:     by_value
      - .offset:         80
        .size:           4
        .value_kind:     by_value
      - .actual_access:  read_only
        .address_space:  global
        .offset:         88
        .size:           8
        .value_kind:     global_buffer
      - .actual_access:  read_only
        .address_space:  global
        .offset:         96
        .size:           8
        .value_kind:     global_buffer
      - .actual_access:  read_only
        .address_space:  global
        .offset:         104
        .size:           8
        .value_kind:     global_buffer
      - .actual_access:  read_only
        .address_space:  global
        .offset:         112
        .size:           8
        .value_kind:     global_buffer
      - .offset:         120
        .size:           4
        .value_kind:     by_value
      - .address_space:  global
        .offset:         128
        .size:           8
        .value_kind:     global_buffer
      - .address_space:  global
        .offset:         136
        .size:           8
        .value_kind:     global_buffer
      - .offset:         144
        .size:           4
        .value_kind:     hidden_block_count_x
      - .offset:         148
        .size:           4
        .value_kind:     hidden_block_count_y
      - .offset:         152
        .size:           4
        .value_kind:     hidden_block_count_z
      - .offset:         156
        .size:           2
        .value_kind:     hidden_group_size_x
      - .offset:         158
        .size:           2
        .value_kind:     hidden_group_size_y
      - .offset:         160
        .size:           2
        .value_kind:     hidden_group_size_z
      - .offset:         162
        .size:           2
        .value_kind:     hidden_remainder_x
      - .offset:         164
        .size:           2
        .value_kind:     hidden_remainder_y
      - .offset:         166
        .size:           2
        .value_kind:     hidden_remainder_z
      - .offset:         184
        .size:           8
        .value_kind:     hidden_global_offset_x
      - .offset:         192
        .size:           8
        .value_kind:     hidden_global_offset_y
      - .offset:         200
        .size:           8
        .value_kind:     hidden_global_offset_z
      - .offset:         208
        .size:           2
        .value_kind:     hidden_grid_dims
      - .offset:         224
        .size:           8
        .value_kind:     hidden_hostcall_buffer
    .group_segment_fixed_size: 0
    .kernarg_segment_align: 8
    .kernarg_segment_size: 400
    .language:       OpenCL C
    .language_version:
      - 2
      - 0
    .max_flat_workgroup_size: 256
    .name:           _Z38paged_attention_ll4mi_QKV_mfma4_kernelIDF16_DF16_LN4vllm18Fp8KVCacheDataTypeE0EDF16_Li16ELi128ELi256ELb1ELi1EEvPKT_PKT0_S7_ifPKiS9_S9_iPKfiiiPfSC_PS2_PT2_iSB_SB_
    .private_segment_fixed_size: 64
    .sgpr_count:     36
    .sgpr_spill_count: 0
    .symbol:         _Z38paged_attention_ll4mi_QKV_mfma4_kernelIDF16_DF16_LN4vllm18Fp8KVCacheDataTypeE0EDF16_Li16ELi128ELi256ELb1ELi1EEvPKT_PKT0_S7_ifPKiS9_S9_iPKfiiiPfSC_PS2_PT2_iSB_SB_.kd
    .uniform_work_group_size: 1
    .uses_dynamic_stack: false
    .vgpr_count:     51
    .vgpr_spill_count: 0
    .wavefront_size: 32
  - .args:
      - .actual_access:  read_only
        .address_space:  global
        .offset:         0
        .size:           8
        .value_kind:     global_buffer
      - .actual_access:  read_only
        .address_space:  global
        .offset:         8
        .size:           8
        .value_kind:     global_buffer
      - .actual_access:  read_only
        .address_space:  global
        .offset:         16
        .size:           8
        .value_kind:     global_buffer
      - .offset:         24
        .size:           4
        .value_kind:     by_value
      - .offset:         28
        .size:           4
        .value_kind:     by_value
      - .actual_access:  read_only
        .address_space:  global
        .offset:         32
        .size:           8
        .value_kind:     global_buffer
      - .actual_access:  read_only
        .address_space:  global
        .offset:         40
        .size:           8
        .value_kind:     global_buffer
      - .actual_access:  read_only
        .address_space:  global
        .offset:         48
        .size:           8
        .value_kind:     global_buffer
      - .offset:         56
        .size:           4
        .value_kind:     by_value
      - .actual_access:  read_only
        .address_space:  global
        .offset:         64
        .size:           8
        .value_kind:     global_buffer
      - .offset:         72
        .size:           4
        .value_kind:     by_value
      - .offset:         76
        .size:           4
        .value_kind:     by_value
      - .offset:         80
        .size:           4
        .value_kind:     by_value
      - .actual_access:  read_only
        .address_space:  global
        .offset:         88
        .size:           8
        .value_kind:     global_buffer
      - .actual_access:  read_only
        .address_space:  global
        .offset:         96
        .size:           8
        .value_kind:     global_buffer
      - .actual_access:  read_only
        .address_space:  global
        .offset:         104
        .size:           8
        .value_kind:     global_buffer
      - .actual_access:  read_only
        .address_space:  global
        .offset:         112
        .size:           8
        .value_kind:     global_buffer
      - .offset:         120
        .size:           4
        .value_kind:     by_value
      - .address_space:  global
        .offset:         128
        .size:           8
        .value_kind:     global_buffer
      - .address_space:  global
        .offset:         136
        .size:           8
        .value_kind:     global_buffer
      - .offset:         144
        .size:           4
        .value_kind:     hidden_block_count_x
      - .offset:         148
        .size:           4
        .value_kind:     hidden_block_count_y
      - .offset:         152
        .size:           4
        .value_kind:     hidden_block_count_z
      - .offset:         156
        .size:           2
        .value_kind:     hidden_group_size_x
      - .offset:         158
        .size:           2
        .value_kind:     hidden_group_size_y
      - .offset:         160
        .size:           2
        .value_kind:     hidden_group_size_z
      - .offset:         162
        .size:           2
        .value_kind:     hidden_remainder_x
      - .offset:         164
        .size:           2
        .value_kind:     hidden_remainder_y
      - .offset:         166
        .size:           2
        .value_kind:     hidden_remainder_z
      - .offset:         184
        .size:           8
        .value_kind:     hidden_global_offset_x
      - .offset:         192
        .size:           8
        .value_kind:     hidden_global_offset_y
      - .offset:         200
        .size:           8
        .value_kind:     hidden_global_offset_z
      - .offset:         208
        .size:           2
        .value_kind:     hidden_grid_dims
      - .offset:         224
        .size:           8
        .value_kind:     hidden_hostcall_buffer
    .group_segment_fixed_size: 0
    .kernarg_segment_align: 8
    .kernarg_segment_size: 400
    .language:       OpenCL C
    .language_version:
      - 2
      - 0
    .max_flat_workgroup_size: 256
    .name:           _Z38paged_attention_ll4mi_QKV_mfma4_kernelIDF16_DF16_LN4vllm18Fp8KVCacheDataTypeE0EDF16_Li16ELi128ELi256ELb1ELi2EEvPKT_PKT0_S7_ifPKiS9_S9_iPKfiiiPfSC_PS2_PT2_iSB_SB_
    .private_segment_fixed_size: 64
    .sgpr_count:     36
    .sgpr_spill_count: 0
    .symbol:         _Z38paged_attention_ll4mi_QKV_mfma4_kernelIDF16_DF16_LN4vllm18Fp8KVCacheDataTypeE0EDF16_Li16ELi128ELi256ELb1ELi2EEvPKT_PKT0_S7_ifPKiS9_S9_iPKfiiiPfSC_PS2_PT2_iSB_SB_.kd
    .uniform_work_group_size: 1
    .uses_dynamic_stack: false
    .vgpr_count:     51
    .vgpr_spill_count: 0
    .wavefront_size: 32
  - .args:
      - .actual_access:  read_only
        .address_space:  global
        .offset:         0
        .size:           8
        .value_kind:     global_buffer
      - .actual_access:  read_only
        .address_space:  global
        .offset:         8
        .size:           8
        .value_kind:     global_buffer
      - .actual_access:  read_only
        .address_space:  global
        .offset:         16
        .size:           8
        .value_kind:     global_buffer
      - .offset:         24
        .size:           4
        .value_kind:     by_value
      - .offset:         28
        .size:           4
        .value_kind:     by_value
      - .actual_access:  read_only
        .address_space:  global
        .offset:         32
        .size:           8
        .value_kind:     global_buffer
      - .actual_access:  read_only
        .address_space:  global
        .offset:         40
        .size:           8
        .value_kind:     global_buffer
      - .actual_access:  read_only
        .address_space:  global
        .offset:         48
        .size:           8
        .value_kind:     global_buffer
      - .offset:         56
        .size:           4
        .value_kind:     by_value
      - .actual_access:  read_only
        .address_space:  global
        .offset:         64
        .size:           8
        .value_kind:     global_buffer
      - .offset:         72
        .size:           4
        .value_kind:     by_value
      - .offset:         76
        .size:           4
        .value_kind:     by_value
      - .offset:         80
        .size:           4
        .value_kind:     by_value
      - .actual_access:  read_only
        .address_space:  global
        .offset:         88
        .size:           8
        .value_kind:     global_buffer
      - .actual_access:  read_only
        .address_space:  global
        .offset:         96
        .size:           8
        .value_kind:     global_buffer
      - .actual_access:  read_only
        .address_space:  global
        .offset:         104
        .size:           8
        .value_kind:     global_buffer
      - .actual_access:  read_only
        .address_space:  global
        .offset:         112
        .size:           8
        .value_kind:     global_buffer
      - .offset:         120
        .size:           4
        .value_kind:     by_value
      - .address_space:  global
        .offset:         128
        .size:           8
        .value_kind:     global_buffer
      - .address_space:  global
        .offset:         136
        .size:           8
        .value_kind:     global_buffer
      - .offset:         144
        .size:           4
        .value_kind:     hidden_block_count_x
      - .offset:         148
        .size:           4
        .value_kind:     hidden_block_count_y
      - .offset:         152
        .size:           4
        .value_kind:     hidden_block_count_z
      - .offset:         156
        .size:           2
        .value_kind:     hidden_group_size_x
      - .offset:         158
        .size:           2
        .value_kind:     hidden_group_size_y
      - .offset:         160
        .size:           2
        .value_kind:     hidden_group_size_z
      - .offset:         162
        .size:           2
        .value_kind:     hidden_remainder_x
      - .offset:         164
        .size:           2
        .value_kind:     hidden_remainder_y
      - .offset:         166
        .size:           2
        .value_kind:     hidden_remainder_z
      - .offset:         184
        .size:           8
        .value_kind:     hidden_global_offset_x
      - .offset:         192
        .size:           8
        .value_kind:     hidden_global_offset_y
      - .offset:         200
        .size:           8
        .value_kind:     hidden_global_offset_z
      - .offset:         208
        .size:           2
        .value_kind:     hidden_grid_dims
      - .offset:         224
        .size:           8
        .value_kind:     hidden_hostcall_buffer
    .group_segment_fixed_size: 0
    .kernarg_segment_align: 8
    .kernarg_segment_size: 400
    .language:       OpenCL C
    .language_version:
      - 2
      - 0
    .max_flat_workgroup_size: 256
    .name:           _Z38paged_attention_ll4mi_QKV_mfma4_kernelIDF16_DF16_LN4vllm18Fp8KVCacheDataTypeE0EDF16_Li16ELi128ELi256ELb1ELi3EEvPKT_PKT0_S7_ifPKiS9_S9_iPKfiiiPfSC_PS2_PT2_iSB_SB_
    .private_segment_fixed_size: 64
    .sgpr_count:     36
    .sgpr_spill_count: 0
    .symbol:         _Z38paged_attention_ll4mi_QKV_mfma4_kernelIDF16_DF16_LN4vllm18Fp8KVCacheDataTypeE0EDF16_Li16ELi128ELi256ELb1ELi3EEvPKT_PKT0_S7_ifPKiS9_S9_iPKfiiiPfSC_PS2_PT2_iSB_SB_.kd
    .uniform_work_group_size: 1
    .uses_dynamic_stack: false
    .vgpr_count:     51
    .vgpr_spill_count: 0
    .wavefront_size: 32
  - .args:
      - .actual_access:  read_only
        .address_space:  global
        .offset:         0
        .size:           8
        .value_kind:     global_buffer
      - .actual_access:  read_only
        .address_space:  global
        .offset:         8
        .size:           8
        .value_kind:     global_buffer
      - .actual_access:  read_only
        .address_space:  global
        .offset:         16
        .size:           8
        .value_kind:     global_buffer
      - .offset:         24
        .size:           4
        .value_kind:     by_value
      - .offset:         28
        .size:           4
        .value_kind:     by_value
      - .actual_access:  read_only
        .address_space:  global
        .offset:         32
        .size:           8
        .value_kind:     global_buffer
      - .actual_access:  read_only
        .address_space:  global
        .offset:         40
        .size:           8
        .value_kind:     global_buffer
      - .actual_access:  read_only
        .address_space:  global
        .offset:         48
        .size:           8
        .value_kind:     global_buffer
      - .offset:         56
        .size:           4
        .value_kind:     by_value
      - .actual_access:  read_only
        .address_space:  global
        .offset:         64
        .size:           8
        .value_kind:     global_buffer
      - .offset:         72
        .size:           4
        .value_kind:     by_value
      - .offset:         76
        .size:           4
        .value_kind:     by_value
      - .offset:         80
        .size:           4
        .value_kind:     by_value
      - .actual_access:  read_only
        .address_space:  global
        .offset:         88
        .size:           8
        .value_kind:     global_buffer
      - .actual_access:  read_only
        .address_space:  global
        .offset:         96
        .size:           8
        .value_kind:     global_buffer
      - .actual_access:  read_only
        .address_space:  global
        .offset:         104
        .size:           8
        .value_kind:     global_buffer
      - .actual_access:  read_only
        .address_space:  global
        .offset:         112
        .size:           8
        .value_kind:     global_buffer
      - .offset:         120
        .size:           4
        .value_kind:     by_value
      - .address_space:  global
        .offset:         128
        .size:           8
        .value_kind:     global_buffer
      - .address_space:  global
        .offset:         136
        .size:           8
        .value_kind:     global_buffer
      - .offset:         144
        .size:           4
        .value_kind:     hidden_block_count_x
      - .offset:         148
        .size:           4
        .value_kind:     hidden_block_count_y
      - .offset:         152
        .size:           4
        .value_kind:     hidden_block_count_z
      - .offset:         156
        .size:           2
        .value_kind:     hidden_group_size_x
      - .offset:         158
        .size:           2
        .value_kind:     hidden_group_size_y
      - .offset:         160
        .size:           2
        .value_kind:     hidden_group_size_z
      - .offset:         162
        .size:           2
        .value_kind:     hidden_remainder_x
      - .offset:         164
        .size:           2
        .value_kind:     hidden_remainder_y
      - .offset:         166
        .size:           2
        .value_kind:     hidden_remainder_z
      - .offset:         184
        .size:           8
        .value_kind:     hidden_global_offset_x
      - .offset:         192
        .size:           8
        .value_kind:     hidden_global_offset_y
      - .offset:         200
        .size:           8
        .value_kind:     hidden_global_offset_z
      - .offset:         208
        .size:           2
        .value_kind:     hidden_grid_dims
      - .offset:         224
        .size:           8
        .value_kind:     hidden_hostcall_buffer
    .group_segment_fixed_size: 0
    .kernarg_segment_align: 8
    .kernarg_segment_size: 400
    .language:       OpenCL C
    .language_version:
      - 2
      - 0
    .max_flat_workgroup_size: 256
    .name:           _Z38paged_attention_ll4mi_QKV_mfma4_kernelIDF16_DF16_LN4vllm18Fp8KVCacheDataTypeE0EDF16_Li16ELi128ELi256ELb1ELi4EEvPKT_PKT0_S7_ifPKiS9_S9_iPKfiiiPfSC_PS2_PT2_iSB_SB_
    .private_segment_fixed_size: 64
    .sgpr_count:     36
    .sgpr_spill_count: 0
    .symbol:         _Z38paged_attention_ll4mi_QKV_mfma4_kernelIDF16_DF16_LN4vllm18Fp8KVCacheDataTypeE0EDF16_Li16ELi128ELi256ELb1ELi4EEvPKT_PKT0_S7_ifPKiS9_S9_iPKfiiiPfSC_PS2_PT2_iSB_SB_.kd
    .uniform_work_group_size: 1
    .uses_dynamic_stack: false
    .vgpr_count:     51
    .vgpr_spill_count: 0
    .wavefront_size: 32
  - .args:
      - .actual_access:  read_only
        .address_space:  global
        .offset:         0
        .size:           8
        .value_kind:     global_buffer
      - .actual_access:  read_only
        .address_space:  global
        .offset:         8
        .size:           8
        .value_kind:     global_buffer
      - .actual_access:  read_only
        .address_space:  global
        .offset:         16
        .size:           8
        .value_kind:     global_buffer
      - .offset:         24
        .size:           4
        .value_kind:     by_value
      - .offset:         28
        .size:           4
        .value_kind:     by_value
      - .actual_access:  read_only
        .address_space:  global
        .offset:         32
        .size:           8
        .value_kind:     global_buffer
      - .actual_access:  read_only
        .address_space:  global
        .offset:         40
        .size:           8
        .value_kind:     global_buffer
      - .actual_access:  read_only
        .address_space:  global
        .offset:         48
        .size:           8
        .value_kind:     global_buffer
      - .offset:         56
        .size:           4
        .value_kind:     by_value
      - .actual_access:  read_only
        .address_space:  global
        .offset:         64
        .size:           8
        .value_kind:     global_buffer
      - .offset:         72
        .size:           4
        .value_kind:     by_value
      - .offset:         76
        .size:           4
        .value_kind:     by_value
      - .offset:         80
        .size:           4
        .value_kind:     by_value
      - .actual_access:  read_only
        .address_space:  global
        .offset:         88
        .size:           8
        .value_kind:     global_buffer
      - .actual_access:  read_only
        .address_space:  global
        .offset:         96
        .size:           8
        .value_kind:     global_buffer
      - .actual_access:  read_only
        .address_space:  global
        .offset:         104
        .size:           8
        .value_kind:     global_buffer
      - .actual_access:  read_only
        .address_space:  global
        .offset:         112
        .size:           8
        .value_kind:     global_buffer
      - .offset:         120
        .size:           4
        .value_kind:     by_value
      - .address_space:  global
        .offset:         128
        .size:           8
        .value_kind:     global_buffer
      - .address_space:  global
        .offset:         136
        .size:           8
        .value_kind:     global_buffer
      - .offset:         144
        .size:           4
        .value_kind:     hidden_block_count_x
      - .offset:         148
        .size:           4
        .value_kind:     hidden_block_count_y
      - .offset:         152
        .size:           4
        .value_kind:     hidden_block_count_z
      - .offset:         156
        .size:           2
        .value_kind:     hidden_group_size_x
      - .offset:         158
        .size:           2
        .value_kind:     hidden_group_size_y
      - .offset:         160
        .size:           2
        .value_kind:     hidden_group_size_z
      - .offset:         162
        .size:           2
        .value_kind:     hidden_remainder_x
      - .offset:         164
        .size:           2
        .value_kind:     hidden_remainder_y
      - .offset:         166
        .size:           2
        .value_kind:     hidden_remainder_z
      - .offset:         184
        .size:           8
        .value_kind:     hidden_global_offset_x
      - .offset:         192
        .size:           8
        .value_kind:     hidden_global_offset_y
      - .offset:         200
        .size:           8
        .value_kind:     hidden_global_offset_z
      - .offset:         208
        .size:           2
        .value_kind:     hidden_grid_dims
      - .offset:         224
        .size:           8
        .value_kind:     hidden_hostcall_buffer
    .group_segment_fixed_size: 0
    .kernarg_segment_align: 8
    .kernarg_segment_size: 400
    .language:       OpenCL C
    .language_version:
      - 2
      - 0
    .max_flat_workgroup_size: 256
    .name:           _Z39paged_attention_ll4mi_QKV_mfma16_kernelIDF16_DF16_LN4vllm18Fp8KVCacheDataTypeE0EDF16_Li16ELi128ELi256ELb1ELi5EEvPKT_PKT0_S7_ifPKiS9_S9_iPKfiiiPfSC_PS2_PT2_iSB_SB_
    .private_segment_fixed_size: 64
    .sgpr_count:     36
    .sgpr_spill_count: 0
    .symbol:         _Z39paged_attention_ll4mi_QKV_mfma16_kernelIDF16_DF16_LN4vllm18Fp8KVCacheDataTypeE0EDF16_Li16ELi128ELi256ELb1ELi5EEvPKT_PKT0_S7_ifPKiS9_S9_iPKfiiiPfSC_PS2_PT2_iSB_SB_.kd
    .uniform_work_group_size: 1
    .uses_dynamic_stack: false
    .vgpr_count:     51
    .vgpr_spill_count: 0
    .wavefront_size: 32
  - .args:
      - .actual_access:  read_only
        .address_space:  global
        .offset:         0
        .size:           8
        .value_kind:     global_buffer
      - .actual_access:  read_only
        .address_space:  global
        .offset:         8
        .size:           8
        .value_kind:     global_buffer
      - .actual_access:  read_only
        .address_space:  global
        .offset:         16
        .size:           8
        .value_kind:     global_buffer
      - .offset:         24
        .size:           4
        .value_kind:     by_value
      - .offset:         28
        .size:           4
        .value_kind:     by_value
      - .actual_access:  read_only
        .address_space:  global
        .offset:         32
        .size:           8
        .value_kind:     global_buffer
      - .actual_access:  read_only
        .address_space:  global
        .offset:         40
        .size:           8
        .value_kind:     global_buffer
      - .actual_access:  read_only
        .address_space:  global
        .offset:         48
        .size:           8
        .value_kind:     global_buffer
      - .offset:         56
        .size:           4
        .value_kind:     by_value
      - .actual_access:  read_only
        .address_space:  global
        .offset:         64
        .size:           8
        .value_kind:     global_buffer
      - .offset:         72
        .size:           4
        .value_kind:     by_value
      - .offset:         76
        .size:           4
        .value_kind:     by_value
      - .offset:         80
        .size:           4
        .value_kind:     by_value
      - .actual_access:  read_only
        .address_space:  global
        .offset:         88
        .size:           8
        .value_kind:     global_buffer
      - .actual_access:  read_only
        .address_space:  global
        .offset:         96
        .size:           8
        .value_kind:     global_buffer
      - .actual_access:  read_only
        .address_space:  global
        .offset:         104
        .size:           8
        .value_kind:     global_buffer
      - .actual_access:  read_only
        .address_space:  global
        .offset:         112
        .size:           8
        .value_kind:     global_buffer
      - .offset:         120
        .size:           4
        .value_kind:     by_value
      - .address_space:  global
        .offset:         128
        .size:           8
        .value_kind:     global_buffer
      - .address_space:  global
        .offset:         136
        .size:           8
        .value_kind:     global_buffer
      - .offset:         144
        .size:           4
        .value_kind:     hidden_block_count_x
      - .offset:         148
        .size:           4
        .value_kind:     hidden_block_count_y
      - .offset:         152
        .size:           4
        .value_kind:     hidden_block_count_z
      - .offset:         156
        .size:           2
        .value_kind:     hidden_group_size_x
      - .offset:         158
        .size:           2
        .value_kind:     hidden_group_size_y
      - .offset:         160
        .size:           2
        .value_kind:     hidden_group_size_z
      - .offset:         162
        .size:           2
        .value_kind:     hidden_remainder_x
      - .offset:         164
        .size:           2
        .value_kind:     hidden_remainder_y
      - .offset:         166
        .size:           2
        .value_kind:     hidden_remainder_z
      - .offset:         184
        .size:           8
        .value_kind:     hidden_global_offset_x
      - .offset:         192
        .size:           8
        .value_kind:     hidden_global_offset_y
      - .offset:         200
        .size:           8
        .value_kind:     hidden_global_offset_z
      - .offset:         208
        .size:           2
        .value_kind:     hidden_grid_dims
      - .offset:         224
        .size:           8
        .value_kind:     hidden_hostcall_buffer
    .group_segment_fixed_size: 0
    .kernarg_segment_align: 8
    .kernarg_segment_size: 400
    .language:       OpenCL C
    .language_version:
      - 2
      - 0
    .max_flat_workgroup_size: 256
    .name:           _Z39paged_attention_ll4mi_QKV_mfma16_kernelIDF16_DF16_LN4vllm18Fp8KVCacheDataTypeE0EDF16_Li16ELi128ELi256ELb1ELi6EEvPKT_PKT0_S7_ifPKiS9_S9_iPKfiiiPfSC_PS2_PT2_iSB_SB_
    .private_segment_fixed_size: 64
    .sgpr_count:     36
    .sgpr_spill_count: 0
    .symbol:         _Z39paged_attention_ll4mi_QKV_mfma16_kernelIDF16_DF16_LN4vllm18Fp8KVCacheDataTypeE0EDF16_Li16ELi128ELi256ELb1ELi6EEvPKT_PKT0_S7_ifPKiS9_S9_iPKfiiiPfSC_PS2_PT2_iSB_SB_.kd
    .uniform_work_group_size: 1
    .uses_dynamic_stack: false
    .vgpr_count:     51
    .vgpr_spill_count: 0
    .wavefront_size: 32
  - .args:
      - .actual_access:  read_only
        .address_space:  global
        .offset:         0
        .size:           8
        .value_kind:     global_buffer
      - .actual_access:  read_only
        .address_space:  global
        .offset:         8
        .size:           8
        .value_kind:     global_buffer
      - .actual_access:  read_only
        .address_space:  global
        .offset:         16
        .size:           8
        .value_kind:     global_buffer
      - .offset:         24
        .size:           4
        .value_kind:     by_value
      - .offset:         28
        .size:           4
        .value_kind:     by_value
      - .actual_access:  read_only
        .address_space:  global
        .offset:         32
        .size:           8
        .value_kind:     global_buffer
      - .actual_access:  read_only
        .address_space:  global
        .offset:         40
        .size:           8
        .value_kind:     global_buffer
      - .actual_access:  read_only
        .address_space:  global
        .offset:         48
        .size:           8
        .value_kind:     global_buffer
      - .offset:         56
        .size:           4
        .value_kind:     by_value
      - .actual_access:  read_only
        .address_space:  global
        .offset:         64
        .size:           8
        .value_kind:     global_buffer
      - .offset:         72
        .size:           4
        .value_kind:     by_value
      - .offset:         76
        .size:           4
        .value_kind:     by_value
      - .offset:         80
        .size:           4
        .value_kind:     by_value
      - .actual_access:  read_only
        .address_space:  global
        .offset:         88
        .size:           8
        .value_kind:     global_buffer
      - .actual_access:  read_only
        .address_space:  global
        .offset:         96
        .size:           8
        .value_kind:     global_buffer
      - .actual_access:  read_only
        .address_space:  global
        .offset:         104
        .size:           8
        .value_kind:     global_buffer
      - .actual_access:  read_only
        .address_space:  global
        .offset:         112
        .size:           8
        .value_kind:     global_buffer
      - .offset:         120
        .size:           4
        .value_kind:     by_value
      - .address_space:  global
        .offset:         128
        .size:           8
        .value_kind:     global_buffer
      - .address_space:  global
        .offset:         136
        .size:           8
        .value_kind:     global_buffer
      - .offset:         144
        .size:           4
        .value_kind:     hidden_block_count_x
      - .offset:         148
        .size:           4
        .value_kind:     hidden_block_count_y
      - .offset:         152
        .size:           4
        .value_kind:     hidden_block_count_z
      - .offset:         156
        .size:           2
        .value_kind:     hidden_group_size_x
      - .offset:         158
        .size:           2
        .value_kind:     hidden_group_size_y
      - .offset:         160
        .size:           2
        .value_kind:     hidden_group_size_z
      - .offset:         162
        .size:           2
        .value_kind:     hidden_remainder_x
      - .offset:         164
        .size:           2
        .value_kind:     hidden_remainder_y
      - .offset:         166
        .size:           2
        .value_kind:     hidden_remainder_z
      - .offset:         184
        .size:           8
        .value_kind:     hidden_global_offset_x
      - .offset:         192
        .size:           8
        .value_kind:     hidden_global_offset_y
      - .offset:         200
        .size:           8
        .value_kind:     hidden_global_offset_z
      - .offset:         208
        .size:           2
        .value_kind:     hidden_grid_dims
      - .offset:         224
        .size:           8
        .value_kind:     hidden_hostcall_buffer
    .group_segment_fixed_size: 0
    .kernarg_segment_align: 8
    .kernarg_segment_size: 400
    .language:       OpenCL C
    .language_version:
      - 2
      - 0
    .max_flat_workgroup_size: 256
    .name:           _Z39paged_attention_ll4mi_QKV_mfma16_kernelIDF16_DF16_LN4vllm18Fp8KVCacheDataTypeE0EDF16_Li16ELi128ELi256ELb1ELi7EEvPKT_PKT0_S7_ifPKiS9_S9_iPKfiiiPfSC_PS2_PT2_iSB_SB_
    .private_segment_fixed_size: 64
    .sgpr_count:     36
    .sgpr_spill_count: 0
    .symbol:         _Z39paged_attention_ll4mi_QKV_mfma16_kernelIDF16_DF16_LN4vllm18Fp8KVCacheDataTypeE0EDF16_Li16ELi128ELi256ELb1ELi7EEvPKT_PKT0_S7_ifPKiS9_S9_iPKfiiiPfSC_PS2_PT2_iSB_SB_.kd
    .uniform_work_group_size: 1
    .uses_dynamic_stack: false
    .vgpr_count:     51
    .vgpr_spill_count: 0
    .wavefront_size: 32
  - .args:
      - .actual_access:  read_only
        .address_space:  global
        .offset:         0
        .size:           8
        .value_kind:     global_buffer
      - .actual_access:  read_only
        .address_space:  global
        .offset:         8
        .size:           8
        .value_kind:     global_buffer
      - .actual_access:  read_only
        .address_space:  global
        .offset:         16
        .size:           8
        .value_kind:     global_buffer
      - .offset:         24
        .size:           4
        .value_kind:     by_value
      - .offset:         28
        .size:           4
        .value_kind:     by_value
      - .actual_access:  read_only
        .address_space:  global
        .offset:         32
        .size:           8
        .value_kind:     global_buffer
      - .actual_access:  read_only
        .address_space:  global
        .offset:         40
        .size:           8
        .value_kind:     global_buffer
      - .actual_access:  read_only
        .address_space:  global
        .offset:         48
        .size:           8
        .value_kind:     global_buffer
      - .offset:         56
        .size:           4
        .value_kind:     by_value
      - .actual_access:  read_only
        .address_space:  global
        .offset:         64
        .size:           8
        .value_kind:     global_buffer
      - .offset:         72
        .size:           4
        .value_kind:     by_value
      - .offset:         76
        .size:           4
        .value_kind:     by_value
      - .offset:         80
        .size:           4
        .value_kind:     by_value
      - .actual_access:  read_only
        .address_space:  global
        .offset:         88
        .size:           8
        .value_kind:     global_buffer
      - .actual_access:  read_only
        .address_space:  global
        .offset:         96
        .size:           8
        .value_kind:     global_buffer
      - .actual_access:  read_only
        .address_space:  global
        .offset:         104
        .size:           8
        .value_kind:     global_buffer
      - .actual_access:  read_only
        .address_space:  global
        .offset:         112
        .size:           8
        .value_kind:     global_buffer
      - .offset:         120
        .size:           4
        .value_kind:     by_value
      - .address_space:  global
        .offset:         128
        .size:           8
        .value_kind:     global_buffer
      - .address_space:  global
        .offset:         136
        .size:           8
        .value_kind:     global_buffer
      - .offset:         144
        .size:           4
        .value_kind:     hidden_block_count_x
      - .offset:         148
        .size:           4
        .value_kind:     hidden_block_count_y
      - .offset:         152
        .size:           4
        .value_kind:     hidden_block_count_z
      - .offset:         156
        .size:           2
        .value_kind:     hidden_group_size_x
      - .offset:         158
        .size:           2
        .value_kind:     hidden_group_size_y
      - .offset:         160
        .size:           2
        .value_kind:     hidden_group_size_z
      - .offset:         162
        .size:           2
        .value_kind:     hidden_remainder_x
      - .offset:         164
        .size:           2
        .value_kind:     hidden_remainder_y
      - .offset:         166
        .size:           2
        .value_kind:     hidden_remainder_z
      - .offset:         184
        .size:           8
        .value_kind:     hidden_global_offset_x
      - .offset:         192
        .size:           8
        .value_kind:     hidden_global_offset_y
      - .offset:         200
        .size:           8
        .value_kind:     hidden_global_offset_z
      - .offset:         208
        .size:           2
        .value_kind:     hidden_grid_dims
      - .offset:         224
        .size:           8
        .value_kind:     hidden_hostcall_buffer
    .group_segment_fixed_size: 0
    .kernarg_segment_align: 8
    .kernarg_segment_size: 400
    .language:       OpenCL C
    .language_version:
      - 2
      - 0
    .max_flat_workgroup_size: 256
    .name:           _Z39paged_attention_ll4mi_QKV_mfma16_kernelIDF16_DF16_LN4vllm18Fp8KVCacheDataTypeE0EDF16_Li16ELi128ELi256ELb1ELi8EEvPKT_PKT0_S7_ifPKiS9_S9_iPKfiiiPfSC_PS2_PT2_iSB_SB_
    .private_segment_fixed_size: 64
    .sgpr_count:     36
    .sgpr_spill_count: 0
    .symbol:         _Z39paged_attention_ll4mi_QKV_mfma16_kernelIDF16_DF16_LN4vllm18Fp8KVCacheDataTypeE0EDF16_Li16ELi128ELi256ELb1ELi8EEvPKT_PKT0_S7_ifPKiS9_S9_iPKfiiiPfSC_PS2_PT2_iSB_SB_.kd
    .uniform_work_group_size: 1
    .uses_dynamic_stack: false
    .vgpr_count:     51
    .vgpr_spill_count: 0
    .wavefront_size: 32
  - .args:
      - .actual_access:  read_only
        .address_space:  global
        .offset:         0
        .size:           8
        .value_kind:     global_buffer
      - .actual_access:  read_only
        .address_space:  global
        .offset:         8
        .size:           8
        .value_kind:     global_buffer
      - .actual_access:  read_only
        .address_space:  global
        .offset:         16
        .size:           8
        .value_kind:     global_buffer
      - .offset:         24
        .size:           4
        .value_kind:     by_value
      - .offset:         28
        .size:           4
        .value_kind:     by_value
      - .actual_access:  read_only
        .address_space:  global
        .offset:         32
        .size:           8
        .value_kind:     global_buffer
      - .actual_access:  read_only
        .address_space:  global
        .offset:         40
        .size:           8
        .value_kind:     global_buffer
      - .actual_access:  read_only
        .address_space:  global
        .offset:         48
        .size:           8
        .value_kind:     global_buffer
      - .offset:         56
        .size:           4
        .value_kind:     by_value
      - .actual_access:  read_only
        .address_space:  global
        .offset:         64
        .size:           8
        .value_kind:     global_buffer
      - .offset:         72
        .size:           4
        .value_kind:     by_value
      - .offset:         76
        .size:           4
        .value_kind:     by_value
      - .offset:         80
        .size:           4
        .value_kind:     by_value
      - .actual_access:  read_only
        .address_space:  global
        .offset:         88
        .size:           8
        .value_kind:     global_buffer
      - .actual_access:  read_only
        .address_space:  global
        .offset:         96
        .size:           8
        .value_kind:     global_buffer
      - .actual_access:  read_only
        .address_space:  global
        .offset:         104
        .size:           8
        .value_kind:     global_buffer
      - .actual_access:  read_only
        .address_space:  global
        .offset:         112
        .size:           8
        .value_kind:     global_buffer
      - .offset:         120
        .size:           4
        .value_kind:     by_value
      - .address_space:  global
        .offset:         128
        .size:           8
        .value_kind:     global_buffer
      - .address_space:  global
        .offset:         136
        .size:           8
        .value_kind:     global_buffer
      - .offset:         144
        .size:           4
        .value_kind:     hidden_block_count_x
      - .offset:         148
        .size:           4
        .value_kind:     hidden_block_count_y
      - .offset:         152
        .size:           4
        .value_kind:     hidden_block_count_z
      - .offset:         156
        .size:           2
        .value_kind:     hidden_group_size_x
      - .offset:         158
        .size:           2
        .value_kind:     hidden_group_size_y
      - .offset:         160
        .size:           2
        .value_kind:     hidden_group_size_z
      - .offset:         162
        .size:           2
        .value_kind:     hidden_remainder_x
      - .offset:         164
        .size:           2
        .value_kind:     hidden_remainder_y
      - .offset:         166
        .size:           2
        .value_kind:     hidden_remainder_z
      - .offset:         184
        .size:           8
        .value_kind:     hidden_global_offset_x
      - .offset:         192
        .size:           8
        .value_kind:     hidden_global_offset_y
      - .offset:         200
        .size:           8
        .value_kind:     hidden_global_offset_z
      - .offset:         208
        .size:           2
        .value_kind:     hidden_grid_dims
      - .offset:         224
        .size:           8
        .value_kind:     hidden_hostcall_buffer
    .group_segment_fixed_size: 0
    .kernarg_segment_align: 8
    .kernarg_segment_size: 400
    .language:       OpenCL C
    .language_version:
      - 2
      - 0
    .max_flat_workgroup_size: 256
    .name:           _Z39paged_attention_ll4mi_QKV_mfma16_kernelIDF16_DF16_LN4vllm18Fp8KVCacheDataTypeE0EDF16_Li16ELi128ELi256ELb1ELi9EEvPKT_PKT0_S7_ifPKiS9_S9_iPKfiiiPfSC_PS2_PT2_iSB_SB_
    .private_segment_fixed_size: 64
    .sgpr_count:     36
    .sgpr_spill_count: 0
    .symbol:         _Z39paged_attention_ll4mi_QKV_mfma16_kernelIDF16_DF16_LN4vllm18Fp8KVCacheDataTypeE0EDF16_Li16ELi128ELi256ELb1ELi9EEvPKT_PKT0_S7_ifPKiS9_S9_iPKfiiiPfSC_PS2_PT2_iSB_SB_.kd
    .uniform_work_group_size: 1
    .uses_dynamic_stack: false
    .vgpr_count:     51
    .vgpr_spill_count: 0
    .wavefront_size: 32
  - .args:
      - .actual_access:  read_only
        .address_space:  global
        .offset:         0
        .size:           8
        .value_kind:     global_buffer
      - .actual_access:  read_only
        .address_space:  global
        .offset:         8
        .size:           8
        .value_kind:     global_buffer
      - .actual_access:  read_only
        .address_space:  global
        .offset:         16
        .size:           8
        .value_kind:     global_buffer
      - .offset:         24
        .size:           4
        .value_kind:     by_value
      - .offset:         28
        .size:           4
        .value_kind:     by_value
      - .actual_access:  read_only
        .address_space:  global
        .offset:         32
        .size:           8
        .value_kind:     global_buffer
      - .actual_access:  read_only
        .address_space:  global
        .offset:         40
        .size:           8
        .value_kind:     global_buffer
      - .actual_access:  read_only
        .address_space:  global
        .offset:         48
        .size:           8
        .value_kind:     global_buffer
      - .offset:         56
        .size:           4
        .value_kind:     by_value
      - .actual_access:  read_only
        .address_space:  global
        .offset:         64
        .size:           8
        .value_kind:     global_buffer
      - .offset:         72
        .size:           4
        .value_kind:     by_value
      - .offset:         76
        .size:           4
        .value_kind:     by_value
      - .offset:         80
        .size:           4
        .value_kind:     by_value
      - .actual_access:  read_only
        .address_space:  global
        .offset:         88
        .size:           8
        .value_kind:     global_buffer
      - .actual_access:  read_only
        .address_space:  global
        .offset:         96
        .size:           8
        .value_kind:     global_buffer
      - .actual_access:  read_only
        .address_space:  global
        .offset:         104
        .size:           8
        .value_kind:     global_buffer
      - .actual_access:  read_only
        .address_space:  global
        .offset:         112
        .size:           8
        .value_kind:     global_buffer
      - .offset:         120
        .size:           4
        .value_kind:     by_value
      - .address_space:  global
        .offset:         128
        .size:           8
        .value_kind:     global_buffer
      - .address_space:  global
        .offset:         136
        .size:           8
        .value_kind:     global_buffer
      - .offset:         144
        .size:           4
        .value_kind:     hidden_block_count_x
      - .offset:         148
        .size:           4
        .value_kind:     hidden_block_count_y
      - .offset:         152
        .size:           4
        .value_kind:     hidden_block_count_z
      - .offset:         156
        .size:           2
        .value_kind:     hidden_group_size_x
      - .offset:         158
        .size:           2
        .value_kind:     hidden_group_size_y
      - .offset:         160
        .size:           2
        .value_kind:     hidden_group_size_z
      - .offset:         162
        .size:           2
        .value_kind:     hidden_remainder_x
      - .offset:         164
        .size:           2
        .value_kind:     hidden_remainder_y
      - .offset:         166
        .size:           2
        .value_kind:     hidden_remainder_z
      - .offset:         184
        .size:           8
        .value_kind:     hidden_global_offset_x
      - .offset:         192
        .size:           8
        .value_kind:     hidden_global_offset_y
      - .offset:         200
        .size:           8
        .value_kind:     hidden_global_offset_z
      - .offset:         208
        .size:           2
        .value_kind:     hidden_grid_dims
      - .offset:         224
        .size:           8
        .value_kind:     hidden_hostcall_buffer
    .group_segment_fixed_size: 0
    .kernarg_segment_align: 8
    .kernarg_segment_size: 400
    .language:       OpenCL C
    .language_version:
      - 2
      - 0
    .max_flat_workgroup_size: 256
    .name:           _Z39paged_attention_ll4mi_QKV_mfma16_kernelIDF16_DF16_LN4vllm18Fp8KVCacheDataTypeE0EDF16_Li16ELi128ELi256ELb1ELi10EEvPKT_PKT0_S7_ifPKiS9_S9_iPKfiiiPfSC_PS2_PT2_iSB_SB_
    .private_segment_fixed_size: 64
    .sgpr_count:     36
    .sgpr_spill_count: 0
    .symbol:         _Z39paged_attention_ll4mi_QKV_mfma16_kernelIDF16_DF16_LN4vllm18Fp8KVCacheDataTypeE0EDF16_Li16ELi128ELi256ELb1ELi10EEvPKT_PKT0_S7_ifPKiS9_S9_iPKfiiiPfSC_PS2_PT2_iSB_SB_.kd
    .uniform_work_group_size: 1
    .uses_dynamic_stack: false
    .vgpr_count:     51
    .vgpr_spill_count: 0
    .wavefront_size: 32
  - .args:
      - .actual_access:  read_only
        .address_space:  global
        .offset:         0
        .size:           8
        .value_kind:     global_buffer
      - .actual_access:  read_only
        .address_space:  global
        .offset:         8
        .size:           8
        .value_kind:     global_buffer
      - .actual_access:  read_only
        .address_space:  global
        .offset:         16
        .size:           8
        .value_kind:     global_buffer
      - .offset:         24
        .size:           4
        .value_kind:     by_value
      - .offset:         28
        .size:           4
        .value_kind:     by_value
      - .actual_access:  read_only
        .address_space:  global
        .offset:         32
        .size:           8
        .value_kind:     global_buffer
      - .actual_access:  read_only
        .address_space:  global
        .offset:         40
        .size:           8
        .value_kind:     global_buffer
      - .actual_access:  read_only
        .address_space:  global
        .offset:         48
        .size:           8
        .value_kind:     global_buffer
      - .offset:         56
        .size:           4
        .value_kind:     by_value
      - .actual_access:  read_only
        .address_space:  global
        .offset:         64
        .size:           8
        .value_kind:     global_buffer
      - .offset:         72
        .size:           4
        .value_kind:     by_value
      - .offset:         76
        .size:           4
        .value_kind:     by_value
      - .offset:         80
        .size:           4
        .value_kind:     by_value
      - .actual_access:  read_only
        .address_space:  global
        .offset:         88
        .size:           8
        .value_kind:     global_buffer
      - .actual_access:  read_only
        .address_space:  global
        .offset:         96
        .size:           8
        .value_kind:     global_buffer
      - .actual_access:  read_only
        .address_space:  global
        .offset:         104
        .size:           8
        .value_kind:     global_buffer
      - .actual_access:  read_only
        .address_space:  global
        .offset:         112
        .size:           8
        .value_kind:     global_buffer
      - .offset:         120
        .size:           4
        .value_kind:     by_value
      - .address_space:  global
        .offset:         128
        .size:           8
        .value_kind:     global_buffer
      - .address_space:  global
        .offset:         136
        .size:           8
        .value_kind:     global_buffer
      - .offset:         144
        .size:           4
        .value_kind:     hidden_block_count_x
      - .offset:         148
        .size:           4
        .value_kind:     hidden_block_count_y
      - .offset:         152
        .size:           4
        .value_kind:     hidden_block_count_z
      - .offset:         156
        .size:           2
        .value_kind:     hidden_group_size_x
      - .offset:         158
        .size:           2
        .value_kind:     hidden_group_size_y
      - .offset:         160
        .size:           2
        .value_kind:     hidden_group_size_z
      - .offset:         162
        .size:           2
        .value_kind:     hidden_remainder_x
      - .offset:         164
        .size:           2
        .value_kind:     hidden_remainder_y
      - .offset:         166
        .size:           2
        .value_kind:     hidden_remainder_z
      - .offset:         184
        .size:           8
        .value_kind:     hidden_global_offset_x
      - .offset:         192
        .size:           8
        .value_kind:     hidden_global_offset_y
      - .offset:         200
        .size:           8
        .value_kind:     hidden_global_offset_z
      - .offset:         208
        .size:           2
        .value_kind:     hidden_grid_dims
      - .offset:         224
        .size:           8
        .value_kind:     hidden_hostcall_buffer
    .group_segment_fixed_size: 0
    .kernarg_segment_align: 8
    .kernarg_segment_size: 400
    .language:       OpenCL C
    .language_version:
      - 2
      - 0
    .max_flat_workgroup_size: 256
    .name:           _Z39paged_attention_ll4mi_QKV_mfma16_kernelIDF16_DF16_LN4vllm18Fp8KVCacheDataTypeE0EDF16_Li16ELi128ELi256ELb1ELi11EEvPKT_PKT0_S7_ifPKiS9_S9_iPKfiiiPfSC_PS2_PT2_iSB_SB_
    .private_segment_fixed_size: 64
    .sgpr_count:     36
    .sgpr_spill_count: 0
    .symbol:         _Z39paged_attention_ll4mi_QKV_mfma16_kernelIDF16_DF16_LN4vllm18Fp8KVCacheDataTypeE0EDF16_Li16ELi128ELi256ELb1ELi11EEvPKT_PKT0_S7_ifPKiS9_S9_iPKfiiiPfSC_PS2_PT2_iSB_SB_.kd
    .uniform_work_group_size: 1
    .uses_dynamic_stack: false
    .vgpr_count:     51
    .vgpr_spill_count: 0
    .wavefront_size: 32
  - .args:
      - .actual_access:  read_only
        .address_space:  global
        .offset:         0
        .size:           8
        .value_kind:     global_buffer
      - .actual_access:  read_only
        .address_space:  global
        .offset:         8
        .size:           8
        .value_kind:     global_buffer
      - .actual_access:  read_only
        .address_space:  global
        .offset:         16
        .size:           8
        .value_kind:     global_buffer
      - .offset:         24
        .size:           4
        .value_kind:     by_value
      - .offset:         28
        .size:           4
        .value_kind:     by_value
      - .actual_access:  read_only
        .address_space:  global
        .offset:         32
        .size:           8
        .value_kind:     global_buffer
      - .actual_access:  read_only
        .address_space:  global
        .offset:         40
        .size:           8
        .value_kind:     global_buffer
      - .actual_access:  read_only
        .address_space:  global
        .offset:         48
        .size:           8
        .value_kind:     global_buffer
      - .offset:         56
        .size:           4
        .value_kind:     by_value
      - .actual_access:  read_only
        .address_space:  global
        .offset:         64
        .size:           8
        .value_kind:     global_buffer
      - .offset:         72
        .size:           4
        .value_kind:     by_value
      - .offset:         76
        .size:           4
        .value_kind:     by_value
      - .offset:         80
        .size:           4
        .value_kind:     by_value
      - .actual_access:  read_only
        .address_space:  global
        .offset:         88
        .size:           8
        .value_kind:     global_buffer
      - .actual_access:  read_only
        .address_space:  global
        .offset:         96
        .size:           8
        .value_kind:     global_buffer
      - .actual_access:  read_only
        .address_space:  global
        .offset:         104
        .size:           8
        .value_kind:     global_buffer
      - .actual_access:  read_only
        .address_space:  global
        .offset:         112
        .size:           8
        .value_kind:     global_buffer
      - .offset:         120
        .size:           4
        .value_kind:     by_value
      - .address_space:  global
        .offset:         128
        .size:           8
        .value_kind:     global_buffer
      - .address_space:  global
        .offset:         136
        .size:           8
        .value_kind:     global_buffer
      - .offset:         144
        .size:           4
        .value_kind:     hidden_block_count_x
      - .offset:         148
        .size:           4
        .value_kind:     hidden_block_count_y
      - .offset:         152
        .size:           4
        .value_kind:     hidden_block_count_z
      - .offset:         156
        .size:           2
        .value_kind:     hidden_group_size_x
      - .offset:         158
        .size:           2
        .value_kind:     hidden_group_size_y
      - .offset:         160
        .size:           2
        .value_kind:     hidden_group_size_z
      - .offset:         162
        .size:           2
        .value_kind:     hidden_remainder_x
      - .offset:         164
        .size:           2
        .value_kind:     hidden_remainder_y
      - .offset:         166
        .size:           2
        .value_kind:     hidden_remainder_z
      - .offset:         184
        .size:           8
        .value_kind:     hidden_global_offset_x
      - .offset:         192
        .size:           8
        .value_kind:     hidden_global_offset_y
      - .offset:         200
        .size:           8
        .value_kind:     hidden_global_offset_z
      - .offset:         208
        .size:           2
        .value_kind:     hidden_grid_dims
      - .offset:         224
        .size:           8
        .value_kind:     hidden_hostcall_buffer
    .group_segment_fixed_size: 0
    .kernarg_segment_align: 8
    .kernarg_segment_size: 400
    .language:       OpenCL C
    .language_version:
      - 2
      - 0
    .max_flat_workgroup_size: 256
    .name:           _Z39paged_attention_ll4mi_QKV_mfma16_kernelIDF16_DF16_LN4vllm18Fp8KVCacheDataTypeE0EDF16_Li16ELi128ELi256ELb1ELi12EEvPKT_PKT0_S7_ifPKiS9_S9_iPKfiiiPfSC_PS2_PT2_iSB_SB_
    .private_segment_fixed_size: 64
    .sgpr_count:     36
    .sgpr_spill_count: 0
    .symbol:         _Z39paged_attention_ll4mi_QKV_mfma16_kernelIDF16_DF16_LN4vllm18Fp8KVCacheDataTypeE0EDF16_Li16ELi128ELi256ELb1ELi12EEvPKT_PKT0_S7_ifPKiS9_S9_iPKfiiiPfSC_PS2_PT2_iSB_SB_.kd
    .uniform_work_group_size: 1
    .uses_dynamic_stack: false
    .vgpr_count:     51
    .vgpr_spill_count: 0
    .wavefront_size: 32
  - .args:
      - .actual_access:  read_only
        .address_space:  global
        .offset:         0
        .size:           8
        .value_kind:     global_buffer
      - .actual_access:  read_only
        .address_space:  global
        .offset:         8
        .size:           8
        .value_kind:     global_buffer
      - .actual_access:  read_only
        .address_space:  global
        .offset:         16
        .size:           8
        .value_kind:     global_buffer
      - .offset:         24
        .size:           4
        .value_kind:     by_value
      - .offset:         28
        .size:           4
        .value_kind:     by_value
      - .actual_access:  read_only
        .address_space:  global
        .offset:         32
        .size:           8
        .value_kind:     global_buffer
      - .actual_access:  read_only
        .address_space:  global
        .offset:         40
        .size:           8
        .value_kind:     global_buffer
      - .actual_access:  read_only
        .address_space:  global
        .offset:         48
        .size:           8
        .value_kind:     global_buffer
      - .offset:         56
        .size:           4
        .value_kind:     by_value
      - .actual_access:  read_only
        .address_space:  global
        .offset:         64
        .size:           8
        .value_kind:     global_buffer
      - .offset:         72
        .size:           4
        .value_kind:     by_value
      - .offset:         76
        .size:           4
        .value_kind:     by_value
      - .offset:         80
        .size:           4
        .value_kind:     by_value
      - .actual_access:  read_only
        .address_space:  global
        .offset:         88
        .size:           8
        .value_kind:     global_buffer
      - .actual_access:  read_only
        .address_space:  global
        .offset:         96
        .size:           8
        .value_kind:     global_buffer
      - .actual_access:  read_only
        .address_space:  global
        .offset:         104
        .size:           8
        .value_kind:     global_buffer
      - .actual_access:  read_only
        .address_space:  global
        .offset:         112
        .size:           8
        .value_kind:     global_buffer
      - .offset:         120
        .size:           4
        .value_kind:     by_value
      - .address_space:  global
        .offset:         128
        .size:           8
        .value_kind:     global_buffer
      - .address_space:  global
        .offset:         136
        .size:           8
        .value_kind:     global_buffer
      - .offset:         144
        .size:           4
        .value_kind:     hidden_block_count_x
      - .offset:         148
        .size:           4
        .value_kind:     hidden_block_count_y
      - .offset:         152
        .size:           4
        .value_kind:     hidden_block_count_z
      - .offset:         156
        .size:           2
        .value_kind:     hidden_group_size_x
      - .offset:         158
        .size:           2
        .value_kind:     hidden_group_size_y
      - .offset:         160
        .size:           2
        .value_kind:     hidden_group_size_z
      - .offset:         162
        .size:           2
        .value_kind:     hidden_remainder_x
      - .offset:         164
        .size:           2
        .value_kind:     hidden_remainder_y
      - .offset:         166
        .size:           2
        .value_kind:     hidden_remainder_z
      - .offset:         184
        .size:           8
        .value_kind:     hidden_global_offset_x
      - .offset:         192
        .size:           8
        .value_kind:     hidden_global_offset_y
      - .offset:         200
        .size:           8
        .value_kind:     hidden_global_offset_z
      - .offset:         208
        .size:           2
        .value_kind:     hidden_grid_dims
      - .offset:         224
        .size:           8
        .value_kind:     hidden_hostcall_buffer
    .group_segment_fixed_size: 0
    .kernarg_segment_align: 8
    .kernarg_segment_size: 400
    .language:       OpenCL C
    .language_version:
      - 2
      - 0
    .max_flat_workgroup_size: 256
    .name:           _Z39paged_attention_ll4mi_QKV_mfma16_kernelIDF16_DF16_LN4vllm18Fp8KVCacheDataTypeE0EDF16_Li16ELi128ELi256ELb1ELi13EEvPKT_PKT0_S7_ifPKiS9_S9_iPKfiiiPfSC_PS2_PT2_iSB_SB_
    .private_segment_fixed_size: 64
    .sgpr_count:     36
    .sgpr_spill_count: 0
    .symbol:         _Z39paged_attention_ll4mi_QKV_mfma16_kernelIDF16_DF16_LN4vllm18Fp8KVCacheDataTypeE0EDF16_Li16ELi128ELi256ELb1ELi13EEvPKT_PKT0_S7_ifPKiS9_S9_iPKfiiiPfSC_PS2_PT2_iSB_SB_.kd
    .uniform_work_group_size: 1
    .uses_dynamic_stack: false
    .vgpr_count:     51
    .vgpr_spill_count: 0
    .wavefront_size: 32
  - .args:
      - .actual_access:  read_only
        .address_space:  global
        .offset:         0
        .size:           8
        .value_kind:     global_buffer
      - .actual_access:  read_only
        .address_space:  global
        .offset:         8
        .size:           8
        .value_kind:     global_buffer
      - .actual_access:  read_only
        .address_space:  global
        .offset:         16
        .size:           8
        .value_kind:     global_buffer
      - .offset:         24
        .size:           4
        .value_kind:     by_value
      - .offset:         28
        .size:           4
        .value_kind:     by_value
      - .actual_access:  read_only
        .address_space:  global
        .offset:         32
        .size:           8
        .value_kind:     global_buffer
      - .actual_access:  read_only
        .address_space:  global
        .offset:         40
        .size:           8
        .value_kind:     global_buffer
      - .actual_access:  read_only
        .address_space:  global
        .offset:         48
        .size:           8
        .value_kind:     global_buffer
      - .offset:         56
        .size:           4
        .value_kind:     by_value
      - .actual_access:  read_only
        .address_space:  global
        .offset:         64
        .size:           8
        .value_kind:     global_buffer
      - .offset:         72
        .size:           4
        .value_kind:     by_value
      - .offset:         76
        .size:           4
        .value_kind:     by_value
      - .offset:         80
        .size:           4
        .value_kind:     by_value
      - .actual_access:  read_only
        .address_space:  global
        .offset:         88
        .size:           8
        .value_kind:     global_buffer
      - .actual_access:  read_only
        .address_space:  global
        .offset:         96
        .size:           8
        .value_kind:     global_buffer
      - .actual_access:  read_only
        .address_space:  global
        .offset:         104
        .size:           8
        .value_kind:     global_buffer
      - .actual_access:  read_only
        .address_space:  global
        .offset:         112
        .size:           8
        .value_kind:     global_buffer
      - .offset:         120
        .size:           4
        .value_kind:     by_value
      - .address_space:  global
        .offset:         128
        .size:           8
        .value_kind:     global_buffer
      - .address_space:  global
        .offset:         136
        .size:           8
        .value_kind:     global_buffer
      - .offset:         144
        .size:           4
        .value_kind:     hidden_block_count_x
      - .offset:         148
        .size:           4
        .value_kind:     hidden_block_count_y
      - .offset:         152
        .size:           4
        .value_kind:     hidden_block_count_z
      - .offset:         156
        .size:           2
        .value_kind:     hidden_group_size_x
      - .offset:         158
        .size:           2
        .value_kind:     hidden_group_size_y
      - .offset:         160
        .size:           2
        .value_kind:     hidden_group_size_z
      - .offset:         162
        .size:           2
        .value_kind:     hidden_remainder_x
      - .offset:         164
        .size:           2
        .value_kind:     hidden_remainder_y
      - .offset:         166
        .size:           2
        .value_kind:     hidden_remainder_z
      - .offset:         184
        .size:           8
        .value_kind:     hidden_global_offset_x
      - .offset:         192
        .size:           8
        .value_kind:     hidden_global_offset_y
      - .offset:         200
        .size:           8
        .value_kind:     hidden_global_offset_z
      - .offset:         208
        .size:           2
        .value_kind:     hidden_grid_dims
      - .offset:         224
        .size:           8
        .value_kind:     hidden_hostcall_buffer
    .group_segment_fixed_size: 0
    .kernarg_segment_align: 8
    .kernarg_segment_size: 400
    .language:       OpenCL C
    .language_version:
      - 2
      - 0
    .max_flat_workgroup_size: 256
    .name:           _Z39paged_attention_ll4mi_QKV_mfma16_kernelIDF16_DF16_LN4vllm18Fp8KVCacheDataTypeE0EDF16_Li16ELi128ELi256ELb1ELi14EEvPKT_PKT0_S7_ifPKiS9_S9_iPKfiiiPfSC_PS2_PT2_iSB_SB_
    .private_segment_fixed_size: 64
    .sgpr_count:     36
    .sgpr_spill_count: 0
    .symbol:         _Z39paged_attention_ll4mi_QKV_mfma16_kernelIDF16_DF16_LN4vllm18Fp8KVCacheDataTypeE0EDF16_Li16ELi128ELi256ELb1ELi14EEvPKT_PKT0_S7_ifPKiS9_S9_iPKfiiiPfSC_PS2_PT2_iSB_SB_.kd
    .uniform_work_group_size: 1
    .uses_dynamic_stack: false
    .vgpr_count:     51
    .vgpr_spill_count: 0
    .wavefront_size: 32
  - .args:
      - .actual_access:  read_only
        .address_space:  global
        .offset:         0
        .size:           8
        .value_kind:     global_buffer
      - .actual_access:  read_only
        .address_space:  global
        .offset:         8
        .size:           8
        .value_kind:     global_buffer
      - .actual_access:  read_only
        .address_space:  global
        .offset:         16
        .size:           8
        .value_kind:     global_buffer
      - .offset:         24
        .size:           4
        .value_kind:     by_value
      - .offset:         28
        .size:           4
        .value_kind:     by_value
      - .actual_access:  read_only
        .address_space:  global
        .offset:         32
        .size:           8
        .value_kind:     global_buffer
      - .actual_access:  read_only
        .address_space:  global
        .offset:         40
        .size:           8
        .value_kind:     global_buffer
      - .actual_access:  read_only
        .address_space:  global
        .offset:         48
        .size:           8
        .value_kind:     global_buffer
      - .offset:         56
        .size:           4
        .value_kind:     by_value
      - .actual_access:  read_only
        .address_space:  global
        .offset:         64
        .size:           8
        .value_kind:     global_buffer
      - .offset:         72
        .size:           4
        .value_kind:     by_value
      - .offset:         76
        .size:           4
        .value_kind:     by_value
      - .offset:         80
        .size:           4
        .value_kind:     by_value
      - .actual_access:  read_only
        .address_space:  global
        .offset:         88
        .size:           8
        .value_kind:     global_buffer
      - .actual_access:  read_only
        .address_space:  global
        .offset:         96
        .size:           8
        .value_kind:     global_buffer
      - .actual_access:  read_only
        .address_space:  global
        .offset:         104
        .size:           8
        .value_kind:     global_buffer
      - .actual_access:  read_only
        .address_space:  global
        .offset:         112
        .size:           8
        .value_kind:     global_buffer
      - .offset:         120
        .size:           4
        .value_kind:     by_value
      - .address_space:  global
        .offset:         128
        .size:           8
        .value_kind:     global_buffer
      - .address_space:  global
        .offset:         136
        .size:           8
        .value_kind:     global_buffer
      - .offset:         144
        .size:           4
        .value_kind:     hidden_block_count_x
      - .offset:         148
        .size:           4
        .value_kind:     hidden_block_count_y
      - .offset:         152
        .size:           4
        .value_kind:     hidden_block_count_z
      - .offset:         156
        .size:           2
        .value_kind:     hidden_group_size_x
      - .offset:         158
        .size:           2
        .value_kind:     hidden_group_size_y
      - .offset:         160
        .size:           2
        .value_kind:     hidden_group_size_z
      - .offset:         162
        .size:           2
        .value_kind:     hidden_remainder_x
      - .offset:         164
        .size:           2
        .value_kind:     hidden_remainder_y
      - .offset:         166
        .size:           2
        .value_kind:     hidden_remainder_z
      - .offset:         184
        .size:           8
        .value_kind:     hidden_global_offset_x
      - .offset:         192
        .size:           8
        .value_kind:     hidden_global_offset_y
      - .offset:         200
        .size:           8
        .value_kind:     hidden_global_offset_z
      - .offset:         208
        .size:           2
        .value_kind:     hidden_grid_dims
      - .offset:         224
        .size:           8
        .value_kind:     hidden_hostcall_buffer
    .group_segment_fixed_size: 0
    .kernarg_segment_align: 8
    .kernarg_segment_size: 400
    .language:       OpenCL C
    .language_version:
      - 2
      - 0
    .max_flat_workgroup_size: 256
    .name:           _Z39paged_attention_ll4mi_QKV_mfma16_kernelIDF16_DF16_LN4vllm18Fp8KVCacheDataTypeE0EDF16_Li16ELi128ELi256ELb1ELi15EEvPKT_PKT0_S7_ifPKiS9_S9_iPKfiiiPfSC_PS2_PT2_iSB_SB_
    .private_segment_fixed_size: 64
    .sgpr_count:     36
    .sgpr_spill_count: 0
    .symbol:         _Z39paged_attention_ll4mi_QKV_mfma16_kernelIDF16_DF16_LN4vllm18Fp8KVCacheDataTypeE0EDF16_Li16ELi128ELi256ELb1ELi15EEvPKT_PKT0_S7_ifPKiS9_S9_iPKfiiiPfSC_PS2_PT2_iSB_SB_.kd
    .uniform_work_group_size: 1
    .uses_dynamic_stack: false
    .vgpr_count:     51
    .vgpr_spill_count: 0
    .wavefront_size: 32
  - .args:
      - .actual_access:  read_only
        .address_space:  global
        .offset:         0
        .size:           8
        .value_kind:     global_buffer
      - .actual_access:  read_only
        .address_space:  global
        .offset:         8
        .size:           8
        .value_kind:     global_buffer
      - .actual_access:  read_only
        .address_space:  global
        .offset:         16
        .size:           8
        .value_kind:     global_buffer
      - .offset:         24
        .size:           4
        .value_kind:     by_value
      - .offset:         28
        .size:           4
        .value_kind:     by_value
      - .actual_access:  read_only
        .address_space:  global
        .offset:         32
        .size:           8
        .value_kind:     global_buffer
      - .actual_access:  read_only
        .address_space:  global
        .offset:         40
        .size:           8
        .value_kind:     global_buffer
      - .actual_access:  read_only
        .address_space:  global
        .offset:         48
        .size:           8
        .value_kind:     global_buffer
      - .offset:         56
        .size:           4
        .value_kind:     by_value
      - .actual_access:  read_only
        .address_space:  global
        .offset:         64
        .size:           8
        .value_kind:     global_buffer
      - .offset:         72
        .size:           4
        .value_kind:     by_value
      - .offset:         76
        .size:           4
        .value_kind:     by_value
      - .offset:         80
        .size:           4
        .value_kind:     by_value
      - .actual_access:  read_only
        .address_space:  global
        .offset:         88
        .size:           8
        .value_kind:     global_buffer
      - .actual_access:  read_only
        .address_space:  global
        .offset:         96
        .size:           8
        .value_kind:     global_buffer
      - .actual_access:  read_only
        .address_space:  global
        .offset:         104
        .size:           8
        .value_kind:     global_buffer
      - .actual_access:  read_only
        .address_space:  global
        .offset:         112
        .size:           8
        .value_kind:     global_buffer
      - .offset:         120
        .size:           4
        .value_kind:     by_value
      - .address_space:  global
        .offset:         128
        .size:           8
        .value_kind:     global_buffer
      - .address_space:  global
        .offset:         136
        .size:           8
        .value_kind:     global_buffer
      - .offset:         144
        .size:           4
        .value_kind:     hidden_block_count_x
      - .offset:         148
        .size:           4
        .value_kind:     hidden_block_count_y
      - .offset:         152
        .size:           4
        .value_kind:     hidden_block_count_z
      - .offset:         156
        .size:           2
        .value_kind:     hidden_group_size_x
      - .offset:         158
        .size:           2
        .value_kind:     hidden_group_size_y
      - .offset:         160
        .size:           2
        .value_kind:     hidden_group_size_z
      - .offset:         162
        .size:           2
        .value_kind:     hidden_remainder_x
      - .offset:         164
        .size:           2
        .value_kind:     hidden_remainder_y
      - .offset:         166
        .size:           2
        .value_kind:     hidden_remainder_z
      - .offset:         184
        .size:           8
        .value_kind:     hidden_global_offset_x
      - .offset:         192
        .size:           8
        .value_kind:     hidden_global_offset_y
      - .offset:         200
        .size:           8
        .value_kind:     hidden_global_offset_z
      - .offset:         208
        .size:           2
        .value_kind:     hidden_grid_dims
      - .offset:         224
        .size:           8
        .value_kind:     hidden_hostcall_buffer
    .group_segment_fixed_size: 0
    .kernarg_segment_align: 8
    .kernarg_segment_size: 400
    .language:       OpenCL C
    .language_version:
      - 2
      - 0
    .max_flat_workgroup_size: 256
    .name:           _Z39paged_attention_ll4mi_QKV_mfma16_kernelIDF16_DF16_LN4vllm18Fp8KVCacheDataTypeE0EDF16_Li16ELi128ELi256ELb1ELi16EEvPKT_PKT0_S7_ifPKiS9_S9_iPKfiiiPfSC_PS2_PT2_iSB_SB_
    .private_segment_fixed_size: 64
    .sgpr_count:     36
    .sgpr_spill_count: 0
    .symbol:         _Z39paged_attention_ll4mi_QKV_mfma16_kernelIDF16_DF16_LN4vllm18Fp8KVCacheDataTypeE0EDF16_Li16ELi128ELi256ELb1ELi16EEvPKT_PKT0_S7_ifPKiS9_S9_iPKfiiiPfSC_PS2_PT2_iSB_SB_.kd
    .uniform_work_group_size: 1
    .uses_dynamic_stack: false
    .vgpr_count:     51
    .vgpr_spill_count: 0
    .wavefront_size: 32
  - .args:
      - .actual_access:  read_only
        .address_space:  global
        .offset:         0
        .size:           8
        .value_kind:     global_buffer
      - .actual_access:  read_only
        .address_space:  global
        .offset:         8
        .size:           8
        .value_kind:     global_buffer
      - .actual_access:  read_only
        .address_space:  global
        .offset:         16
        .size:           8
        .value_kind:     global_buffer
      - .actual_access:  read_only
        .address_space:  global
        .offset:         24
        .size:           8
        .value_kind:     global_buffer
      - .actual_access:  read_only
        .address_space:  global
        .offset:         32
        .size:           8
        .value_kind:     global_buffer
      - .actual_access:  read_only
        .address_space:  global
        .offset:         40
        .size:           8
        .value_kind:     global_buffer
      - .offset:         48
        .size:           4
        .value_kind:     by_value
      - .actual_access:  read_only
        .address_space:  global
        .offset:         56
        .size:           8
        .value_kind:     global_buffer
      - .offset:         64
        .size:           4
        .value_kind:     hidden_block_count_x
      - .offset:         68
        .size:           4
        .value_kind:     hidden_block_count_y
      - .offset:         72
        .size:           4
        .value_kind:     hidden_block_count_z
      - .offset:         76
        .size:           2
        .value_kind:     hidden_group_size_x
      - .offset:         78
        .size:           2
        .value_kind:     hidden_group_size_y
      - .offset:         80
        .size:           2
        .value_kind:     hidden_group_size_z
      - .offset:         82
        .size:           2
        .value_kind:     hidden_remainder_x
      - .offset:         84
        .size:           2
        .value_kind:     hidden_remainder_y
      - .offset:         86
        .size:           2
        .value_kind:     hidden_remainder_z
      - .offset:         104
        .size:           8
        .value_kind:     hidden_global_offset_x
      - .offset:         112
        .size:           8
        .value_kind:     hidden_global_offset_y
      - .offset:         120
        .size:           8
        .value_kind:     hidden_global_offset_z
      - .offset:         128
        .size:           2
        .value_kind:     hidden_grid_dims
      - .offset:         144
        .size:           8
        .value_kind:     hidden_hostcall_buffer
    .group_segment_fixed_size: 0
    .kernarg_segment_align: 8
    .kernarg_segment_size: 320
    .language:       OpenCL C
    .language_version:
      - 2
      - 0
    .max_flat_workgroup_size: 128
    .name:           _Z35paged_attention_ll4mi_reduce_kernelIDF16_DF16_Li128ELi128ELi256ELi1EEvPT0_PKfS3_PKT_PKiS8_iS3_
    .private_segment_fixed_size: 64
    .sgpr_count:     36
    .sgpr_spill_count: 0
    .symbol:         _Z35paged_attention_ll4mi_reduce_kernelIDF16_DF16_Li128ELi128ELi256ELi1EEvPT0_PKfS3_PKT_PKiS8_iS3_.kd
    .uniform_work_group_size: 1
    .uses_dynamic_stack: false
    .vgpr_count:     51
    .vgpr_spill_count: 0
    .wavefront_size: 32
  - .args:
      - .actual_access:  read_only
        .address_space:  global
        .offset:         0
        .size:           8
        .value_kind:     global_buffer
      - .actual_access:  read_only
        .address_space:  global
        .offset:         8
        .size:           8
        .value_kind:     global_buffer
      - .actual_access:  read_only
        .address_space:  global
        .offset:         16
        .size:           8
        .value_kind:     global_buffer
      - .actual_access:  read_only
        .address_space:  global
        .offset:         24
        .size:           8
        .value_kind:     global_buffer
      - .actual_access:  read_only
        .address_space:  global
        .offset:         32
        .size:           8
        .value_kind:     global_buffer
      - .actual_access:  read_only
        .address_space:  global
        .offset:         40
        .size:           8
        .value_kind:     global_buffer
      - .offset:         48
        .size:           4
        .value_kind:     by_value
      - .actual_access:  read_only
        .address_space:  global
        .offset:         56
        .size:           8
        .value_kind:     global_buffer
      - .offset:         64
        .size:           4
        .value_kind:     hidden_block_count_x
      - .offset:         68
        .size:           4
        .value_kind:     hidden_block_count_y
      - .offset:         72
        .size:           4
        .value_kind:     hidden_block_count_z
      - .offset:         76
        .size:           2
        .value_kind:     hidden_group_size_x
      - .offset:         78
        .size:           2
        .value_kind:     hidden_group_size_y
      - .offset:         80
        .size:           2
        .value_kind:     hidden_group_size_z
      - .offset:         82
        .size:           2
        .value_kind:     hidden_remainder_x
      - .offset:         84
        .size:           2
        .value_kind:     hidden_remainder_y
      - .offset:         86
        .size:           2
        .value_kind:     hidden_remainder_z
      - .offset:         104
        .size:           8
        .value_kind:     hidden_global_offset_x
      - .offset:         112
        .size:           8
        .value_kind:     hidden_global_offset_y
      - .offset:         120
        .size:           8
        .value_kind:     hidden_global_offset_z
      - .offset:         128
        .size:           2
        .value_kind:     hidden_grid_dims
      - .offset:         144
        .size:           8
        .value_kind:     hidden_hostcall_buffer
    .group_segment_fixed_size: 0
    .kernarg_segment_align: 8
    .kernarg_segment_size: 320
    .language:       OpenCL C
    .language_version:
      - 2
      - 0
    .max_flat_workgroup_size: 128
    .name:           _Z35paged_attention_ll4mi_reduce_kernelIDF16_DF16_Li128ELi128ELi256ELi2EEvPT0_PKfS3_PKT_PKiS8_iS3_
    .private_segment_fixed_size: 64
    .sgpr_count:     36
    .sgpr_spill_count: 0
    .symbol:         _Z35paged_attention_ll4mi_reduce_kernelIDF16_DF16_Li128ELi128ELi256ELi2EEvPT0_PKfS3_PKT_PKiS8_iS3_.kd
    .uniform_work_group_size: 1
    .uses_dynamic_stack: false
    .vgpr_count:     51
    .vgpr_spill_count: 0
    .wavefront_size: 32
  - .args:
      - .actual_access:  read_only
        .address_space:  global
        .offset:         0
        .size:           8
        .value_kind:     global_buffer
      - .actual_access:  read_only
        .address_space:  global
        .offset:         8
        .size:           8
        .value_kind:     global_buffer
      - .actual_access:  read_only
        .address_space:  global
        .offset:         16
        .size:           8
        .value_kind:     global_buffer
      - .actual_access:  read_only
        .address_space:  global
        .offset:         24
        .size:           8
        .value_kind:     global_buffer
      - .actual_access:  read_only
        .address_space:  global
        .offset:         32
        .size:           8
        .value_kind:     global_buffer
      - .actual_access:  read_only
        .address_space:  global
        .offset:         40
        .size:           8
        .value_kind:     global_buffer
      - .offset:         48
        .size:           4
        .value_kind:     by_value
      - .actual_access:  read_only
        .address_space:  global
        .offset:         56
        .size:           8
        .value_kind:     global_buffer
      - .offset:         64
        .size:           4
        .value_kind:     hidden_block_count_x
      - .offset:         68
        .size:           4
        .value_kind:     hidden_block_count_y
      - .offset:         72
        .size:           4
        .value_kind:     hidden_block_count_z
      - .offset:         76
        .size:           2
        .value_kind:     hidden_group_size_x
      - .offset:         78
        .size:           2
        .value_kind:     hidden_group_size_y
      - .offset:         80
        .size:           2
        .value_kind:     hidden_group_size_z
      - .offset:         82
        .size:           2
        .value_kind:     hidden_remainder_x
      - .offset:         84
        .size:           2
        .value_kind:     hidden_remainder_y
      - .offset:         86
        .size:           2
        .value_kind:     hidden_remainder_z
      - .offset:         104
        .size:           8
        .value_kind:     hidden_global_offset_x
      - .offset:         112
        .size:           8
        .value_kind:     hidden_global_offset_y
      - .offset:         120
        .size:           8
        .value_kind:     hidden_global_offset_z
      - .offset:         128
        .size:           2
        .value_kind:     hidden_grid_dims
      - .offset:         144
        .size:           8
        .value_kind:     hidden_hostcall_buffer
    .group_segment_fixed_size: 0
    .kernarg_segment_align: 8
    .kernarg_segment_size: 320
    .language:       OpenCL C
    .language_version:
      - 2
      - 0
    .max_flat_workgroup_size: 128
    .name:           _Z35paged_attention_ll4mi_reduce_kernelIDF16_DF16_Li128ELi128ELi256ELi3EEvPT0_PKfS3_PKT_PKiS8_iS3_
    .private_segment_fixed_size: 64
    .sgpr_count:     36
    .sgpr_spill_count: 0
    .symbol:         _Z35paged_attention_ll4mi_reduce_kernelIDF16_DF16_Li128ELi128ELi256ELi3EEvPT0_PKfS3_PKT_PKiS8_iS3_.kd
    .uniform_work_group_size: 1
    .uses_dynamic_stack: false
    .vgpr_count:     51
    .vgpr_spill_count: 0
    .wavefront_size: 32
  - .args:
      - .actual_access:  read_only
        .address_space:  global
        .offset:         0
        .size:           8
        .value_kind:     global_buffer
      - .actual_access:  read_only
        .address_space:  global
        .offset:         8
        .size:           8
        .value_kind:     global_buffer
      - .actual_access:  read_only
        .address_space:  global
        .offset:         16
        .size:           8
        .value_kind:     global_buffer
      - .actual_access:  read_only
        .address_space:  global
        .offset:         24
        .size:           8
        .value_kind:     global_buffer
      - .actual_access:  read_only
        .address_space:  global
        .offset:         32
        .size:           8
        .value_kind:     global_buffer
      - .actual_access:  read_only
        .address_space:  global
        .offset:         40
        .size:           8
        .value_kind:     global_buffer
      - .offset:         48
        .size:           4
        .value_kind:     by_value
      - .actual_access:  read_only
        .address_space:  global
        .offset:         56
        .size:           8
        .value_kind:     global_buffer
      - .offset:         64
        .size:           4
        .value_kind:     hidden_block_count_x
      - .offset:         68
        .size:           4
        .value_kind:     hidden_block_count_y
      - .offset:         72
        .size:           4
        .value_kind:     hidden_block_count_z
      - .offset:         76
        .size:           2
        .value_kind:     hidden_group_size_x
      - .offset:         78
        .size:           2
        .value_kind:     hidden_group_size_y
      - .offset:         80
        .size:           2
        .value_kind:     hidden_group_size_z
      - .offset:         82
        .size:           2
        .value_kind:     hidden_remainder_x
      - .offset:         84
        .size:           2
        .value_kind:     hidden_remainder_y
      - .offset:         86
        .size:           2
        .value_kind:     hidden_remainder_z
      - .offset:         104
        .size:           8
        .value_kind:     hidden_global_offset_x
      - .offset:         112
        .size:           8
        .value_kind:     hidden_global_offset_y
      - .offset:         120
        .size:           8
        .value_kind:     hidden_global_offset_z
      - .offset:         128
        .size:           2
        .value_kind:     hidden_grid_dims
      - .offset:         144
        .size:           8
        .value_kind:     hidden_hostcall_buffer
    .group_segment_fixed_size: 0
    .kernarg_segment_align: 8
    .kernarg_segment_size: 320
    .language:       OpenCL C
    .language_version:
      - 2
      - 0
    .max_flat_workgroup_size: 128
    .name:           _Z35paged_attention_ll4mi_reduce_kernelIDF16_DF16_Li128ELi128ELi256ELi4EEvPT0_PKfS3_PKT_PKiS8_iS3_
    .private_segment_fixed_size: 64
    .sgpr_count:     36
    .sgpr_spill_count: 0
    .symbol:         _Z35paged_attention_ll4mi_reduce_kernelIDF16_DF16_Li128ELi128ELi256ELi4EEvPT0_PKfS3_PKT_PKiS8_iS3_.kd
    .uniform_work_group_size: 1
    .uses_dynamic_stack: false
    .vgpr_count:     51
    .vgpr_spill_count: 0
    .wavefront_size: 32
  - .args:
      - .actual_access:  read_only
        .address_space:  global
        .offset:         0
        .size:           8
        .value_kind:     global_buffer
      - .actual_access:  read_only
        .address_space:  global
        .offset:         8
        .size:           8
        .value_kind:     global_buffer
      - .actual_access:  read_only
        .address_space:  global
        .offset:         16
        .size:           8
        .value_kind:     global_buffer
      - .actual_access:  read_only
        .address_space:  global
        .offset:         24
        .size:           8
        .value_kind:     global_buffer
      - .actual_access:  read_only
        .address_space:  global
        .offset:         32
        .size:           8
        .value_kind:     global_buffer
      - .actual_access:  read_only
        .address_space:  global
        .offset:         40
        .size:           8
        .value_kind:     global_buffer
      - .offset:         48
        .size:           4
        .value_kind:     by_value
      - .actual_access:  read_only
        .address_space:  global
        .offset:         56
        .size:           8
        .value_kind:     global_buffer
      - .offset:         64
        .size:           4
        .value_kind:     hidden_block_count_x
      - .offset:         68
        .size:           4
        .value_kind:     hidden_block_count_y
      - .offset:         72
        .size:           4
        .value_kind:     hidden_block_count_z
      - .offset:         76
        .size:           2
        .value_kind:     hidden_group_size_x
      - .offset:         78
        .size:           2
        .value_kind:     hidden_group_size_y
      - .offset:         80
        .size:           2
        .value_kind:     hidden_group_size_z
      - .offset:         82
        .size:           2
        .value_kind:     hidden_remainder_x
      - .offset:         84
        .size:           2
        .value_kind:     hidden_remainder_y
      - .offset:         86
        .size:           2
        .value_kind:     hidden_remainder_z
      - .offset:         104
        .size:           8
        .value_kind:     hidden_global_offset_x
      - .offset:         112
        .size:           8
        .value_kind:     hidden_global_offset_y
      - .offset:         120
        .size:           8
        .value_kind:     hidden_global_offset_z
      - .offset:         128
        .size:           2
        .value_kind:     hidden_grid_dims
      - .offset:         144
        .size:           8
        .value_kind:     hidden_hostcall_buffer
    .group_segment_fixed_size: 0
    .kernarg_segment_align: 8
    .kernarg_segment_size: 320
    .language:       OpenCL C
    .language_version:
      - 2
      - 0
    .max_flat_workgroup_size: 128
    .name:           _Z35paged_attention_ll4mi_reduce_kernelIDF16_DF16_Li128ELi128ELi256ELi5EEvPT0_PKfS3_PKT_PKiS8_iS3_
    .private_segment_fixed_size: 64
    .sgpr_count:     36
    .sgpr_spill_count: 0
    .symbol:         _Z35paged_attention_ll4mi_reduce_kernelIDF16_DF16_Li128ELi128ELi256ELi5EEvPT0_PKfS3_PKT_PKiS8_iS3_.kd
    .uniform_work_group_size: 1
    .uses_dynamic_stack: false
    .vgpr_count:     51
    .vgpr_spill_count: 0
    .wavefront_size: 32
  - .args:
      - .actual_access:  read_only
        .address_space:  global
        .offset:         0
        .size:           8
        .value_kind:     global_buffer
      - .actual_access:  read_only
        .address_space:  global
        .offset:         8
        .size:           8
        .value_kind:     global_buffer
      - .actual_access:  read_only
        .address_space:  global
        .offset:         16
        .size:           8
        .value_kind:     global_buffer
      - .actual_access:  read_only
        .address_space:  global
        .offset:         24
        .size:           8
        .value_kind:     global_buffer
      - .actual_access:  read_only
        .address_space:  global
        .offset:         32
        .size:           8
        .value_kind:     global_buffer
      - .actual_access:  read_only
        .address_space:  global
        .offset:         40
        .size:           8
        .value_kind:     global_buffer
      - .offset:         48
        .size:           4
        .value_kind:     by_value
      - .actual_access:  read_only
        .address_space:  global
        .offset:         56
        .size:           8
        .value_kind:     global_buffer
      - .offset:         64
        .size:           4
        .value_kind:     hidden_block_count_x
      - .offset:         68
        .size:           4
        .value_kind:     hidden_block_count_y
      - .offset:         72
        .size:           4
        .value_kind:     hidden_block_count_z
      - .offset:         76
        .size:           2
        .value_kind:     hidden_group_size_x
      - .offset:         78
        .size:           2
        .value_kind:     hidden_group_size_y
      - .offset:         80
        .size:           2
        .value_kind:     hidden_group_size_z
      - .offset:         82
        .size:           2
        .value_kind:     hidden_remainder_x
      - .offset:         84
        .size:           2
        .value_kind:     hidden_remainder_y
      - .offset:         86
        .size:           2
        .value_kind:     hidden_remainder_z
      - .offset:         104
        .size:           8
        .value_kind:     hidden_global_offset_x
      - .offset:         112
        .size:           8
        .value_kind:     hidden_global_offset_y
      - .offset:         120
        .size:           8
        .value_kind:     hidden_global_offset_z
      - .offset:         128
        .size:           2
        .value_kind:     hidden_grid_dims
      - .offset:         144
        .size:           8
        .value_kind:     hidden_hostcall_buffer
    .group_segment_fixed_size: 0
    .kernarg_segment_align: 8
    .kernarg_segment_size: 320
    .language:       OpenCL C
    .language_version:
      - 2
      - 0
    .max_flat_workgroup_size: 128
    .name:           _Z35paged_attention_ll4mi_reduce_kernelIDF16_DF16_Li128ELi128ELi256ELi6EEvPT0_PKfS3_PKT_PKiS8_iS3_
    .private_segment_fixed_size: 64
    .sgpr_count:     36
    .sgpr_spill_count: 0
    .symbol:         _Z35paged_attention_ll4mi_reduce_kernelIDF16_DF16_Li128ELi128ELi256ELi6EEvPT0_PKfS3_PKT_PKiS8_iS3_.kd
    .uniform_work_group_size: 1
    .uses_dynamic_stack: false
    .vgpr_count:     51
    .vgpr_spill_count: 0
    .wavefront_size: 32
  - .args:
      - .actual_access:  read_only
        .address_space:  global
        .offset:         0
        .size:           8
        .value_kind:     global_buffer
      - .actual_access:  read_only
        .address_space:  global
        .offset:         8
        .size:           8
        .value_kind:     global_buffer
      - .actual_access:  read_only
        .address_space:  global
        .offset:         16
        .size:           8
        .value_kind:     global_buffer
      - .actual_access:  read_only
        .address_space:  global
        .offset:         24
        .size:           8
        .value_kind:     global_buffer
      - .actual_access:  read_only
        .address_space:  global
        .offset:         32
        .size:           8
        .value_kind:     global_buffer
      - .actual_access:  read_only
        .address_space:  global
        .offset:         40
        .size:           8
        .value_kind:     global_buffer
      - .offset:         48
        .size:           4
        .value_kind:     by_value
      - .actual_access:  read_only
        .address_space:  global
        .offset:         56
        .size:           8
        .value_kind:     global_buffer
      - .offset:         64
        .size:           4
        .value_kind:     hidden_block_count_x
      - .offset:         68
        .size:           4
        .value_kind:     hidden_block_count_y
      - .offset:         72
        .size:           4
        .value_kind:     hidden_block_count_z
      - .offset:         76
        .size:           2
        .value_kind:     hidden_group_size_x
      - .offset:         78
        .size:           2
        .value_kind:     hidden_group_size_y
      - .offset:         80
        .size:           2
        .value_kind:     hidden_group_size_z
      - .offset:         82
        .size:           2
        .value_kind:     hidden_remainder_x
      - .offset:         84
        .size:           2
        .value_kind:     hidden_remainder_y
      - .offset:         86
        .size:           2
        .value_kind:     hidden_remainder_z
      - .offset:         104
        .size:           8
        .value_kind:     hidden_global_offset_x
      - .offset:         112
        .size:           8
        .value_kind:     hidden_global_offset_y
      - .offset:         120
        .size:           8
        .value_kind:     hidden_global_offset_z
      - .offset:         128
        .size:           2
        .value_kind:     hidden_grid_dims
      - .offset:         144
        .size:           8
        .value_kind:     hidden_hostcall_buffer
    .group_segment_fixed_size: 0
    .kernarg_segment_align: 8
    .kernarg_segment_size: 320
    .language:       OpenCL C
    .language_version:
      - 2
      - 0
    .max_flat_workgroup_size: 128
    .name:           _Z35paged_attention_ll4mi_reduce_kernelIDF16_DF16_Li128ELi128ELi256ELi7EEvPT0_PKfS3_PKT_PKiS8_iS3_
    .private_segment_fixed_size: 64
    .sgpr_count:     36
    .sgpr_spill_count: 0
    .symbol:         _Z35paged_attention_ll4mi_reduce_kernelIDF16_DF16_Li128ELi128ELi256ELi7EEvPT0_PKfS3_PKT_PKiS8_iS3_.kd
    .uniform_work_group_size: 1
    .uses_dynamic_stack: false
    .vgpr_count:     51
    .vgpr_spill_count: 0
    .wavefront_size: 32
  - .args:
      - .actual_access:  read_only
        .address_space:  global
        .offset:         0
        .size:           8
        .value_kind:     global_buffer
      - .actual_access:  read_only
        .address_space:  global
        .offset:         8
        .size:           8
        .value_kind:     global_buffer
      - .actual_access:  read_only
        .address_space:  global
        .offset:         16
        .size:           8
        .value_kind:     global_buffer
      - .actual_access:  read_only
        .address_space:  global
        .offset:         24
        .size:           8
        .value_kind:     global_buffer
      - .actual_access:  read_only
        .address_space:  global
        .offset:         32
        .size:           8
        .value_kind:     global_buffer
      - .actual_access:  read_only
        .address_space:  global
        .offset:         40
        .size:           8
        .value_kind:     global_buffer
      - .offset:         48
        .size:           4
        .value_kind:     by_value
      - .actual_access:  read_only
        .address_space:  global
        .offset:         56
        .size:           8
        .value_kind:     global_buffer
      - .offset:         64
        .size:           4
        .value_kind:     hidden_block_count_x
      - .offset:         68
        .size:           4
        .value_kind:     hidden_block_count_y
      - .offset:         72
        .size:           4
        .value_kind:     hidden_block_count_z
      - .offset:         76
        .size:           2
        .value_kind:     hidden_group_size_x
      - .offset:         78
        .size:           2
        .value_kind:     hidden_group_size_y
      - .offset:         80
        .size:           2
        .value_kind:     hidden_group_size_z
      - .offset:         82
        .size:           2
        .value_kind:     hidden_remainder_x
      - .offset:         84
        .size:           2
        .value_kind:     hidden_remainder_y
      - .offset:         86
        .size:           2
        .value_kind:     hidden_remainder_z
      - .offset:         104
        .size:           8
        .value_kind:     hidden_global_offset_x
      - .offset:         112
        .size:           8
        .value_kind:     hidden_global_offset_y
      - .offset:         120
        .size:           8
        .value_kind:     hidden_global_offset_z
      - .offset:         128
        .size:           2
        .value_kind:     hidden_grid_dims
      - .offset:         144
        .size:           8
        .value_kind:     hidden_hostcall_buffer
    .group_segment_fixed_size: 0
    .kernarg_segment_align: 8
    .kernarg_segment_size: 320
    .language:       OpenCL C
    .language_version:
      - 2
      - 0
    .max_flat_workgroup_size: 128
    .name:           _Z35paged_attention_ll4mi_reduce_kernelIDF16_DF16_Li128ELi128ELi256ELi8EEvPT0_PKfS3_PKT_PKiS8_iS3_
    .private_segment_fixed_size: 64
    .sgpr_count:     36
    .sgpr_spill_count: 0
    .symbol:         _Z35paged_attention_ll4mi_reduce_kernelIDF16_DF16_Li128ELi128ELi256ELi8EEvPT0_PKfS3_PKT_PKiS8_iS3_.kd
    .uniform_work_group_size: 1
    .uses_dynamic_stack: false
    .vgpr_count:     51
    .vgpr_spill_count: 0
    .wavefront_size: 32
  - .args:
      - .actual_access:  read_only
        .address_space:  global
        .offset:         0
        .size:           8
        .value_kind:     global_buffer
      - .actual_access:  read_only
        .address_space:  global
        .offset:         8
        .size:           8
        .value_kind:     global_buffer
      - .actual_access:  read_only
        .address_space:  global
        .offset:         16
        .size:           8
        .value_kind:     global_buffer
      - .offset:         24
        .size:           4
        .value_kind:     by_value
      - .offset:         28
        .size:           4
        .value_kind:     by_value
      - .actual_access:  read_only
        .address_space:  global
        .offset:         32
        .size:           8
        .value_kind:     global_buffer
      - .actual_access:  read_only
        .address_space:  global
        .offset:         40
        .size:           8
        .value_kind:     global_buffer
      - .actual_access:  read_only
        .address_space:  global
        .offset:         48
        .size:           8
        .value_kind:     global_buffer
      - .offset:         56
        .size:           4
        .value_kind:     by_value
      - .actual_access:  read_only
        .address_space:  global
        .offset:         64
        .size:           8
        .value_kind:     global_buffer
      - .offset:         72
        .size:           4
        .value_kind:     by_value
      - .offset:         76
        .size:           4
        .value_kind:     by_value
      - .offset:         80
        .size:           4
        .value_kind:     by_value
      - .actual_access:  read_only
        .address_space:  global
        .offset:         88
        .size:           8
        .value_kind:     global_buffer
      - .actual_access:  read_only
        .address_space:  global
        .offset:         96
        .size:           8
        .value_kind:     global_buffer
      - .actual_access:  read_only
        .address_space:  global
        .offset:         104
        .size:           8
        .value_kind:     global_buffer
      - .actual_access:  read_only
        .address_space:  global
        .offset:         112
        .size:           8
        .value_kind:     global_buffer
      - .offset:         120
        .size:           4
        .value_kind:     by_value
      - .address_space:  global
        .offset:         128
        .size:           8
        .value_kind:     global_buffer
      - .address_space:  global
        .offset:         136
        .size:           8
        .value_kind:     global_buffer
      - .offset:         144
        .size:           4
        .value_kind:     hidden_block_count_x
      - .offset:         148
        .size:           4
        .value_kind:     hidden_block_count_y
      - .offset:         152
        .size:           4
        .value_kind:     hidden_block_count_z
      - .offset:         156
        .size:           2
        .value_kind:     hidden_group_size_x
      - .offset:         158
        .size:           2
        .value_kind:     hidden_group_size_y
      - .offset:         160
        .size:           2
        .value_kind:     hidden_group_size_z
      - .offset:         162
        .size:           2
        .value_kind:     hidden_remainder_x
      - .offset:         164
        .size:           2
        .value_kind:     hidden_remainder_y
      - .offset:         166
        .size:           2
        .value_kind:     hidden_remainder_z
      - .offset:         184
        .size:           8
        .value_kind:     hidden_global_offset_x
      - .offset:         192
        .size:           8
        .value_kind:     hidden_global_offset_y
      - .offset:         200
        .size:           8
        .value_kind:     hidden_global_offset_z
      - .offset:         208
        .size:           2
        .value_kind:     hidden_grid_dims
      - .offset:         224
        .size:           8
        .value_kind:     hidden_hostcall_buffer
    .group_segment_fixed_size: 0
    .kernarg_segment_align: 8
    .kernarg_segment_size: 400
    .language:       OpenCL C
    .language_version:
      - 2
      - 0
    .max_flat_workgroup_size: 256
    .name:           _Z39paged_attention_ll4mi_QKV_mfma16_kernelIDF16_DF16_LN4vllm18Fp8KVCacheDataTypeE0EDF16_Li16ELi128ELi256ELb1ELi1EEvPKT_PKT0_S7_ifPKiS9_S9_iPKfiiiPfSC_PS2_PT2_iSB_SB_
    .private_segment_fixed_size: 64
    .sgpr_count:     36
    .sgpr_spill_count: 0
    .symbol:         _Z39paged_attention_ll4mi_QKV_mfma16_kernelIDF16_DF16_LN4vllm18Fp8KVCacheDataTypeE0EDF16_Li16ELi128ELi256ELb1ELi1EEvPKT_PKT0_S7_ifPKiS9_S9_iPKfiiiPfSC_PS2_PT2_iSB_SB_.kd
    .uniform_work_group_size: 1
    .uses_dynamic_stack: false
    .vgpr_count:     51
    .vgpr_spill_count: 0
    .wavefront_size: 32
  - .args:
      - .actual_access:  read_only
        .address_space:  global
        .offset:         0
        .size:           8
        .value_kind:     global_buffer
      - .actual_access:  read_only
        .address_space:  global
        .offset:         8
        .size:           8
        .value_kind:     global_buffer
      - .actual_access:  read_only
        .address_space:  global
        .offset:         16
        .size:           8
        .value_kind:     global_buffer
      - .offset:         24
        .size:           4
        .value_kind:     by_value
      - .offset:         28
        .size:           4
        .value_kind:     by_value
      - .actual_access:  read_only
        .address_space:  global
        .offset:         32
        .size:           8
        .value_kind:     global_buffer
      - .actual_access:  read_only
        .address_space:  global
        .offset:         40
        .size:           8
        .value_kind:     global_buffer
      - .actual_access:  read_only
        .address_space:  global
        .offset:         48
        .size:           8
        .value_kind:     global_buffer
      - .offset:         56
        .size:           4
        .value_kind:     by_value
      - .actual_access:  read_only
        .address_space:  global
        .offset:         64
        .size:           8
        .value_kind:     global_buffer
      - .offset:         72
        .size:           4
        .value_kind:     by_value
      - .offset:         76
        .size:           4
        .value_kind:     by_value
      - .offset:         80
        .size:           4
        .value_kind:     by_value
      - .actual_access:  read_only
        .address_space:  global
        .offset:         88
        .size:           8
        .value_kind:     global_buffer
      - .actual_access:  read_only
        .address_space:  global
        .offset:         96
        .size:           8
        .value_kind:     global_buffer
      - .actual_access:  read_only
        .address_space:  global
        .offset:         104
        .size:           8
        .value_kind:     global_buffer
      - .actual_access:  read_only
        .address_space:  global
        .offset:         112
        .size:           8
        .value_kind:     global_buffer
      - .offset:         120
        .size:           4
        .value_kind:     by_value
      - .address_space:  global
        .offset:         128
        .size:           8
        .value_kind:     global_buffer
      - .address_space:  global
        .offset:         136
        .size:           8
        .value_kind:     global_buffer
      - .offset:         144
        .size:           4
        .value_kind:     hidden_block_count_x
      - .offset:         148
        .size:           4
        .value_kind:     hidden_block_count_y
      - .offset:         152
        .size:           4
        .value_kind:     hidden_block_count_z
      - .offset:         156
        .size:           2
        .value_kind:     hidden_group_size_x
      - .offset:         158
        .size:           2
        .value_kind:     hidden_group_size_y
      - .offset:         160
        .size:           2
        .value_kind:     hidden_group_size_z
      - .offset:         162
        .size:           2
        .value_kind:     hidden_remainder_x
      - .offset:         164
        .size:           2
        .value_kind:     hidden_remainder_y
      - .offset:         166
        .size:           2
        .value_kind:     hidden_remainder_z
      - .offset:         184
        .size:           8
        .value_kind:     hidden_global_offset_x
      - .offset:         192
        .size:           8
        .value_kind:     hidden_global_offset_y
      - .offset:         200
        .size:           8
        .value_kind:     hidden_global_offset_z
      - .offset:         208
        .size:           2
        .value_kind:     hidden_grid_dims
      - .offset:         224
        .size:           8
        .value_kind:     hidden_hostcall_buffer
    .group_segment_fixed_size: 0
    .kernarg_segment_align: 8
    .kernarg_segment_size: 400
    .language:       OpenCL C
    .language_version:
      - 2
      - 0
    .max_flat_workgroup_size: 256
    .name:           _Z39paged_attention_ll4mi_QKV_mfma16_kernelIDF16_DF16_LN4vllm18Fp8KVCacheDataTypeE0EDF16_Li16ELi128ELi256ELb1ELi2EEvPKT_PKT0_S7_ifPKiS9_S9_iPKfiiiPfSC_PS2_PT2_iSB_SB_
    .private_segment_fixed_size: 64
    .sgpr_count:     36
    .sgpr_spill_count: 0
    .symbol:         _Z39paged_attention_ll4mi_QKV_mfma16_kernelIDF16_DF16_LN4vllm18Fp8KVCacheDataTypeE0EDF16_Li16ELi128ELi256ELb1ELi2EEvPKT_PKT0_S7_ifPKiS9_S9_iPKfiiiPfSC_PS2_PT2_iSB_SB_.kd
    .uniform_work_group_size: 1
    .uses_dynamic_stack: false
    .vgpr_count:     51
    .vgpr_spill_count: 0
    .wavefront_size: 32
  - .args:
      - .actual_access:  read_only
        .address_space:  global
        .offset:         0
        .size:           8
        .value_kind:     global_buffer
      - .actual_access:  read_only
        .address_space:  global
        .offset:         8
        .size:           8
        .value_kind:     global_buffer
      - .actual_access:  read_only
        .address_space:  global
        .offset:         16
        .size:           8
        .value_kind:     global_buffer
      - .offset:         24
        .size:           4
        .value_kind:     by_value
      - .offset:         28
        .size:           4
        .value_kind:     by_value
      - .actual_access:  read_only
        .address_space:  global
        .offset:         32
        .size:           8
        .value_kind:     global_buffer
      - .actual_access:  read_only
        .address_space:  global
        .offset:         40
        .size:           8
        .value_kind:     global_buffer
      - .actual_access:  read_only
        .address_space:  global
        .offset:         48
        .size:           8
        .value_kind:     global_buffer
      - .offset:         56
        .size:           4
        .value_kind:     by_value
      - .actual_access:  read_only
        .address_space:  global
        .offset:         64
        .size:           8
        .value_kind:     global_buffer
      - .offset:         72
        .size:           4
        .value_kind:     by_value
      - .offset:         76
        .size:           4
        .value_kind:     by_value
      - .offset:         80
        .size:           4
        .value_kind:     by_value
      - .actual_access:  read_only
        .address_space:  global
        .offset:         88
        .size:           8
        .value_kind:     global_buffer
      - .actual_access:  read_only
        .address_space:  global
        .offset:         96
        .size:           8
        .value_kind:     global_buffer
      - .actual_access:  read_only
        .address_space:  global
        .offset:         104
        .size:           8
        .value_kind:     global_buffer
      - .actual_access:  read_only
        .address_space:  global
        .offset:         112
        .size:           8
        .value_kind:     global_buffer
      - .offset:         120
        .size:           4
        .value_kind:     by_value
      - .address_space:  global
        .offset:         128
        .size:           8
        .value_kind:     global_buffer
      - .address_space:  global
        .offset:         136
        .size:           8
        .value_kind:     global_buffer
      - .offset:         144
        .size:           4
        .value_kind:     hidden_block_count_x
      - .offset:         148
        .size:           4
        .value_kind:     hidden_block_count_y
      - .offset:         152
        .size:           4
        .value_kind:     hidden_block_count_z
      - .offset:         156
        .size:           2
        .value_kind:     hidden_group_size_x
      - .offset:         158
        .size:           2
        .value_kind:     hidden_group_size_y
      - .offset:         160
        .size:           2
        .value_kind:     hidden_group_size_z
      - .offset:         162
        .size:           2
        .value_kind:     hidden_remainder_x
      - .offset:         164
        .size:           2
        .value_kind:     hidden_remainder_y
      - .offset:         166
        .size:           2
        .value_kind:     hidden_remainder_z
      - .offset:         184
        .size:           8
        .value_kind:     hidden_global_offset_x
      - .offset:         192
        .size:           8
        .value_kind:     hidden_global_offset_y
      - .offset:         200
        .size:           8
        .value_kind:     hidden_global_offset_z
      - .offset:         208
        .size:           2
        .value_kind:     hidden_grid_dims
      - .offset:         224
        .size:           8
        .value_kind:     hidden_hostcall_buffer
    .group_segment_fixed_size: 0
    .kernarg_segment_align: 8
    .kernarg_segment_size: 400
    .language:       OpenCL C
    .language_version:
      - 2
      - 0
    .max_flat_workgroup_size: 256
    .name:           _Z39paged_attention_ll4mi_QKV_mfma16_kernelIDF16_DF16_LN4vllm18Fp8KVCacheDataTypeE0EDF16_Li16ELi128ELi256ELb1ELi3EEvPKT_PKT0_S7_ifPKiS9_S9_iPKfiiiPfSC_PS2_PT2_iSB_SB_
    .private_segment_fixed_size: 64
    .sgpr_count:     36
    .sgpr_spill_count: 0
    .symbol:         _Z39paged_attention_ll4mi_QKV_mfma16_kernelIDF16_DF16_LN4vllm18Fp8KVCacheDataTypeE0EDF16_Li16ELi128ELi256ELb1ELi3EEvPKT_PKT0_S7_ifPKiS9_S9_iPKfiiiPfSC_PS2_PT2_iSB_SB_.kd
    .uniform_work_group_size: 1
    .uses_dynamic_stack: false
    .vgpr_count:     51
    .vgpr_spill_count: 0
    .wavefront_size: 32
  - .args:
      - .actual_access:  read_only
        .address_space:  global
        .offset:         0
        .size:           8
        .value_kind:     global_buffer
      - .actual_access:  read_only
        .address_space:  global
        .offset:         8
        .size:           8
        .value_kind:     global_buffer
      - .actual_access:  read_only
        .address_space:  global
        .offset:         16
        .size:           8
        .value_kind:     global_buffer
      - .offset:         24
        .size:           4
        .value_kind:     by_value
      - .offset:         28
        .size:           4
        .value_kind:     by_value
      - .actual_access:  read_only
        .address_space:  global
        .offset:         32
        .size:           8
        .value_kind:     global_buffer
      - .actual_access:  read_only
        .address_space:  global
        .offset:         40
        .size:           8
        .value_kind:     global_buffer
      - .actual_access:  read_only
        .address_space:  global
        .offset:         48
        .size:           8
        .value_kind:     global_buffer
      - .offset:         56
        .size:           4
        .value_kind:     by_value
      - .actual_access:  read_only
        .address_space:  global
        .offset:         64
        .size:           8
        .value_kind:     global_buffer
      - .offset:         72
        .size:           4
        .value_kind:     by_value
      - .offset:         76
        .size:           4
        .value_kind:     by_value
      - .offset:         80
        .size:           4
        .value_kind:     by_value
      - .actual_access:  read_only
        .address_space:  global
        .offset:         88
        .size:           8
        .value_kind:     global_buffer
      - .actual_access:  read_only
        .address_space:  global
        .offset:         96
        .size:           8
        .value_kind:     global_buffer
      - .actual_access:  read_only
        .address_space:  global
        .offset:         104
        .size:           8
        .value_kind:     global_buffer
      - .actual_access:  read_only
        .address_space:  global
        .offset:         112
        .size:           8
        .value_kind:     global_buffer
      - .offset:         120
        .size:           4
        .value_kind:     by_value
      - .address_space:  global
        .offset:         128
        .size:           8
        .value_kind:     global_buffer
      - .address_space:  global
        .offset:         136
        .size:           8
        .value_kind:     global_buffer
      - .offset:         144
        .size:           4
        .value_kind:     hidden_block_count_x
      - .offset:         148
        .size:           4
        .value_kind:     hidden_block_count_y
      - .offset:         152
        .size:           4
        .value_kind:     hidden_block_count_z
      - .offset:         156
        .size:           2
        .value_kind:     hidden_group_size_x
      - .offset:         158
        .size:           2
        .value_kind:     hidden_group_size_y
      - .offset:         160
        .size:           2
        .value_kind:     hidden_group_size_z
      - .offset:         162
        .size:           2
        .value_kind:     hidden_remainder_x
      - .offset:         164
        .size:           2
        .value_kind:     hidden_remainder_y
      - .offset:         166
        .size:           2
        .value_kind:     hidden_remainder_z
      - .offset:         184
        .size:           8
        .value_kind:     hidden_global_offset_x
      - .offset:         192
        .size:           8
        .value_kind:     hidden_global_offset_y
      - .offset:         200
        .size:           8
        .value_kind:     hidden_global_offset_z
      - .offset:         208
        .size:           2
        .value_kind:     hidden_grid_dims
      - .offset:         224
        .size:           8
        .value_kind:     hidden_hostcall_buffer
    .group_segment_fixed_size: 0
    .kernarg_segment_align: 8
    .kernarg_segment_size: 400
    .language:       OpenCL C
    .language_version:
      - 2
      - 0
    .max_flat_workgroup_size: 256
    .name:           _Z39paged_attention_ll4mi_QKV_mfma16_kernelIDF16_DF16_LN4vllm18Fp8KVCacheDataTypeE0EDF16_Li16ELi128ELi256ELb1ELi4EEvPKT_PKT0_S7_ifPKiS9_S9_iPKfiiiPfSC_PS2_PT2_iSB_SB_
    .private_segment_fixed_size: 64
    .sgpr_count:     36
    .sgpr_spill_count: 0
    .symbol:         _Z39paged_attention_ll4mi_QKV_mfma16_kernelIDF16_DF16_LN4vllm18Fp8KVCacheDataTypeE0EDF16_Li16ELi128ELi256ELb1ELi4EEvPKT_PKT0_S7_ifPKiS9_S9_iPKfiiiPfSC_PS2_PT2_iSB_SB_.kd
    .uniform_work_group_size: 1
    .uses_dynamic_stack: false
    .vgpr_count:     51
    .vgpr_spill_count: 0
    .wavefront_size: 32
  - .args:
      - .actual_access:  read_only
        .address_space:  global
        .offset:         0
        .size:           8
        .value_kind:     global_buffer
      - .actual_access:  read_only
        .address_space:  global
        .offset:         8
        .size:           8
        .value_kind:     global_buffer
      - .actual_access:  read_only
        .address_space:  global
        .offset:         16
        .size:           8
        .value_kind:     global_buffer
      - .actual_access:  read_only
        .address_space:  global
        .offset:         24
        .size:           8
        .value_kind:     global_buffer
      - .actual_access:  read_only
        .address_space:  global
        .offset:         32
        .size:           8
        .value_kind:     global_buffer
      - .actual_access:  read_only
        .address_space:  global
        .offset:         40
        .size:           8
        .value_kind:     global_buffer
      - .offset:         48
        .size:           4
        .value_kind:     by_value
      - .actual_access:  read_only
        .address_space:  global
        .offset:         56
        .size:           8
        .value_kind:     global_buffer
      - .offset:         64
        .size:           4
        .value_kind:     hidden_block_count_x
      - .offset:         68
        .size:           4
        .value_kind:     hidden_block_count_y
      - .offset:         72
        .size:           4
        .value_kind:     hidden_block_count_z
      - .offset:         76
        .size:           2
        .value_kind:     hidden_group_size_x
      - .offset:         78
        .size:           2
        .value_kind:     hidden_group_size_y
      - .offset:         80
        .size:           2
        .value_kind:     hidden_group_size_z
      - .offset:         82
        .size:           2
        .value_kind:     hidden_remainder_x
      - .offset:         84
        .size:           2
        .value_kind:     hidden_remainder_y
      - .offset:         86
        .size:           2
        .value_kind:     hidden_remainder_z
      - .offset:         104
        .size:           8
        .value_kind:     hidden_global_offset_x
      - .offset:         112
        .size:           8
        .value_kind:     hidden_global_offset_y
      - .offset:         120
        .size:           8
        .value_kind:     hidden_global_offset_z
      - .offset:         128
        .size:           2
        .value_kind:     hidden_grid_dims
      - .offset:         144
        .size:           8
        .value_kind:     hidden_hostcall_buffer
    .group_segment_fixed_size: 0
    .kernarg_segment_align: 8
    .kernarg_segment_size: 320
    .language:       OpenCL C
    .language_version:
      - 2
      - 0
    .max_flat_workgroup_size: 128
    .name:           _Z35paged_attention_ll4mi_reduce_kernelIDF16_DF16_Li128ELi128ELi256ELi9EEvPT0_PKfS3_PKT_PKiS8_iS3_
    .private_segment_fixed_size: 64
    .sgpr_count:     36
    .sgpr_spill_count: 0
    .symbol:         _Z35paged_attention_ll4mi_reduce_kernelIDF16_DF16_Li128ELi128ELi256ELi9EEvPT0_PKfS3_PKT_PKiS8_iS3_.kd
    .uniform_work_group_size: 1
    .uses_dynamic_stack: false
    .vgpr_count:     51
    .vgpr_spill_count: 0
    .wavefront_size: 32
  - .args:
      - .actual_access:  read_only
        .address_space:  global
        .offset:         0
        .size:           8
        .value_kind:     global_buffer
      - .actual_access:  read_only
        .address_space:  global
        .offset:         8
        .size:           8
        .value_kind:     global_buffer
      - .actual_access:  read_only
        .address_space:  global
        .offset:         16
        .size:           8
        .value_kind:     global_buffer
      - .actual_access:  read_only
        .address_space:  global
        .offset:         24
        .size:           8
        .value_kind:     global_buffer
      - .actual_access:  read_only
        .address_space:  global
        .offset:         32
        .size:           8
        .value_kind:     global_buffer
      - .actual_access:  read_only
        .address_space:  global
        .offset:         40
        .size:           8
        .value_kind:     global_buffer
      - .offset:         48
        .size:           4
        .value_kind:     by_value
      - .actual_access:  read_only
        .address_space:  global
        .offset:         56
        .size:           8
        .value_kind:     global_buffer
      - .offset:         64
        .size:           4
        .value_kind:     hidden_block_count_x
      - .offset:         68
        .size:           4
        .value_kind:     hidden_block_count_y
      - .offset:         72
        .size:           4
        .value_kind:     hidden_block_count_z
      - .offset:         76
        .size:           2
        .value_kind:     hidden_group_size_x
      - .offset:         78
        .size:           2
        .value_kind:     hidden_group_size_y
      - .offset:         80
        .size:           2
        .value_kind:     hidden_group_size_z
      - .offset:         82
        .size:           2
        .value_kind:     hidden_remainder_x
      - .offset:         84
        .size:           2
        .value_kind:     hidden_remainder_y
      - .offset:         86
        .size:           2
        .value_kind:     hidden_remainder_z
      - .offset:         104
        .size:           8
        .value_kind:     hidden_global_offset_x
      - .offset:         112
        .size:           8
        .value_kind:     hidden_global_offset_y
      - .offset:         120
        .size:           8
        .value_kind:     hidden_global_offset_z
      - .offset:         128
        .size:           2
        .value_kind:     hidden_grid_dims
      - .offset:         144
        .size:           8
        .value_kind:     hidden_hostcall_buffer
    .group_segment_fixed_size: 0
    .kernarg_segment_align: 8
    .kernarg_segment_size: 320
    .language:       OpenCL C
    .language_version:
      - 2
      - 0
    .max_flat_workgroup_size: 128
    .name:           _Z35paged_attention_ll4mi_reduce_kernelIDF16_DF16_Li128ELi128ELi256ELi10EEvPT0_PKfS3_PKT_PKiS8_iS3_
    .private_segment_fixed_size: 64
    .sgpr_count:     36
    .sgpr_spill_count: 0
    .symbol:         _Z35paged_attention_ll4mi_reduce_kernelIDF16_DF16_Li128ELi128ELi256ELi10EEvPT0_PKfS3_PKT_PKiS8_iS3_.kd
    .uniform_work_group_size: 1
    .uses_dynamic_stack: false
    .vgpr_count:     51
    .vgpr_spill_count: 0
    .wavefront_size: 32
  - .args:
      - .actual_access:  read_only
        .address_space:  global
        .offset:         0
        .size:           8
        .value_kind:     global_buffer
      - .actual_access:  read_only
        .address_space:  global
        .offset:         8
        .size:           8
        .value_kind:     global_buffer
      - .actual_access:  read_only
        .address_space:  global
        .offset:         16
        .size:           8
        .value_kind:     global_buffer
      - .actual_access:  read_only
        .address_space:  global
        .offset:         24
        .size:           8
        .value_kind:     global_buffer
      - .actual_access:  read_only
        .address_space:  global
        .offset:         32
        .size:           8
        .value_kind:     global_buffer
      - .actual_access:  read_only
        .address_space:  global
        .offset:         40
        .size:           8
        .value_kind:     global_buffer
      - .offset:         48
        .size:           4
        .value_kind:     by_value
      - .actual_access:  read_only
        .address_space:  global
        .offset:         56
        .size:           8
        .value_kind:     global_buffer
      - .offset:         64
        .size:           4
        .value_kind:     hidden_block_count_x
      - .offset:         68
        .size:           4
        .value_kind:     hidden_block_count_y
      - .offset:         72
        .size:           4
        .value_kind:     hidden_block_count_z
      - .offset:         76
        .size:           2
        .value_kind:     hidden_group_size_x
      - .offset:         78
        .size:           2
        .value_kind:     hidden_group_size_y
      - .offset:         80
        .size:           2
        .value_kind:     hidden_group_size_z
      - .offset:         82
        .size:           2
        .value_kind:     hidden_remainder_x
      - .offset:         84
        .size:           2
        .value_kind:     hidden_remainder_y
      - .offset:         86
        .size:           2
        .value_kind:     hidden_remainder_z
      - .offset:         104
        .size:           8
        .value_kind:     hidden_global_offset_x
      - .offset:         112
        .size:           8
        .value_kind:     hidden_global_offset_y
      - .offset:         120
        .size:           8
        .value_kind:     hidden_global_offset_z
      - .offset:         128
        .size:           2
        .value_kind:     hidden_grid_dims
      - .offset:         144
        .size:           8
        .value_kind:     hidden_hostcall_buffer
    .group_segment_fixed_size: 0
    .kernarg_segment_align: 8
    .kernarg_segment_size: 320
    .language:       OpenCL C
    .language_version:
      - 2
      - 0
    .max_flat_workgroup_size: 128
    .name:           _Z35paged_attention_ll4mi_reduce_kernelIDF16_DF16_Li128ELi128ELi256ELi11EEvPT0_PKfS3_PKT_PKiS8_iS3_
    .private_segment_fixed_size: 64
    .sgpr_count:     36
    .sgpr_spill_count: 0
    .symbol:         _Z35paged_attention_ll4mi_reduce_kernelIDF16_DF16_Li128ELi128ELi256ELi11EEvPT0_PKfS3_PKT_PKiS8_iS3_.kd
    .uniform_work_group_size: 1
    .uses_dynamic_stack: false
    .vgpr_count:     51
    .vgpr_spill_count: 0
    .wavefront_size: 32
  - .args:
      - .actual_access:  read_only
        .address_space:  global
        .offset:         0
        .size:           8
        .value_kind:     global_buffer
      - .actual_access:  read_only
        .address_space:  global
        .offset:         8
        .size:           8
        .value_kind:     global_buffer
      - .actual_access:  read_only
        .address_space:  global
        .offset:         16
        .size:           8
        .value_kind:     global_buffer
      - .actual_access:  read_only
        .address_space:  global
        .offset:         24
        .size:           8
        .value_kind:     global_buffer
      - .actual_access:  read_only
        .address_space:  global
        .offset:         32
        .size:           8
        .value_kind:     global_buffer
      - .actual_access:  read_only
        .address_space:  global
        .offset:         40
        .size:           8
        .value_kind:     global_buffer
      - .offset:         48
        .size:           4
        .value_kind:     by_value
      - .actual_access:  read_only
        .address_space:  global
        .offset:         56
        .size:           8
        .value_kind:     global_buffer
      - .offset:         64
        .size:           4
        .value_kind:     hidden_block_count_x
      - .offset:         68
        .size:           4
        .value_kind:     hidden_block_count_y
      - .offset:         72
        .size:           4
        .value_kind:     hidden_block_count_z
      - .offset:         76
        .size:           2
        .value_kind:     hidden_group_size_x
      - .offset:         78
        .size:           2
        .value_kind:     hidden_group_size_y
      - .offset:         80
        .size:           2
        .value_kind:     hidden_group_size_z
      - .offset:         82
        .size:           2
        .value_kind:     hidden_remainder_x
      - .offset:         84
        .size:           2
        .value_kind:     hidden_remainder_y
      - .offset:         86
        .size:           2
        .value_kind:     hidden_remainder_z
      - .offset:         104
        .size:           8
        .value_kind:     hidden_global_offset_x
      - .offset:         112
        .size:           8
        .value_kind:     hidden_global_offset_y
      - .offset:         120
        .size:           8
        .value_kind:     hidden_global_offset_z
      - .offset:         128
        .size:           2
        .value_kind:     hidden_grid_dims
      - .offset:         144
        .size:           8
        .value_kind:     hidden_hostcall_buffer
    .group_segment_fixed_size: 0
    .kernarg_segment_align: 8
    .kernarg_segment_size: 320
    .language:       OpenCL C
    .language_version:
      - 2
      - 0
    .max_flat_workgroup_size: 128
    .name:           _Z35paged_attention_ll4mi_reduce_kernelIDF16_DF16_Li128ELi128ELi256ELi12EEvPT0_PKfS3_PKT_PKiS8_iS3_
    .private_segment_fixed_size: 64
    .sgpr_count:     36
    .sgpr_spill_count: 0
    .symbol:         _Z35paged_attention_ll4mi_reduce_kernelIDF16_DF16_Li128ELi128ELi256ELi12EEvPT0_PKfS3_PKT_PKiS8_iS3_.kd
    .uniform_work_group_size: 1
    .uses_dynamic_stack: false
    .vgpr_count:     51
    .vgpr_spill_count: 0
    .wavefront_size: 32
  - .args:
      - .actual_access:  read_only
        .address_space:  global
        .offset:         0
        .size:           8
        .value_kind:     global_buffer
      - .actual_access:  read_only
        .address_space:  global
        .offset:         8
        .size:           8
        .value_kind:     global_buffer
      - .actual_access:  read_only
        .address_space:  global
        .offset:         16
        .size:           8
        .value_kind:     global_buffer
      - .actual_access:  read_only
        .address_space:  global
        .offset:         24
        .size:           8
        .value_kind:     global_buffer
      - .actual_access:  read_only
        .address_space:  global
        .offset:         32
        .size:           8
        .value_kind:     global_buffer
      - .actual_access:  read_only
        .address_space:  global
        .offset:         40
        .size:           8
        .value_kind:     global_buffer
      - .offset:         48
        .size:           4
        .value_kind:     by_value
      - .actual_access:  read_only
        .address_space:  global
        .offset:         56
        .size:           8
        .value_kind:     global_buffer
      - .offset:         64
        .size:           4
        .value_kind:     hidden_block_count_x
      - .offset:         68
        .size:           4
        .value_kind:     hidden_block_count_y
      - .offset:         72
        .size:           4
        .value_kind:     hidden_block_count_z
      - .offset:         76
        .size:           2
        .value_kind:     hidden_group_size_x
      - .offset:         78
        .size:           2
        .value_kind:     hidden_group_size_y
      - .offset:         80
        .size:           2
        .value_kind:     hidden_group_size_z
      - .offset:         82
        .size:           2
        .value_kind:     hidden_remainder_x
      - .offset:         84
        .size:           2
        .value_kind:     hidden_remainder_y
      - .offset:         86
        .size:           2
        .value_kind:     hidden_remainder_z
      - .offset:         104
        .size:           8
        .value_kind:     hidden_global_offset_x
      - .offset:         112
        .size:           8
        .value_kind:     hidden_global_offset_y
      - .offset:         120
        .size:           8
        .value_kind:     hidden_global_offset_z
      - .offset:         128
        .size:           2
        .value_kind:     hidden_grid_dims
      - .offset:         144
        .size:           8
        .value_kind:     hidden_hostcall_buffer
    .group_segment_fixed_size: 0
    .kernarg_segment_align: 8
    .kernarg_segment_size: 320
    .language:       OpenCL C
    .language_version:
      - 2
      - 0
    .max_flat_workgroup_size: 128
    .name:           _Z35paged_attention_ll4mi_reduce_kernelIDF16_DF16_Li128ELi128ELi256ELi13EEvPT0_PKfS3_PKT_PKiS8_iS3_
    .private_segment_fixed_size: 64
    .sgpr_count:     36
    .sgpr_spill_count: 0
    .symbol:         _Z35paged_attention_ll4mi_reduce_kernelIDF16_DF16_Li128ELi128ELi256ELi13EEvPT0_PKfS3_PKT_PKiS8_iS3_.kd
    .uniform_work_group_size: 1
    .uses_dynamic_stack: false
    .vgpr_count:     51
    .vgpr_spill_count: 0
    .wavefront_size: 32
  - .args:
      - .actual_access:  read_only
        .address_space:  global
        .offset:         0
        .size:           8
        .value_kind:     global_buffer
      - .actual_access:  read_only
        .address_space:  global
        .offset:         8
        .size:           8
        .value_kind:     global_buffer
      - .actual_access:  read_only
        .address_space:  global
        .offset:         16
        .size:           8
        .value_kind:     global_buffer
      - .actual_access:  read_only
        .address_space:  global
        .offset:         24
        .size:           8
        .value_kind:     global_buffer
      - .actual_access:  read_only
        .address_space:  global
        .offset:         32
        .size:           8
        .value_kind:     global_buffer
      - .actual_access:  read_only
        .address_space:  global
        .offset:         40
        .size:           8
        .value_kind:     global_buffer
      - .offset:         48
        .size:           4
        .value_kind:     by_value
      - .actual_access:  read_only
        .address_space:  global
        .offset:         56
        .size:           8
        .value_kind:     global_buffer
      - .offset:         64
        .size:           4
        .value_kind:     hidden_block_count_x
      - .offset:         68
        .size:           4
        .value_kind:     hidden_block_count_y
      - .offset:         72
        .size:           4
        .value_kind:     hidden_block_count_z
      - .offset:         76
        .size:           2
        .value_kind:     hidden_group_size_x
      - .offset:         78
        .size:           2
        .value_kind:     hidden_group_size_y
      - .offset:         80
        .size:           2
        .value_kind:     hidden_group_size_z
      - .offset:         82
        .size:           2
        .value_kind:     hidden_remainder_x
      - .offset:         84
        .size:           2
        .value_kind:     hidden_remainder_y
      - .offset:         86
        .size:           2
        .value_kind:     hidden_remainder_z
      - .offset:         104
        .size:           8
        .value_kind:     hidden_global_offset_x
      - .offset:         112
        .size:           8
        .value_kind:     hidden_global_offset_y
      - .offset:         120
        .size:           8
        .value_kind:     hidden_global_offset_z
      - .offset:         128
        .size:           2
        .value_kind:     hidden_grid_dims
      - .offset:         144
        .size:           8
        .value_kind:     hidden_hostcall_buffer
    .group_segment_fixed_size: 0
    .kernarg_segment_align: 8
    .kernarg_segment_size: 320
    .language:       OpenCL C
    .language_version:
      - 2
      - 0
    .max_flat_workgroup_size: 128
    .name:           _Z35paged_attention_ll4mi_reduce_kernelIDF16_DF16_Li128ELi128ELi256ELi14EEvPT0_PKfS3_PKT_PKiS8_iS3_
    .private_segment_fixed_size: 64
    .sgpr_count:     36
    .sgpr_spill_count: 0
    .symbol:         _Z35paged_attention_ll4mi_reduce_kernelIDF16_DF16_Li128ELi128ELi256ELi14EEvPT0_PKfS3_PKT_PKiS8_iS3_.kd
    .uniform_work_group_size: 1
    .uses_dynamic_stack: false
    .vgpr_count:     51
    .vgpr_spill_count: 0
    .wavefront_size: 32
  - .args:
      - .actual_access:  read_only
        .address_space:  global
        .offset:         0
        .size:           8
        .value_kind:     global_buffer
      - .actual_access:  read_only
        .address_space:  global
        .offset:         8
        .size:           8
        .value_kind:     global_buffer
      - .actual_access:  read_only
        .address_space:  global
        .offset:         16
        .size:           8
        .value_kind:     global_buffer
      - .actual_access:  read_only
        .address_space:  global
        .offset:         24
        .size:           8
        .value_kind:     global_buffer
      - .actual_access:  read_only
        .address_space:  global
        .offset:         32
        .size:           8
        .value_kind:     global_buffer
      - .actual_access:  read_only
        .address_space:  global
        .offset:         40
        .size:           8
        .value_kind:     global_buffer
      - .offset:         48
        .size:           4
        .value_kind:     by_value
      - .actual_access:  read_only
        .address_space:  global
        .offset:         56
        .size:           8
        .value_kind:     global_buffer
      - .offset:         64
        .size:           4
        .value_kind:     hidden_block_count_x
      - .offset:         68
        .size:           4
        .value_kind:     hidden_block_count_y
      - .offset:         72
        .size:           4
        .value_kind:     hidden_block_count_z
      - .offset:         76
        .size:           2
        .value_kind:     hidden_group_size_x
      - .offset:         78
        .size:           2
        .value_kind:     hidden_group_size_y
      - .offset:         80
        .size:           2
        .value_kind:     hidden_group_size_z
      - .offset:         82
        .size:           2
        .value_kind:     hidden_remainder_x
      - .offset:         84
        .size:           2
        .value_kind:     hidden_remainder_y
      - .offset:         86
        .size:           2
        .value_kind:     hidden_remainder_z
      - .offset:         104
        .size:           8
        .value_kind:     hidden_global_offset_x
      - .offset:         112
        .size:           8
        .value_kind:     hidden_global_offset_y
      - .offset:         120
        .size:           8
        .value_kind:     hidden_global_offset_z
      - .offset:         128
        .size:           2
        .value_kind:     hidden_grid_dims
      - .offset:         144
        .size:           8
        .value_kind:     hidden_hostcall_buffer
    .group_segment_fixed_size: 0
    .kernarg_segment_align: 8
    .kernarg_segment_size: 320
    .language:       OpenCL C
    .language_version:
      - 2
      - 0
    .max_flat_workgroup_size: 128
    .name:           _Z35paged_attention_ll4mi_reduce_kernelIDF16_DF16_Li128ELi128ELi256ELi15EEvPT0_PKfS3_PKT_PKiS8_iS3_
    .private_segment_fixed_size: 64
    .sgpr_count:     36
    .sgpr_spill_count: 0
    .symbol:         _Z35paged_attention_ll4mi_reduce_kernelIDF16_DF16_Li128ELi128ELi256ELi15EEvPT0_PKfS3_PKT_PKiS8_iS3_.kd
    .uniform_work_group_size: 1
    .uses_dynamic_stack: false
    .vgpr_count:     51
    .vgpr_spill_count: 0
    .wavefront_size: 32
  - .args:
      - .actual_access:  read_only
        .address_space:  global
        .offset:         0
        .size:           8
        .value_kind:     global_buffer
      - .actual_access:  read_only
        .address_space:  global
        .offset:         8
        .size:           8
        .value_kind:     global_buffer
      - .actual_access:  read_only
        .address_space:  global
        .offset:         16
        .size:           8
        .value_kind:     global_buffer
      - .actual_access:  read_only
        .address_space:  global
        .offset:         24
        .size:           8
        .value_kind:     global_buffer
      - .actual_access:  read_only
        .address_space:  global
        .offset:         32
        .size:           8
        .value_kind:     global_buffer
      - .actual_access:  read_only
        .address_space:  global
        .offset:         40
        .size:           8
        .value_kind:     global_buffer
      - .offset:         48
        .size:           4
        .value_kind:     by_value
      - .actual_access:  read_only
        .address_space:  global
        .offset:         56
        .size:           8
        .value_kind:     global_buffer
      - .offset:         64
        .size:           4
        .value_kind:     hidden_block_count_x
      - .offset:         68
        .size:           4
        .value_kind:     hidden_block_count_y
      - .offset:         72
        .size:           4
        .value_kind:     hidden_block_count_z
      - .offset:         76
        .size:           2
        .value_kind:     hidden_group_size_x
      - .offset:         78
        .size:           2
        .value_kind:     hidden_group_size_y
      - .offset:         80
        .size:           2
        .value_kind:     hidden_group_size_z
      - .offset:         82
        .size:           2
        .value_kind:     hidden_remainder_x
      - .offset:         84
        .size:           2
        .value_kind:     hidden_remainder_y
      - .offset:         86
        .size:           2
        .value_kind:     hidden_remainder_z
      - .offset:         104
        .size:           8
        .value_kind:     hidden_global_offset_x
      - .offset:         112
        .size:           8
        .value_kind:     hidden_global_offset_y
      - .offset:         120
        .size:           8
        .value_kind:     hidden_global_offset_z
      - .offset:         128
        .size:           2
        .value_kind:     hidden_grid_dims
      - .offset:         144
        .size:           8
        .value_kind:     hidden_hostcall_buffer
    .group_segment_fixed_size: 0
    .kernarg_segment_align: 8
    .kernarg_segment_size: 320
    .language:       OpenCL C
    .language_version:
      - 2
      - 0
    .max_flat_workgroup_size: 128
    .name:           _Z35paged_attention_ll4mi_reduce_kernelIDF16_DF16_Li128ELi128ELi256ELi16EEvPT0_PKfS3_PKT_PKiS8_iS3_
    .private_segment_fixed_size: 64
    .sgpr_count:     36
    .sgpr_spill_count: 0
    .symbol:         _Z35paged_attention_ll4mi_reduce_kernelIDF16_DF16_Li128ELi128ELi256ELi16EEvPT0_PKfS3_PKT_PKiS8_iS3_.kd
    .uniform_work_group_size: 1
    .uses_dynamic_stack: false
    .vgpr_count:     51
    .vgpr_spill_count: 0
    .wavefront_size: 32
  - .args:
      - .actual_access:  read_only
        .address_space:  global
        .offset:         0
        .size:           8
        .value_kind:     global_buffer
      - .actual_access:  read_only
        .address_space:  global
        .offset:         8
        .size:           8
        .value_kind:     global_buffer
      - .actual_access:  read_only
        .address_space:  global
        .offset:         16
        .size:           8
        .value_kind:     global_buffer
      - .offset:         24
        .size:           4
        .value_kind:     by_value
      - .offset:         28
        .size:           4
        .value_kind:     by_value
      - .actual_access:  read_only
        .address_space:  global
        .offset:         32
        .size:           8
        .value_kind:     global_buffer
      - .actual_access:  read_only
        .address_space:  global
        .offset:         40
        .size:           8
        .value_kind:     global_buffer
      - .actual_access:  read_only
        .address_space:  global
        .offset:         48
        .size:           8
        .value_kind:     global_buffer
      - .offset:         56
        .size:           4
        .value_kind:     by_value
      - .actual_access:  read_only
        .address_space:  global
        .offset:         64
        .size:           8
        .value_kind:     global_buffer
      - .offset:         72
        .size:           4
        .value_kind:     by_value
      - .offset:         76
        .size:           4
        .value_kind:     by_value
      - .offset:         80
        .size:           4
        .value_kind:     by_value
      - .actual_access:  read_only
        .address_space:  global
        .offset:         88
        .size:           8
        .value_kind:     global_buffer
      - .actual_access:  read_only
        .address_space:  global
        .offset:         96
        .size:           8
        .value_kind:     global_buffer
      - .actual_access:  read_only
        .address_space:  global
        .offset:         104
        .size:           8
        .value_kind:     global_buffer
      - .actual_access:  read_only
        .address_space:  global
        .offset:         112
        .size:           8
        .value_kind:     global_buffer
      - .offset:         120
        .size:           4
        .value_kind:     by_value
      - .address_space:  global
        .offset:         128
        .size:           8
        .value_kind:     global_buffer
      - .address_space:  global
        .offset:         136
        .size:           8
        .value_kind:     global_buffer
      - .offset:         144
        .size:           4
        .value_kind:     hidden_block_count_x
      - .offset:         148
        .size:           4
        .value_kind:     hidden_block_count_y
      - .offset:         152
        .size:           4
        .value_kind:     hidden_block_count_z
      - .offset:         156
        .size:           2
        .value_kind:     hidden_group_size_x
      - .offset:         158
        .size:           2
        .value_kind:     hidden_group_size_y
      - .offset:         160
        .size:           2
        .value_kind:     hidden_group_size_z
      - .offset:         162
        .size:           2
        .value_kind:     hidden_remainder_x
      - .offset:         164
        .size:           2
        .value_kind:     hidden_remainder_y
      - .offset:         166
        .size:           2
        .value_kind:     hidden_remainder_z
      - .offset:         184
        .size:           8
        .value_kind:     hidden_global_offset_x
      - .offset:         192
        .size:           8
        .value_kind:     hidden_global_offset_y
      - .offset:         200
        .size:           8
        .value_kind:     hidden_global_offset_z
      - .offset:         208
        .size:           2
        .value_kind:     hidden_grid_dims
      - .offset:         224
        .size:           8
        .value_kind:     hidden_hostcall_buffer
    .group_segment_fixed_size: 0
    .kernarg_segment_align: 8
    .kernarg_segment_size: 400
    .language:       OpenCL C
    .language_version:
      - 2
      - 0
    .max_flat_workgroup_size: 256
    .name:           _Z38paged_attention_ll4mi_QKV_mfma4_kernelIDF16_DF16_LN4vllm18Fp8KVCacheDataTypeE0EDF16_Li16ELi128ELi256ELb0ELi1EEvPKT_PKT0_S7_ifPKiS9_S9_iPKfiiiPfSC_PS2_PT2_iSB_SB_
    .private_segment_fixed_size: 64
    .sgpr_count:     36
    .sgpr_spill_count: 0
    .symbol:         _Z38paged_attention_ll4mi_QKV_mfma4_kernelIDF16_DF16_LN4vllm18Fp8KVCacheDataTypeE0EDF16_Li16ELi128ELi256ELb0ELi1EEvPKT_PKT0_S7_ifPKiS9_S9_iPKfiiiPfSC_PS2_PT2_iSB_SB_.kd
    .uniform_work_group_size: 1
    .uses_dynamic_stack: false
    .vgpr_count:     51
    .vgpr_spill_count: 0
    .wavefront_size: 32
  - .args:
      - .actual_access:  read_only
        .address_space:  global
        .offset:         0
        .size:           8
        .value_kind:     global_buffer
      - .actual_access:  read_only
        .address_space:  global
        .offset:         8
        .size:           8
        .value_kind:     global_buffer
      - .actual_access:  read_only
        .address_space:  global
        .offset:         16
        .size:           8
        .value_kind:     global_buffer
      - .offset:         24
        .size:           4
        .value_kind:     by_value
      - .offset:         28
        .size:           4
        .value_kind:     by_value
      - .actual_access:  read_only
        .address_space:  global
        .offset:         32
        .size:           8
        .value_kind:     global_buffer
      - .actual_access:  read_only
        .address_space:  global
        .offset:         40
        .size:           8
        .value_kind:     global_buffer
      - .actual_access:  read_only
        .address_space:  global
        .offset:         48
        .size:           8
        .value_kind:     global_buffer
      - .offset:         56
        .size:           4
        .value_kind:     by_value
      - .actual_access:  read_only
        .address_space:  global
        .offset:         64
        .size:           8
        .value_kind:     global_buffer
      - .offset:         72
        .size:           4
        .value_kind:     by_value
      - .offset:         76
        .size:           4
        .value_kind:     by_value
      - .offset:         80
        .size:           4
        .value_kind:     by_value
      - .actual_access:  read_only
        .address_space:  global
        .offset:         88
        .size:           8
        .value_kind:     global_buffer
      - .actual_access:  read_only
        .address_space:  global
        .offset:         96
        .size:           8
        .value_kind:     global_buffer
      - .actual_access:  read_only
        .address_space:  global
        .offset:         104
        .size:           8
        .value_kind:     global_buffer
      - .actual_access:  read_only
        .address_space:  global
        .offset:         112
        .size:           8
        .value_kind:     global_buffer
      - .offset:         120
        .size:           4
        .value_kind:     by_value
      - .address_space:  global
        .offset:         128
        .size:           8
        .value_kind:     global_buffer
      - .address_space:  global
        .offset:         136
        .size:           8
        .value_kind:     global_buffer
      - .offset:         144
        .size:           4
        .value_kind:     hidden_block_count_x
      - .offset:         148
        .size:           4
        .value_kind:     hidden_block_count_y
      - .offset:         152
        .size:           4
        .value_kind:     hidden_block_count_z
      - .offset:         156
        .size:           2
        .value_kind:     hidden_group_size_x
      - .offset:         158
        .size:           2
        .value_kind:     hidden_group_size_y
      - .offset:         160
        .size:           2
        .value_kind:     hidden_group_size_z
      - .offset:         162
        .size:           2
        .value_kind:     hidden_remainder_x
      - .offset:         164
        .size:           2
        .value_kind:     hidden_remainder_y
      - .offset:         166
        .size:           2
        .value_kind:     hidden_remainder_z
      - .offset:         184
        .size:           8
        .value_kind:     hidden_global_offset_x
      - .offset:         192
        .size:           8
        .value_kind:     hidden_global_offset_y
      - .offset:         200
        .size:           8
        .value_kind:     hidden_global_offset_z
      - .offset:         208
        .size:           2
        .value_kind:     hidden_grid_dims
      - .offset:         224
        .size:           8
        .value_kind:     hidden_hostcall_buffer
    .group_segment_fixed_size: 0
    .kernarg_segment_align: 8
    .kernarg_segment_size: 400
    .language:       OpenCL C
    .language_version:
      - 2
      - 0
    .max_flat_workgroup_size: 256
    .name:           _Z38paged_attention_ll4mi_QKV_mfma4_kernelIDF16_DF16_LN4vllm18Fp8KVCacheDataTypeE0EDF16_Li16ELi128ELi256ELb0ELi2EEvPKT_PKT0_S7_ifPKiS9_S9_iPKfiiiPfSC_PS2_PT2_iSB_SB_
    .private_segment_fixed_size: 64
    .sgpr_count:     36
    .sgpr_spill_count: 0
    .symbol:         _Z38paged_attention_ll4mi_QKV_mfma4_kernelIDF16_DF16_LN4vllm18Fp8KVCacheDataTypeE0EDF16_Li16ELi128ELi256ELb0ELi2EEvPKT_PKT0_S7_ifPKiS9_S9_iPKfiiiPfSC_PS2_PT2_iSB_SB_.kd
    .uniform_work_group_size: 1
    .uses_dynamic_stack: false
    .vgpr_count:     51
    .vgpr_spill_count: 0
    .wavefront_size: 32
  - .args:
      - .actual_access:  read_only
        .address_space:  global
        .offset:         0
        .size:           8
        .value_kind:     global_buffer
      - .actual_access:  read_only
        .address_space:  global
        .offset:         8
        .size:           8
        .value_kind:     global_buffer
      - .actual_access:  read_only
        .address_space:  global
        .offset:         16
        .size:           8
        .value_kind:     global_buffer
      - .offset:         24
        .size:           4
        .value_kind:     by_value
      - .offset:         28
        .size:           4
        .value_kind:     by_value
      - .actual_access:  read_only
        .address_space:  global
        .offset:         32
        .size:           8
        .value_kind:     global_buffer
      - .actual_access:  read_only
        .address_space:  global
        .offset:         40
        .size:           8
        .value_kind:     global_buffer
      - .actual_access:  read_only
        .address_space:  global
        .offset:         48
        .size:           8
        .value_kind:     global_buffer
      - .offset:         56
        .size:           4
        .value_kind:     by_value
      - .actual_access:  read_only
        .address_space:  global
        .offset:         64
        .size:           8
        .value_kind:     global_buffer
      - .offset:         72
        .size:           4
        .value_kind:     by_value
      - .offset:         76
        .size:           4
        .value_kind:     by_value
      - .offset:         80
        .size:           4
        .value_kind:     by_value
      - .actual_access:  read_only
        .address_space:  global
        .offset:         88
        .size:           8
        .value_kind:     global_buffer
      - .actual_access:  read_only
        .address_space:  global
        .offset:         96
        .size:           8
        .value_kind:     global_buffer
      - .actual_access:  read_only
        .address_space:  global
        .offset:         104
        .size:           8
        .value_kind:     global_buffer
      - .actual_access:  read_only
        .address_space:  global
        .offset:         112
        .size:           8
        .value_kind:     global_buffer
      - .offset:         120
        .size:           4
        .value_kind:     by_value
      - .address_space:  global
        .offset:         128
        .size:           8
        .value_kind:     global_buffer
      - .address_space:  global
        .offset:         136
        .size:           8
        .value_kind:     global_buffer
      - .offset:         144
        .size:           4
        .value_kind:     hidden_block_count_x
      - .offset:         148
        .size:           4
        .value_kind:     hidden_block_count_y
      - .offset:         152
        .size:           4
        .value_kind:     hidden_block_count_z
      - .offset:         156
        .size:           2
        .value_kind:     hidden_group_size_x
      - .offset:         158
        .size:           2
        .value_kind:     hidden_group_size_y
      - .offset:         160
        .size:           2
        .value_kind:     hidden_group_size_z
      - .offset:         162
        .size:           2
        .value_kind:     hidden_remainder_x
      - .offset:         164
        .size:           2
        .value_kind:     hidden_remainder_y
      - .offset:         166
        .size:           2
        .value_kind:     hidden_remainder_z
      - .offset:         184
        .size:           8
        .value_kind:     hidden_global_offset_x
      - .offset:         192
        .size:           8
        .value_kind:     hidden_global_offset_y
      - .offset:         200
        .size:           8
        .value_kind:     hidden_global_offset_z
      - .offset:         208
        .size:           2
        .value_kind:     hidden_grid_dims
      - .offset:         224
        .size:           8
        .value_kind:     hidden_hostcall_buffer
    .group_segment_fixed_size: 0
    .kernarg_segment_align: 8
    .kernarg_segment_size: 400
    .language:       OpenCL C
    .language_version:
      - 2
      - 0
    .max_flat_workgroup_size: 256
    .name:           _Z38paged_attention_ll4mi_QKV_mfma4_kernelIDF16_DF16_LN4vllm18Fp8KVCacheDataTypeE0EDF16_Li16ELi128ELi256ELb0ELi3EEvPKT_PKT0_S7_ifPKiS9_S9_iPKfiiiPfSC_PS2_PT2_iSB_SB_
    .private_segment_fixed_size: 64
    .sgpr_count:     36
    .sgpr_spill_count: 0
    .symbol:         _Z38paged_attention_ll4mi_QKV_mfma4_kernelIDF16_DF16_LN4vllm18Fp8KVCacheDataTypeE0EDF16_Li16ELi128ELi256ELb0ELi3EEvPKT_PKT0_S7_ifPKiS9_S9_iPKfiiiPfSC_PS2_PT2_iSB_SB_.kd
    .uniform_work_group_size: 1
    .uses_dynamic_stack: false
    .vgpr_count:     51
    .vgpr_spill_count: 0
    .wavefront_size: 32
  - .args:
      - .actual_access:  read_only
        .address_space:  global
        .offset:         0
        .size:           8
        .value_kind:     global_buffer
      - .actual_access:  read_only
        .address_space:  global
        .offset:         8
        .size:           8
        .value_kind:     global_buffer
      - .actual_access:  read_only
        .address_space:  global
        .offset:         16
        .size:           8
        .value_kind:     global_buffer
      - .offset:         24
        .size:           4
        .value_kind:     by_value
      - .offset:         28
        .size:           4
        .value_kind:     by_value
      - .actual_access:  read_only
        .address_space:  global
        .offset:         32
        .size:           8
        .value_kind:     global_buffer
      - .actual_access:  read_only
        .address_space:  global
        .offset:         40
        .size:           8
        .value_kind:     global_buffer
      - .actual_access:  read_only
        .address_space:  global
        .offset:         48
        .size:           8
        .value_kind:     global_buffer
      - .offset:         56
        .size:           4
        .value_kind:     by_value
      - .actual_access:  read_only
        .address_space:  global
        .offset:         64
        .size:           8
        .value_kind:     global_buffer
      - .offset:         72
        .size:           4
        .value_kind:     by_value
      - .offset:         76
        .size:           4
        .value_kind:     by_value
      - .offset:         80
        .size:           4
        .value_kind:     by_value
      - .actual_access:  read_only
        .address_space:  global
        .offset:         88
        .size:           8
        .value_kind:     global_buffer
      - .actual_access:  read_only
        .address_space:  global
        .offset:         96
        .size:           8
        .value_kind:     global_buffer
      - .actual_access:  read_only
        .address_space:  global
        .offset:         104
        .size:           8
        .value_kind:     global_buffer
      - .actual_access:  read_only
        .address_space:  global
        .offset:         112
        .size:           8
        .value_kind:     global_buffer
      - .offset:         120
        .size:           4
        .value_kind:     by_value
      - .address_space:  global
        .offset:         128
        .size:           8
        .value_kind:     global_buffer
      - .address_space:  global
        .offset:         136
        .size:           8
        .value_kind:     global_buffer
      - .offset:         144
        .size:           4
        .value_kind:     hidden_block_count_x
      - .offset:         148
        .size:           4
        .value_kind:     hidden_block_count_y
      - .offset:         152
        .size:           4
        .value_kind:     hidden_block_count_z
      - .offset:         156
        .size:           2
        .value_kind:     hidden_group_size_x
      - .offset:         158
        .size:           2
        .value_kind:     hidden_group_size_y
      - .offset:         160
        .size:           2
        .value_kind:     hidden_group_size_z
      - .offset:         162
        .size:           2
        .value_kind:     hidden_remainder_x
      - .offset:         164
        .size:           2
        .value_kind:     hidden_remainder_y
      - .offset:         166
        .size:           2
        .value_kind:     hidden_remainder_z
      - .offset:         184
        .size:           8
        .value_kind:     hidden_global_offset_x
      - .offset:         192
        .size:           8
        .value_kind:     hidden_global_offset_y
      - .offset:         200
        .size:           8
        .value_kind:     hidden_global_offset_z
      - .offset:         208
        .size:           2
        .value_kind:     hidden_grid_dims
      - .offset:         224
        .size:           8
        .value_kind:     hidden_hostcall_buffer
    .group_segment_fixed_size: 0
    .kernarg_segment_align: 8
    .kernarg_segment_size: 400
    .language:       OpenCL C
    .language_version:
      - 2
      - 0
    .max_flat_workgroup_size: 256
    .name:           _Z38paged_attention_ll4mi_QKV_mfma4_kernelIDF16_DF16_LN4vllm18Fp8KVCacheDataTypeE0EDF16_Li16ELi128ELi256ELb0ELi4EEvPKT_PKT0_S7_ifPKiS9_S9_iPKfiiiPfSC_PS2_PT2_iSB_SB_
    .private_segment_fixed_size: 64
    .sgpr_count:     36
    .sgpr_spill_count: 0
    .symbol:         _Z38paged_attention_ll4mi_QKV_mfma4_kernelIDF16_DF16_LN4vllm18Fp8KVCacheDataTypeE0EDF16_Li16ELi128ELi256ELb0ELi4EEvPKT_PKT0_S7_ifPKiS9_S9_iPKfiiiPfSC_PS2_PT2_iSB_SB_.kd
    .uniform_work_group_size: 1
    .uses_dynamic_stack: false
    .vgpr_count:     51
    .vgpr_spill_count: 0
    .wavefront_size: 32
  - .args:
      - .actual_access:  read_only
        .address_space:  global
        .offset:         0
        .size:           8
        .value_kind:     global_buffer
      - .actual_access:  read_only
        .address_space:  global
        .offset:         8
        .size:           8
        .value_kind:     global_buffer
      - .actual_access:  read_only
        .address_space:  global
        .offset:         16
        .size:           8
        .value_kind:     global_buffer
      - .offset:         24
        .size:           4
        .value_kind:     by_value
      - .offset:         28
        .size:           4
        .value_kind:     by_value
      - .actual_access:  read_only
        .address_space:  global
        .offset:         32
        .size:           8
        .value_kind:     global_buffer
      - .actual_access:  read_only
        .address_space:  global
        .offset:         40
        .size:           8
        .value_kind:     global_buffer
      - .actual_access:  read_only
        .address_space:  global
        .offset:         48
        .size:           8
        .value_kind:     global_buffer
      - .offset:         56
        .size:           4
        .value_kind:     by_value
      - .actual_access:  read_only
        .address_space:  global
        .offset:         64
        .size:           8
        .value_kind:     global_buffer
      - .offset:         72
        .size:           4
        .value_kind:     by_value
      - .offset:         76
        .size:           4
        .value_kind:     by_value
      - .offset:         80
        .size:           4
        .value_kind:     by_value
      - .actual_access:  read_only
        .address_space:  global
        .offset:         88
        .size:           8
        .value_kind:     global_buffer
      - .actual_access:  read_only
        .address_space:  global
        .offset:         96
        .size:           8
        .value_kind:     global_buffer
      - .actual_access:  read_only
        .address_space:  global
        .offset:         104
        .size:           8
        .value_kind:     global_buffer
      - .actual_access:  read_only
        .address_space:  global
        .offset:         112
        .size:           8
        .value_kind:     global_buffer
      - .offset:         120
        .size:           4
        .value_kind:     by_value
      - .address_space:  global
        .offset:         128
        .size:           8
        .value_kind:     global_buffer
      - .address_space:  global
        .offset:         136
        .size:           8
        .value_kind:     global_buffer
      - .offset:         144
        .size:           4
        .value_kind:     hidden_block_count_x
      - .offset:         148
        .size:           4
        .value_kind:     hidden_block_count_y
      - .offset:         152
        .size:           4
        .value_kind:     hidden_block_count_z
      - .offset:         156
        .size:           2
        .value_kind:     hidden_group_size_x
      - .offset:         158
        .size:           2
        .value_kind:     hidden_group_size_y
      - .offset:         160
        .size:           2
        .value_kind:     hidden_group_size_z
      - .offset:         162
        .size:           2
        .value_kind:     hidden_remainder_x
      - .offset:         164
        .size:           2
        .value_kind:     hidden_remainder_y
      - .offset:         166
        .size:           2
        .value_kind:     hidden_remainder_z
      - .offset:         184
        .size:           8
        .value_kind:     hidden_global_offset_x
      - .offset:         192
        .size:           8
        .value_kind:     hidden_global_offset_y
      - .offset:         200
        .size:           8
        .value_kind:     hidden_global_offset_z
      - .offset:         208
        .size:           2
        .value_kind:     hidden_grid_dims
      - .offset:         224
        .size:           8
        .value_kind:     hidden_hostcall_buffer
    .group_segment_fixed_size: 0
    .kernarg_segment_align: 8
    .kernarg_segment_size: 400
    .language:       OpenCL C
    .language_version:
      - 2
      - 0
    .max_flat_workgroup_size: 256
    .name:           _Z39paged_attention_ll4mi_QKV_mfma16_kernelIDF16_DF16_LN4vllm18Fp8KVCacheDataTypeE0EDF16_Li16ELi128ELi256ELb0ELi5EEvPKT_PKT0_S7_ifPKiS9_S9_iPKfiiiPfSC_PS2_PT2_iSB_SB_
    .private_segment_fixed_size: 64
    .sgpr_count:     36
    .sgpr_spill_count: 0
    .symbol:         _Z39paged_attention_ll4mi_QKV_mfma16_kernelIDF16_DF16_LN4vllm18Fp8KVCacheDataTypeE0EDF16_Li16ELi128ELi256ELb0ELi5EEvPKT_PKT0_S7_ifPKiS9_S9_iPKfiiiPfSC_PS2_PT2_iSB_SB_.kd
    .uniform_work_group_size: 1
    .uses_dynamic_stack: false
    .vgpr_count:     51
    .vgpr_spill_count: 0
    .wavefront_size: 32
  - .args:
      - .actual_access:  read_only
        .address_space:  global
        .offset:         0
        .size:           8
        .value_kind:     global_buffer
      - .actual_access:  read_only
        .address_space:  global
        .offset:         8
        .size:           8
        .value_kind:     global_buffer
      - .actual_access:  read_only
        .address_space:  global
        .offset:         16
        .size:           8
        .value_kind:     global_buffer
      - .offset:         24
        .size:           4
        .value_kind:     by_value
      - .offset:         28
        .size:           4
        .value_kind:     by_value
      - .actual_access:  read_only
        .address_space:  global
        .offset:         32
        .size:           8
        .value_kind:     global_buffer
      - .actual_access:  read_only
        .address_space:  global
        .offset:         40
        .size:           8
        .value_kind:     global_buffer
      - .actual_access:  read_only
        .address_space:  global
        .offset:         48
        .size:           8
        .value_kind:     global_buffer
      - .offset:         56
        .size:           4
        .value_kind:     by_value
      - .actual_access:  read_only
        .address_space:  global
        .offset:         64
        .size:           8
        .value_kind:     global_buffer
      - .offset:         72
        .size:           4
        .value_kind:     by_value
      - .offset:         76
        .size:           4
        .value_kind:     by_value
      - .offset:         80
        .size:           4
        .value_kind:     by_value
      - .actual_access:  read_only
        .address_space:  global
        .offset:         88
        .size:           8
        .value_kind:     global_buffer
      - .actual_access:  read_only
        .address_space:  global
        .offset:         96
        .size:           8
        .value_kind:     global_buffer
      - .actual_access:  read_only
        .address_space:  global
        .offset:         104
        .size:           8
        .value_kind:     global_buffer
      - .actual_access:  read_only
        .address_space:  global
        .offset:         112
        .size:           8
        .value_kind:     global_buffer
      - .offset:         120
        .size:           4
        .value_kind:     by_value
      - .address_space:  global
        .offset:         128
        .size:           8
        .value_kind:     global_buffer
      - .address_space:  global
        .offset:         136
        .size:           8
        .value_kind:     global_buffer
      - .offset:         144
        .size:           4
        .value_kind:     hidden_block_count_x
      - .offset:         148
        .size:           4
        .value_kind:     hidden_block_count_y
      - .offset:         152
        .size:           4
        .value_kind:     hidden_block_count_z
      - .offset:         156
        .size:           2
        .value_kind:     hidden_group_size_x
      - .offset:         158
        .size:           2
        .value_kind:     hidden_group_size_y
      - .offset:         160
        .size:           2
        .value_kind:     hidden_group_size_z
      - .offset:         162
        .size:           2
        .value_kind:     hidden_remainder_x
      - .offset:         164
        .size:           2
        .value_kind:     hidden_remainder_y
      - .offset:         166
        .size:           2
        .value_kind:     hidden_remainder_z
      - .offset:         184
        .size:           8
        .value_kind:     hidden_global_offset_x
      - .offset:         192
        .size:           8
        .value_kind:     hidden_global_offset_y
      - .offset:         200
        .size:           8
        .value_kind:     hidden_global_offset_z
      - .offset:         208
        .size:           2
        .value_kind:     hidden_grid_dims
      - .offset:         224
        .size:           8
        .value_kind:     hidden_hostcall_buffer
    .group_segment_fixed_size: 0
    .kernarg_segment_align: 8
    .kernarg_segment_size: 400
    .language:       OpenCL C
    .language_version:
      - 2
      - 0
    .max_flat_workgroup_size: 256
    .name:           _Z39paged_attention_ll4mi_QKV_mfma16_kernelIDF16_DF16_LN4vllm18Fp8KVCacheDataTypeE0EDF16_Li16ELi128ELi256ELb0ELi6EEvPKT_PKT0_S7_ifPKiS9_S9_iPKfiiiPfSC_PS2_PT2_iSB_SB_
    .private_segment_fixed_size: 64
    .sgpr_count:     36
    .sgpr_spill_count: 0
    .symbol:         _Z39paged_attention_ll4mi_QKV_mfma16_kernelIDF16_DF16_LN4vllm18Fp8KVCacheDataTypeE0EDF16_Li16ELi128ELi256ELb0ELi6EEvPKT_PKT0_S7_ifPKiS9_S9_iPKfiiiPfSC_PS2_PT2_iSB_SB_.kd
    .uniform_work_group_size: 1
    .uses_dynamic_stack: false
    .vgpr_count:     51
    .vgpr_spill_count: 0
    .wavefront_size: 32
  - .args:
      - .actual_access:  read_only
        .address_space:  global
        .offset:         0
        .size:           8
        .value_kind:     global_buffer
      - .actual_access:  read_only
        .address_space:  global
        .offset:         8
        .size:           8
        .value_kind:     global_buffer
      - .actual_access:  read_only
        .address_space:  global
        .offset:         16
        .size:           8
        .value_kind:     global_buffer
      - .offset:         24
        .size:           4
        .value_kind:     by_value
      - .offset:         28
        .size:           4
        .value_kind:     by_value
      - .actual_access:  read_only
        .address_space:  global
        .offset:         32
        .size:           8
        .value_kind:     global_buffer
      - .actual_access:  read_only
        .address_space:  global
        .offset:         40
        .size:           8
        .value_kind:     global_buffer
      - .actual_access:  read_only
        .address_space:  global
        .offset:         48
        .size:           8
        .value_kind:     global_buffer
      - .offset:         56
        .size:           4
        .value_kind:     by_value
      - .actual_access:  read_only
        .address_space:  global
        .offset:         64
        .size:           8
        .value_kind:     global_buffer
      - .offset:         72
        .size:           4
        .value_kind:     by_value
      - .offset:         76
        .size:           4
        .value_kind:     by_value
      - .offset:         80
        .size:           4
        .value_kind:     by_value
      - .actual_access:  read_only
        .address_space:  global
        .offset:         88
        .size:           8
        .value_kind:     global_buffer
      - .actual_access:  read_only
        .address_space:  global
        .offset:         96
        .size:           8
        .value_kind:     global_buffer
      - .actual_access:  read_only
        .address_space:  global
        .offset:         104
        .size:           8
        .value_kind:     global_buffer
      - .actual_access:  read_only
        .address_space:  global
        .offset:         112
        .size:           8
        .value_kind:     global_buffer
      - .offset:         120
        .size:           4
        .value_kind:     by_value
      - .address_space:  global
        .offset:         128
        .size:           8
        .value_kind:     global_buffer
      - .address_space:  global
        .offset:         136
        .size:           8
        .value_kind:     global_buffer
      - .offset:         144
        .size:           4
        .value_kind:     hidden_block_count_x
      - .offset:         148
        .size:           4
        .value_kind:     hidden_block_count_y
      - .offset:         152
        .size:           4
        .value_kind:     hidden_block_count_z
      - .offset:         156
        .size:           2
        .value_kind:     hidden_group_size_x
      - .offset:         158
        .size:           2
        .value_kind:     hidden_group_size_y
      - .offset:         160
        .size:           2
        .value_kind:     hidden_group_size_z
      - .offset:         162
        .size:           2
        .value_kind:     hidden_remainder_x
      - .offset:         164
        .size:           2
        .value_kind:     hidden_remainder_y
      - .offset:         166
        .size:           2
        .value_kind:     hidden_remainder_z
      - .offset:         184
        .size:           8
        .value_kind:     hidden_global_offset_x
      - .offset:         192
        .size:           8
        .value_kind:     hidden_global_offset_y
      - .offset:         200
        .size:           8
        .value_kind:     hidden_global_offset_z
      - .offset:         208
        .size:           2
        .value_kind:     hidden_grid_dims
      - .offset:         224
        .size:           8
        .value_kind:     hidden_hostcall_buffer
    .group_segment_fixed_size: 0
    .kernarg_segment_align: 8
    .kernarg_segment_size: 400
    .language:       OpenCL C
    .language_version:
      - 2
      - 0
    .max_flat_workgroup_size: 256
    .name:           _Z39paged_attention_ll4mi_QKV_mfma16_kernelIDF16_DF16_LN4vllm18Fp8KVCacheDataTypeE0EDF16_Li16ELi128ELi256ELb0ELi7EEvPKT_PKT0_S7_ifPKiS9_S9_iPKfiiiPfSC_PS2_PT2_iSB_SB_
    .private_segment_fixed_size: 64
    .sgpr_count:     36
    .sgpr_spill_count: 0
    .symbol:         _Z39paged_attention_ll4mi_QKV_mfma16_kernelIDF16_DF16_LN4vllm18Fp8KVCacheDataTypeE0EDF16_Li16ELi128ELi256ELb0ELi7EEvPKT_PKT0_S7_ifPKiS9_S9_iPKfiiiPfSC_PS2_PT2_iSB_SB_.kd
    .uniform_work_group_size: 1
    .uses_dynamic_stack: false
    .vgpr_count:     51
    .vgpr_spill_count: 0
    .wavefront_size: 32
  - .args:
      - .actual_access:  read_only
        .address_space:  global
        .offset:         0
        .size:           8
        .value_kind:     global_buffer
      - .actual_access:  read_only
        .address_space:  global
        .offset:         8
        .size:           8
        .value_kind:     global_buffer
      - .actual_access:  read_only
        .address_space:  global
        .offset:         16
        .size:           8
        .value_kind:     global_buffer
      - .offset:         24
        .size:           4
        .value_kind:     by_value
      - .offset:         28
        .size:           4
        .value_kind:     by_value
      - .actual_access:  read_only
        .address_space:  global
        .offset:         32
        .size:           8
        .value_kind:     global_buffer
      - .actual_access:  read_only
        .address_space:  global
        .offset:         40
        .size:           8
        .value_kind:     global_buffer
      - .actual_access:  read_only
        .address_space:  global
        .offset:         48
        .size:           8
        .value_kind:     global_buffer
      - .offset:         56
        .size:           4
        .value_kind:     by_value
      - .actual_access:  read_only
        .address_space:  global
        .offset:         64
        .size:           8
        .value_kind:     global_buffer
      - .offset:         72
        .size:           4
        .value_kind:     by_value
      - .offset:         76
        .size:           4
        .value_kind:     by_value
      - .offset:         80
        .size:           4
        .value_kind:     by_value
      - .actual_access:  read_only
        .address_space:  global
        .offset:         88
        .size:           8
        .value_kind:     global_buffer
      - .actual_access:  read_only
        .address_space:  global
        .offset:         96
        .size:           8
        .value_kind:     global_buffer
      - .actual_access:  read_only
        .address_space:  global
        .offset:         104
        .size:           8
        .value_kind:     global_buffer
      - .actual_access:  read_only
        .address_space:  global
        .offset:         112
        .size:           8
        .value_kind:     global_buffer
      - .offset:         120
        .size:           4
        .value_kind:     by_value
      - .address_space:  global
        .offset:         128
        .size:           8
        .value_kind:     global_buffer
      - .address_space:  global
        .offset:         136
        .size:           8
        .value_kind:     global_buffer
      - .offset:         144
        .size:           4
        .value_kind:     hidden_block_count_x
      - .offset:         148
        .size:           4
        .value_kind:     hidden_block_count_y
      - .offset:         152
        .size:           4
        .value_kind:     hidden_block_count_z
      - .offset:         156
        .size:           2
        .value_kind:     hidden_group_size_x
      - .offset:         158
        .size:           2
        .value_kind:     hidden_group_size_y
      - .offset:         160
        .size:           2
        .value_kind:     hidden_group_size_z
      - .offset:         162
        .size:           2
        .value_kind:     hidden_remainder_x
      - .offset:         164
        .size:           2
        .value_kind:     hidden_remainder_y
      - .offset:         166
        .size:           2
        .value_kind:     hidden_remainder_z
      - .offset:         184
        .size:           8
        .value_kind:     hidden_global_offset_x
      - .offset:         192
        .size:           8
        .value_kind:     hidden_global_offset_y
      - .offset:         200
        .size:           8
        .value_kind:     hidden_global_offset_z
      - .offset:         208
        .size:           2
        .value_kind:     hidden_grid_dims
      - .offset:         224
        .size:           8
        .value_kind:     hidden_hostcall_buffer
    .group_segment_fixed_size: 0
    .kernarg_segment_align: 8
    .kernarg_segment_size: 400
    .language:       OpenCL C
    .language_version:
      - 2
      - 0
    .max_flat_workgroup_size: 256
    .name:           _Z39paged_attention_ll4mi_QKV_mfma16_kernelIDF16_DF16_LN4vllm18Fp8KVCacheDataTypeE0EDF16_Li16ELi128ELi256ELb0ELi8EEvPKT_PKT0_S7_ifPKiS9_S9_iPKfiiiPfSC_PS2_PT2_iSB_SB_
    .private_segment_fixed_size: 64
    .sgpr_count:     36
    .sgpr_spill_count: 0
    .symbol:         _Z39paged_attention_ll4mi_QKV_mfma16_kernelIDF16_DF16_LN4vllm18Fp8KVCacheDataTypeE0EDF16_Li16ELi128ELi256ELb0ELi8EEvPKT_PKT0_S7_ifPKiS9_S9_iPKfiiiPfSC_PS2_PT2_iSB_SB_.kd
    .uniform_work_group_size: 1
    .uses_dynamic_stack: false
    .vgpr_count:     51
    .vgpr_spill_count: 0
    .wavefront_size: 32
  - .args:
      - .actual_access:  read_only
        .address_space:  global
        .offset:         0
        .size:           8
        .value_kind:     global_buffer
      - .actual_access:  read_only
        .address_space:  global
        .offset:         8
        .size:           8
        .value_kind:     global_buffer
      - .actual_access:  read_only
        .address_space:  global
        .offset:         16
        .size:           8
        .value_kind:     global_buffer
      - .offset:         24
        .size:           4
        .value_kind:     by_value
      - .offset:         28
        .size:           4
        .value_kind:     by_value
      - .actual_access:  read_only
        .address_space:  global
        .offset:         32
        .size:           8
        .value_kind:     global_buffer
      - .actual_access:  read_only
        .address_space:  global
        .offset:         40
        .size:           8
        .value_kind:     global_buffer
      - .actual_access:  read_only
        .address_space:  global
        .offset:         48
        .size:           8
        .value_kind:     global_buffer
      - .offset:         56
        .size:           4
        .value_kind:     by_value
      - .actual_access:  read_only
        .address_space:  global
        .offset:         64
        .size:           8
        .value_kind:     global_buffer
      - .offset:         72
        .size:           4
        .value_kind:     by_value
      - .offset:         76
        .size:           4
        .value_kind:     by_value
      - .offset:         80
        .size:           4
        .value_kind:     by_value
      - .actual_access:  read_only
        .address_space:  global
        .offset:         88
        .size:           8
        .value_kind:     global_buffer
      - .actual_access:  read_only
        .address_space:  global
        .offset:         96
        .size:           8
        .value_kind:     global_buffer
      - .actual_access:  read_only
        .address_space:  global
        .offset:         104
        .size:           8
        .value_kind:     global_buffer
      - .actual_access:  read_only
        .address_space:  global
        .offset:         112
        .size:           8
        .value_kind:     global_buffer
      - .offset:         120
        .size:           4
        .value_kind:     by_value
      - .address_space:  global
        .offset:         128
        .size:           8
        .value_kind:     global_buffer
      - .address_space:  global
        .offset:         136
        .size:           8
        .value_kind:     global_buffer
      - .offset:         144
        .size:           4
        .value_kind:     hidden_block_count_x
      - .offset:         148
        .size:           4
        .value_kind:     hidden_block_count_y
      - .offset:         152
        .size:           4
        .value_kind:     hidden_block_count_z
      - .offset:         156
        .size:           2
        .value_kind:     hidden_group_size_x
      - .offset:         158
        .size:           2
        .value_kind:     hidden_group_size_y
      - .offset:         160
        .size:           2
        .value_kind:     hidden_group_size_z
      - .offset:         162
        .size:           2
        .value_kind:     hidden_remainder_x
      - .offset:         164
        .size:           2
        .value_kind:     hidden_remainder_y
      - .offset:         166
        .size:           2
        .value_kind:     hidden_remainder_z
      - .offset:         184
        .size:           8
        .value_kind:     hidden_global_offset_x
      - .offset:         192
        .size:           8
        .value_kind:     hidden_global_offset_y
      - .offset:         200
        .size:           8
        .value_kind:     hidden_global_offset_z
      - .offset:         208
        .size:           2
        .value_kind:     hidden_grid_dims
      - .offset:         224
        .size:           8
        .value_kind:     hidden_hostcall_buffer
    .group_segment_fixed_size: 0
    .kernarg_segment_align: 8
    .kernarg_segment_size: 400
    .language:       OpenCL C
    .language_version:
      - 2
      - 0
    .max_flat_workgroup_size: 256
    .name:           _Z39paged_attention_ll4mi_QKV_mfma16_kernelIDF16_DF16_LN4vllm18Fp8KVCacheDataTypeE0EDF16_Li16ELi128ELi256ELb0ELi9EEvPKT_PKT0_S7_ifPKiS9_S9_iPKfiiiPfSC_PS2_PT2_iSB_SB_
    .private_segment_fixed_size: 64
    .sgpr_count:     36
    .sgpr_spill_count: 0
    .symbol:         _Z39paged_attention_ll4mi_QKV_mfma16_kernelIDF16_DF16_LN4vllm18Fp8KVCacheDataTypeE0EDF16_Li16ELi128ELi256ELb0ELi9EEvPKT_PKT0_S7_ifPKiS9_S9_iPKfiiiPfSC_PS2_PT2_iSB_SB_.kd
    .uniform_work_group_size: 1
    .uses_dynamic_stack: false
    .vgpr_count:     51
    .vgpr_spill_count: 0
    .wavefront_size: 32
  - .args:
      - .actual_access:  read_only
        .address_space:  global
        .offset:         0
        .size:           8
        .value_kind:     global_buffer
      - .actual_access:  read_only
        .address_space:  global
        .offset:         8
        .size:           8
        .value_kind:     global_buffer
      - .actual_access:  read_only
        .address_space:  global
        .offset:         16
        .size:           8
        .value_kind:     global_buffer
      - .offset:         24
        .size:           4
        .value_kind:     by_value
      - .offset:         28
        .size:           4
        .value_kind:     by_value
      - .actual_access:  read_only
        .address_space:  global
        .offset:         32
        .size:           8
        .value_kind:     global_buffer
      - .actual_access:  read_only
        .address_space:  global
        .offset:         40
        .size:           8
        .value_kind:     global_buffer
      - .actual_access:  read_only
        .address_space:  global
        .offset:         48
        .size:           8
        .value_kind:     global_buffer
      - .offset:         56
        .size:           4
        .value_kind:     by_value
      - .actual_access:  read_only
        .address_space:  global
        .offset:         64
        .size:           8
        .value_kind:     global_buffer
      - .offset:         72
        .size:           4
        .value_kind:     by_value
      - .offset:         76
        .size:           4
        .value_kind:     by_value
      - .offset:         80
        .size:           4
        .value_kind:     by_value
      - .actual_access:  read_only
        .address_space:  global
        .offset:         88
        .size:           8
        .value_kind:     global_buffer
      - .actual_access:  read_only
        .address_space:  global
        .offset:         96
        .size:           8
        .value_kind:     global_buffer
      - .actual_access:  read_only
        .address_space:  global
        .offset:         104
        .size:           8
        .value_kind:     global_buffer
      - .actual_access:  read_only
        .address_space:  global
        .offset:         112
        .size:           8
        .value_kind:     global_buffer
      - .offset:         120
        .size:           4
        .value_kind:     by_value
      - .address_space:  global
        .offset:         128
        .size:           8
        .value_kind:     global_buffer
      - .address_space:  global
        .offset:         136
        .size:           8
        .value_kind:     global_buffer
      - .offset:         144
        .size:           4
        .value_kind:     hidden_block_count_x
      - .offset:         148
        .size:           4
        .value_kind:     hidden_block_count_y
      - .offset:         152
        .size:           4
        .value_kind:     hidden_block_count_z
      - .offset:         156
        .size:           2
        .value_kind:     hidden_group_size_x
      - .offset:         158
        .size:           2
        .value_kind:     hidden_group_size_y
      - .offset:         160
        .size:           2
        .value_kind:     hidden_group_size_z
      - .offset:         162
        .size:           2
        .value_kind:     hidden_remainder_x
      - .offset:         164
        .size:           2
        .value_kind:     hidden_remainder_y
      - .offset:         166
        .size:           2
        .value_kind:     hidden_remainder_z
      - .offset:         184
        .size:           8
        .value_kind:     hidden_global_offset_x
      - .offset:         192
        .size:           8
        .value_kind:     hidden_global_offset_y
      - .offset:         200
        .size:           8
        .value_kind:     hidden_global_offset_z
      - .offset:         208
        .size:           2
        .value_kind:     hidden_grid_dims
      - .offset:         224
        .size:           8
        .value_kind:     hidden_hostcall_buffer
    .group_segment_fixed_size: 0
    .kernarg_segment_align: 8
    .kernarg_segment_size: 400
    .language:       OpenCL C
    .language_version:
      - 2
      - 0
    .max_flat_workgroup_size: 256
    .name:           _Z39paged_attention_ll4mi_QKV_mfma16_kernelIDF16_DF16_LN4vllm18Fp8KVCacheDataTypeE0EDF16_Li16ELi128ELi256ELb0ELi10EEvPKT_PKT0_S7_ifPKiS9_S9_iPKfiiiPfSC_PS2_PT2_iSB_SB_
    .private_segment_fixed_size: 64
    .sgpr_count:     36
    .sgpr_spill_count: 0
    .symbol:         _Z39paged_attention_ll4mi_QKV_mfma16_kernelIDF16_DF16_LN4vllm18Fp8KVCacheDataTypeE0EDF16_Li16ELi128ELi256ELb0ELi10EEvPKT_PKT0_S7_ifPKiS9_S9_iPKfiiiPfSC_PS2_PT2_iSB_SB_.kd
    .uniform_work_group_size: 1
    .uses_dynamic_stack: false
    .vgpr_count:     51
    .vgpr_spill_count: 0
    .wavefront_size: 32
  - .args:
      - .actual_access:  read_only
        .address_space:  global
        .offset:         0
        .size:           8
        .value_kind:     global_buffer
      - .actual_access:  read_only
        .address_space:  global
        .offset:         8
        .size:           8
        .value_kind:     global_buffer
      - .actual_access:  read_only
        .address_space:  global
        .offset:         16
        .size:           8
        .value_kind:     global_buffer
      - .offset:         24
        .size:           4
        .value_kind:     by_value
      - .offset:         28
        .size:           4
        .value_kind:     by_value
      - .actual_access:  read_only
        .address_space:  global
        .offset:         32
        .size:           8
        .value_kind:     global_buffer
      - .actual_access:  read_only
        .address_space:  global
        .offset:         40
        .size:           8
        .value_kind:     global_buffer
      - .actual_access:  read_only
        .address_space:  global
        .offset:         48
        .size:           8
        .value_kind:     global_buffer
      - .offset:         56
        .size:           4
        .value_kind:     by_value
      - .actual_access:  read_only
        .address_space:  global
        .offset:         64
        .size:           8
        .value_kind:     global_buffer
      - .offset:         72
        .size:           4
        .value_kind:     by_value
      - .offset:         76
        .size:           4
        .value_kind:     by_value
      - .offset:         80
        .size:           4
        .value_kind:     by_value
      - .actual_access:  read_only
        .address_space:  global
        .offset:         88
        .size:           8
        .value_kind:     global_buffer
      - .actual_access:  read_only
        .address_space:  global
        .offset:         96
        .size:           8
        .value_kind:     global_buffer
      - .actual_access:  read_only
        .address_space:  global
        .offset:         104
        .size:           8
        .value_kind:     global_buffer
      - .actual_access:  read_only
        .address_space:  global
        .offset:         112
        .size:           8
        .value_kind:     global_buffer
      - .offset:         120
        .size:           4
        .value_kind:     by_value
      - .address_space:  global
        .offset:         128
        .size:           8
        .value_kind:     global_buffer
      - .address_space:  global
        .offset:         136
        .size:           8
        .value_kind:     global_buffer
      - .offset:         144
        .size:           4
        .value_kind:     hidden_block_count_x
      - .offset:         148
        .size:           4
        .value_kind:     hidden_block_count_y
      - .offset:         152
        .size:           4
        .value_kind:     hidden_block_count_z
      - .offset:         156
        .size:           2
        .value_kind:     hidden_group_size_x
      - .offset:         158
        .size:           2
        .value_kind:     hidden_group_size_y
      - .offset:         160
        .size:           2
        .value_kind:     hidden_group_size_z
      - .offset:         162
        .size:           2
        .value_kind:     hidden_remainder_x
      - .offset:         164
        .size:           2
        .value_kind:     hidden_remainder_y
      - .offset:         166
        .size:           2
        .value_kind:     hidden_remainder_z
      - .offset:         184
        .size:           8
        .value_kind:     hidden_global_offset_x
      - .offset:         192
        .size:           8
        .value_kind:     hidden_global_offset_y
      - .offset:         200
        .size:           8
        .value_kind:     hidden_global_offset_z
      - .offset:         208
        .size:           2
        .value_kind:     hidden_grid_dims
      - .offset:         224
        .size:           8
        .value_kind:     hidden_hostcall_buffer
    .group_segment_fixed_size: 0
    .kernarg_segment_align: 8
    .kernarg_segment_size: 400
    .language:       OpenCL C
    .language_version:
      - 2
      - 0
    .max_flat_workgroup_size: 256
    .name:           _Z39paged_attention_ll4mi_QKV_mfma16_kernelIDF16_DF16_LN4vllm18Fp8KVCacheDataTypeE0EDF16_Li16ELi128ELi256ELb0ELi11EEvPKT_PKT0_S7_ifPKiS9_S9_iPKfiiiPfSC_PS2_PT2_iSB_SB_
    .private_segment_fixed_size: 64
    .sgpr_count:     36
    .sgpr_spill_count: 0
    .symbol:         _Z39paged_attention_ll4mi_QKV_mfma16_kernelIDF16_DF16_LN4vllm18Fp8KVCacheDataTypeE0EDF16_Li16ELi128ELi256ELb0ELi11EEvPKT_PKT0_S7_ifPKiS9_S9_iPKfiiiPfSC_PS2_PT2_iSB_SB_.kd
    .uniform_work_group_size: 1
    .uses_dynamic_stack: false
    .vgpr_count:     51
    .vgpr_spill_count: 0
    .wavefront_size: 32
  - .args:
      - .actual_access:  read_only
        .address_space:  global
        .offset:         0
        .size:           8
        .value_kind:     global_buffer
      - .actual_access:  read_only
        .address_space:  global
        .offset:         8
        .size:           8
        .value_kind:     global_buffer
      - .actual_access:  read_only
        .address_space:  global
        .offset:         16
        .size:           8
        .value_kind:     global_buffer
      - .offset:         24
        .size:           4
        .value_kind:     by_value
      - .offset:         28
        .size:           4
        .value_kind:     by_value
      - .actual_access:  read_only
        .address_space:  global
        .offset:         32
        .size:           8
        .value_kind:     global_buffer
      - .actual_access:  read_only
        .address_space:  global
        .offset:         40
        .size:           8
        .value_kind:     global_buffer
      - .actual_access:  read_only
        .address_space:  global
        .offset:         48
        .size:           8
        .value_kind:     global_buffer
      - .offset:         56
        .size:           4
        .value_kind:     by_value
      - .actual_access:  read_only
        .address_space:  global
        .offset:         64
        .size:           8
        .value_kind:     global_buffer
      - .offset:         72
        .size:           4
        .value_kind:     by_value
      - .offset:         76
        .size:           4
        .value_kind:     by_value
      - .offset:         80
        .size:           4
        .value_kind:     by_value
      - .actual_access:  read_only
        .address_space:  global
        .offset:         88
        .size:           8
        .value_kind:     global_buffer
      - .actual_access:  read_only
        .address_space:  global
        .offset:         96
        .size:           8
        .value_kind:     global_buffer
      - .actual_access:  read_only
        .address_space:  global
        .offset:         104
        .size:           8
        .value_kind:     global_buffer
      - .actual_access:  read_only
        .address_space:  global
        .offset:         112
        .size:           8
        .value_kind:     global_buffer
      - .offset:         120
        .size:           4
        .value_kind:     by_value
      - .address_space:  global
        .offset:         128
        .size:           8
        .value_kind:     global_buffer
      - .address_space:  global
        .offset:         136
        .size:           8
        .value_kind:     global_buffer
      - .offset:         144
        .size:           4
        .value_kind:     hidden_block_count_x
      - .offset:         148
        .size:           4
        .value_kind:     hidden_block_count_y
      - .offset:         152
        .size:           4
        .value_kind:     hidden_block_count_z
      - .offset:         156
        .size:           2
        .value_kind:     hidden_group_size_x
      - .offset:         158
        .size:           2
        .value_kind:     hidden_group_size_y
      - .offset:         160
        .size:           2
        .value_kind:     hidden_group_size_z
      - .offset:         162
        .size:           2
        .value_kind:     hidden_remainder_x
      - .offset:         164
        .size:           2
        .value_kind:     hidden_remainder_y
      - .offset:         166
        .size:           2
        .value_kind:     hidden_remainder_z
      - .offset:         184
        .size:           8
        .value_kind:     hidden_global_offset_x
      - .offset:         192
        .size:           8
        .value_kind:     hidden_global_offset_y
      - .offset:         200
        .size:           8
        .value_kind:     hidden_global_offset_z
      - .offset:         208
        .size:           2
        .value_kind:     hidden_grid_dims
      - .offset:         224
        .size:           8
        .value_kind:     hidden_hostcall_buffer
    .group_segment_fixed_size: 0
    .kernarg_segment_align: 8
    .kernarg_segment_size: 400
    .language:       OpenCL C
    .language_version:
      - 2
      - 0
    .max_flat_workgroup_size: 256
    .name:           _Z39paged_attention_ll4mi_QKV_mfma16_kernelIDF16_DF16_LN4vllm18Fp8KVCacheDataTypeE0EDF16_Li16ELi128ELi256ELb0ELi12EEvPKT_PKT0_S7_ifPKiS9_S9_iPKfiiiPfSC_PS2_PT2_iSB_SB_
    .private_segment_fixed_size: 64
    .sgpr_count:     36
    .sgpr_spill_count: 0
    .symbol:         _Z39paged_attention_ll4mi_QKV_mfma16_kernelIDF16_DF16_LN4vllm18Fp8KVCacheDataTypeE0EDF16_Li16ELi128ELi256ELb0ELi12EEvPKT_PKT0_S7_ifPKiS9_S9_iPKfiiiPfSC_PS2_PT2_iSB_SB_.kd
    .uniform_work_group_size: 1
    .uses_dynamic_stack: false
    .vgpr_count:     51
    .vgpr_spill_count: 0
    .wavefront_size: 32
  - .args:
      - .actual_access:  read_only
        .address_space:  global
        .offset:         0
        .size:           8
        .value_kind:     global_buffer
      - .actual_access:  read_only
        .address_space:  global
        .offset:         8
        .size:           8
        .value_kind:     global_buffer
      - .actual_access:  read_only
        .address_space:  global
        .offset:         16
        .size:           8
        .value_kind:     global_buffer
      - .offset:         24
        .size:           4
        .value_kind:     by_value
      - .offset:         28
        .size:           4
        .value_kind:     by_value
      - .actual_access:  read_only
        .address_space:  global
        .offset:         32
        .size:           8
        .value_kind:     global_buffer
      - .actual_access:  read_only
        .address_space:  global
        .offset:         40
        .size:           8
        .value_kind:     global_buffer
      - .actual_access:  read_only
        .address_space:  global
        .offset:         48
        .size:           8
        .value_kind:     global_buffer
      - .offset:         56
        .size:           4
        .value_kind:     by_value
      - .actual_access:  read_only
        .address_space:  global
        .offset:         64
        .size:           8
        .value_kind:     global_buffer
      - .offset:         72
        .size:           4
        .value_kind:     by_value
      - .offset:         76
        .size:           4
        .value_kind:     by_value
      - .offset:         80
        .size:           4
        .value_kind:     by_value
      - .actual_access:  read_only
        .address_space:  global
        .offset:         88
        .size:           8
        .value_kind:     global_buffer
      - .actual_access:  read_only
        .address_space:  global
        .offset:         96
        .size:           8
        .value_kind:     global_buffer
      - .actual_access:  read_only
        .address_space:  global
        .offset:         104
        .size:           8
        .value_kind:     global_buffer
      - .actual_access:  read_only
        .address_space:  global
        .offset:         112
        .size:           8
        .value_kind:     global_buffer
      - .offset:         120
        .size:           4
        .value_kind:     by_value
      - .address_space:  global
        .offset:         128
        .size:           8
        .value_kind:     global_buffer
      - .address_space:  global
        .offset:         136
        .size:           8
        .value_kind:     global_buffer
      - .offset:         144
        .size:           4
        .value_kind:     hidden_block_count_x
      - .offset:         148
        .size:           4
        .value_kind:     hidden_block_count_y
      - .offset:         152
        .size:           4
        .value_kind:     hidden_block_count_z
      - .offset:         156
        .size:           2
        .value_kind:     hidden_group_size_x
      - .offset:         158
        .size:           2
        .value_kind:     hidden_group_size_y
      - .offset:         160
        .size:           2
        .value_kind:     hidden_group_size_z
      - .offset:         162
        .size:           2
        .value_kind:     hidden_remainder_x
      - .offset:         164
        .size:           2
        .value_kind:     hidden_remainder_y
      - .offset:         166
        .size:           2
        .value_kind:     hidden_remainder_z
      - .offset:         184
        .size:           8
        .value_kind:     hidden_global_offset_x
      - .offset:         192
        .size:           8
        .value_kind:     hidden_global_offset_y
      - .offset:         200
        .size:           8
        .value_kind:     hidden_global_offset_z
      - .offset:         208
        .size:           2
        .value_kind:     hidden_grid_dims
      - .offset:         224
        .size:           8
        .value_kind:     hidden_hostcall_buffer
    .group_segment_fixed_size: 0
    .kernarg_segment_align: 8
    .kernarg_segment_size: 400
    .language:       OpenCL C
    .language_version:
      - 2
      - 0
    .max_flat_workgroup_size: 256
    .name:           _Z39paged_attention_ll4mi_QKV_mfma16_kernelIDF16_DF16_LN4vllm18Fp8KVCacheDataTypeE0EDF16_Li16ELi128ELi256ELb0ELi13EEvPKT_PKT0_S7_ifPKiS9_S9_iPKfiiiPfSC_PS2_PT2_iSB_SB_
    .private_segment_fixed_size: 64
    .sgpr_count:     36
    .sgpr_spill_count: 0
    .symbol:         _Z39paged_attention_ll4mi_QKV_mfma16_kernelIDF16_DF16_LN4vllm18Fp8KVCacheDataTypeE0EDF16_Li16ELi128ELi256ELb0ELi13EEvPKT_PKT0_S7_ifPKiS9_S9_iPKfiiiPfSC_PS2_PT2_iSB_SB_.kd
    .uniform_work_group_size: 1
    .uses_dynamic_stack: false
    .vgpr_count:     51
    .vgpr_spill_count: 0
    .wavefront_size: 32
  - .args:
      - .actual_access:  read_only
        .address_space:  global
        .offset:         0
        .size:           8
        .value_kind:     global_buffer
      - .actual_access:  read_only
        .address_space:  global
        .offset:         8
        .size:           8
        .value_kind:     global_buffer
      - .actual_access:  read_only
        .address_space:  global
        .offset:         16
        .size:           8
        .value_kind:     global_buffer
      - .offset:         24
        .size:           4
        .value_kind:     by_value
      - .offset:         28
        .size:           4
        .value_kind:     by_value
      - .actual_access:  read_only
        .address_space:  global
        .offset:         32
        .size:           8
        .value_kind:     global_buffer
      - .actual_access:  read_only
        .address_space:  global
        .offset:         40
        .size:           8
        .value_kind:     global_buffer
      - .actual_access:  read_only
        .address_space:  global
        .offset:         48
        .size:           8
        .value_kind:     global_buffer
      - .offset:         56
        .size:           4
        .value_kind:     by_value
      - .actual_access:  read_only
        .address_space:  global
        .offset:         64
        .size:           8
        .value_kind:     global_buffer
      - .offset:         72
        .size:           4
        .value_kind:     by_value
      - .offset:         76
        .size:           4
        .value_kind:     by_value
      - .offset:         80
        .size:           4
        .value_kind:     by_value
      - .actual_access:  read_only
        .address_space:  global
        .offset:         88
        .size:           8
        .value_kind:     global_buffer
      - .actual_access:  read_only
        .address_space:  global
        .offset:         96
        .size:           8
        .value_kind:     global_buffer
      - .actual_access:  read_only
        .address_space:  global
        .offset:         104
        .size:           8
        .value_kind:     global_buffer
      - .actual_access:  read_only
        .address_space:  global
        .offset:         112
        .size:           8
        .value_kind:     global_buffer
      - .offset:         120
        .size:           4
        .value_kind:     by_value
      - .address_space:  global
        .offset:         128
        .size:           8
        .value_kind:     global_buffer
      - .address_space:  global
        .offset:         136
        .size:           8
        .value_kind:     global_buffer
      - .offset:         144
        .size:           4
        .value_kind:     hidden_block_count_x
      - .offset:         148
        .size:           4
        .value_kind:     hidden_block_count_y
      - .offset:         152
        .size:           4
        .value_kind:     hidden_block_count_z
      - .offset:         156
        .size:           2
        .value_kind:     hidden_group_size_x
      - .offset:         158
        .size:           2
        .value_kind:     hidden_group_size_y
      - .offset:         160
        .size:           2
        .value_kind:     hidden_group_size_z
      - .offset:         162
        .size:           2
        .value_kind:     hidden_remainder_x
      - .offset:         164
        .size:           2
        .value_kind:     hidden_remainder_y
      - .offset:         166
        .size:           2
        .value_kind:     hidden_remainder_z
      - .offset:         184
        .size:           8
        .value_kind:     hidden_global_offset_x
      - .offset:         192
        .size:           8
        .value_kind:     hidden_global_offset_y
      - .offset:         200
        .size:           8
        .value_kind:     hidden_global_offset_z
      - .offset:         208
        .size:           2
        .value_kind:     hidden_grid_dims
      - .offset:         224
        .size:           8
        .value_kind:     hidden_hostcall_buffer
    .group_segment_fixed_size: 0
    .kernarg_segment_align: 8
    .kernarg_segment_size: 400
    .language:       OpenCL C
    .language_version:
      - 2
      - 0
    .max_flat_workgroup_size: 256
    .name:           _Z39paged_attention_ll4mi_QKV_mfma16_kernelIDF16_DF16_LN4vllm18Fp8KVCacheDataTypeE0EDF16_Li16ELi128ELi256ELb0ELi14EEvPKT_PKT0_S7_ifPKiS9_S9_iPKfiiiPfSC_PS2_PT2_iSB_SB_
    .private_segment_fixed_size: 64
    .sgpr_count:     36
    .sgpr_spill_count: 0
    .symbol:         _Z39paged_attention_ll4mi_QKV_mfma16_kernelIDF16_DF16_LN4vllm18Fp8KVCacheDataTypeE0EDF16_Li16ELi128ELi256ELb0ELi14EEvPKT_PKT0_S7_ifPKiS9_S9_iPKfiiiPfSC_PS2_PT2_iSB_SB_.kd
    .uniform_work_group_size: 1
    .uses_dynamic_stack: false
    .vgpr_count:     51
    .vgpr_spill_count: 0
    .wavefront_size: 32
  - .args:
      - .actual_access:  read_only
        .address_space:  global
        .offset:         0
        .size:           8
        .value_kind:     global_buffer
      - .actual_access:  read_only
        .address_space:  global
        .offset:         8
        .size:           8
        .value_kind:     global_buffer
      - .actual_access:  read_only
        .address_space:  global
        .offset:         16
        .size:           8
        .value_kind:     global_buffer
      - .offset:         24
        .size:           4
        .value_kind:     by_value
      - .offset:         28
        .size:           4
        .value_kind:     by_value
      - .actual_access:  read_only
        .address_space:  global
        .offset:         32
        .size:           8
        .value_kind:     global_buffer
      - .actual_access:  read_only
        .address_space:  global
        .offset:         40
        .size:           8
        .value_kind:     global_buffer
      - .actual_access:  read_only
        .address_space:  global
        .offset:         48
        .size:           8
        .value_kind:     global_buffer
      - .offset:         56
        .size:           4
        .value_kind:     by_value
      - .actual_access:  read_only
        .address_space:  global
        .offset:         64
        .size:           8
        .value_kind:     global_buffer
      - .offset:         72
        .size:           4
        .value_kind:     by_value
      - .offset:         76
        .size:           4
        .value_kind:     by_value
      - .offset:         80
        .size:           4
        .value_kind:     by_value
      - .actual_access:  read_only
        .address_space:  global
        .offset:         88
        .size:           8
        .value_kind:     global_buffer
      - .actual_access:  read_only
        .address_space:  global
        .offset:         96
        .size:           8
        .value_kind:     global_buffer
      - .actual_access:  read_only
        .address_space:  global
        .offset:         104
        .size:           8
        .value_kind:     global_buffer
      - .actual_access:  read_only
        .address_space:  global
        .offset:         112
        .size:           8
        .value_kind:     global_buffer
      - .offset:         120
        .size:           4
        .value_kind:     by_value
      - .address_space:  global
        .offset:         128
        .size:           8
        .value_kind:     global_buffer
      - .address_space:  global
        .offset:         136
        .size:           8
        .value_kind:     global_buffer
      - .offset:         144
        .size:           4
        .value_kind:     hidden_block_count_x
      - .offset:         148
        .size:           4
        .value_kind:     hidden_block_count_y
      - .offset:         152
        .size:           4
        .value_kind:     hidden_block_count_z
      - .offset:         156
        .size:           2
        .value_kind:     hidden_group_size_x
      - .offset:         158
        .size:           2
        .value_kind:     hidden_group_size_y
      - .offset:         160
        .size:           2
        .value_kind:     hidden_group_size_z
      - .offset:         162
        .size:           2
        .value_kind:     hidden_remainder_x
      - .offset:         164
        .size:           2
        .value_kind:     hidden_remainder_y
      - .offset:         166
        .size:           2
        .value_kind:     hidden_remainder_z
      - .offset:         184
        .size:           8
        .value_kind:     hidden_global_offset_x
      - .offset:         192
        .size:           8
        .value_kind:     hidden_global_offset_y
      - .offset:         200
        .size:           8
        .value_kind:     hidden_global_offset_z
      - .offset:         208
        .size:           2
        .value_kind:     hidden_grid_dims
      - .offset:         224
        .size:           8
        .value_kind:     hidden_hostcall_buffer
    .group_segment_fixed_size: 0
    .kernarg_segment_align: 8
    .kernarg_segment_size: 400
    .language:       OpenCL C
    .language_version:
      - 2
      - 0
    .max_flat_workgroup_size: 256
    .name:           _Z39paged_attention_ll4mi_QKV_mfma16_kernelIDF16_DF16_LN4vllm18Fp8KVCacheDataTypeE0EDF16_Li16ELi128ELi256ELb0ELi15EEvPKT_PKT0_S7_ifPKiS9_S9_iPKfiiiPfSC_PS2_PT2_iSB_SB_
    .private_segment_fixed_size: 64
    .sgpr_count:     36
    .sgpr_spill_count: 0
    .symbol:         _Z39paged_attention_ll4mi_QKV_mfma16_kernelIDF16_DF16_LN4vllm18Fp8KVCacheDataTypeE0EDF16_Li16ELi128ELi256ELb0ELi15EEvPKT_PKT0_S7_ifPKiS9_S9_iPKfiiiPfSC_PS2_PT2_iSB_SB_.kd
    .uniform_work_group_size: 1
    .uses_dynamic_stack: false
    .vgpr_count:     51
    .vgpr_spill_count: 0
    .wavefront_size: 32
  - .args:
      - .actual_access:  read_only
        .address_space:  global
        .offset:         0
        .size:           8
        .value_kind:     global_buffer
      - .actual_access:  read_only
        .address_space:  global
        .offset:         8
        .size:           8
        .value_kind:     global_buffer
      - .actual_access:  read_only
        .address_space:  global
        .offset:         16
        .size:           8
        .value_kind:     global_buffer
      - .offset:         24
        .size:           4
        .value_kind:     by_value
      - .offset:         28
        .size:           4
        .value_kind:     by_value
      - .actual_access:  read_only
        .address_space:  global
        .offset:         32
        .size:           8
        .value_kind:     global_buffer
      - .actual_access:  read_only
        .address_space:  global
        .offset:         40
        .size:           8
        .value_kind:     global_buffer
      - .actual_access:  read_only
        .address_space:  global
        .offset:         48
        .size:           8
        .value_kind:     global_buffer
      - .offset:         56
        .size:           4
        .value_kind:     by_value
      - .actual_access:  read_only
        .address_space:  global
        .offset:         64
        .size:           8
        .value_kind:     global_buffer
      - .offset:         72
        .size:           4
        .value_kind:     by_value
      - .offset:         76
        .size:           4
        .value_kind:     by_value
      - .offset:         80
        .size:           4
        .value_kind:     by_value
      - .actual_access:  read_only
        .address_space:  global
        .offset:         88
        .size:           8
        .value_kind:     global_buffer
      - .actual_access:  read_only
        .address_space:  global
        .offset:         96
        .size:           8
        .value_kind:     global_buffer
      - .actual_access:  read_only
        .address_space:  global
        .offset:         104
        .size:           8
        .value_kind:     global_buffer
      - .actual_access:  read_only
        .address_space:  global
        .offset:         112
        .size:           8
        .value_kind:     global_buffer
      - .offset:         120
        .size:           4
        .value_kind:     by_value
      - .address_space:  global
        .offset:         128
        .size:           8
        .value_kind:     global_buffer
      - .address_space:  global
        .offset:         136
        .size:           8
        .value_kind:     global_buffer
      - .offset:         144
        .size:           4
        .value_kind:     hidden_block_count_x
      - .offset:         148
        .size:           4
        .value_kind:     hidden_block_count_y
      - .offset:         152
        .size:           4
        .value_kind:     hidden_block_count_z
      - .offset:         156
        .size:           2
        .value_kind:     hidden_group_size_x
      - .offset:         158
        .size:           2
        .value_kind:     hidden_group_size_y
      - .offset:         160
        .size:           2
        .value_kind:     hidden_group_size_z
      - .offset:         162
        .size:           2
        .value_kind:     hidden_remainder_x
      - .offset:         164
        .size:           2
        .value_kind:     hidden_remainder_y
      - .offset:         166
        .size:           2
        .value_kind:     hidden_remainder_z
      - .offset:         184
        .size:           8
        .value_kind:     hidden_global_offset_x
      - .offset:         192
        .size:           8
        .value_kind:     hidden_global_offset_y
      - .offset:         200
        .size:           8
        .value_kind:     hidden_global_offset_z
      - .offset:         208
        .size:           2
        .value_kind:     hidden_grid_dims
      - .offset:         224
        .size:           8
        .value_kind:     hidden_hostcall_buffer
    .group_segment_fixed_size: 0
    .kernarg_segment_align: 8
    .kernarg_segment_size: 400
    .language:       OpenCL C
    .language_version:
      - 2
      - 0
    .max_flat_workgroup_size: 256
    .name:           _Z39paged_attention_ll4mi_QKV_mfma16_kernelIDF16_DF16_LN4vllm18Fp8KVCacheDataTypeE0EDF16_Li16ELi128ELi256ELb0ELi16EEvPKT_PKT0_S7_ifPKiS9_S9_iPKfiiiPfSC_PS2_PT2_iSB_SB_
    .private_segment_fixed_size: 64
    .sgpr_count:     36
    .sgpr_spill_count: 0
    .symbol:         _Z39paged_attention_ll4mi_QKV_mfma16_kernelIDF16_DF16_LN4vllm18Fp8KVCacheDataTypeE0EDF16_Li16ELi128ELi256ELb0ELi16EEvPKT_PKT0_S7_ifPKiS9_S9_iPKfiiiPfSC_PS2_PT2_iSB_SB_.kd
    .uniform_work_group_size: 1
    .uses_dynamic_stack: false
    .vgpr_count:     51
    .vgpr_spill_count: 0
    .wavefront_size: 32
  - .args:
      - .actual_access:  read_only
        .address_space:  global
        .offset:         0
        .size:           8
        .value_kind:     global_buffer
      - .actual_access:  read_only
        .address_space:  global
        .offset:         8
        .size:           8
        .value_kind:     global_buffer
      - .actual_access:  read_only
        .address_space:  global
        .offset:         16
        .size:           8
        .value_kind:     global_buffer
      - .offset:         24
        .size:           4
        .value_kind:     by_value
      - .offset:         28
        .size:           4
        .value_kind:     by_value
      - .actual_access:  read_only
        .address_space:  global
        .offset:         32
        .size:           8
        .value_kind:     global_buffer
      - .actual_access:  read_only
        .address_space:  global
        .offset:         40
        .size:           8
        .value_kind:     global_buffer
      - .actual_access:  read_only
        .address_space:  global
        .offset:         48
        .size:           8
        .value_kind:     global_buffer
      - .offset:         56
        .size:           4
        .value_kind:     by_value
      - .actual_access:  read_only
        .address_space:  global
        .offset:         64
        .size:           8
        .value_kind:     global_buffer
      - .offset:         72
        .size:           4
        .value_kind:     by_value
      - .offset:         76
        .size:           4
        .value_kind:     by_value
      - .offset:         80
        .size:           4
        .value_kind:     by_value
      - .actual_access:  read_only
        .address_space:  global
        .offset:         88
        .size:           8
        .value_kind:     global_buffer
      - .actual_access:  read_only
        .address_space:  global
        .offset:         96
        .size:           8
        .value_kind:     global_buffer
      - .actual_access:  read_only
        .address_space:  global
        .offset:         104
        .size:           8
        .value_kind:     global_buffer
      - .actual_access:  read_only
        .address_space:  global
        .offset:         112
        .size:           8
        .value_kind:     global_buffer
      - .offset:         120
        .size:           4
        .value_kind:     by_value
      - .address_space:  global
        .offset:         128
        .size:           8
        .value_kind:     global_buffer
      - .address_space:  global
        .offset:         136
        .size:           8
        .value_kind:     global_buffer
      - .offset:         144
        .size:           4
        .value_kind:     hidden_block_count_x
      - .offset:         148
        .size:           4
        .value_kind:     hidden_block_count_y
      - .offset:         152
        .size:           4
        .value_kind:     hidden_block_count_z
      - .offset:         156
        .size:           2
        .value_kind:     hidden_group_size_x
      - .offset:         158
        .size:           2
        .value_kind:     hidden_group_size_y
      - .offset:         160
        .size:           2
        .value_kind:     hidden_group_size_z
      - .offset:         162
        .size:           2
        .value_kind:     hidden_remainder_x
      - .offset:         164
        .size:           2
        .value_kind:     hidden_remainder_y
      - .offset:         166
        .size:           2
        .value_kind:     hidden_remainder_z
      - .offset:         184
        .size:           8
        .value_kind:     hidden_global_offset_x
      - .offset:         192
        .size:           8
        .value_kind:     hidden_global_offset_y
      - .offset:         200
        .size:           8
        .value_kind:     hidden_global_offset_z
      - .offset:         208
        .size:           2
        .value_kind:     hidden_grid_dims
      - .offset:         224
        .size:           8
        .value_kind:     hidden_hostcall_buffer
    .group_segment_fixed_size: 0
    .kernarg_segment_align: 8
    .kernarg_segment_size: 400
    .language:       OpenCL C
    .language_version:
      - 2
      - 0
    .max_flat_workgroup_size: 256
    .name:           _Z39paged_attention_ll4mi_QKV_mfma16_kernelIDF16_DF16_LN4vllm18Fp8KVCacheDataTypeE0EDF16_Li16ELi128ELi256ELb0ELi1EEvPKT_PKT0_S7_ifPKiS9_S9_iPKfiiiPfSC_PS2_PT2_iSB_SB_
    .private_segment_fixed_size: 64
    .sgpr_count:     36
    .sgpr_spill_count: 0
    .symbol:         _Z39paged_attention_ll4mi_QKV_mfma16_kernelIDF16_DF16_LN4vllm18Fp8KVCacheDataTypeE0EDF16_Li16ELi128ELi256ELb0ELi1EEvPKT_PKT0_S7_ifPKiS9_S9_iPKfiiiPfSC_PS2_PT2_iSB_SB_.kd
    .uniform_work_group_size: 1
    .uses_dynamic_stack: false
    .vgpr_count:     51
    .vgpr_spill_count: 0
    .wavefront_size: 32
  - .args:
      - .actual_access:  read_only
        .address_space:  global
        .offset:         0
        .size:           8
        .value_kind:     global_buffer
      - .actual_access:  read_only
        .address_space:  global
        .offset:         8
        .size:           8
        .value_kind:     global_buffer
      - .actual_access:  read_only
        .address_space:  global
        .offset:         16
        .size:           8
        .value_kind:     global_buffer
      - .offset:         24
        .size:           4
        .value_kind:     by_value
      - .offset:         28
        .size:           4
        .value_kind:     by_value
      - .actual_access:  read_only
        .address_space:  global
        .offset:         32
        .size:           8
        .value_kind:     global_buffer
      - .actual_access:  read_only
        .address_space:  global
        .offset:         40
        .size:           8
        .value_kind:     global_buffer
      - .actual_access:  read_only
        .address_space:  global
        .offset:         48
        .size:           8
        .value_kind:     global_buffer
      - .offset:         56
        .size:           4
        .value_kind:     by_value
      - .actual_access:  read_only
        .address_space:  global
        .offset:         64
        .size:           8
        .value_kind:     global_buffer
      - .offset:         72
        .size:           4
        .value_kind:     by_value
      - .offset:         76
        .size:           4
        .value_kind:     by_value
      - .offset:         80
        .size:           4
        .value_kind:     by_value
      - .actual_access:  read_only
        .address_space:  global
        .offset:         88
        .size:           8
        .value_kind:     global_buffer
      - .actual_access:  read_only
        .address_space:  global
        .offset:         96
        .size:           8
        .value_kind:     global_buffer
      - .actual_access:  read_only
        .address_space:  global
        .offset:         104
        .size:           8
        .value_kind:     global_buffer
      - .actual_access:  read_only
        .address_space:  global
        .offset:         112
        .size:           8
        .value_kind:     global_buffer
      - .offset:         120
        .size:           4
        .value_kind:     by_value
      - .address_space:  global
        .offset:         128
        .size:           8
        .value_kind:     global_buffer
      - .address_space:  global
        .offset:         136
        .size:           8
        .value_kind:     global_buffer
      - .offset:         144
        .size:           4
        .value_kind:     hidden_block_count_x
      - .offset:         148
        .size:           4
        .value_kind:     hidden_block_count_y
      - .offset:         152
        .size:           4
        .value_kind:     hidden_block_count_z
      - .offset:         156
        .size:           2
        .value_kind:     hidden_group_size_x
      - .offset:         158
        .size:           2
        .value_kind:     hidden_group_size_y
      - .offset:         160
        .size:           2
        .value_kind:     hidden_group_size_z
      - .offset:         162
        .size:           2
        .value_kind:     hidden_remainder_x
      - .offset:         164
        .size:           2
        .value_kind:     hidden_remainder_y
      - .offset:         166
        .size:           2
        .value_kind:     hidden_remainder_z
      - .offset:         184
        .size:           8
        .value_kind:     hidden_global_offset_x
      - .offset:         192
        .size:           8
        .value_kind:     hidden_global_offset_y
      - .offset:         200
        .size:           8
        .value_kind:     hidden_global_offset_z
      - .offset:         208
        .size:           2
        .value_kind:     hidden_grid_dims
      - .offset:         224
        .size:           8
        .value_kind:     hidden_hostcall_buffer
    .group_segment_fixed_size: 0
    .kernarg_segment_align: 8
    .kernarg_segment_size: 400
    .language:       OpenCL C
    .language_version:
      - 2
      - 0
    .max_flat_workgroup_size: 256
    .name:           _Z39paged_attention_ll4mi_QKV_mfma16_kernelIDF16_DF16_LN4vllm18Fp8KVCacheDataTypeE0EDF16_Li16ELi128ELi256ELb0ELi2EEvPKT_PKT0_S7_ifPKiS9_S9_iPKfiiiPfSC_PS2_PT2_iSB_SB_
    .private_segment_fixed_size: 64
    .sgpr_count:     36
    .sgpr_spill_count: 0
    .symbol:         _Z39paged_attention_ll4mi_QKV_mfma16_kernelIDF16_DF16_LN4vllm18Fp8KVCacheDataTypeE0EDF16_Li16ELi128ELi256ELb0ELi2EEvPKT_PKT0_S7_ifPKiS9_S9_iPKfiiiPfSC_PS2_PT2_iSB_SB_.kd
    .uniform_work_group_size: 1
    .uses_dynamic_stack: false
    .vgpr_count:     51
    .vgpr_spill_count: 0
    .wavefront_size: 32
  - .args:
      - .actual_access:  read_only
        .address_space:  global
        .offset:         0
        .size:           8
        .value_kind:     global_buffer
      - .actual_access:  read_only
        .address_space:  global
        .offset:         8
        .size:           8
        .value_kind:     global_buffer
      - .actual_access:  read_only
        .address_space:  global
        .offset:         16
        .size:           8
        .value_kind:     global_buffer
      - .offset:         24
        .size:           4
        .value_kind:     by_value
      - .offset:         28
        .size:           4
        .value_kind:     by_value
      - .actual_access:  read_only
        .address_space:  global
        .offset:         32
        .size:           8
        .value_kind:     global_buffer
      - .actual_access:  read_only
        .address_space:  global
        .offset:         40
        .size:           8
        .value_kind:     global_buffer
      - .actual_access:  read_only
        .address_space:  global
        .offset:         48
        .size:           8
        .value_kind:     global_buffer
      - .offset:         56
        .size:           4
        .value_kind:     by_value
      - .actual_access:  read_only
        .address_space:  global
        .offset:         64
        .size:           8
        .value_kind:     global_buffer
      - .offset:         72
        .size:           4
        .value_kind:     by_value
      - .offset:         76
        .size:           4
        .value_kind:     by_value
      - .offset:         80
        .size:           4
        .value_kind:     by_value
      - .actual_access:  read_only
        .address_space:  global
        .offset:         88
        .size:           8
        .value_kind:     global_buffer
      - .actual_access:  read_only
        .address_space:  global
        .offset:         96
        .size:           8
        .value_kind:     global_buffer
      - .actual_access:  read_only
        .address_space:  global
        .offset:         104
        .size:           8
        .value_kind:     global_buffer
      - .actual_access:  read_only
        .address_space:  global
        .offset:         112
        .size:           8
        .value_kind:     global_buffer
      - .offset:         120
        .size:           4
        .value_kind:     by_value
      - .address_space:  global
        .offset:         128
        .size:           8
        .value_kind:     global_buffer
      - .address_space:  global
        .offset:         136
        .size:           8
        .value_kind:     global_buffer
      - .offset:         144
        .size:           4
        .value_kind:     hidden_block_count_x
      - .offset:         148
        .size:           4
        .value_kind:     hidden_block_count_y
      - .offset:         152
        .size:           4
        .value_kind:     hidden_block_count_z
      - .offset:         156
        .size:           2
        .value_kind:     hidden_group_size_x
      - .offset:         158
        .size:           2
        .value_kind:     hidden_group_size_y
      - .offset:         160
        .size:           2
        .value_kind:     hidden_group_size_z
      - .offset:         162
        .size:           2
        .value_kind:     hidden_remainder_x
      - .offset:         164
        .size:           2
        .value_kind:     hidden_remainder_y
      - .offset:         166
        .size:           2
        .value_kind:     hidden_remainder_z
      - .offset:         184
        .size:           8
        .value_kind:     hidden_global_offset_x
      - .offset:         192
        .size:           8
        .value_kind:     hidden_global_offset_y
      - .offset:         200
        .size:           8
        .value_kind:     hidden_global_offset_z
      - .offset:         208
        .size:           2
        .value_kind:     hidden_grid_dims
      - .offset:         224
        .size:           8
        .value_kind:     hidden_hostcall_buffer
    .group_segment_fixed_size: 0
    .kernarg_segment_align: 8
    .kernarg_segment_size: 400
    .language:       OpenCL C
    .language_version:
      - 2
      - 0
    .max_flat_workgroup_size: 256
    .name:           _Z39paged_attention_ll4mi_QKV_mfma16_kernelIDF16_DF16_LN4vllm18Fp8KVCacheDataTypeE0EDF16_Li16ELi128ELi256ELb0ELi3EEvPKT_PKT0_S7_ifPKiS9_S9_iPKfiiiPfSC_PS2_PT2_iSB_SB_
    .private_segment_fixed_size: 64
    .sgpr_count:     36
    .sgpr_spill_count: 0
    .symbol:         _Z39paged_attention_ll4mi_QKV_mfma16_kernelIDF16_DF16_LN4vllm18Fp8KVCacheDataTypeE0EDF16_Li16ELi128ELi256ELb0ELi3EEvPKT_PKT0_S7_ifPKiS9_S9_iPKfiiiPfSC_PS2_PT2_iSB_SB_.kd
    .uniform_work_group_size: 1
    .uses_dynamic_stack: false
    .vgpr_count:     51
    .vgpr_spill_count: 0
    .wavefront_size: 32
  - .args:
      - .actual_access:  read_only
        .address_space:  global
        .offset:         0
        .size:           8
        .value_kind:     global_buffer
      - .actual_access:  read_only
        .address_space:  global
        .offset:         8
        .size:           8
        .value_kind:     global_buffer
      - .actual_access:  read_only
        .address_space:  global
        .offset:         16
        .size:           8
        .value_kind:     global_buffer
      - .offset:         24
        .size:           4
        .value_kind:     by_value
      - .offset:         28
        .size:           4
        .value_kind:     by_value
      - .actual_access:  read_only
        .address_space:  global
        .offset:         32
        .size:           8
        .value_kind:     global_buffer
      - .actual_access:  read_only
        .address_space:  global
        .offset:         40
        .size:           8
        .value_kind:     global_buffer
      - .actual_access:  read_only
        .address_space:  global
        .offset:         48
        .size:           8
        .value_kind:     global_buffer
      - .offset:         56
        .size:           4
        .value_kind:     by_value
      - .actual_access:  read_only
        .address_space:  global
        .offset:         64
        .size:           8
        .value_kind:     global_buffer
      - .offset:         72
        .size:           4
        .value_kind:     by_value
      - .offset:         76
        .size:           4
        .value_kind:     by_value
      - .offset:         80
        .size:           4
        .value_kind:     by_value
      - .actual_access:  read_only
        .address_space:  global
        .offset:         88
        .size:           8
        .value_kind:     global_buffer
      - .actual_access:  read_only
        .address_space:  global
        .offset:         96
        .size:           8
        .value_kind:     global_buffer
      - .actual_access:  read_only
        .address_space:  global
        .offset:         104
        .size:           8
        .value_kind:     global_buffer
      - .actual_access:  read_only
        .address_space:  global
        .offset:         112
        .size:           8
        .value_kind:     global_buffer
      - .offset:         120
        .size:           4
        .value_kind:     by_value
      - .address_space:  global
        .offset:         128
        .size:           8
        .value_kind:     global_buffer
      - .address_space:  global
        .offset:         136
        .size:           8
        .value_kind:     global_buffer
      - .offset:         144
        .size:           4
        .value_kind:     hidden_block_count_x
      - .offset:         148
        .size:           4
        .value_kind:     hidden_block_count_y
      - .offset:         152
        .size:           4
        .value_kind:     hidden_block_count_z
      - .offset:         156
        .size:           2
        .value_kind:     hidden_group_size_x
      - .offset:         158
        .size:           2
        .value_kind:     hidden_group_size_y
      - .offset:         160
        .size:           2
        .value_kind:     hidden_group_size_z
      - .offset:         162
        .size:           2
        .value_kind:     hidden_remainder_x
      - .offset:         164
        .size:           2
        .value_kind:     hidden_remainder_y
      - .offset:         166
        .size:           2
        .value_kind:     hidden_remainder_z
      - .offset:         184
        .size:           8
        .value_kind:     hidden_global_offset_x
      - .offset:         192
        .size:           8
        .value_kind:     hidden_global_offset_y
      - .offset:         200
        .size:           8
        .value_kind:     hidden_global_offset_z
      - .offset:         208
        .size:           2
        .value_kind:     hidden_grid_dims
      - .offset:         224
        .size:           8
        .value_kind:     hidden_hostcall_buffer
    .group_segment_fixed_size: 0
    .kernarg_segment_align: 8
    .kernarg_segment_size: 400
    .language:       OpenCL C
    .language_version:
      - 2
      - 0
    .max_flat_workgroup_size: 256
    .name:           _Z39paged_attention_ll4mi_QKV_mfma16_kernelIDF16_DF16_LN4vllm18Fp8KVCacheDataTypeE0EDF16_Li16ELi128ELi256ELb0ELi4EEvPKT_PKT0_S7_ifPKiS9_S9_iPKfiiiPfSC_PS2_PT2_iSB_SB_
    .private_segment_fixed_size: 64
    .sgpr_count:     36
    .sgpr_spill_count: 0
    .symbol:         _Z39paged_attention_ll4mi_QKV_mfma16_kernelIDF16_DF16_LN4vllm18Fp8KVCacheDataTypeE0EDF16_Li16ELi128ELi256ELb0ELi4EEvPKT_PKT0_S7_ifPKiS9_S9_iPKfiiiPfSC_PS2_PT2_iSB_SB_.kd
    .uniform_work_group_size: 1
    .uses_dynamic_stack: false
    .vgpr_count:     51
    .vgpr_spill_count: 0
    .wavefront_size: 32
  - .args:
      - .actual_access:  read_only
        .address_space:  global
        .offset:         0
        .size:           8
        .value_kind:     global_buffer
      - .actual_access:  read_only
        .address_space:  global
        .offset:         8
        .size:           8
        .value_kind:     global_buffer
      - .actual_access:  read_only
        .address_space:  global
        .offset:         16
        .size:           8
        .value_kind:     global_buffer
      - .offset:         24
        .size:           4
        .value_kind:     by_value
      - .offset:         28
        .size:           4
        .value_kind:     by_value
      - .actual_access:  read_only
        .address_space:  global
        .offset:         32
        .size:           8
        .value_kind:     global_buffer
      - .actual_access:  read_only
        .address_space:  global
        .offset:         40
        .size:           8
        .value_kind:     global_buffer
      - .actual_access:  read_only
        .address_space:  global
        .offset:         48
        .size:           8
        .value_kind:     global_buffer
      - .offset:         56
        .size:           4
        .value_kind:     by_value
      - .actual_access:  read_only
        .address_space:  global
        .offset:         64
        .size:           8
        .value_kind:     global_buffer
      - .offset:         72
        .size:           4
        .value_kind:     by_value
      - .offset:         76
        .size:           4
        .value_kind:     by_value
      - .offset:         80
        .size:           4
        .value_kind:     by_value
      - .actual_access:  read_only
        .address_space:  global
        .offset:         88
        .size:           8
        .value_kind:     global_buffer
      - .actual_access:  read_only
        .address_space:  global
        .offset:         96
        .size:           8
        .value_kind:     global_buffer
      - .actual_access:  read_only
        .address_space:  global
        .offset:         104
        .size:           8
        .value_kind:     global_buffer
      - .actual_access:  read_only
        .address_space:  global
        .offset:         112
        .size:           8
        .value_kind:     global_buffer
      - .offset:         120
        .size:           4
        .value_kind:     by_value
      - .address_space:  global
        .offset:         128
        .size:           8
        .value_kind:     global_buffer
      - .address_space:  global
        .offset:         136
        .size:           8
        .value_kind:     global_buffer
      - .offset:         144
        .size:           4
        .value_kind:     hidden_block_count_x
      - .offset:         148
        .size:           4
        .value_kind:     hidden_block_count_y
      - .offset:         152
        .size:           4
        .value_kind:     hidden_block_count_z
      - .offset:         156
        .size:           2
        .value_kind:     hidden_group_size_x
      - .offset:         158
        .size:           2
        .value_kind:     hidden_group_size_y
      - .offset:         160
        .size:           2
        .value_kind:     hidden_group_size_z
      - .offset:         162
        .size:           2
        .value_kind:     hidden_remainder_x
      - .offset:         164
        .size:           2
        .value_kind:     hidden_remainder_y
      - .offset:         166
        .size:           2
        .value_kind:     hidden_remainder_z
      - .offset:         184
        .size:           8
        .value_kind:     hidden_global_offset_x
      - .offset:         192
        .size:           8
        .value_kind:     hidden_global_offset_y
      - .offset:         200
        .size:           8
        .value_kind:     hidden_global_offset_z
      - .offset:         208
        .size:           2
        .value_kind:     hidden_grid_dims
      - .offset:         224
        .size:           8
        .value_kind:     hidden_hostcall_buffer
    .group_segment_fixed_size: 0
    .kernarg_segment_align: 8
    .kernarg_segment_size: 400
    .language:       OpenCL C
    .language_version:
      - 2
      - 0
    .max_flat_workgroup_size: 256
    .name:           _Z38paged_attention_ll4mi_QKV_mfma4_kernelIDF16_DF16_LN4vllm18Fp8KVCacheDataTypeE0EhLi32ELi128ELi256ELb1ELi1EEvPKT_PKT0_S7_ifPKiS9_S9_iPKfiiiPfSC_PS2_PT2_iSB_SB_
    .private_segment_fixed_size: 64
    .sgpr_count:     36
    .sgpr_spill_count: 0
    .symbol:         _Z38paged_attention_ll4mi_QKV_mfma4_kernelIDF16_DF16_LN4vllm18Fp8KVCacheDataTypeE0EhLi32ELi128ELi256ELb1ELi1EEvPKT_PKT0_S7_ifPKiS9_S9_iPKfiiiPfSC_PS2_PT2_iSB_SB_.kd
    .uniform_work_group_size: 1
    .uses_dynamic_stack: false
    .vgpr_count:     51
    .vgpr_spill_count: 0
    .wavefront_size: 32
  - .args:
      - .actual_access:  read_only
        .address_space:  global
        .offset:         0
        .size:           8
        .value_kind:     global_buffer
      - .actual_access:  read_only
        .address_space:  global
        .offset:         8
        .size:           8
        .value_kind:     global_buffer
      - .actual_access:  read_only
        .address_space:  global
        .offset:         16
        .size:           8
        .value_kind:     global_buffer
      - .offset:         24
        .size:           4
        .value_kind:     by_value
      - .offset:         28
        .size:           4
        .value_kind:     by_value
      - .actual_access:  read_only
        .address_space:  global
        .offset:         32
        .size:           8
        .value_kind:     global_buffer
      - .actual_access:  read_only
        .address_space:  global
        .offset:         40
        .size:           8
        .value_kind:     global_buffer
      - .actual_access:  read_only
        .address_space:  global
        .offset:         48
        .size:           8
        .value_kind:     global_buffer
      - .offset:         56
        .size:           4
        .value_kind:     by_value
      - .actual_access:  read_only
        .address_space:  global
        .offset:         64
        .size:           8
        .value_kind:     global_buffer
      - .offset:         72
        .size:           4
        .value_kind:     by_value
      - .offset:         76
        .size:           4
        .value_kind:     by_value
      - .offset:         80
        .size:           4
        .value_kind:     by_value
      - .actual_access:  read_only
        .address_space:  global
        .offset:         88
        .size:           8
        .value_kind:     global_buffer
      - .actual_access:  read_only
        .address_space:  global
        .offset:         96
        .size:           8
        .value_kind:     global_buffer
      - .actual_access:  read_only
        .address_space:  global
        .offset:         104
        .size:           8
        .value_kind:     global_buffer
      - .actual_access:  read_only
        .address_space:  global
        .offset:         112
        .size:           8
        .value_kind:     global_buffer
      - .offset:         120
        .size:           4
        .value_kind:     by_value
      - .address_space:  global
        .offset:         128
        .size:           8
        .value_kind:     global_buffer
      - .address_space:  global
        .offset:         136
        .size:           8
        .value_kind:     global_buffer
      - .offset:         144
        .size:           4
        .value_kind:     hidden_block_count_x
      - .offset:         148
        .size:           4
        .value_kind:     hidden_block_count_y
      - .offset:         152
        .size:           4
        .value_kind:     hidden_block_count_z
      - .offset:         156
        .size:           2
        .value_kind:     hidden_group_size_x
      - .offset:         158
        .size:           2
        .value_kind:     hidden_group_size_y
      - .offset:         160
        .size:           2
        .value_kind:     hidden_group_size_z
      - .offset:         162
        .size:           2
        .value_kind:     hidden_remainder_x
      - .offset:         164
        .size:           2
        .value_kind:     hidden_remainder_y
      - .offset:         166
        .size:           2
        .value_kind:     hidden_remainder_z
      - .offset:         184
        .size:           8
        .value_kind:     hidden_global_offset_x
      - .offset:         192
        .size:           8
        .value_kind:     hidden_global_offset_y
      - .offset:         200
        .size:           8
        .value_kind:     hidden_global_offset_z
      - .offset:         208
        .size:           2
        .value_kind:     hidden_grid_dims
      - .offset:         224
        .size:           8
        .value_kind:     hidden_hostcall_buffer
    .group_segment_fixed_size: 0
    .kernarg_segment_align: 8
    .kernarg_segment_size: 400
    .language:       OpenCL C
    .language_version:
      - 2
      - 0
    .max_flat_workgroup_size: 256
    .name:           _Z38paged_attention_ll4mi_QKV_mfma4_kernelIDF16_DF16_LN4vllm18Fp8KVCacheDataTypeE0EhLi32ELi128ELi256ELb1ELi2EEvPKT_PKT0_S7_ifPKiS9_S9_iPKfiiiPfSC_PS2_PT2_iSB_SB_
    .private_segment_fixed_size: 64
    .sgpr_count:     36
    .sgpr_spill_count: 0
    .symbol:         _Z38paged_attention_ll4mi_QKV_mfma4_kernelIDF16_DF16_LN4vllm18Fp8KVCacheDataTypeE0EhLi32ELi128ELi256ELb1ELi2EEvPKT_PKT0_S7_ifPKiS9_S9_iPKfiiiPfSC_PS2_PT2_iSB_SB_.kd
    .uniform_work_group_size: 1
    .uses_dynamic_stack: false
    .vgpr_count:     51
    .vgpr_spill_count: 0
    .wavefront_size: 32
  - .args:
      - .actual_access:  read_only
        .address_space:  global
        .offset:         0
        .size:           8
        .value_kind:     global_buffer
      - .actual_access:  read_only
        .address_space:  global
        .offset:         8
        .size:           8
        .value_kind:     global_buffer
      - .actual_access:  read_only
        .address_space:  global
        .offset:         16
        .size:           8
        .value_kind:     global_buffer
      - .offset:         24
        .size:           4
        .value_kind:     by_value
      - .offset:         28
        .size:           4
        .value_kind:     by_value
      - .actual_access:  read_only
        .address_space:  global
        .offset:         32
        .size:           8
        .value_kind:     global_buffer
      - .actual_access:  read_only
        .address_space:  global
        .offset:         40
        .size:           8
        .value_kind:     global_buffer
      - .actual_access:  read_only
        .address_space:  global
        .offset:         48
        .size:           8
        .value_kind:     global_buffer
      - .offset:         56
        .size:           4
        .value_kind:     by_value
      - .actual_access:  read_only
        .address_space:  global
        .offset:         64
        .size:           8
        .value_kind:     global_buffer
      - .offset:         72
        .size:           4
        .value_kind:     by_value
      - .offset:         76
        .size:           4
        .value_kind:     by_value
      - .offset:         80
        .size:           4
        .value_kind:     by_value
      - .actual_access:  read_only
        .address_space:  global
        .offset:         88
        .size:           8
        .value_kind:     global_buffer
      - .actual_access:  read_only
        .address_space:  global
        .offset:         96
        .size:           8
        .value_kind:     global_buffer
      - .actual_access:  read_only
        .address_space:  global
        .offset:         104
        .size:           8
        .value_kind:     global_buffer
      - .actual_access:  read_only
        .address_space:  global
        .offset:         112
        .size:           8
        .value_kind:     global_buffer
      - .offset:         120
        .size:           4
        .value_kind:     by_value
      - .address_space:  global
        .offset:         128
        .size:           8
        .value_kind:     global_buffer
      - .address_space:  global
        .offset:         136
        .size:           8
        .value_kind:     global_buffer
      - .offset:         144
        .size:           4
        .value_kind:     hidden_block_count_x
      - .offset:         148
        .size:           4
        .value_kind:     hidden_block_count_y
      - .offset:         152
        .size:           4
        .value_kind:     hidden_block_count_z
      - .offset:         156
        .size:           2
        .value_kind:     hidden_group_size_x
      - .offset:         158
        .size:           2
        .value_kind:     hidden_group_size_y
      - .offset:         160
        .size:           2
        .value_kind:     hidden_group_size_z
      - .offset:         162
        .size:           2
        .value_kind:     hidden_remainder_x
      - .offset:         164
        .size:           2
        .value_kind:     hidden_remainder_y
      - .offset:         166
        .size:           2
        .value_kind:     hidden_remainder_z
      - .offset:         184
        .size:           8
        .value_kind:     hidden_global_offset_x
      - .offset:         192
        .size:           8
        .value_kind:     hidden_global_offset_y
      - .offset:         200
        .size:           8
        .value_kind:     hidden_global_offset_z
      - .offset:         208
        .size:           2
        .value_kind:     hidden_grid_dims
      - .offset:         224
        .size:           8
        .value_kind:     hidden_hostcall_buffer
    .group_segment_fixed_size: 0
    .kernarg_segment_align: 8
    .kernarg_segment_size: 400
    .language:       OpenCL C
    .language_version:
      - 2
      - 0
    .max_flat_workgroup_size: 256
    .name:           _Z38paged_attention_ll4mi_QKV_mfma4_kernelIDF16_DF16_LN4vllm18Fp8KVCacheDataTypeE0EhLi32ELi128ELi256ELb1ELi3EEvPKT_PKT0_S7_ifPKiS9_S9_iPKfiiiPfSC_PS2_PT2_iSB_SB_
    .private_segment_fixed_size: 64
    .sgpr_count:     36
    .sgpr_spill_count: 0
    .symbol:         _Z38paged_attention_ll4mi_QKV_mfma4_kernelIDF16_DF16_LN4vllm18Fp8KVCacheDataTypeE0EhLi32ELi128ELi256ELb1ELi3EEvPKT_PKT0_S7_ifPKiS9_S9_iPKfiiiPfSC_PS2_PT2_iSB_SB_.kd
    .uniform_work_group_size: 1
    .uses_dynamic_stack: false
    .vgpr_count:     51
    .vgpr_spill_count: 0
    .wavefront_size: 32
  - .args:
      - .actual_access:  read_only
        .address_space:  global
        .offset:         0
        .size:           8
        .value_kind:     global_buffer
      - .actual_access:  read_only
        .address_space:  global
        .offset:         8
        .size:           8
        .value_kind:     global_buffer
      - .actual_access:  read_only
        .address_space:  global
        .offset:         16
        .size:           8
        .value_kind:     global_buffer
      - .offset:         24
        .size:           4
        .value_kind:     by_value
      - .offset:         28
        .size:           4
        .value_kind:     by_value
      - .actual_access:  read_only
        .address_space:  global
        .offset:         32
        .size:           8
        .value_kind:     global_buffer
      - .actual_access:  read_only
        .address_space:  global
        .offset:         40
        .size:           8
        .value_kind:     global_buffer
      - .actual_access:  read_only
        .address_space:  global
        .offset:         48
        .size:           8
        .value_kind:     global_buffer
      - .offset:         56
        .size:           4
        .value_kind:     by_value
      - .actual_access:  read_only
        .address_space:  global
        .offset:         64
        .size:           8
        .value_kind:     global_buffer
      - .offset:         72
        .size:           4
        .value_kind:     by_value
      - .offset:         76
        .size:           4
        .value_kind:     by_value
      - .offset:         80
        .size:           4
        .value_kind:     by_value
      - .actual_access:  read_only
        .address_space:  global
        .offset:         88
        .size:           8
        .value_kind:     global_buffer
      - .actual_access:  read_only
        .address_space:  global
        .offset:         96
        .size:           8
        .value_kind:     global_buffer
      - .actual_access:  read_only
        .address_space:  global
        .offset:         104
        .size:           8
        .value_kind:     global_buffer
      - .actual_access:  read_only
        .address_space:  global
        .offset:         112
        .size:           8
        .value_kind:     global_buffer
      - .offset:         120
        .size:           4
        .value_kind:     by_value
      - .address_space:  global
        .offset:         128
        .size:           8
        .value_kind:     global_buffer
      - .address_space:  global
        .offset:         136
        .size:           8
        .value_kind:     global_buffer
      - .offset:         144
        .size:           4
        .value_kind:     hidden_block_count_x
      - .offset:         148
        .size:           4
        .value_kind:     hidden_block_count_y
      - .offset:         152
        .size:           4
        .value_kind:     hidden_block_count_z
      - .offset:         156
        .size:           2
        .value_kind:     hidden_group_size_x
      - .offset:         158
        .size:           2
        .value_kind:     hidden_group_size_y
      - .offset:         160
        .size:           2
        .value_kind:     hidden_group_size_z
      - .offset:         162
        .size:           2
        .value_kind:     hidden_remainder_x
      - .offset:         164
        .size:           2
        .value_kind:     hidden_remainder_y
      - .offset:         166
        .size:           2
        .value_kind:     hidden_remainder_z
      - .offset:         184
        .size:           8
        .value_kind:     hidden_global_offset_x
      - .offset:         192
        .size:           8
        .value_kind:     hidden_global_offset_y
      - .offset:         200
        .size:           8
        .value_kind:     hidden_global_offset_z
      - .offset:         208
        .size:           2
        .value_kind:     hidden_grid_dims
      - .offset:         224
        .size:           8
        .value_kind:     hidden_hostcall_buffer
    .group_segment_fixed_size: 0
    .kernarg_segment_align: 8
    .kernarg_segment_size: 400
    .language:       OpenCL C
    .language_version:
      - 2
      - 0
    .max_flat_workgroup_size: 256
    .name:           _Z38paged_attention_ll4mi_QKV_mfma4_kernelIDF16_DF16_LN4vllm18Fp8KVCacheDataTypeE0EhLi32ELi128ELi256ELb1ELi4EEvPKT_PKT0_S7_ifPKiS9_S9_iPKfiiiPfSC_PS2_PT2_iSB_SB_
    .private_segment_fixed_size: 64
    .sgpr_count:     36
    .sgpr_spill_count: 0
    .symbol:         _Z38paged_attention_ll4mi_QKV_mfma4_kernelIDF16_DF16_LN4vllm18Fp8KVCacheDataTypeE0EhLi32ELi128ELi256ELb1ELi4EEvPKT_PKT0_S7_ifPKiS9_S9_iPKfiiiPfSC_PS2_PT2_iSB_SB_.kd
    .uniform_work_group_size: 1
    .uses_dynamic_stack: false
    .vgpr_count:     51
    .vgpr_spill_count: 0
    .wavefront_size: 32
  - .args:
      - .actual_access:  read_only
        .address_space:  global
        .offset:         0
        .size:           8
        .value_kind:     global_buffer
      - .actual_access:  read_only
        .address_space:  global
        .offset:         8
        .size:           8
        .value_kind:     global_buffer
      - .actual_access:  read_only
        .address_space:  global
        .offset:         16
        .size:           8
        .value_kind:     global_buffer
      - .offset:         24
        .size:           4
        .value_kind:     by_value
      - .offset:         28
        .size:           4
        .value_kind:     by_value
      - .actual_access:  read_only
        .address_space:  global
        .offset:         32
        .size:           8
        .value_kind:     global_buffer
      - .actual_access:  read_only
        .address_space:  global
        .offset:         40
        .size:           8
        .value_kind:     global_buffer
      - .actual_access:  read_only
        .address_space:  global
        .offset:         48
        .size:           8
        .value_kind:     global_buffer
      - .offset:         56
        .size:           4
        .value_kind:     by_value
      - .actual_access:  read_only
        .address_space:  global
        .offset:         64
        .size:           8
        .value_kind:     global_buffer
      - .offset:         72
        .size:           4
        .value_kind:     by_value
      - .offset:         76
        .size:           4
        .value_kind:     by_value
      - .offset:         80
        .size:           4
        .value_kind:     by_value
      - .actual_access:  read_only
        .address_space:  global
        .offset:         88
        .size:           8
        .value_kind:     global_buffer
      - .actual_access:  read_only
        .address_space:  global
        .offset:         96
        .size:           8
        .value_kind:     global_buffer
      - .actual_access:  read_only
        .address_space:  global
        .offset:         104
        .size:           8
        .value_kind:     global_buffer
      - .actual_access:  read_only
        .address_space:  global
        .offset:         112
        .size:           8
        .value_kind:     global_buffer
      - .offset:         120
        .size:           4
        .value_kind:     by_value
      - .address_space:  global
        .offset:         128
        .size:           8
        .value_kind:     global_buffer
      - .address_space:  global
        .offset:         136
        .size:           8
        .value_kind:     global_buffer
      - .offset:         144
        .size:           4
        .value_kind:     hidden_block_count_x
      - .offset:         148
        .size:           4
        .value_kind:     hidden_block_count_y
      - .offset:         152
        .size:           4
        .value_kind:     hidden_block_count_z
      - .offset:         156
        .size:           2
        .value_kind:     hidden_group_size_x
      - .offset:         158
        .size:           2
        .value_kind:     hidden_group_size_y
      - .offset:         160
        .size:           2
        .value_kind:     hidden_group_size_z
      - .offset:         162
        .size:           2
        .value_kind:     hidden_remainder_x
      - .offset:         164
        .size:           2
        .value_kind:     hidden_remainder_y
      - .offset:         166
        .size:           2
        .value_kind:     hidden_remainder_z
      - .offset:         184
        .size:           8
        .value_kind:     hidden_global_offset_x
      - .offset:         192
        .size:           8
        .value_kind:     hidden_global_offset_y
      - .offset:         200
        .size:           8
        .value_kind:     hidden_global_offset_z
      - .offset:         208
        .size:           2
        .value_kind:     hidden_grid_dims
      - .offset:         224
        .size:           8
        .value_kind:     hidden_hostcall_buffer
    .group_segment_fixed_size: 0
    .kernarg_segment_align: 8
    .kernarg_segment_size: 400
    .language:       OpenCL C
    .language_version:
      - 2
      - 0
    .max_flat_workgroup_size: 256
    .name:           _Z39paged_attention_ll4mi_QKV_mfma16_kernelIDF16_DF16_LN4vllm18Fp8KVCacheDataTypeE0EhLi32ELi128ELi256ELb1ELi5EEvPKT_PKT0_S7_ifPKiS9_S9_iPKfiiiPfSC_PS2_PT2_iSB_SB_
    .private_segment_fixed_size: 64
    .sgpr_count:     36
    .sgpr_spill_count: 0
    .symbol:         _Z39paged_attention_ll4mi_QKV_mfma16_kernelIDF16_DF16_LN4vllm18Fp8KVCacheDataTypeE0EhLi32ELi128ELi256ELb1ELi5EEvPKT_PKT0_S7_ifPKiS9_S9_iPKfiiiPfSC_PS2_PT2_iSB_SB_.kd
    .uniform_work_group_size: 1
    .uses_dynamic_stack: false
    .vgpr_count:     51
    .vgpr_spill_count: 0
    .wavefront_size: 32
  - .args:
      - .actual_access:  read_only
        .address_space:  global
        .offset:         0
        .size:           8
        .value_kind:     global_buffer
      - .actual_access:  read_only
        .address_space:  global
        .offset:         8
        .size:           8
        .value_kind:     global_buffer
      - .actual_access:  read_only
        .address_space:  global
        .offset:         16
        .size:           8
        .value_kind:     global_buffer
      - .offset:         24
        .size:           4
        .value_kind:     by_value
      - .offset:         28
        .size:           4
        .value_kind:     by_value
      - .actual_access:  read_only
        .address_space:  global
        .offset:         32
        .size:           8
        .value_kind:     global_buffer
      - .actual_access:  read_only
        .address_space:  global
        .offset:         40
        .size:           8
        .value_kind:     global_buffer
      - .actual_access:  read_only
        .address_space:  global
        .offset:         48
        .size:           8
        .value_kind:     global_buffer
      - .offset:         56
        .size:           4
        .value_kind:     by_value
      - .actual_access:  read_only
        .address_space:  global
        .offset:         64
        .size:           8
        .value_kind:     global_buffer
      - .offset:         72
        .size:           4
        .value_kind:     by_value
      - .offset:         76
        .size:           4
        .value_kind:     by_value
      - .offset:         80
        .size:           4
        .value_kind:     by_value
      - .actual_access:  read_only
        .address_space:  global
        .offset:         88
        .size:           8
        .value_kind:     global_buffer
      - .actual_access:  read_only
        .address_space:  global
        .offset:         96
        .size:           8
        .value_kind:     global_buffer
      - .actual_access:  read_only
        .address_space:  global
        .offset:         104
        .size:           8
        .value_kind:     global_buffer
      - .actual_access:  read_only
        .address_space:  global
        .offset:         112
        .size:           8
        .value_kind:     global_buffer
      - .offset:         120
        .size:           4
        .value_kind:     by_value
      - .address_space:  global
        .offset:         128
        .size:           8
        .value_kind:     global_buffer
      - .address_space:  global
        .offset:         136
        .size:           8
        .value_kind:     global_buffer
      - .offset:         144
        .size:           4
        .value_kind:     hidden_block_count_x
      - .offset:         148
        .size:           4
        .value_kind:     hidden_block_count_y
      - .offset:         152
        .size:           4
        .value_kind:     hidden_block_count_z
      - .offset:         156
        .size:           2
        .value_kind:     hidden_group_size_x
      - .offset:         158
        .size:           2
        .value_kind:     hidden_group_size_y
      - .offset:         160
        .size:           2
        .value_kind:     hidden_group_size_z
      - .offset:         162
        .size:           2
        .value_kind:     hidden_remainder_x
      - .offset:         164
        .size:           2
        .value_kind:     hidden_remainder_y
      - .offset:         166
        .size:           2
        .value_kind:     hidden_remainder_z
      - .offset:         184
        .size:           8
        .value_kind:     hidden_global_offset_x
      - .offset:         192
        .size:           8
        .value_kind:     hidden_global_offset_y
      - .offset:         200
        .size:           8
        .value_kind:     hidden_global_offset_z
      - .offset:         208
        .size:           2
        .value_kind:     hidden_grid_dims
      - .offset:         224
        .size:           8
        .value_kind:     hidden_hostcall_buffer
    .group_segment_fixed_size: 0
    .kernarg_segment_align: 8
    .kernarg_segment_size: 400
    .language:       OpenCL C
    .language_version:
      - 2
      - 0
    .max_flat_workgroup_size: 256
    .name:           _Z39paged_attention_ll4mi_QKV_mfma16_kernelIDF16_DF16_LN4vllm18Fp8KVCacheDataTypeE0EhLi32ELi128ELi256ELb1ELi6EEvPKT_PKT0_S7_ifPKiS9_S9_iPKfiiiPfSC_PS2_PT2_iSB_SB_
    .private_segment_fixed_size: 64
    .sgpr_count:     36
    .sgpr_spill_count: 0
    .symbol:         _Z39paged_attention_ll4mi_QKV_mfma16_kernelIDF16_DF16_LN4vllm18Fp8KVCacheDataTypeE0EhLi32ELi128ELi256ELb1ELi6EEvPKT_PKT0_S7_ifPKiS9_S9_iPKfiiiPfSC_PS2_PT2_iSB_SB_.kd
    .uniform_work_group_size: 1
    .uses_dynamic_stack: false
    .vgpr_count:     51
    .vgpr_spill_count: 0
    .wavefront_size: 32
  - .args:
      - .actual_access:  read_only
        .address_space:  global
        .offset:         0
        .size:           8
        .value_kind:     global_buffer
      - .actual_access:  read_only
        .address_space:  global
        .offset:         8
        .size:           8
        .value_kind:     global_buffer
      - .actual_access:  read_only
        .address_space:  global
        .offset:         16
        .size:           8
        .value_kind:     global_buffer
      - .offset:         24
        .size:           4
        .value_kind:     by_value
      - .offset:         28
        .size:           4
        .value_kind:     by_value
      - .actual_access:  read_only
        .address_space:  global
        .offset:         32
        .size:           8
        .value_kind:     global_buffer
      - .actual_access:  read_only
        .address_space:  global
        .offset:         40
        .size:           8
        .value_kind:     global_buffer
      - .actual_access:  read_only
        .address_space:  global
        .offset:         48
        .size:           8
        .value_kind:     global_buffer
      - .offset:         56
        .size:           4
        .value_kind:     by_value
      - .actual_access:  read_only
        .address_space:  global
        .offset:         64
        .size:           8
        .value_kind:     global_buffer
      - .offset:         72
        .size:           4
        .value_kind:     by_value
      - .offset:         76
        .size:           4
        .value_kind:     by_value
      - .offset:         80
        .size:           4
        .value_kind:     by_value
      - .actual_access:  read_only
        .address_space:  global
        .offset:         88
        .size:           8
        .value_kind:     global_buffer
      - .actual_access:  read_only
        .address_space:  global
        .offset:         96
        .size:           8
        .value_kind:     global_buffer
      - .actual_access:  read_only
        .address_space:  global
        .offset:         104
        .size:           8
        .value_kind:     global_buffer
      - .actual_access:  read_only
        .address_space:  global
        .offset:         112
        .size:           8
        .value_kind:     global_buffer
      - .offset:         120
        .size:           4
        .value_kind:     by_value
      - .address_space:  global
        .offset:         128
        .size:           8
        .value_kind:     global_buffer
      - .address_space:  global
        .offset:         136
        .size:           8
        .value_kind:     global_buffer
      - .offset:         144
        .size:           4
        .value_kind:     hidden_block_count_x
      - .offset:         148
        .size:           4
        .value_kind:     hidden_block_count_y
      - .offset:         152
        .size:           4
        .value_kind:     hidden_block_count_z
      - .offset:         156
        .size:           2
        .value_kind:     hidden_group_size_x
      - .offset:         158
        .size:           2
        .value_kind:     hidden_group_size_y
      - .offset:         160
        .size:           2
        .value_kind:     hidden_group_size_z
      - .offset:         162
        .size:           2
        .value_kind:     hidden_remainder_x
      - .offset:         164
        .size:           2
        .value_kind:     hidden_remainder_y
      - .offset:         166
        .size:           2
        .value_kind:     hidden_remainder_z
      - .offset:         184
        .size:           8
        .value_kind:     hidden_global_offset_x
      - .offset:         192
        .size:           8
        .value_kind:     hidden_global_offset_y
      - .offset:         200
        .size:           8
        .value_kind:     hidden_global_offset_z
      - .offset:         208
        .size:           2
        .value_kind:     hidden_grid_dims
      - .offset:         224
        .size:           8
        .value_kind:     hidden_hostcall_buffer
    .group_segment_fixed_size: 0
    .kernarg_segment_align: 8
    .kernarg_segment_size: 400
    .language:       OpenCL C
    .language_version:
      - 2
      - 0
    .max_flat_workgroup_size: 256
    .name:           _Z39paged_attention_ll4mi_QKV_mfma16_kernelIDF16_DF16_LN4vllm18Fp8KVCacheDataTypeE0EhLi32ELi128ELi256ELb1ELi7EEvPKT_PKT0_S7_ifPKiS9_S9_iPKfiiiPfSC_PS2_PT2_iSB_SB_
    .private_segment_fixed_size: 64
    .sgpr_count:     36
    .sgpr_spill_count: 0
    .symbol:         _Z39paged_attention_ll4mi_QKV_mfma16_kernelIDF16_DF16_LN4vllm18Fp8KVCacheDataTypeE0EhLi32ELi128ELi256ELb1ELi7EEvPKT_PKT0_S7_ifPKiS9_S9_iPKfiiiPfSC_PS2_PT2_iSB_SB_.kd
    .uniform_work_group_size: 1
    .uses_dynamic_stack: false
    .vgpr_count:     51
    .vgpr_spill_count: 0
    .wavefront_size: 32
  - .args:
      - .actual_access:  read_only
        .address_space:  global
        .offset:         0
        .size:           8
        .value_kind:     global_buffer
      - .actual_access:  read_only
        .address_space:  global
        .offset:         8
        .size:           8
        .value_kind:     global_buffer
      - .actual_access:  read_only
        .address_space:  global
        .offset:         16
        .size:           8
        .value_kind:     global_buffer
      - .offset:         24
        .size:           4
        .value_kind:     by_value
      - .offset:         28
        .size:           4
        .value_kind:     by_value
      - .actual_access:  read_only
        .address_space:  global
        .offset:         32
        .size:           8
        .value_kind:     global_buffer
      - .actual_access:  read_only
        .address_space:  global
        .offset:         40
        .size:           8
        .value_kind:     global_buffer
      - .actual_access:  read_only
        .address_space:  global
        .offset:         48
        .size:           8
        .value_kind:     global_buffer
      - .offset:         56
        .size:           4
        .value_kind:     by_value
      - .actual_access:  read_only
        .address_space:  global
        .offset:         64
        .size:           8
        .value_kind:     global_buffer
      - .offset:         72
        .size:           4
        .value_kind:     by_value
      - .offset:         76
        .size:           4
        .value_kind:     by_value
      - .offset:         80
        .size:           4
        .value_kind:     by_value
      - .actual_access:  read_only
        .address_space:  global
        .offset:         88
        .size:           8
        .value_kind:     global_buffer
      - .actual_access:  read_only
        .address_space:  global
        .offset:         96
        .size:           8
        .value_kind:     global_buffer
      - .actual_access:  read_only
        .address_space:  global
        .offset:         104
        .size:           8
        .value_kind:     global_buffer
      - .actual_access:  read_only
        .address_space:  global
        .offset:         112
        .size:           8
        .value_kind:     global_buffer
      - .offset:         120
        .size:           4
        .value_kind:     by_value
      - .address_space:  global
        .offset:         128
        .size:           8
        .value_kind:     global_buffer
      - .address_space:  global
        .offset:         136
        .size:           8
        .value_kind:     global_buffer
      - .offset:         144
        .size:           4
        .value_kind:     hidden_block_count_x
      - .offset:         148
        .size:           4
        .value_kind:     hidden_block_count_y
      - .offset:         152
        .size:           4
        .value_kind:     hidden_block_count_z
      - .offset:         156
        .size:           2
        .value_kind:     hidden_group_size_x
      - .offset:         158
        .size:           2
        .value_kind:     hidden_group_size_y
      - .offset:         160
        .size:           2
        .value_kind:     hidden_group_size_z
      - .offset:         162
        .size:           2
        .value_kind:     hidden_remainder_x
      - .offset:         164
        .size:           2
        .value_kind:     hidden_remainder_y
      - .offset:         166
        .size:           2
        .value_kind:     hidden_remainder_z
      - .offset:         184
        .size:           8
        .value_kind:     hidden_global_offset_x
      - .offset:         192
        .size:           8
        .value_kind:     hidden_global_offset_y
      - .offset:         200
        .size:           8
        .value_kind:     hidden_global_offset_z
      - .offset:         208
        .size:           2
        .value_kind:     hidden_grid_dims
      - .offset:         224
        .size:           8
        .value_kind:     hidden_hostcall_buffer
    .group_segment_fixed_size: 0
    .kernarg_segment_align: 8
    .kernarg_segment_size: 400
    .language:       OpenCL C
    .language_version:
      - 2
      - 0
    .max_flat_workgroup_size: 256
    .name:           _Z39paged_attention_ll4mi_QKV_mfma16_kernelIDF16_DF16_LN4vllm18Fp8KVCacheDataTypeE0EhLi32ELi128ELi256ELb1ELi8EEvPKT_PKT0_S7_ifPKiS9_S9_iPKfiiiPfSC_PS2_PT2_iSB_SB_
    .private_segment_fixed_size: 64
    .sgpr_count:     36
    .sgpr_spill_count: 0
    .symbol:         _Z39paged_attention_ll4mi_QKV_mfma16_kernelIDF16_DF16_LN4vllm18Fp8KVCacheDataTypeE0EhLi32ELi128ELi256ELb1ELi8EEvPKT_PKT0_S7_ifPKiS9_S9_iPKfiiiPfSC_PS2_PT2_iSB_SB_.kd
    .uniform_work_group_size: 1
    .uses_dynamic_stack: false
    .vgpr_count:     51
    .vgpr_spill_count: 0
    .wavefront_size: 32
  - .args:
      - .actual_access:  read_only
        .address_space:  global
        .offset:         0
        .size:           8
        .value_kind:     global_buffer
      - .actual_access:  read_only
        .address_space:  global
        .offset:         8
        .size:           8
        .value_kind:     global_buffer
      - .actual_access:  read_only
        .address_space:  global
        .offset:         16
        .size:           8
        .value_kind:     global_buffer
      - .offset:         24
        .size:           4
        .value_kind:     by_value
      - .offset:         28
        .size:           4
        .value_kind:     by_value
      - .actual_access:  read_only
        .address_space:  global
        .offset:         32
        .size:           8
        .value_kind:     global_buffer
      - .actual_access:  read_only
        .address_space:  global
        .offset:         40
        .size:           8
        .value_kind:     global_buffer
      - .actual_access:  read_only
        .address_space:  global
        .offset:         48
        .size:           8
        .value_kind:     global_buffer
      - .offset:         56
        .size:           4
        .value_kind:     by_value
      - .actual_access:  read_only
        .address_space:  global
        .offset:         64
        .size:           8
        .value_kind:     global_buffer
      - .offset:         72
        .size:           4
        .value_kind:     by_value
      - .offset:         76
        .size:           4
        .value_kind:     by_value
      - .offset:         80
        .size:           4
        .value_kind:     by_value
      - .actual_access:  read_only
        .address_space:  global
        .offset:         88
        .size:           8
        .value_kind:     global_buffer
      - .actual_access:  read_only
        .address_space:  global
        .offset:         96
        .size:           8
        .value_kind:     global_buffer
      - .actual_access:  read_only
        .address_space:  global
        .offset:         104
        .size:           8
        .value_kind:     global_buffer
      - .actual_access:  read_only
        .address_space:  global
        .offset:         112
        .size:           8
        .value_kind:     global_buffer
      - .offset:         120
        .size:           4
        .value_kind:     by_value
      - .address_space:  global
        .offset:         128
        .size:           8
        .value_kind:     global_buffer
      - .address_space:  global
        .offset:         136
        .size:           8
        .value_kind:     global_buffer
      - .offset:         144
        .size:           4
        .value_kind:     hidden_block_count_x
      - .offset:         148
        .size:           4
        .value_kind:     hidden_block_count_y
      - .offset:         152
        .size:           4
        .value_kind:     hidden_block_count_z
      - .offset:         156
        .size:           2
        .value_kind:     hidden_group_size_x
      - .offset:         158
        .size:           2
        .value_kind:     hidden_group_size_y
      - .offset:         160
        .size:           2
        .value_kind:     hidden_group_size_z
      - .offset:         162
        .size:           2
        .value_kind:     hidden_remainder_x
      - .offset:         164
        .size:           2
        .value_kind:     hidden_remainder_y
      - .offset:         166
        .size:           2
        .value_kind:     hidden_remainder_z
      - .offset:         184
        .size:           8
        .value_kind:     hidden_global_offset_x
      - .offset:         192
        .size:           8
        .value_kind:     hidden_global_offset_y
      - .offset:         200
        .size:           8
        .value_kind:     hidden_global_offset_z
      - .offset:         208
        .size:           2
        .value_kind:     hidden_grid_dims
      - .offset:         224
        .size:           8
        .value_kind:     hidden_hostcall_buffer
    .group_segment_fixed_size: 0
    .kernarg_segment_align: 8
    .kernarg_segment_size: 400
    .language:       OpenCL C
    .language_version:
      - 2
      - 0
    .max_flat_workgroup_size: 256
    .name:           _Z39paged_attention_ll4mi_QKV_mfma16_kernelIDF16_DF16_LN4vllm18Fp8KVCacheDataTypeE0EhLi32ELi128ELi256ELb1ELi9EEvPKT_PKT0_S7_ifPKiS9_S9_iPKfiiiPfSC_PS2_PT2_iSB_SB_
    .private_segment_fixed_size: 64
    .sgpr_count:     36
    .sgpr_spill_count: 0
    .symbol:         _Z39paged_attention_ll4mi_QKV_mfma16_kernelIDF16_DF16_LN4vllm18Fp8KVCacheDataTypeE0EhLi32ELi128ELi256ELb1ELi9EEvPKT_PKT0_S7_ifPKiS9_S9_iPKfiiiPfSC_PS2_PT2_iSB_SB_.kd
    .uniform_work_group_size: 1
    .uses_dynamic_stack: false
    .vgpr_count:     51
    .vgpr_spill_count: 0
    .wavefront_size: 32
  - .args:
      - .actual_access:  read_only
        .address_space:  global
        .offset:         0
        .size:           8
        .value_kind:     global_buffer
      - .actual_access:  read_only
        .address_space:  global
        .offset:         8
        .size:           8
        .value_kind:     global_buffer
      - .actual_access:  read_only
        .address_space:  global
        .offset:         16
        .size:           8
        .value_kind:     global_buffer
      - .offset:         24
        .size:           4
        .value_kind:     by_value
      - .offset:         28
        .size:           4
        .value_kind:     by_value
      - .actual_access:  read_only
        .address_space:  global
        .offset:         32
        .size:           8
        .value_kind:     global_buffer
      - .actual_access:  read_only
        .address_space:  global
        .offset:         40
        .size:           8
        .value_kind:     global_buffer
      - .actual_access:  read_only
        .address_space:  global
        .offset:         48
        .size:           8
        .value_kind:     global_buffer
      - .offset:         56
        .size:           4
        .value_kind:     by_value
      - .actual_access:  read_only
        .address_space:  global
        .offset:         64
        .size:           8
        .value_kind:     global_buffer
      - .offset:         72
        .size:           4
        .value_kind:     by_value
      - .offset:         76
        .size:           4
        .value_kind:     by_value
      - .offset:         80
        .size:           4
        .value_kind:     by_value
      - .actual_access:  read_only
        .address_space:  global
        .offset:         88
        .size:           8
        .value_kind:     global_buffer
      - .actual_access:  read_only
        .address_space:  global
        .offset:         96
        .size:           8
        .value_kind:     global_buffer
      - .actual_access:  read_only
        .address_space:  global
        .offset:         104
        .size:           8
        .value_kind:     global_buffer
      - .actual_access:  read_only
        .address_space:  global
        .offset:         112
        .size:           8
        .value_kind:     global_buffer
      - .offset:         120
        .size:           4
        .value_kind:     by_value
      - .address_space:  global
        .offset:         128
        .size:           8
        .value_kind:     global_buffer
      - .address_space:  global
        .offset:         136
        .size:           8
        .value_kind:     global_buffer
      - .offset:         144
        .size:           4
        .value_kind:     hidden_block_count_x
      - .offset:         148
        .size:           4
        .value_kind:     hidden_block_count_y
      - .offset:         152
        .size:           4
        .value_kind:     hidden_block_count_z
      - .offset:         156
        .size:           2
        .value_kind:     hidden_group_size_x
      - .offset:         158
        .size:           2
        .value_kind:     hidden_group_size_y
      - .offset:         160
        .size:           2
        .value_kind:     hidden_group_size_z
      - .offset:         162
        .size:           2
        .value_kind:     hidden_remainder_x
      - .offset:         164
        .size:           2
        .value_kind:     hidden_remainder_y
      - .offset:         166
        .size:           2
        .value_kind:     hidden_remainder_z
      - .offset:         184
        .size:           8
        .value_kind:     hidden_global_offset_x
      - .offset:         192
        .size:           8
        .value_kind:     hidden_global_offset_y
      - .offset:         200
        .size:           8
        .value_kind:     hidden_global_offset_z
      - .offset:         208
        .size:           2
        .value_kind:     hidden_grid_dims
      - .offset:         224
        .size:           8
        .value_kind:     hidden_hostcall_buffer
    .group_segment_fixed_size: 0
    .kernarg_segment_align: 8
    .kernarg_segment_size: 400
    .language:       OpenCL C
    .language_version:
      - 2
      - 0
    .max_flat_workgroup_size: 256
    .name:           _Z39paged_attention_ll4mi_QKV_mfma16_kernelIDF16_DF16_LN4vllm18Fp8KVCacheDataTypeE0EhLi32ELi128ELi256ELb1ELi10EEvPKT_PKT0_S7_ifPKiS9_S9_iPKfiiiPfSC_PS2_PT2_iSB_SB_
    .private_segment_fixed_size: 64
    .sgpr_count:     36
    .sgpr_spill_count: 0
    .symbol:         _Z39paged_attention_ll4mi_QKV_mfma16_kernelIDF16_DF16_LN4vllm18Fp8KVCacheDataTypeE0EhLi32ELi128ELi256ELb1ELi10EEvPKT_PKT0_S7_ifPKiS9_S9_iPKfiiiPfSC_PS2_PT2_iSB_SB_.kd
    .uniform_work_group_size: 1
    .uses_dynamic_stack: false
    .vgpr_count:     51
    .vgpr_spill_count: 0
    .wavefront_size: 32
  - .args:
      - .actual_access:  read_only
        .address_space:  global
        .offset:         0
        .size:           8
        .value_kind:     global_buffer
      - .actual_access:  read_only
        .address_space:  global
        .offset:         8
        .size:           8
        .value_kind:     global_buffer
      - .actual_access:  read_only
        .address_space:  global
        .offset:         16
        .size:           8
        .value_kind:     global_buffer
      - .offset:         24
        .size:           4
        .value_kind:     by_value
      - .offset:         28
        .size:           4
        .value_kind:     by_value
      - .actual_access:  read_only
        .address_space:  global
        .offset:         32
        .size:           8
        .value_kind:     global_buffer
      - .actual_access:  read_only
        .address_space:  global
        .offset:         40
        .size:           8
        .value_kind:     global_buffer
      - .actual_access:  read_only
        .address_space:  global
        .offset:         48
        .size:           8
        .value_kind:     global_buffer
      - .offset:         56
        .size:           4
        .value_kind:     by_value
      - .actual_access:  read_only
        .address_space:  global
        .offset:         64
        .size:           8
        .value_kind:     global_buffer
      - .offset:         72
        .size:           4
        .value_kind:     by_value
      - .offset:         76
        .size:           4
        .value_kind:     by_value
      - .offset:         80
        .size:           4
        .value_kind:     by_value
      - .actual_access:  read_only
        .address_space:  global
        .offset:         88
        .size:           8
        .value_kind:     global_buffer
      - .actual_access:  read_only
        .address_space:  global
        .offset:         96
        .size:           8
        .value_kind:     global_buffer
      - .actual_access:  read_only
        .address_space:  global
        .offset:         104
        .size:           8
        .value_kind:     global_buffer
      - .actual_access:  read_only
        .address_space:  global
        .offset:         112
        .size:           8
        .value_kind:     global_buffer
      - .offset:         120
        .size:           4
        .value_kind:     by_value
      - .address_space:  global
        .offset:         128
        .size:           8
        .value_kind:     global_buffer
      - .address_space:  global
        .offset:         136
        .size:           8
        .value_kind:     global_buffer
      - .offset:         144
        .size:           4
        .value_kind:     hidden_block_count_x
      - .offset:         148
        .size:           4
        .value_kind:     hidden_block_count_y
      - .offset:         152
        .size:           4
        .value_kind:     hidden_block_count_z
      - .offset:         156
        .size:           2
        .value_kind:     hidden_group_size_x
      - .offset:         158
        .size:           2
        .value_kind:     hidden_group_size_y
      - .offset:         160
        .size:           2
        .value_kind:     hidden_group_size_z
      - .offset:         162
        .size:           2
        .value_kind:     hidden_remainder_x
      - .offset:         164
        .size:           2
        .value_kind:     hidden_remainder_y
      - .offset:         166
        .size:           2
        .value_kind:     hidden_remainder_z
      - .offset:         184
        .size:           8
        .value_kind:     hidden_global_offset_x
      - .offset:         192
        .size:           8
        .value_kind:     hidden_global_offset_y
      - .offset:         200
        .size:           8
        .value_kind:     hidden_global_offset_z
      - .offset:         208
        .size:           2
        .value_kind:     hidden_grid_dims
      - .offset:         224
        .size:           8
        .value_kind:     hidden_hostcall_buffer
    .group_segment_fixed_size: 0
    .kernarg_segment_align: 8
    .kernarg_segment_size: 400
    .language:       OpenCL C
    .language_version:
      - 2
      - 0
    .max_flat_workgroup_size: 256
    .name:           _Z39paged_attention_ll4mi_QKV_mfma16_kernelIDF16_DF16_LN4vllm18Fp8KVCacheDataTypeE0EhLi32ELi128ELi256ELb1ELi11EEvPKT_PKT0_S7_ifPKiS9_S9_iPKfiiiPfSC_PS2_PT2_iSB_SB_
    .private_segment_fixed_size: 64
    .sgpr_count:     36
    .sgpr_spill_count: 0
    .symbol:         _Z39paged_attention_ll4mi_QKV_mfma16_kernelIDF16_DF16_LN4vllm18Fp8KVCacheDataTypeE0EhLi32ELi128ELi256ELb1ELi11EEvPKT_PKT0_S7_ifPKiS9_S9_iPKfiiiPfSC_PS2_PT2_iSB_SB_.kd
    .uniform_work_group_size: 1
    .uses_dynamic_stack: false
    .vgpr_count:     51
    .vgpr_spill_count: 0
    .wavefront_size: 32
  - .args:
      - .actual_access:  read_only
        .address_space:  global
        .offset:         0
        .size:           8
        .value_kind:     global_buffer
      - .actual_access:  read_only
        .address_space:  global
        .offset:         8
        .size:           8
        .value_kind:     global_buffer
      - .actual_access:  read_only
        .address_space:  global
        .offset:         16
        .size:           8
        .value_kind:     global_buffer
      - .offset:         24
        .size:           4
        .value_kind:     by_value
      - .offset:         28
        .size:           4
        .value_kind:     by_value
      - .actual_access:  read_only
        .address_space:  global
        .offset:         32
        .size:           8
        .value_kind:     global_buffer
      - .actual_access:  read_only
        .address_space:  global
        .offset:         40
        .size:           8
        .value_kind:     global_buffer
      - .actual_access:  read_only
        .address_space:  global
        .offset:         48
        .size:           8
        .value_kind:     global_buffer
      - .offset:         56
        .size:           4
        .value_kind:     by_value
      - .actual_access:  read_only
        .address_space:  global
        .offset:         64
        .size:           8
        .value_kind:     global_buffer
      - .offset:         72
        .size:           4
        .value_kind:     by_value
      - .offset:         76
        .size:           4
        .value_kind:     by_value
      - .offset:         80
        .size:           4
        .value_kind:     by_value
      - .actual_access:  read_only
        .address_space:  global
        .offset:         88
        .size:           8
        .value_kind:     global_buffer
      - .actual_access:  read_only
        .address_space:  global
        .offset:         96
        .size:           8
        .value_kind:     global_buffer
      - .actual_access:  read_only
        .address_space:  global
        .offset:         104
        .size:           8
        .value_kind:     global_buffer
      - .actual_access:  read_only
        .address_space:  global
        .offset:         112
        .size:           8
        .value_kind:     global_buffer
      - .offset:         120
        .size:           4
        .value_kind:     by_value
      - .address_space:  global
        .offset:         128
        .size:           8
        .value_kind:     global_buffer
      - .address_space:  global
        .offset:         136
        .size:           8
        .value_kind:     global_buffer
      - .offset:         144
        .size:           4
        .value_kind:     hidden_block_count_x
      - .offset:         148
        .size:           4
        .value_kind:     hidden_block_count_y
      - .offset:         152
        .size:           4
        .value_kind:     hidden_block_count_z
      - .offset:         156
        .size:           2
        .value_kind:     hidden_group_size_x
      - .offset:         158
        .size:           2
        .value_kind:     hidden_group_size_y
      - .offset:         160
        .size:           2
        .value_kind:     hidden_group_size_z
      - .offset:         162
        .size:           2
        .value_kind:     hidden_remainder_x
      - .offset:         164
        .size:           2
        .value_kind:     hidden_remainder_y
      - .offset:         166
        .size:           2
        .value_kind:     hidden_remainder_z
      - .offset:         184
        .size:           8
        .value_kind:     hidden_global_offset_x
      - .offset:         192
        .size:           8
        .value_kind:     hidden_global_offset_y
      - .offset:         200
        .size:           8
        .value_kind:     hidden_global_offset_z
      - .offset:         208
        .size:           2
        .value_kind:     hidden_grid_dims
      - .offset:         224
        .size:           8
        .value_kind:     hidden_hostcall_buffer
    .group_segment_fixed_size: 0
    .kernarg_segment_align: 8
    .kernarg_segment_size: 400
    .language:       OpenCL C
    .language_version:
      - 2
      - 0
    .max_flat_workgroup_size: 256
    .name:           _Z39paged_attention_ll4mi_QKV_mfma16_kernelIDF16_DF16_LN4vllm18Fp8KVCacheDataTypeE0EhLi32ELi128ELi256ELb1ELi12EEvPKT_PKT0_S7_ifPKiS9_S9_iPKfiiiPfSC_PS2_PT2_iSB_SB_
    .private_segment_fixed_size: 64
    .sgpr_count:     36
    .sgpr_spill_count: 0
    .symbol:         _Z39paged_attention_ll4mi_QKV_mfma16_kernelIDF16_DF16_LN4vllm18Fp8KVCacheDataTypeE0EhLi32ELi128ELi256ELb1ELi12EEvPKT_PKT0_S7_ifPKiS9_S9_iPKfiiiPfSC_PS2_PT2_iSB_SB_.kd
    .uniform_work_group_size: 1
    .uses_dynamic_stack: false
    .vgpr_count:     51
    .vgpr_spill_count: 0
    .wavefront_size: 32
  - .args:
      - .actual_access:  read_only
        .address_space:  global
        .offset:         0
        .size:           8
        .value_kind:     global_buffer
      - .actual_access:  read_only
        .address_space:  global
        .offset:         8
        .size:           8
        .value_kind:     global_buffer
      - .actual_access:  read_only
        .address_space:  global
        .offset:         16
        .size:           8
        .value_kind:     global_buffer
      - .offset:         24
        .size:           4
        .value_kind:     by_value
      - .offset:         28
        .size:           4
        .value_kind:     by_value
      - .actual_access:  read_only
        .address_space:  global
        .offset:         32
        .size:           8
        .value_kind:     global_buffer
      - .actual_access:  read_only
        .address_space:  global
        .offset:         40
        .size:           8
        .value_kind:     global_buffer
      - .actual_access:  read_only
        .address_space:  global
        .offset:         48
        .size:           8
        .value_kind:     global_buffer
      - .offset:         56
        .size:           4
        .value_kind:     by_value
      - .actual_access:  read_only
        .address_space:  global
        .offset:         64
        .size:           8
        .value_kind:     global_buffer
      - .offset:         72
        .size:           4
        .value_kind:     by_value
      - .offset:         76
        .size:           4
        .value_kind:     by_value
      - .offset:         80
        .size:           4
        .value_kind:     by_value
      - .actual_access:  read_only
        .address_space:  global
        .offset:         88
        .size:           8
        .value_kind:     global_buffer
      - .actual_access:  read_only
        .address_space:  global
        .offset:         96
        .size:           8
        .value_kind:     global_buffer
      - .actual_access:  read_only
        .address_space:  global
        .offset:         104
        .size:           8
        .value_kind:     global_buffer
      - .actual_access:  read_only
        .address_space:  global
        .offset:         112
        .size:           8
        .value_kind:     global_buffer
      - .offset:         120
        .size:           4
        .value_kind:     by_value
      - .address_space:  global
        .offset:         128
        .size:           8
        .value_kind:     global_buffer
      - .address_space:  global
        .offset:         136
        .size:           8
        .value_kind:     global_buffer
      - .offset:         144
        .size:           4
        .value_kind:     hidden_block_count_x
      - .offset:         148
        .size:           4
        .value_kind:     hidden_block_count_y
      - .offset:         152
        .size:           4
        .value_kind:     hidden_block_count_z
      - .offset:         156
        .size:           2
        .value_kind:     hidden_group_size_x
      - .offset:         158
        .size:           2
        .value_kind:     hidden_group_size_y
      - .offset:         160
        .size:           2
        .value_kind:     hidden_group_size_z
      - .offset:         162
        .size:           2
        .value_kind:     hidden_remainder_x
      - .offset:         164
        .size:           2
        .value_kind:     hidden_remainder_y
      - .offset:         166
        .size:           2
        .value_kind:     hidden_remainder_z
      - .offset:         184
        .size:           8
        .value_kind:     hidden_global_offset_x
      - .offset:         192
        .size:           8
        .value_kind:     hidden_global_offset_y
      - .offset:         200
        .size:           8
        .value_kind:     hidden_global_offset_z
      - .offset:         208
        .size:           2
        .value_kind:     hidden_grid_dims
      - .offset:         224
        .size:           8
        .value_kind:     hidden_hostcall_buffer
    .group_segment_fixed_size: 0
    .kernarg_segment_align: 8
    .kernarg_segment_size: 400
    .language:       OpenCL C
    .language_version:
      - 2
      - 0
    .max_flat_workgroup_size: 256
    .name:           _Z39paged_attention_ll4mi_QKV_mfma16_kernelIDF16_DF16_LN4vllm18Fp8KVCacheDataTypeE0EhLi32ELi128ELi256ELb1ELi13EEvPKT_PKT0_S7_ifPKiS9_S9_iPKfiiiPfSC_PS2_PT2_iSB_SB_
    .private_segment_fixed_size: 64
    .sgpr_count:     36
    .sgpr_spill_count: 0
    .symbol:         _Z39paged_attention_ll4mi_QKV_mfma16_kernelIDF16_DF16_LN4vllm18Fp8KVCacheDataTypeE0EhLi32ELi128ELi256ELb1ELi13EEvPKT_PKT0_S7_ifPKiS9_S9_iPKfiiiPfSC_PS2_PT2_iSB_SB_.kd
    .uniform_work_group_size: 1
    .uses_dynamic_stack: false
    .vgpr_count:     51
    .vgpr_spill_count: 0
    .wavefront_size: 32
  - .args:
      - .actual_access:  read_only
        .address_space:  global
        .offset:         0
        .size:           8
        .value_kind:     global_buffer
      - .actual_access:  read_only
        .address_space:  global
        .offset:         8
        .size:           8
        .value_kind:     global_buffer
      - .actual_access:  read_only
        .address_space:  global
        .offset:         16
        .size:           8
        .value_kind:     global_buffer
      - .offset:         24
        .size:           4
        .value_kind:     by_value
      - .offset:         28
        .size:           4
        .value_kind:     by_value
      - .actual_access:  read_only
        .address_space:  global
        .offset:         32
        .size:           8
        .value_kind:     global_buffer
      - .actual_access:  read_only
        .address_space:  global
        .offset:         40
        .size:           8
        .value_kind:     global_buffer
      - .actual_access:  read_only
        .address_space:  global
        .offset:         48
        .size:           8
        .value_kind:     global_buffer
      - .offset:         56
        .size:           4
        .value_kind:     by_value
      - .actual_access:  read_only
        .address_space:  global
        .offset:         64
        .size:           8
        .value_kind:     global_buffer
      - .offset:         72
        .size:           4
        .value_kind:     by_value
      - .offset:         76
        .size:           4
        .value_kind:     by_value
      - .offset:         80
        .size:           4
        .value_kind:     by_value
      - .actual_access:  read_only
        .address_space:  global
        .offset:         88
        .size:           8
        .value_kind:     global_buffer
      - .actual_access:  read_only
        .address_space:  global
        .offset:         96
        .size:           8
        .value_kind:     global_buffer
      - .actual_access:  read_only
        .address_space:  global
        .offset:         104
        .size:           8
        .value_kind:     global_buffer
      - .actual_access:  read_only
        .address_space:  global
        .offset:         112
        .size:           8
        .value_kind:     global_buffer
      - .offset:         120
        .size:           4
        .value_kind:     by_value
      - .address_space:  global
        .offset:         128
        .size:           8
        .value_kind:     global_buffer
      - .address_space:  global
        .offset:         136
        .size:           8
        .value_kind:     global_buffer
      - .offset:         144
        .size:           4
        .value_kind:     hidden_block_count_x
      - .offset:         148
        .size:           4
        .value_kind:     hidden_block_count_y
      - .offset:         152
        .size:           4
        .value_kind:     hidden_block_count_z
      - .offset:         156
        .size:           2
        .value_kind:     hidden_group_size_x
      - .offset:         158
        .size:           2
        .value_kind:     hidden_group_size_y
      - .offset:         160
        .size:           2
        .value_kind:     hidden_group_size_z
      - .offset:         162
        .size:           2
        .value_kind:     hidden_remainder_x
      - .offset:         164
        .size:           2
        .value_kind:     hidden_remainder_y
      - .offset:         166
        .size:           2
        .value_kind:     hidden_remainder_z
      - .offset:         184
        .size:           8
        .value_kind:     hidden_global_offset_x
      - .offset:         192
        .size:           8
        .value_kind:     hidden_global_offset_y
      - .offset:         200
        .size:           8
        .value_kind:     hidden_global_offset_z
      - .offset:         208
        .size:           2
        .value_kind:     hidden_grid_dims
      - .offset:         224
        .size:           8
        .value_kind:     hidden_hostcall_buffer
    .group_segment_fixed_size: 0
    .kernarg_segment_align: 8
    .kernarg_segment_size: 400
    .language:       OpenCL C
    .language_version:
      - 2
      - 0
    .max_flat_workgroup_size: 256
    .name:           _Z39paged_attention_ll4mi_QKV_mfma16_kernelIDF16_DF16_LN4vllm18Fp8KVCacheDataTypeE0EhLi32ELi128ELi256ELb1ELi14EEvPKT_PKT0_S7_ifPKiS9_S9_iPKfiiiPfSC_PS2_PT2_iSB_SB_
    .private_segment_fixed_size: 64
    .sgpr_count:     36
    .sgpr_spill_count: 0
    .symbol:         _Z39paged_attention_ll4mi_QKV_mfma16_kernelIDF16_DF16_LN4vllm18Fp8KVCacheDataTypeE0EhLi32ELi128ELi256ELb1ELi14EEvPKT_PKT0_S7_ifPKiS9_S9_iPKfiiiPfSC_PS2_PT2_iSB_SB_.kd
    .uniform_work_group_size: 1
    .uses_dynamic_stack: false
    .vgpr_count:     51
    .vgpr_spill_count: 0
    .wavefront_size: 32
  - .args:
      - .actual_access:  read_only
        .address_space:  global
        .offset:         0
        .size:           8
        .value_kind:     global_buffer
      - .actual_access:  read_only
        .address_space:  global
        .offset:         8
        .size:           8
        .value_kind:     global_buffer
      - .actual_access:  read_only
        .address_space:  global
        .offset:         16
        .size:           8
        .value_kind:     global_buffer
      - .offset:         24
        .size:           4
        .value_kind:     by_value
      - .offset:         28
        .size:           4
        .value_kind:     by_value
      - .actual_access:  read_only
        .address_space:  global
        .offset:         32
        .size:           8
        .value_kind:     global_buffer
      - .actual_access:  read_only
        .address_space:  global
        .offset:         40
        .size:           8
        .value_kind:     global_buffer
      - .actual_access:  read_only
        .address_space:  global
        .offset:         48
        .size:           8
        .value_kind:     global_buffer
      - .offset:         56
        .size:           4
        .value_kind:     by_value
      - .actual_access:  read_only
        .address_space:  global
        .offset:         64
        .size:           8
        .value_kind:     global_buffer
      - .offset:         72
        .size:           4
        .value_kind:     by_value
      - .offset:         76
        .size:           4
        .value_kind:     by_value
      - .offset:         80
        .size:           4
        .value_kind:     by_value
      - .actual_access:  read_only
        .address_space:  global
        .offset:         88
        .size:           8
        .value_kind:     global_buffer
      - .actual_access:  read_only
        .address_space:  global
        .offset:         96
        .size:           8
        .value_kind:     global_buffer
      - .actual_access:  read_only
        .address_space:  global
        .offset:         104
        .size:           8
        .value_kind:     global_buffer
      - .actual_access:  read_only
        .address_space:  global
        .offset:         112
        .size:           8
        .value_kind:     global_buffer
      - .offset:         120
        .size:           4
        .value_kind:     by_value
      - .address_space:  global
        .offset:         128
        .size:           8
        .value_kind:     global_buffer
      - .address_space:  global
        .offset:         136
        .size:           8
        .value_kind:     global_buffer
      - .offset:         144
        .size:           4
        .value_kind:     hidden_block_count_x
      - .offset:         148
        .size:           4
        .value_kind:     hidden_block_count_y
      - .offset:         152
        .size:           4
        .value_kind:     hidden_block_count_z
      - .offset:         156
        .size:           2
        .value_kind:     hidden_group_size_x
      - .offset:         158
        .size:           2
        .value_kind:     hidden_group_size_y
      - .offset:         160
        .size:           2
        .value_kind:     hidden_group_size_z
      - .offset:         162
        .size:           2
        .value_kind:     hidden_remainder_x
      - .offset:         164
        .size:           2
        .value_kind:     hidden_remainder_y
      - .offset:         166
        .size:           2
        .value_kind:     hidden_remainder_z
      - .offset:         184
        .size:           8
        .value_kind:     hidden_global_offset_x
      - .offset:         192
        .size:           8
        .value_kind:     hidden_global_offset_y
      - .offset:         200
        .size:           8
        .value_kind:     hidden_global_offset_z
      - .offset:         208
        .size:           2
        .value_kind:     hidden_grid_dims
      - .offset:         224
        .size:           8
        .value_kind:     hidden_hostcall_buffer
    .group_segment_fixed_size: 0
    .kernarg_segment_align: 8
    .kernarg_segment_size: 400
    .language:       OpenCL C
    .language_version:
      - 2
      - 0
    .max_flat_workgroup_size: 256
    .name:           _Z39paged_attention_ll4mi_QKV_mfma16_kernelIDF16_DF16_LN4vllm18Fp8KVCacheDataTypeE0EhLi32ELi128ELi256ELb1ELi15EEvPKT_PKT0_S7_ifPKiS9_S9_iPKfiiiPfSC_PS2_PT2_iSB_SB_
    .private_segment_fixed_size: 64
    .sgpr_count:     36
    .sgpr_spill_count: 0
    .symbol:         _Z39paged_attention_ll4mi_QKV_mfma16_kernelIDF16_DF16_LN4vllm18Fp8KVCacheDataTypeE0EhLi32ELi128ELi256ELb1ELi15EEvPKT_PKT0_S7_ifPKiS9_S9_iPKfiiiPfSC_PS2_PT2_iSB_SB_.kd
    .uniform_work_group_size: 1
    .uses_dynamic_stack: false
    .vgpr_count:     51
    .vgpr_spill_count: 0
    .wavefront_size: 32
  - .args:
      - .actual_access:  read_only
        .address_space:  global
        .offset:         0
        .size:           8
        .value_kind:     global_buffer
      - .actual_access:  read_only
        .address_space:  global
        .offset:         8
        .size:           8
        .value_kind:     global_buffer
      - .actual_access:  read_only
        .address_space:  global
        .offset:         16
        .size:           8
        .value_kind:     global_buffer
      - .offset:         24
        .size:           4
        .value_kind:     by_value
      - .offset:         28
        .size:           4
        .value_kind:     by_value
      - .actual_access:  read_only
        .address_space:  global
        .offset:         32
        .size:           8
        .value_kind:     global_buffer
      - .actual_access:  read_only
        .address_space:  global
        .offset:         40
        .size:           8
        .value_kind:     global_buffer
      - .actual_access:  read_only
        .address_space:  global
        .offset:         48
        .size:           8
        .value_kind:     global_buffer
      - .offset:         56
        .size:           4
        .value_kind:     by_value
      - .actual_access:  read_only
        .address_space:  global
        .offset:         64
        .size:           8
        .value_kind:     global_buffer
      - .offset:         72
        .size:           4
        .value_kind:     by_value
      - .offset:         76
        .size:           4
        .value_kind:     by_value
      - .offset:         80
        .size:           4
        .value_kind:     by_value
      - .actual_access:  read_only
        .address_space:  global
        .offset:         88
        .size:           8
        .value_kind:     global_buffer
      - .actual_access:  read_only
        .address_space:  global
        .offset:         96
        .size:           8
        .value_kind:     global_buffer
      - .actual_access:  read_only
        .address_space:  global
        .offset:         104
        .size:           8
        .value_kind:     global_buffer
      - .actual_access:  read_only
        .address_space:  global
        .offset:         112
        .size:           8
        .value_kind:     global_buffer
      - .offset:         120
        .size:           4
        .value_kind:     by_value
      - .address_space:  global
        .offset:         128
        .size:           8
        .value_kind:     global_buffer
      - .address_space:  global
        .offset:         136
        .size:           8
        .value_kind:     global_buffer
      - .offset:         144
        .size:           4
        .value_kind:     hidden_block_count_x
      - .offset:         148
        .size:           4
        .value_kind:     hidden_block_count_y
      - .offset:         152
        .size:           4
        .value_kind:     hidden_block_count_z
      - .offset:         156
        .size:           2
        .value_kind:     hidden_group_size_x
      - .offset:         158
        .size:           2
        .value_kind:     hidden_group_size_y
      - .offset:         160
        .size:           2
        .value_kind:     hidden_group_size_z
      - .offset:         162
        .size:           2
        .value_kind:     hidden_remainder_x
      - .offset:         164
        .size:           2
        .value_kind:     hidden_remainder_y
      - .offset:         166
        .size:           2
        .value_kind:     hidden_remainder_z
      - .offset:         184
        .size:           8
        .value_kind:     hidden_global_offset_x
      - .offset:         192
        .size:           8
        .value_kind:     hidden_global_offset_y
      - .offset:         200
        .size:           8
        .value_kind:     hidden_global_offset_z
      - .offset:         208
        .size:           2
        .value_kind:     hidden_grid_dims
      - .offset:         224
        .size:           8
        .value_kind:     hidden_hostcall_buffer
    .group_segment_fixed_size: 0
    .kernarg_segment_align: 8
    .kernarg_segment_size: 400
    .language:       OpenCL C
    .language_version:
      - 2
      - 0
    .max_flat_workgroup_size: 256
    .name:           _Z39paged_attention_ll4mi_QKV_mfma16_kernelIDF16_DF16_LN4vllm18Fp8KVCacheDataTypeE0EhLi32ELi128ELi256ELb1ELi16EEvPKT_PKT0_S7_ifPKiS9_S9_iPKfiiiPfSC_PS2_PT2_iSB_SB_
    .private_segment_fixed_size: 64
    .sgpr_count:     36
    .sgpr_spill_count: 0
    .symbol:         _Z39paged_attention_ll4mi_QKV_mfma16_kernelIDF16_DF16_LN4vllm18Fp8KVCacheDataTypeE0EhLi32ELi128ELi256ELb1ELi16EEvPKT_PKT0_S7_ifPKiS9_S9_iPKfiiiPfSC_PS2_PT2_iSB_SB_.kd
    .uniform_work_group_size: 1
    .uses_dynamic_stack: false
    .vgpr_count:     51
    .vgpr_spill_count: 0
    .wavefront_size: 32
  - .args:
      - .actual_access:  read_only
        .address_space:  global
        .offset:         0
        .size:           8
        .value_kind:     global_buffer
      - .actual_access:  read_only
        .address_space:  global
        .offset:         8
        .size:           8
        .value_kind:     global_buffer
      - .actual_access:  read_only
        .address_space:  global
        .offset:         16
        .size:           8
        .value_kind:     global_buffer
      - .offset:         24
        .size:           4
        .value_kind:     by_value
      - .offset:         28
        .size:           4
        .value_kind:     by_value
      - .actual_access:  read_only
        .address_space:  global
        .offset:         32
        .size:           8
        .value_kind:     global_buffer
      - .actual_access:  read_only
        .address_space:  global
        .offset:         40
        .size:           8
        .value_kind:     global_buffer
      - .actual_access:  read_only
        .address_space:  global
        .offset:         48
        .size:           8
        .value_kind:     global_buffer
      - .offset:         56
        .size:           4
        .value_kind:     by_value
      - .actual_access:  read_only
        .address_space:  global
        .offset:         64
        .size:           8
        .value_kind:     global_buffer
      - .offset:         72
        .size:           4
        .value_kind:     by_value
      - .offset:         76
        .size:           4
        .value_kind:     by_value
      - .offset:         80
        .size:           4
        .value_kind:     by_value
      - .actual_access:  read_only
        .address_space:  global
        .offset:         88
        .size:           8
        .value_kind:     global_buffer
      - .actual_access:  read_only
        .address_space:  global
        .offset:         96
        .size:           8
        .value_kind:     global_buffer
      - .actual_access:  read_only
        .address_space:  global
        .offset:         104
        .size:           8
        .value_kind:     global_buffer
      - .actual_access:  read_only
        .address_space:  global
        .offset:         112
        .size:           8
        .value_kind:     global_buffer
      - .offset:         120
        .size:           4
        .value_kind:     by_value
      - .address_space:  global
        .offset:         128
        .size:           8
        .value_kind:     global_buffer
      - .address_space:  global
        .offset:         136
        .size:           8
        .value_kind:     global_buffer
      - .offset:         144
        .size:           4
        .value_kind:     hidden_block_count_x
      - .offset:         148
        .size:           4
        .value_kind:     hidden_block_count_y
      - .offset:         152
        .size:           4
        .value_kind:     hidden_block_count_z
      - .offset:         156
        .size:           2
        .value_kind:     hidden_group_size_x
      - .offset:         158
        .size:           2
        .value_kind:     hidden_group_size_y
      - .offset:         160
        .size:           2
        .value_kind:     hidden_group_size_z
      - .offset:         162
        .size:           2
        .value_kind:     hidden_remainder_x
      - .offset:         164
        .size:           2
        .value_kind:     hidden_remainder_y
      - .offset:         166
        .size:           2
        .value_kind:     hidden_remainder_z
      - .offset:         184
        .size:           8
        .value_kind:     hidden_global_offset_x
      - .offset:         192
        .size:           8
        .value_kind:     hidden_global_offset_y
      - .offset:         200
        .size:           8
        .value_kind:     hidden_global_offset_z
      - .offset:         208
        .size:           2
        .value_kind:     hidden_grid_dims
      - .offset:         224
        .size:           8
        .value_kind:     hidden_hostcall_buffer
    .group_segment_fixed_size: 0
    .kernarg_segment_align: 8
    .kernarg_segment_size: 400
    .language:       OpenCL C
    .language_version:
      - 2
      - 0
    .max_flat_workgroup_size: 256
    .name:           _Z39paged_attention_ll4mi_QKV_mfma16_kernelIDF16_DF16_LN4vllm18Fp8KVCacheDataTypeE0EhLi32ELi128ELi256ELb1ELi1EEvPKT_PKT0_S7_ifPKiS9_S9_iPKfiiiPfSC_PS2_PT2_iSB_SB_
    .private_segment_fixed_size: 64
    .sgpr_count:     36
    .sgpr_spill_count: 0
    .symbol:         _Z39paged_attention_ll4mi_QKV_mfma16_kernelIDF16_DF16_LN4vllm18Fp8KVCacheDataTypeE0EhLi32ELi128ELi256ELb1ELi1EEvPKT_PKT0_S7_ifPKiS9_S9_iPKfiiiPfSC_PS2_PT2_iSB_SB_.kd
    .uniform_work_group_size: 1
    .uses_dynamic_stack: false
    .vgpr_count:     51
    .vgpr_spill_count: 0
    .wavefront_size: 32
  - .args:
      - .actual_access:  read_only
        .address_space:  global
        .offset:         0
        .size:           8
        .value_kind:     global_buffer
      - .actual_access:  read_only
        .address_space:  global
        .offset:         8
        .size:           8
        .value_kind:     global_buffer
      - .actual_access:  read_only
        .address_space:  global
        .offset:         16
        .size:           8
        .value_kind:     global_buffer
      - .offset:         24
        .size:           4
        .value_kind:     by_value
      - .offset:         28
        .size:           4
        .value_kind:     by_value
      - .actual_access:  read_only
        .address_space:  global
        .offset:         32
        .size:           8
        .value_kind:     global_buffer
      - .actual_access:  read_only
        .address_space:  global
        .offset:         40
        .size:           8
        .value_kind:     global_buffer
      - .actual_access:  read_only
        .address_space:  global
        .offset:         48
        .size:           8
        .value_kind:     global_buffer
      - .offset:         56
        .size:           4
        .value_kind:     by_value
      - .actual_access:  read_only
        .address_space:  global
        .offset:         64
        .size:           8
        .value_kind:     global_buffer
      - .offset:         72
        .size:           4
        .value_kind:     by_value
      - .offset:         76
        .size:           4
        .value_kind:     by_value
      - .offset:         80
        .size:           4
        .value_kind:     by_value
      - .actual_access:  read_only
        .address_space:  global
        .offset:         88
        .size:           8
        .value_kind:     global_buffer
      - .actual_access:  read_only
        .address_space:  global
        .offset:         96
        .size:           8
        .value_kind:     global_buffer
      - .actual_access:  read_only
        .address_space:  global
        .offset:         104
        .size:           8
        .value_kind:     global_buffer
      - .actual_access:  read_only
        .address_space:  global
        .offset:         112
        .size:           8
        .value_kind:     global_buffer
      - .offset:         120
        .size:           4
        .value_kind:     by_value
      - .address_space:  global
        .offset:         128
        .size:           8
        .value_kind:     global_buffer
      - .address_space:  global
        .offset:         136
        .size:           8
        .value_kind:     global_buffer
      - .offset:         144
        .size:           4
        .value_kind:     hidden_block_count_x
      - .offset:         148
        .size:           4
        .value_kind:     hidden_block_count_y
      - .offset:         152
        .size:           4
        .value_kind:     hidden_block_count_z
      - .offset:         156
        .size:           2
        .value_kind:     hidden_group_size_x
      - .offset:         158
        .size:           2
        .value_kind:     hidden_group_size_y
      - .offset:         160
        .size:           2
        .value_kind:     hidden_group_size_z
      - .offset:         162
        .size:           2
        .value_kind:     hidden_remainder_x
      - .offset:         164
        .size:           2
        .value_kind:     hidden_remainder_y
      - .offset:         166
        .size:           2
        .value_kind:     hidden_remainder_z
      - .offset:         184
        .size:           8
        .value_kind:     hidden_global_offset_x
      - .offset:         192
        .size:           8
        .value_kind:     hidden_global_offset_y
      - .offset:         200
        .size:           8
        .value_kind:     hidden_global_offset_z
      - .offset:         208
        .size:           2
        .value_kind:     hidden_grid_dims
      - .offset:         224
        .size:           8
        .value_kind:     hidden_hostcall_buffer
    .group_segment_fixed_size: 0
    .kernarg_segment_align: 8
    .kernarg_segment_size: 400
    .language:       OpenCL C
    .language_version:
      - 2
      - 0
    .max_flat_workgroup_size: 256
    .name:           _Z39paged_attention_ll4mi_QKV_mfma16_kernelIDF16_DF16_LN4vllm18Fp8KVCacheDataTypeE0EhLi32ELi128ELi256ELb1ELi2EEvPKT_PKT0_S7_ifPKiS9_S9_iPKfiiiPfSC_PS2_PT2_iSB_SB_
    .private_segment_fixed_size: 64
    .sgpr_count:     36
    .sgpr_spill_count: 0
    .symbol:         _Z39paged_attention_ll4mi_QKV_mfma16_kernelIDF16_DF16_LN4vllm18Fp8KVCacheDataTypeE0EhLi32ELi128ELi256ELb1ELi2EEvPKT_PKT0_S7_ifPKiS9_S9_iPKfiiiPfSC_PS2_PT2_iSB_SB_.kd
    .uniform_work_group_size: 1
    .uses_dynamic_stack: false
    .vgpr_count:     51
    .vgpr_spill_count: 0
    .wavefront_size: 32
  - .args:
      - .actual_access:  read_only
        .address_space:  global
        .offset:         0
        .size:           8
        .value_kind:     global_buffer
      - .actual_access:  read_only
        .address_space:  global
        .offset:         8
        .size:           8
        .value_kind:     global_buffer
      - .actual_access:  read_only
        .address_space:  global
        .offset:         16
        .size:           8
        .value_kind:     global_buffer
      - .offset:         24
        .size:           4
        .value_kind:     by_value
      - .offset:         28
        .size:           4
        .value_kind:     by_value
      - .actual_access:  read_only
        .address_space:  global
        .offset:         32
        .size:           8
        .value_kind:     global_buffer
      - .actual_access:  read_only
        .address_space:  global
        .offset:         40
        .size:           8
        .value_kind:     global_buffer
      - .actual_access:  read_only
        .address_space:  global
        .offset:         48
        .size:           8
        .value_kind:     global_buffer
      - .offset:         56
        .size:           4
        .value_kind:     by_value
      - .actual_access:  read_only
        .address_space:  global
        .offset:         64
        .size:           8
        .value_kind:     global_buffer
      - .offset:         72
        .size:           4
        .value_kind:     by_value
      - .offset:         76
        .size:           4
        .value_kind:     by_value
      - .offset:         80
        .size:           4
        .value_kind:     by_value
      - .actual_access:  read_only
        .address_space:  global
        .offset:         88
        .size:           8
        .value_kind:     global_buffer
      - .actual_access:  read_only
        .address_space:  global
        .offset:         96
        .size:           8
        .value_kind:     global_buffer
      - .actual_access:  read_only
        .address_space:  global
        .offset:         104
        .size:           8
        .value_kind:     global_buffer
      - .actual_access:  read_only
        .address_space:  global
        .offset:         112
        .size:           8
        .value_kind:     global_buffer
      - .offset:         120
        .size:           4
        .value_kind:     by_value
      - .address_space:  global
        .offset:         128
        .size:           8
        .value_kind:     global_buffer
      - .address_space:  global
        .offset:         136
        .size:           8
        .value_kind:     global_buffer
      - .offset:         144
        .size:           4
        .value_kind:     hidden_block_count_x
      - .offset:         148
        .size:           4
        .value_kind:     hidden_block_count_y
      - .offset:         152
        .size:           4
        .value_kind:     hidden_block_count_z
      - .offset:         156
        .size:           2
        .value_kind:     hidden_group_size_x
      - .offset:         158
        .size:           2
        .value_kind:     hidden_group_size_y
      - .offset:         160
        .size:           2
        .value_kind:     hidden_group_size_z
      - .offset:         162
        .size:           2
        .value_kind:     hidden_remainder_x
      - .offset:         164
        .size:           2
        .value_kind:     hidden_remainder_y
      - .offset:         166
        .size:           2
        .value_kind:     hidden_remainder_z
      - .offset:         184
        .size:           8
        .value_kind:     hidden_global_offset_x
      - .offset:         192
        .size:           8
        .value_kind:     hidden_global_offset_y
      - .offset:         200
        .size:           8
        .value_kind:     hidden_global_offset_z
      - .offset:         208
        .size:           2
        .value_kind:     hidden_grid_dims
      - .offset:         224
        .size:           8
        .value_kind:     hidden_hostcall_buffer
    .group_segment_fixed_size: 0
    .kernarg_segment_align: 8
    .kernarg_segment_size: 400
    .language:       OpenCL C
    .language_version:
      - 2
      - 0
    .max_flat_workgroup_size: 256
    .name:           _Z39paged_attention_ll4mi_QKV_mfma16_kernelIDF16_DF16_LN4vllm18Fp8KVCacheDataTypeE0EhLi32ELi128ELi256ELb1ELi3EEvPKT_PKT0_S7_ifPKiS9_S9_iPKfiiiPfSC_PS2_PT2_iSB_SB_
    .private_segment_fixed_size: 64
    .sgpr_count:     36
    .sgpr_spill_count: 0
    .symbol:         _Z39paged_attention_ll4mi_QKV_mfma16_kernelIDF16_DF16_LN4vllm18Fp8KVCacheDataTypeE0EhLi32ELi128ELi256ELb1ELi3EEvPKT_PKT0_S7_ifPKiS9_S9_iPKfiiiPfSC_PS2_PT2_iSB_SB_.kd
    .uniform_work_group_size: 1
    .uses_dynamic_stack: false
    .vgpr_count:     51
    .vgpr_spill_count: 0
    .wavefront_size: 32
  - .args:
      - .actual_access:  read_only
        .address_space:  global
        .offset:         0
        .size:           8
        .value_kind:     global_buffer
      - .actual_access:  read_only
        .address_space:  global
        .offset:         8
        .size:           8
        .value_kind:     global_buffer
      - .actual_access:  read_only
        .address_space:  global
        .offset:         16
        .size:           8
        .value_kind:     global_buffer
      - .offset:         24
        .size:           4
        .value_kind:     by_value
      - .offset:         28
        .size:           4
        .value_kind:     by_value
      - .actual_access:  read_only
        .address_space:  global
        .offset:         32
        .size:           8
        .value_kind:     global_buffer
      - .actual_access:  read_only
        .address_space:  global
        .offset:         40
        .size:           8
        .value_kind:     global_buffer
      - .actual_access:  read_only
        .address_space:  global
        .offset:         48
        .size:           8
        .value_kind:     global_buffer
      - .offset:         56
        .size:           4
        .value_kind:     by_value
      - .actual_access:  read_only
        .address_space:  global
        .offset:         64
        .size:           8
        .value_kind:     global_buffer
      - .offset:         72
        .size:           4
        .value_kind:     by_value
      - .offset:         76
        .size:           4
        .value_kind:     by_value
      - .offset:         80
        .size:           4
        .value_kind:     by_value
      - .actual_access:  read_only
        .address_space:  global
        .offset:         88
        .size:           8
        .value_kind:     global_buffer
      - .actual_access:  read_only
        .address_space:  global
        .offset:         96
        .size:           8
        .value_kind:     global_buffer
      - .actual_access:  read_only
        .address_space:  global
        .offset:         104
        .size:           8
        .value_kind:     global_buffer
      - .actual_access:  read_only
        .address_space:  global
        .offset:         112
        .size:           8
        .value_kind:     global_buffer
      - .offset:         120
        .size:           4
        .value_kind:     by_value
      - .address_space:  global
        .offset:         128
        .size:           8
        .value_kind:     global_buffer
      - .address_space:  global
        .offset:         136
        .size:           8
        .value_kind:     global_buffer
      - .offset:         144
        .size:           4
        .value_kind:     hidden_block_count_x
      - .offset:         148
        .size:           4
        .value_kind:     hidden_block_count_y
      - .offset:         152
        .size:           4
        .value_kind:     hidden_block_count_z
      - .offset:         156
        .size:           2
        .value_kind:     hidden_group_size_x
      - .offset:         158
        .size:           2
        .value_kind:     hidden_group_size_y
      - .offset:         160
        .size:           2
        .value_kind:     hidden_group_size_z
      - .offset:         162
        .size:           2
        .value_kind:     hidden_remainder_x
      - .offset:         164
        .size:           2
        .value_kind:     hidden_remainder_y
      - .offset:         166
        .size:           2
        .value_kind:     hidden_remainder_z
      - .offset:         184
        .size:           8
        .value_kind:     hidden_global_offset_x
      - .offset:         192
        .size:           8
        .value_kind:     hidden_global_offset_y
      - .offset:         200
        .size:           8
        .value_kind:     hidden_global_offset_z
      - .offset:         208
        .size:           2
        .value_kind:     hidden_grid_dims
      - .offset:         224
        .size:           8
        .value_kind:     hidden_hostcall_buffer
    .group_segment_fixed_size: 0
    .kernarg_segment_align: 8
    .kernarg_segment_size: 400
    .language:       OpenCL C
    .language_version:
      - 2
      - 0
    .max_flat_workgroup_size: 256
    .name:           _Z39paged_attention_ll4mi_QKV_mfma16_kernelIDF16_DF16_LN4vllm18Fp8KVCacheDataTypeE0EhLi32ELi128ELi256ELb1ELi4EEvPKT_PKT0_S7_ifPKiS9_S9_iPKfiiiPfSC_PS2_PT2_iSB_SB_
    .private_segment_fixed_size: 64
    .sgpr_count:     36
    .sgpr_spill_count: 0
    .symbol:         _Z39paged_attention_ll4mi_QKV_mfma16_kernelIDF16_DF16_LN4vllm18Fp8KVCacheDataTypeE0EhLi32ELi128ELi256ELb1ELi4EEvPKT_PKT0_S7_ifPKiS9_S9_iPKfiiiPfSC_PS2_PT2_iSB_SB_.kd
    .uniform_work_group_size: 1
    .uses_dynamic_stack: false
    .vgpr_count:     51
    .vgpr_spill_count: 0
    .wavefront_size: 32
  - .args:
      - .actual_access:  read_only
        .address_space:  global
        .offset:         0
        .size:           8
        .value_kind:     global_buffer
      - .actual_access:  read_only
        .address_space:  global
        .offset:         8
        .size:           8
        .value_kind:     global_buffer
      - .actual_access:  read_only
        .address_space:  global
        .offset:         16
        .size:           8
        .value_kind:     global_buffer
      - .offset:         24
        .size:           4
        .value_kind:     by_value
      - .offset:         28
        .size:           4
        .value_kind:     by_value
      - .actual_access:  read_only
        .address_space:  global
        .offset:         32
        .size:           8
        .value_kind:     global_buffer
      - .actual_access:  read_only
        .address_space:  global
        .offset:         40
        .size:           8
        .value_kind:     global_buffer
      - .actual_access:  read_only
        .address_space:  global
        .offset:         48
        .size:           8
        .value_kind:     global_buffer
      - .offset:         56
        .size:           4
        .value_kind:     by_value
      - .actual_access:  read_only
        .address_space:  global
        .offset:         64
        .size:           8
        .value_kind:     global_buffer
      - .offset:         72
        .size:           4
        .value_kind:     by_value
      - .offset:         76
        .size:           4
        .value_kind:     by_value
      - .offset:         80
        .size:           4
        .value_kind:     by_value
      - .actual_access:  read_only
        .address_space:  global
        .offset:         88
        .size:           8
        .value_kind:     global_buffer
      - .actual_access:  read_only
        .address_space:  global
        .offset:         96
        .size:           8
        .value_kind:     global_buffer
      - .actual_access:  read_only
        .address_space:  global
        .offset:         104
        .size:           8
        .value_kind:     global_buffer
      - .actual_access:  read_only
        .address_space:  global
        .offset:         112
        .size:           8
        .value_kind:     global_buffer
      - .offset:         120
        .size:           4
        .value_kind:     by_value
      - .address_space:  global
        .offset:         128
        .size:           8
        .value_kind:     global_buffer
      - .address_space:  global
        .offset:         136
        .size:           8
        .value_kind:     global_buffer
      - .offset:         144
        .size:           4
        .value_kind:     hidden_block_count_x
      - .offset:         148
        .size:           4
        .value_kind:     hidden_block_count_y
      - .offset:         152
        .size:           4
        .value_kind:     hidden_block_count_z
      - .offset:         156
        .size:           2
        .value_kind:     hidden_group_size_x
      - .offset:         158
        .size:           2
        .value_kind:     hidden_group_size_y
      - .offset:         160
        .size:           2
        .value_kind:     hidden_group_size_z
      - .offset:         162
        .size:           2
        .value_kind:     hidden_remainder_x
      - .offset:         164
        .size:           2
        .value_kind:     hidden_remainder_y
      - .offset:         166
        .size:           2
        .value_kind:     hidden_remainder_z
      - .offset:         184
        .size:           8
        .value_kind:     hidden_global_offset_x
      - .offset:         192
        .size:           8
        .value_kind:     hidden_global_offset_y
      - .offset:         200
        .size:           8
        .value_kind:     hidden_global_offset_z
      - .offset:         208
        .size:           2
        .value_kind:     hidden_grid_dims
      - .offset:         224
        .size:           8
        .value_kind:     hidden_hostcall_buffer
    .group_segment_fixed_size: 0
    .kernarg_segment_align: 8
    .kernarg_segment_size: 400
    .language:       OpenCL C
    .language_version:
      - 2
      - 0
    .max_flat_workgroup_size: 256
    .name:           _Z38paged_attention_ll4mi_QKV_mfma4_kernelIDF16_DF16_LN4vllm18Fp8KVCacheDataTypeE0EhLi32ELi128ELi256ELb0ELi1EEvPKT_PKT0_S7_ifPKiS9_S9_iPKfiiiPfSC_PS2_PT2_iSB_SB_
    .private_segment_fixed_size: 64
    .sgpr_count:     36
    .sgpr_spill_count: 0
    .symbol:         _Z38paged_attention_ll4mi_QKV_mfma4_kernelIDF16_DF16_LN4vllm18Fp8KVCacheDataTypeE0EhLi32ELi128ELi256ELb0ELi1EEvPKT_PKT0_S7_ifPKiS9_S9_iPKfiiiPfSC_PS2_PT2_iSB_SB_.kd
    .uniform_work_group_size: 1
    .uses_dynamic_stack: false
    .vgpr_count:     51
    .vgpr_spill_count: 0
    .wavefront_size: 32
  - .args:
      - .actual_access:  read_only
        .address_space:  global
        .offset:         0
        .size:           8
        .value_kind:     global_buffer
      - .actual_access:  read_only
        .address_space:  global
        .offset:         8
        .size:           8
        .value_kind:     global_buffer
      - .actual_access:  read_only
        .address_space:  global
        .offset:         16
        .size:           8
        .value_kind:     global_buffer
      - .offset:         24
        .size:           4
        .value_kind:     by_value
      - .offset:         28
        .size:           4
        .value_kind:     by_value
      - .actual_access:  read_only
        .address_space:  global
        .offset:         32
        .size:           8
        .value_kind:     global_buffer
      - .actual_access:  read_only
        .address_space:  global
        .offset:         40
        .size:           8
        .value_kind:     global_buffer
      - .actual_access:  read_only
        .address_space:  global
        .offset:         48
        .size:           8
        .value_kind:     global_buffer
      - .offset:         56
        .size:           4
        .value_kind:     by_value
      - .actual_access:  read_only
        .address_space:  global
        .offset:         64
        .size:           8
        .value_kind:     global_buffer
      - .offset:         72
        .size:           4
        .value_kind:     by_value
      - .offset:         76
        .size:           4
        .value_kind:     by_value
      - .offset:         80
        .size:           4
        .value_kind:     by_value
      - .actual_access:  read_only
        .address_space:  global
        .offset:         88
        .size:           8
        .value_kind:     global_buffer
      - .actual_access:  read_only
        .address_space:  global
        .offset:         96
        .size:           8
        .value_kind:     global_buffer
      - .actual_access:  read_only
        .address_space:  global
        .offset:         104
        .size:           8
        .value_kind:     global_buffer
      - .actual_access:  read_only
        .address_space:  global
        .offset:         112
        .size:           8
        .value_kind:     global_buffer
      - .offset:         120
        .size:           4
        .value_kind:     by_value
      - .address_space:  global
        .offset:         128
        .size:           8
        .value_kind:     global_buffer
      - .address_space:  global
        .offset:         136
        .size:           8
        .value_kind:     global_buffer
      - .offset:         144
        .size:           4
        .value_kind:     hidden_block_count_x
      - .offset:         148
        .size:           4
        .value_kind:     hidden_block_count_y
      - .offset:         152
        .size:           4
        .value_kind:     hidden_block_count_z
      - .offset:         156
        .size:           2
        .value_kind:     hidden_group_size_x
      - .offset:         158
        .size:           2
        .value_kind:     hidden_group_size_y
      - .offset:         160
        .size:           2
        .value_kind:     hidden_group_size_z
      - .offset:         162
        .size:           2
        .value_kind:     hidden_remainder_x
      - .offset:         164
        .size:           2
        .value_kind:     hidden_remainder_y
      - .offset:         166
        .size:           2
        .value_kind:     hidden_remainder_z
      - .offset:         184
        .size:           8
        .value_kind:     hidden_global_offset_x
      - .offset:         192
        .size:           8
        .value_kind:     hidden_global_offset_y
      - .offset:         200
        .size:           8
        .value_kind:     hidden_global_offset_z
      - .offset:         208
        .size:           2
        .value_kind:     hidden_grid_dims
      - .offset:         224
        .size:           8
        .value_kind:     hidden_hostcall_buffer
    .group_segment_fixed_size: 0
    .kernarg_segment_align: 8
    .kernarg_segment_size: 400
    .language:       OpenCL C
    .language_version:
      - 2
      - 0
    .max_flat_workgroup_size: 256
    .name:           _Z38paged_attention_ll4mi_QKV_mfma4_kernelIDF16_DF16_LN4vllm18Fp8KVCacheDataTypeE0EhLi32ELi128ELi256ELb0ELi2EEvPKT_PKT0_S7_ifPKiS9_S9_iPKfiiiPfSC_PS2_PT2_iSB_SB_
    .private_segment_fixed_size: 64
    .sgpr_count:     36
    .sgpr_spill_count: 0
    .symbol:         _Z38paged_attention_ll4mi_QKV_mfma4_kernelIDF16_DF16_LN4vllm18Fp8KVCacheDataTypeE0EhLi32ELi128ELi256ELb0ELi2EEvPKT_PKT0_S7_ifPKiS9_S9_iPKfiiiPfSC_PS2_PT2_iSB_SB_.kd
    .uniform_work_group_size: 1
    .uses_dynamic_stack: false
    .vgpr_count:     51
    .vgpr_spill_count: 0
    .wavefront_size: 32
  - .args:
      - .actual_access:  read_only
        .address_space:  global
        .offset:         0
        .size:           8
        .value_kind:     global_buffer
      - .actual_access:  read_only
        .address_space:  global
        .offset:         8
        .size:           8
        .value_kind:     global_buffer
      - .actual_access:  read_only
        .address_space:  global
        .offset:         16
        .size:           8
        .value_kind:     global_buffer
      - .offset:         24
        .size:           4
        .value_kind:     by_value
      - .offset:         28
        .size:           4
        .value_kind:     by_value
      - .actual_access:  read_only
        .address_space:  global
        .offset:         32
        .size:           8
        .value_kind:     global_buffer
      - .actual_access:  read_only
        .address_space:  global
        .offset:         40
        .size:           8
        .value_kind:     global_buffer
      - .actual_access:  read_only
        .address_space:  global
        .offset:         48
        .size:           8
        .value_kind:     global_buffer
      - .offset:         56
        .size:           4
        .value_kind:     by_value
      - .actual_access:  read_only
        .address_space:  global
        .offset:         64
        .size:           8
        .value_kind:     global_buffer
      - .offset:         72
        .size:           4
        .value_kind:     by_value
      - .offset:         76
        .size:           4
        .value_kind:     by_value
      - .offset:         80
        .size:           4
        .value_kind:     by_value
      - .actual_access:  read_only
        .address_space:  global
        .offset:         88
        .size:           8
        .value_kind:     global_buffer
      - .actual_access:  read_only
        .address_space:  global
        .offset:         96
        .size:           8
        .value_kind:     global_buffer
      - .actual_access:  read_only
        .address_space:  global
        .offset:         104
        .size:           8
        .value_kind:     global_buffer
      - .actual_access:  read_only
        .address_space:  global
        .offset:         112
        .size:           8
        .value_kind:     global_buffer
      - .offset:         120
        .size:           4
        .value_kind:     by_value
      - .address_space:  global
        .offset:         128
        .size:           8
        .value_kind:     global_buffer
      - .address_space:  global
        .offset:         136
        .size:           8
        .value_kind:     global_buffer
      - .offset:         144
        .size:           4
        .value_kind:     hidden_block_count_x
      - .offset:         148
        .size:           4
        .value_kind:     hidden_block_count_y
      - .offset:         152
        .size:           4
        .value_kind:     hidden_block_count_z
      - .offset:         156
        .size:           2
        .value_kind:     hidden_group_size_x
      - .offset:         158
        .size:           2
        .value_kind:     hidden_group_size_y
      - .offset:         160
        .size:           2
        .value_kind:     hidden_group_size_z
      - .offset:         162
        .size:           2
        .value_kind:     hidden_remainder_x
      - .offset:         164
        .size:           2
        .value_kind:     hidden_remainder_y
      - .offset:         166
        .size:           2
        .value_kind:     hidden_remainder_z
      - .offset:         184
        .size:           8
        .value_kind:     hidden_global_offset_x
      - .offset:         192
        .size:           8
        .value_kind:     hidden_global_offset_y
      - .offset:         200
        .size:           8
        .value_kind:     hidden_global_offset_z
      - .offset:         208
        .size:           2
        .value_kind:     hidden_grid_dims
      - .offset:         224
        .size:           8
        .value_kind:     hidden_hostcall_buffer
    .group_segment_fixed_size: 0
    .kernarg_segment_align: 8
    .kernarg_segment_size: 400
    .language:       OpenCL C
    .language_version:
      - 2
      - 0
    .max_flat_workgroup_size: 256
    .name:           _Z38paged_attention_ll4mi_QKV_mfma4_kernelIDF16_DF16_LN4vllm18Fp8KVCacheDataTypeE0EhLi32ELi128ELi256ELb0ELi3EEvPKT_PKT0_S7_ifPKiS9_S9_iPKfiiiPfSC_PS2_PT2_iSB_SB_
    .private_segment_fixed_size: 64
    .sgpr_count:     36
    .sgpr_spill_count: 0
    .symbol:         _Z38paged_attention_ll4mi_QKV_mfma4_kernelIDF16_DF16_LN4vllm18Fp8KVCacheDataTypeE0EhLi32ELi128ELi256ELb0ELi3EEvPKT_PKT0_S7_ifPKiS9_S9_iPKfiiiPfSC_PS2_PT2_iSB_SB_.kd
    .uniform_work_group_size: 1
    .uses_dynamic_stack: false
    .vgpr_count:     51
    .vgpr_spill_count: 0
    .wavefront_size: 32
  - .args:
      - .actual_access:  read_only
        .address_space:  global
        .offset:         0
        .size:           8
        .value_kind:     global_buffer
      - .actual_access:  read_only
        .address_space:  global
        .offset:         8
        .size:           8
        .value_kind:     global_buffer
      - .actual_access:  read_only
        .address_space:  global
        .offset:         16
        .size:           8
        .value_kind:     global_buffer
      - .offset:         24
        .size:           4
        .value_kind:     by_value
      - .offset:         28
        .size:           4
        .value_kind:     by_value
      - .actual_access:  read_only
        .address_space:  global
        .offset:         32
        .size:           8
        .value_kind:     global_buffer
      - .actual_access:  read_only
        .address_space:  global
        .offset:         40
        .size:           8
        .value_kind:     global_buffer
      - .actual_access:  read_only
        .address_space:  global
        .offset:         48
        .size:           8
        .value_kind:     global_buffer
      - .offset:         56
        .size:           4
        .value_kind:     by_value
      - .actual_access:  read_only
        .address_space:  global
        .offset:         64
        .size:           8
        .value_kind:     global_buffer
      - .offset:         72
        .size:           4
        .value_kind:     by_value
      - .offset:         76
        .size:           4
        .value_kind:     by_value
      - .offset:         80
        .size:           4
        .value_kind:     by_value
      - .actual_access:  read_only
        .address_space:  global
        .offset:         88
        .size:           8
        .value_kind:     global_buffer
      - .actual_access:  read_only
        .address_space:  global
        .offset:         96
        .size:           8
        .value_kind:     global_buffer
      - .actual_access:  read_only
        .address_space:  global
        .offset:         104
        .size:           8
        .value_kind:     global_buffer
      - .actual_access:  read_only
        .address_space:  global
        .offset:         112
        .size:           8
        .value_kind:     global_buffer
      - .offset:         120
        .size:           4
        .value_kind:     by_value
      - .address_space:  global
        .offset:         128
        .size:           8
        .value_kind:     global_buffer
      - .address_space:  global
        .offset:         136
        .size:           8
        .value_kind:     global_buffer
      - .offset:         144
        .size:           4
        .value_kind:     hidden_block_count_x
      - .offset:         148
        .size:           4
        .value_kind:     hidden_block_count_y
      - .offset:         152
        .size:           4
        .value_kind:     hidden_block_count_z
      - .offset:         156
        .size:           2
        .value_kind:     hidden_group_size_x
      - .offset:         158
        .size:           2
        .value_kind:     hidden_group_size_y
      - .offset:         160
        .size:           2
        .value_kind:     hidden_group_size_z
      - .offset:         162
        .size:           2
        .value_kind:     hidden_remainder_x
      - .offset:         164
        .size:           2
        .value_kind:     hidden_remainder_y
      - .offset:         166
        .size:           2
        .value_kind:     hidden_remainder_z
      - .offset:         184
        .size:           8
        .value_kind:     hidden_global_offset_x
      - .offset:         192
        .size:           8
        .value_kind:     hidden_global_offset_y
      - .offset:         200
        .size:           8
        .value_kind:     hidden_global_offset_z
      - .offset:         208
        .size:           2
        .value_kind:     hidden_grid_dims
      - .offset:         224
        .size:           8
        .value_kind:     hidden_hostcall_buffer
    .group_segment_fixed_size: 0
    .kernarg_segment_align: 8
    .kernarg_segment_size: 400
    .language:       OpenCL C
    .language_version:
      - 2
      - 0
    .max_flat_workgroup_size: 256
    .name:           _Z38paged_attention_ll4mi_QKV_mfma4_kernelIDF16_DF16_LN4vllm18Fp8KVCacheDataTypeE0EhLi32ELi128ELi256ELb0ELi4EEvPKT_PKT0_S7_ifPKiS9_S9_iPKfiiiPfSC_PS2_PT2_iSB_SB_
    .private_segment_fixed_size: 64
    .sgpr_count:     36
    .sgpr_spill_count: 0
    .symbol:         _Z38paged_attention_ll4mi_QKV_mfma4_kernelIDF16_DF16_LN4vllm18Fp8KVCacheDataTypeE0EhLi32ELi128ELi256ELb0ELi4EEvPKT_PKT0_S7_ifPKiS9_S9_iPKfiiiPfSC_PS2_PT2_iSB_SB_.kd
    .uniform_work_group_size: 1
    .uses_dynamic_stack: false
    .vgpr_count:     51
    .vgpr_spill_count: 0
    .wavefront_size: 32
  - .args:
      - .actual_access:  read_only
        .address_space:  global
        .offset:         0
        .size:           8
        .value_kind:     global_buffer
      - .actual_access:  read_only
        .address_space:  global
        .offset:         8
        .size:           8
        .value_kind:     global_buffer
      - .actual_access:  read_only
        .address_space:  global
        .offset:         16
        .size:           8
        .value_kind:     global_buffer
      - .offset:         24
        .size:           4
        .value_kind:     by_value
      - .offset:         28
        .size:           4
        .value_kind:     by_value
      - .actual_access:  read_only
        .address_space:  global
        .offset:         32
        .size:           8
        .value_kind:     global_buffer
      - .actual_access:  read_only
        .address_space:  global
        .offset:         40
        .size:           8
        .value_kind:     global_buffer
      - .actual_access:  read_only
        .address_space:  global
        .offset:         48
        .size:           8
        .value_kind:     global_buffer
      - .offset:         56
        .size:           4
        .value_kind:     by_value
      - .actual_access:  read_only
        .address_space:  global
        .offset:         64
        .size:           8
        .value_kind:     global_buffer
      - .offset:         72
        .size:           4
        .value_kind:     by_value
      - .offset:         76
        .size:           4
        .value_kind:     by_value
      - .offset:         80
        .size:           4
        .value_kind:     by_value
      - .actual_access:  read_only
        .address_space:  global
        .offset:         88
        .size:           8
        .value_kind:     global_buffer
      - .actual_access:  read_only
        .address_space:  global
        .offset:         96
        .size:           8
        .value_kind:     global_buffer
      - .actual_access:  read_only
        .address_space:  global
        .offset:         104
        .size:           8
        .value_kind:     global_buffer
      - .actual_access:  read_only
        .address_space:  global
        .offset:         112
        .size:           8
        .value_kind:     global_buffer
      - .offset:         120
        .size:           4
        .value_kind:     by_value
      - .address_space:  global
        .offset:         128
        .size:           8
        .value_kind:     global_buffer
      - .address_space:  global
        .offset:         136
        .size:           8
        .value_kind:     global_buffer
      - .offset:         144
        .size:           4
        .value_kind:     hidden_block_count_x
      - .offset:         148
        .size:           4
        .value_kind:     hidden_block_count_y
      - .offset:         152
        .size:           4
        .value_kind:     hidden_block_count_z
      - .offset:         156
        .size:           2
        .value_kind:     hidden_group_size_x
      - .offset:         158
        .size:           2
        .value_kind:     hidden_group_size_y
      - .offset:         160
        .size:           2
        .value_kind:     hidden_group_size_z
      - .offset:         162
        .size:           2
        .value_kind:     hidden_remainder_x
      - .offset:         164
        .size:           2
        .value_kind:     hidden_remainder_y
      - .offset:         166
        .size:           2
        .value_kind:     hidden_remainder_z
      - .offset:         184
        .size:           8
        .value_kind:     hidden_global_offset_x
      - .offset:         192
        .size:           8
        .value_kind:     hidden_global_offset_y
      - .offset:         200
        .size:           8
        .value_kind:     hidden_global_offset_z
      - .offset:         208
        .size:           2
        .value_kind:     hidden_grid_dims
      - .offset:         224
        .size:           8
        .value_kind:     hidden_hostcall_buffer
    .group_segment_fixed_size: 0
    .kernarg_segment_align: 8
    .kernarg_segment_size: 400
    .language:       OpenCL C
    .language_version:
      - 2
      - 0
    .max_flat_workgroup_size: 256
    .name:           _Z39paged_attention_ll4mi_QKV_mfma16_kernelIDF16_DF16_LN4vllm18Fp8KVCacheDataTypeE0EhLi32ELi128ELi256ELb0ELi5EEvPKT_PKT0_S7_ifPKiS9_S9_iPKfiiiPfSC_PS2_PT2_iSB_SB_
    .private_segment_fixed_size: 64
    .sgpr_count:     36
    .sgpr_spill_count: 0
    .symbol:         _Z39paged_attention_ll4mi_QKV_mfma16_kernelIDF16_DF16_LN4vllm18Fp8KVCacheDataTypeE0EhLi32ELi128ELi256ELb0ELi5EEvPKT_PKT0_S7_ifPKiS9_S9_iPKfiiiPfSC_PS2_PT2_iSB_SB_.kd
    .uniform_work_group_size: 1
    .uses_dynamic_stack: false
    .vgpr_count:     51
    .vgpr_spill_count: 0
    .wavefront_size: 32
  - .args:
      - .actual_access:  read_only
        .address_space:  global
        .offset:         0
        .size:           8
        .value_kind:     global_buffer
      - .actual_access:  read_only
        .address_space:  global
        .offset:         8
        .size:           8
        .value_kind:     global_buffer
      - .actual_access:  read_only
        .address_space:  global
        .offset:         16
        .size:           8
        .value_kind:     global_buffer
      - .offset:         24
        .size:           4
        .value_kind:     by_value
      - .offset:         28
        .size:           4
        .value_kind:     by_value
      - .actual_access:  read_only
        .address_space:  global
        .offset:         32
        .size:           8
        .value_kind:     global_buffer
      - .actual_access:  read_only
        .address_space:  global
        .offset:         40
        .size:           8
        .value_kind:     global_buffer
      - .actual_access:  read_only
        .address_space:  global
        .offset:         48
        .size:           8
        .value_kind:     global_buffer
      - .offset:         56
        .size:           4
        .value_kind:     by_value
      - .actual_access:  read_only
        .address_space:  global
        .offset:         64
        .size:           8
        .value_kind:     global_buffer
      - .offset:         72
        .size:           4
        .value_kind:     by_value
      - .offset:         76
        .size:           4
        .value_kind:     by_value
      - .offset:         80
        .size:           4
        .value_kind:     by_value
      - .actual_access:  read_only
        .address_space:  global
        .offset:         88
        .size:           8
        .value_kind:     global_buffer
      - .actual_access:  read_only
        .address_space:  global
        .offset:         96
        .size:           8
        .value_kind:     global_buffer
      - .actual_access:  read_only
        .address_space:  global
        .offset:         104
        .size:           8
        .value_kind:     global_buffer
      - .actual_access:  read_only
        .address_space:  global
        .offset:         112
        .size:           8
        .value_kind:     global_buffer
      - .offset:         120
        .size:           4
        .value_kind:     by_value
      - .address_space:  global
        .offset:         128
        .size:           8
        .value_kind:     global_buffer
      - .address_space:  global
        .offset:         136
        .size:           8
        .value_kind:     global_buffer
      - .offset:         144
        .size:           4
        .value_kind:     hidden_block_count_x
      - .offset:         148
        .size:           4
        .value_kind:     hidden_block_count_y
      - .offset:         152
        .size:           4
        .value_kind:     hidden_block_count_z
      - .offset:         156
        .size:           2
        .value_kind:     hidden_group_size_x
      - .offset:         158
        .size:           2
        .value_kind:     hidden_group_size_y
      - .offset:         160
        .size:           2
        .value_kind:     hidden_group_size_z
      - .offset:         162
        .size:           2
        .value_kind:     hidden_remainder_x
      - .offset:         164
        .size:           2
        .value_kind:     hidden_remainder_y
      - .offset:         166
        .size:           2
        .value_kind:     hidden_remainder_z
      - .offset:         184
        .size:           8
        .value_kind:     hidden_global_offset_x
      - .offset:         192
        .size:           8
        .value_kind:     hidden_global_offset_y
      - .offset:         200
        .size:           8
        .value_kind:     hidden_global_offset_z
      - .offset:         208
        .size:           2
        .value_kind:     hidden_grid_dims
      - .offset:         224
        .size:           8
        .value_kind:     hidden_hostcall_buffer
    .group_segment_fixed_size: 0
    .kernarg_segment_align: 8
    .kernarg_segment_size: 400
    .language:       OpenCL C
    .language_version:
      - 2
      - 0
    .max_flat_workgroup_size: 256
    .name:           _Z39paged_attention_ll4mi_QKV_mfma16_kernelIDF16_DF16_LN4vllm18Fp8KVCacheDataTypeE0EhLi32ELi128ELi256ELb0ELi6EEvPKT_PKT0_S7_ifPKiS9_S9_iPKfiiiPfSC_PS2_PT2_iSB_SB_
    .private_segment_fixed_size: 64
    .sgpr_count:     36
    .sgpr_spill_count: 0
    .symbol:         _Z39paged_attention_ll4mi_QKV_mfma16_kernelIDF16_DF16_LN4vllm18Fp8KVCacheDataTypeE0EhLi32ELi128ELi256ELb0ELi6EEvPKT_PKT0_S7_ifPKiS9_S9_iPKfiiiPfSC_PS2_PT2_iSB_SB_.kd
    .uniform_work_group_size: 1
    .uses_dynamic_stack: false
    .vgpr_count:     51
    .vgpr_spill_count: 0
    .wavefront_size: 32
  - .args:
      - .actual_access:  read_only
        .address_space:  global
        .offset:         0
        .size:           8
        .value_kind:     global_buffer
      - .actual_access:  read_only
        .address_space:  global
        .offset:         8
        .size:           8
        .value_kind:     global_buffer
      - .actual_access:  read_only
        .address_space:  global
        .offset:         16
        .size:           8
        .value_kind:     global_buffer
      - .offset:         24
        .size:           4
        .value_kind:     by_value
      - .offset:         28
        .size:           4
        .value_kind:     by_value
      - .actual_access:  read_only
        .address_space:  global
        .offset:         32
        .size:           8
        .value_kind:     global_buffer
      - .actual_access:  read_only
        .address_space:  global
        .offset:         40
        .size:           8
        .value_kind:     global_buffer
      - .actual_access:  read_only
        .address_space:  global
        .offset:         48
        .size:           8
        .value_kind:     global_buffer
      - .offset:         56
        .size:           4
        .value_kind:     by_value
      - .actual_access:  read_only
        .address_space:  global
        .offset:         64
        .size:           8
        .value_kind:     global_buffer
      - .offset:         72
        .size:           4
        .value_kind:     by_value
      - .offset:         76
        .size:           4
        .value_kind:     by_value
      - .offset:         80
        .size:           4
        .value_kind:     by_value
      - .actual_access:  read_only
        .address_space:  global
        .offset:         88
        .size:           8
        .value_kind:     global_buffer
      - .actual_access:  read_only
        .address_space:  global
        .offset:         96
        .size:           8
        .value_kind:     global_buffer
      - .actual_access:  read_only
        .address_space:  global
        .offset:         104
        .size:           8
        .value_kind:     global_buffer
      - .actual_access:  read_only
        .address_space:  global
        .offset:         112
        .size:           8
        .value_kind:     global_buffer
      - .offset:         120
        .size:           4
        .value_kind:     by_value
      - .address_space:  global
        .offset:         128
        .size:           8
        .value_kind:     global_buffer
      - .address_space:  global
        .offset:         136
        .size:           8
        .value_kind:     global_buffer
      - .offset:         144
        .size:           4
        .value_kind:     hidden_block_count_x
      - .offset:         148
        .size:           4
        .value_kind:     hidden_block_count_y
      - .offset:         152
        .size:           4
        .value_kind:     hidden_block_count_z
      - .offset:         156
        .size:           2
        .value_kind:     hidden_group_size_x
      - .offset:         158
        .size:           2
        .value_kind:     hidden_group_size_y
      - .offset:         160
        .size:           2
        .value_kind:     hidden_group_size_z
      - .offset:         162
        .size:           2
        .value_kind:     hidden_remainder_x
      - .offset:         164
        .size:           2
        .value_kind:     hidden_remainder_y
      - .offset:         166
        .size:           2
        .value_kind:     hidden_remainder_z
      - .offset:         184
        .size:           8
        .value_kind:     hidden_global_offset_x
      - .offset:         192
        .size:           8
        .value_kind:     hidden_global_offset_y
      - .offset:         200
        .size:           8
        .value_kind:     hidden_global_offset_z
      - .offset:         208
        .size:           2
        .value_kind:     hidden_grid_dims
      - .offset:         224
        .size:           8
        .value_kind:     hidden_hostcall_buffer
    .group_segment_fixed_size: 0
    .kernarg_segment_align: 8
    .kernarg_segment_size: 400
    .language:       OpenCL C
    .language_version:
      - 2
      - 0
    .max_flat_workgroup_size: 256
    .name:           _Z39paged_attention_ll4mi_QKV_mfma16_kernelIDF16_DF16_LN4vllm18Fp8KVCacheDataTypeE0EhLi32ELi128ELi256ELb0ELi7EEvPKT_PKT0_S7_ifPKiS9_S9_iPKfiiiPfSC_PS2_PT2_iSB_SB_
    .private_segment_fixed_size: 64
    .sgpr_count:     36
    .sgpr_spill_count: 0
    .symbol:         _Z39paged_attention_ll4mi_QKV_mfma16_kernelIDF16_DF16_LN4vllm18Fp8KVCacheDataTypeE0EhLi32ELi128ELi256ELb0ELi7EEvPKT_PKT0_S7_ifPKiS9_S9_iPKfiiiPfSC_PS2_PT2_iSB_SB_.kd
    .uniform_work_group_size: 1
    .uses_dynamic_stack: false
    .vgpr_count:     51
    .vgpr_spill_count: 0
    .wavefront_size: 32
  - .args:
      - .actual_access:  read_only
        .address_space:  global
        .offset:         0
        .size:           8
        .value_kind:     global_buffer
      - .actual_access:  read_only
        .address_space:  global
        .offset:         8
        .size:           8
        .value_kind:     global_buffer
      - .actual_access:  read_only
        .address_space:  global
        .offset:         16
        .size:           8
        .value_kind:     global_buffer
      - .offset:         24
        .size:           4
        .value_kind:     by_value
      - .offset:         28
        .size:           4
        .value_kind:     by_value
      - .actual_access:  read_only
        .address_space:  global
        .offset:         32
        .size:           8
        .value_kind:     global_buffer
      - .actual_access:  read_only
        .address_space:  global
        .offset:         40
        .size:           8
        .value_kind:     global_buffer
      - .actual_access:  read_only
        .address_space:  global
        .offset:         48
        .size:           8
        .value_kind:     global_buffer
      - .offset:         56
        .size:           4
        .value_kind:     by_value
      - .actual_access:  read_only
        .address_space:  global
        .offset:         64
        .size:           8
        .value_kind:     global_buffer
      - .offset:         72
        .size:           4
        .value_kind:     by_value
      - .offset:         76
        .size:           4
        .value_kind:     by_value
      - .offset:         80
        .size:           4
        .value_kind:     by_value
      - .actual_access:  read_only
        .address_space:  global
        .offset:         88
        .size:           8
        .value_kind:     global_buffer
      - .actual_access:  read_only
        .address_space:  global
        .offset:         96
        .size:           8
        .value_kind:     global_buffer
      - .actual_access:  read_only
        .address_space:  global
        .offset:         104
        .size:           8
        .value_kind:     global_buffer
      - .actual_access:  read_only
        .address_space:  global
        .offset:         112
        .size:           8
        .value_kind:     global_buffer
      - .offset:         120
        .size:           4
        .value_kind:     by_value
      - .address_space:  global
        .offset:         128
        .size:           8
        .value_kind:     global_buffer
      - .address_space:  global
        .offset:         136
        .size:           8
        .value_kind:     global_buffer
      - .offset:         144
        .size:           4
        .value_kind:     hidden_block_count_x
      - .offset:         148
        .size:           4
        .value_kind:     hidden_block_count_y
      - .offset:         152
        .size:           4
        .value_kind:     hidden_block_count_z
      - .offset:         156
        .size:           2
        .value_kind:     hidden_group_size_x
      - .offset:         158
        .size:           2
        .value_kind:     hidden_group_size_y
      - .offset:         160
        .size:           2
        .value_kind:     hidden_group_size_z
      - .offset:         162
        .size:           2
        .value_kind:     hidden_remainder_x
      - .offset:         164
        .size:           2
        .value_kind:     hidden_remainder_y
      - .offset:         166
        .size:           2
        .value_kind:     hidden_remainder_z
      - .offset:         184
        .size:           8
        .value_kind:     hidden_global_offset_x
      - .offset:         192
        .size:           8
        .value_kind:     hidden_global_offset_y
      - .offset:         200
        .size:           8
        .value_kind:     hidden_global_offset_z
      - .offset:         208
        .size:           2
        .value_kind:     hidden_grid_dims
      - .offset:         224
        .size:           8
        .value_kind:     hidden_hostcall_buffer
    .group_segment_fixed_size: 0
    .kernarg_segment_align: 8
    .kernarg_segment_size: 400
    .language:       OpenCL C
    .language_version:
      - 2
      - 0
    .max_flat_workgroup_size: 256
    .name:           _Z39paged_attention_ll4mi_QKV_mfma16_kernelIDF16_DF16_LN4vllm18Fp8KVCacheDataTypeE0EhLi32ELi128ELi256ELb0ELi8EEvPKT_PKT0_S7_ifPKiS9_S9_iPKfiiiPfSC_PS2_PT2_iSB_SB_
    .private_segment_fixed_size: 64
    .sgpr_count:     36
    .sgpr_spill_count: 0
    .symbol:         _Z39paged_attention_ll4mi_QKV_mfma16_kernelIDF16_DF16_LN4vllm18Fp8KVCacheDataTypeE0EhLi32ELi128ELi256ELb0ELi8EEvPKT_PKT0_S7_ifPKiS9_S9_iPKfiiiPfSC_PS2_PT2_iSB_SB_.kd
    .uniform_work_group_size: 1
    .uses_dynamic_stack: false
    .vgpr_count:     51
    .vgpr_spill_count: 0
    .wavefront_size: 32
  - .args:
      - .actual_access:  read_only
        .address_space:  global
        .offset:         0
        .size:           8
        .value_kind:     global_buffer
      - .actual_access:  read_only
        .address_space:  global
        .offset:         8
        .size:           8
        .value_kind:     global_buffer
      - .actual_access:  read_only
        .address_space:  global
        .offset:         16
        .size:           8
        .value_kind:     global_buffer
      - .offset:         24
        .size:           4
        .value_kind:     by_value
      - .offset:         28
        .size:           4
        .value_kind:     by_value
      - .actual_access:  read_only
        .address_space:  global
        .offset:         32
        .size:           8
        .value_kind:     global_buffer
      - .actual_access:  read_only
        .address_space:  global
        .offset:         40
        .size:           8
        .value_kind:     global_buffer
      - .actual_access:  read_only
        .address_space:  global
        .offset:         48
        .size:           8
        .value_kind:     global_buffer
      - .offset:         56
        .size:           4
        .value_kind:     by_value
      - .actual_access:  read_only
        .address_space:  global
        .offset:         64
        .size:           8
        .value_kind:     global_buffer
      - .offset:         72
        .size:           4
        .value_kind:     by_value
      - .offset:         76
        .size:           4
        .value_kind:     by_value
      - .offset:         80
        .size:           4
        .value_kind:     by_value
      - .actual_access:  read_only
        .address_space:  global
        .offset:         88
        .size:           8
        .value_kind:     global_buffer
      - .actual_access:  read_only
        .address_space:  global
        .offset:         96
        .size:           8
        .value_kind:     global_buffer
      - .actual_access:  read_only
        .address_space:  global
        .offset:         104
        .size:           8
        .value_kind:     global_buffer
      - .actual_access:  read_only
        .address_space:  global
        .offset:         112
        .size:           8
        .value_kind:     global_buffer
      - .offset:         120
        .size:           4
        .value_kind:     by_value
      - .address_space:  global
        .offset:         128
        .size:           8
        .value_kind:     global_buffer
      - .address_space:  global
        .offset:         136
        .size:           8
        .value_kind:     global_buffer
      - .offset:         144
        .size:           4
        .value_kind:     hidden_block_count_x
      - .offset:         148
        .size:           4
        .value_kind:     hidden_block_count_y
      - .offset:         152
        .size:           4
        .value_kind:     hidden_block_count_z
      - .offset:         156
        .size:           2
        .value_kind:     hidden_group_size_x
      - .offset:         158
        .size:           2
        .value_kind:     hidden_group_size_y
      - .offset:         160
        .size:           2
        .value_kind:     hidden_group_size_z
      - .offset:         162
        .size:           2
        .value_kind:     hidden_remainder_x
      - .offset:         164
        .size:           2
        .value_kind:     hidden_remainder_y
      - .offset:         166
        .size:           2
        .value_kind:     hidden_remainder_z
      - .offset:         184
        .size:           8
        .value_kind:     hidden_global_offset_x
      - .offset:         192
        .size:           8
        .value_kind:     hidden_global_offset_y
      - .offset:         200
        .size:           8
        .value_kind:     hidden_global_offset_z
      - .offset:         208
        .size:           2
        .value_kind:     hidden_grid_dims
      - .offset:         224
        .size:           8
        .value_kind:     hidden_hostcall_buffer
    .group_segment_fixed_size: 0
    .kernarg_segment_align: 8
    .kernarg_segment_size: 400
    .language:       OpenCL C
    .language_version:
      - 2
      - 0
    .max_flat_workgroup_size: 256
    .name:           _Z39paged_attention_ll4mi_QKV_mfma16_kernelIDF16_DF16_LN4vllm18Fp8KVCacheDataTypeE0EhLi32ELi128ELi256ELb0ELi9EEvPKT_PKT0_S7_ifPKiS9_S9_iPKfiiiPfSC_PS2_PT2_iSB_SB_
    .private_segment_fixed_size: 64
    .sgpr_count:     36
    .sgpr_spill_count: 0
    .symbol:         _Z39paged_attention_ll4mi_QKV_mfma16_kernelIDF16_DF16_LN4vllm18Fp8KVCacheDataTypeE0EhLi32ELi128ELi256ELb0ELi9EEvPKT_PKT0_S7_ifPKiS9_S9_iPKfiiiPfSC_PS2_PT2_iSB_SB_.kd
    .uniform_work_group_size: 1
    .uses_dynamic_stack: false
    .vgpr_count:     51
    .vgpr_spill_count: 0
    .wavefront_size: 32
  - .args:
      - .actual_access:  read_only
        .address_space:  global
        .offset:         0
        .size:           8
        .value_kind:     global_buffer
      - .actual_access:  read_only
        .address_space:  global
        .offset:         8
        .size:           8
        .value_kind:     global_buffer
      - .actual_access:  read_only
        .address_space:  global
        .offset:         16
        .size:           8
        .value_kind:     global_buffer
      - .offset:         24
        .size:           4
        .value_kind:     by_value
      - .offset:         28
        .size:           4
        .value_kind:     by_value
      - .actual_access:  read_only
        .address_space:  global
        .offset:         32
        .size:           8
        .value_kind:     global_buffer
      - .actual_access:  read_only
        .address_space:  global
        .offset:         40
        .size:           8
        .value_kind:     global_buffer
      - .actual_access:  read_only
        .address_space:  global
        .offset:         48
        .size:           8
        .value_kind:     global_buffer
      - .offset:         56
        .size:           4
        .value_kind:     by_value
      - .actual_access:  read_only
        .address_space:  global
        .offset:         64
        .size:           8
        .value_kind:     global_buffer
      - .offset:         72
        .size:           4
        .value_kind:     by_value
      - .offset:         76
        .size:           4
        .value_kind:     by_value
      - .offset:         80
        .size:           4
        .value_kind:     by_value
      - .actual_access:  read_only
        .address_space:  global
        .offset:         88
        .size:           8
        .value_kind:     global_buffer
      - .actual_access:  read_only
        .address_space:  global
        .offset:         96
        .size:           8
        .value_kind:     global_buffer
      - .actual_access:  read_only
        .address_space:  global
        .offset:         104
        .size:           8
        .value_kind:     global_buffer
      - .actual_access:  read_only
        .address_space:  global
        .offset:         112
        .size:           8
        .value_kind:     global_buffer
      - .offset:         120
        .size:           4
        .value_kind:     by_value
      - .address_space:  global
        .offset:         128
        .size:           8
        .value_kind:     global_buffer
      - .address_space:  global
        .offset:         136
        .size:           8
        .value_kind:     global_buffer
      - .offset:         144
        .size:           4
        .value_kind:     hidden_block_count_x
      - .offset:         148
        .size:           4
        .value_kind:     hidden_block_count_y
      - .offset:         152
        .size:           4
        .value_kind:     hidden_block_count_z
      - .offset:         156
        .size:           2
        .value_kind:     hidden_group_size_x
      - .offset:         158
        .size:           2
        .value_kind:     hidden_group_size_y
      - .offset:         160
        .size:           2
        .value_kind:     hidden_group_size_z
      - .offset:         162
        .size:           2
        .value_kind:     hidden_remainder_x
      - .offset:         164
        .size:           2
        .value_kind:     hidden_remainder_y
      - .offset:         166
        .size:           2
        .value_kind:     hidden_remainder_z
      - .offset:         184
        .size:           8
        .value_kind:     hidden_global_offset_x
      - .offset:         192
        .size:           8
        .value_kind:     hidden_global_offset_y
      - .offset:         200
        .size:           8
        .value_kind:     hidden_global_offset_z
      - .offset:         208
        .size:           2
        .value_kind:     hidden_grid_dims
      - .offset:         224
        .size:           8
        .value_kind:     hidden_hostcall_buffer
    .group_segment_fixed_size: 0
    .kernarg_segment_align: 8
    .kernarg_segment_size: 400
    .language:       OpenCL C
    .language_version:
      - 2
      - 0
    .max_flat_workgroup_size: 256
    .name:           _Z39paged_attention_ll4mi_QKV_mfma16_kernelIDF16_DF16_LN4vllm18Fp8KVCacheDataTypeE0EhLi32ELi128ELi256ELb0ELi10EEvPKT_PKT0_S7_ifPKiS9_S9_iPKfiiiPfSC_PS2_PT2_iSB_SB_
    .private_segment_fixed_size: 64
    .sgpr_count:     36
    .sgpr_spill_count: 0
    .symbol:         _Z39paged_attention_ll4mi_QKV_mfma16_kernelIDF16_DF16_LN4vllm18Fp8KVCacheDataTypeE0EhLi32ELi128ELi256ELb0ELi10EEvPKT_PKT0_S7_ifPKiS9_S9_iPKfiiiPfSC_PS2_PT2_iSB_SB_.kd
    .uniform_work_group_size: 1
    .uses_dynamic_stack: false
    .vgpr_count:     51
    .vgpr_spill_count: 0
    .wavefront_size: 32
  - .args:
      - .actual_access:  read_only
        .address_space:  global
        .offset:         0
        .size:           8
        .value_kind:     global_buffer
      - .actual_access:  read_only
        .address_space:  global
        .offset:         8
        .size:           8
        .value_kind:     global_buffer
      - .actual_access:  read_only
        .address_space:  global
        .offset:         16
        .size:           8
        .value_kind:     global_buffer
      - .offset:         24
        .size:           4
        .value_kind:     by_value
      - .offset:         28
        .size:           4
        .value_kind:     by_value
      - .actual_access:  read_only
        .address_space:  global
        .offset:         32
        .size:           8
        .value_kind:     global_buffer
      - .actual_access:  read_only
        .address_space:  global
        .offset:         40
        .size:           8
        .value_kind:     global_buffer
      - .actual_access:  read_only
        .address_space:  global
        .offset:         48
        .size:           8
        .value_kind:     global_buffer
      - .offset:         56
        .size:           4
        .value_kind:     by_value
      - .actual_access:  read_only
        .address_space:  global
        .offset:         64
        .size:           8
        .value_kind:     global_buffer
      - .offset:         72
        .size:           4
        .value_kind:     by_value
      - .offset:         76
        .size:           4
        .value_kind:     by_value
      - .offset:         80
        .size:           4
        .value_kind:     by_value
      - .actual_access:  read_only
        .address_space:  global
        .offset:         88
        .size:           8
        .value_kind:     global_buffer
      - .actual_access:  read_only
        .address_space:  global
        .offset:         96
        .size:           8
        .value_kind:     global_buffer
      - .actual_access:  read_only
        .address_space:  global
        .offset:         104
        .size:           8
        .value_kind:     global_buffer
      - .actual_access:  read_only
        .address_space:  global
        .offset:         112
        .size:           8
        .value_kind:     global_buffer
      - .offset:         120
        .size:           4
        .value_kind:     by_value
      - .address_space:  global
        .offset:         128
        .size:           8
        .value_kind:     global_buffer
      - .address_space:  global
        .offset:         136
        .size:           8
        .value_kind:     global_buffer
      - .offset:         144
        .size:           4
        .value_kind:     hidden_block_count_x
      - .offset:         148
        .size:           4
        .value_kind:     hidden_block_count_y
      - .offset:         152
        .size:           4
        .value_kind:     hidden_block_count_z
      - .offset:         156
        .size:           2
        .value_kind:     hidden_group_size_x
      - .offset:         158
        .size:           2
        .value_kind:     hidden_group_size_y
      - .offset:         160
        .size:           2
        .value_kind:     hidden_group_size_z
      - .offset:         162
        .size:           2
        .value_kind:     hidden_remainder_x
      - .offset:         164
        .size:           2
        .value_kind:     hidden_remainder_y
      - .offset:         166
        .size:           2
        .value_kind:     hidden_remainder_z
      - .offset:         184
        .size:           8
        .value_kind:     hidden_global_offset_x
      - .offset:         192
        .size:           8
        .value_kind:     hidden_global_offset_y
      - .offset:         200
        .size:           8
        .value_kind:     hidden_global_offset_z
      - .offset:         208
        .size:           2
        .value_kind:     hidden_grid_dims
      - .offset:         224
        .size:           8
        .value_kind:     hidden_hostcall_buffer
    .group_segment_fixed_size: 0
    .kernarg_segment_align: 8
    .kernarg_segment_size: 400
    .language:       OpenCL C
    .language_version:
      - 2
      - 0
    .max_flat_workgroup_size: 256
    .name:           _Z39paged_attention_ll4mi_QKV_mfma16_kernelIDF16_DF16_LN4vllm18Fp8KVCacheDataTypeE0EhLi32ELi128ELi256ELb0ELi11EEvPKT_PKT0_S7_ifPKiS9_S9_iPKfiiiPfSC_PS2_PT2_iSB_SB_
    .private_segment_fixed_size: 64
    .sgpr_count:     36
    .sgpr_spill_count: 0
    .symbol:         _Z39paged_attention_ll4mi_QKV_mfma16_kernelIDF16_DF16_LN4vllm18Fp8KVCacheDataTypeE0EhLi32ELi128ELi256ELb0ELi11EEvPKT_PKT0_S7_ifPKiS9_S9_iPKfiiiPfSC_PS2_PT2_iSB_SB_.kd
    .uniform_work_group_size: 1
    .uses_dynamic_stack: false
    .vgpr_count:     51
    .vgpr_spill_count: 0
    .wavefront_size: 32
  - .args:
      - .actual_access:  read_only
        .address_space:  global
        .offset:         0
        .size:           8
        .value_kind:     global_buffer
      - .actual_access:  read_only
        .address_space:  global
        .offset:         8
        .size:           8
        .value_kind:     global_buffer
      - .actual_access:  read_only
        .address_space:  global
        .offset:         16
        .size:           8
        .value_kind:     global_buffer
      - .offset:         24
        .size:           4
        .value_kind:     by_value
      - .offset:         28
        .size:           4
        .value_kind:     by_value
      - .actual_access:  read_only
        .address_space:  global
        .offset:         32
        .size:           8
        .value_kind:     global_buffer
      - .actual_access:  read_only
        .address_space:  global
        .offset:         40
        .size:           8
        .value_kind:     global_buffer
      - .actual_access:  read_only
        .address_space:  global
        .offset:         48
        .size:           8
        .value_kind:     global_buffer
      - .offset:         56
        .size:           4
        .value_kind:     by_value
      - .actual_access:  read_only
        .address_space:  global
        .offset:         64
        .size:           8
        .value_kind:     global_buffer
      - .offset:         72
        .size:           4
        .value_kind:     by_value
      - .offset:         76
        .size:           4
        .value_kind:     by_value
      - .offset:         80
        .size:           4
        .value_kind:     by_value
      - .actual_access:  read_only
        .address_space:  global
        .offset:         88
        .size:           8
        .value_kind:     global_buffer
      - .actual_access:  read_only
        .address_space:  global
        .offset:         96
        .size:           8
        .value_kind:     global_buffer
      - .actual_access:  read_only
        .address_space:  global
        .offset:         104
        .size:           8
        .value_kind:     global_buffer
      - .actual_access:  read_only
        .address_space:  global
        .offset:         112
        .size:           8
        .value_kind:     global_buffer
      - .offset:         120
        .size:           4
        .value_kind:     by_value
      - .address_space:  global
        .offset:         128
        .size:           8
        .value_kind:     global_buffer
      - .address_space:  global
        .offset:         136
        .size:           8
        .value_kind:     global_buffer
      - .offset:         144
        .size:           4
        .value_kind:     hidden_block_count_x
      - .offset:         148
        .size:           4
        .value_kind:     hidden_block_count_y
      - .offset:         152
        .size:           4
        .value_kind:     hidden_block_count_z
      - .offset:         156
        .size:           2
        .value_kind:     hidden_group_size_x
      - .offset:         158
        .size:           2
        .value_kind:     hidden_group_size_y
      - .offset:         160
        .size:           2
        .value_kind:     hidden_group_size_z
      - .offset:         162
        .size:           2
        .value_kind:     hidden_remainder_x
      - .offset:         164
        .size:           2
        .value_kind:     hidden_remainder_y
      - .offset:         166
        .size:           2
        .value_kind:     hidden_remainder_z
      - .offset:         184
        .size:           8
        .value_kind:     hidden_global_offset_x
      - .offset:         192
        .size:           8
        .value_kind:     hidden_global_offset_y
      - .offset:         200
        .size:           8
        .value_kind:     hidden_global_offset_z
      - .offset:         208
        .size:           2
        .value_kind:     hidden_grid_dims
      - .offset:         224
        .size:           8
        .value_kind:     hidden_hostcall_buffer
    .group_segment_fixed_size: 0
    .kernarg_segment_align: 8
    .kernarg_segment_size: 400
    .language:       OpenCL C
    .language_version:
      - 2
      - 0
    .max_flat_workgroup_size: 256
    .name:           _Z39paged_attention_ll4mi_QKV_mfma16_kernelIDF16_DF16_LN4vllm18Fp8KVCacheDataTypeE0EhLi32ELi128ELi256ELb0ELi12EEvPKT_PKT0_S7_ifPKiS9_S9_iPKfiiiPfSC_PS2_PT2_iSB_SB_
    .private_segment_fixed_size: 64
    .sgpr_count:     36
    .sgpr_spill_count: 0
    .symbol:         _Z39paged_attention_ll4mi_QKV_mfma16_kernelIDF16_DF16_LN4vllm18Fp8KVCacheDataTypeE0EhLi32ELi128ELi256ELb0ELi12EEvPKT_PKT0_S7_ifPKiS9_S9_iPKfiiiPfSC_PS2_PT2_iSB_SB_.kd
    .uniform_work_group_size: 1
    .uses_dynamic_stack: false
    .vgpr_count:     51
    .vgpr_spill_count: 0
    .wavefront_size: 32
  - .args:
      - .actual_access:  read_only
        .address_space:  global
        .offset:         0
        .size:           8
        .value_kind:     global_buffer
      - .actual_access:  read_only
        .address_space:  global
        .offset:         8
        .size:           8
        .value_kind:     global_buffer
      - .actual_access:  read_only
        .address_space:  global
        .offset:         16
        .size:           8
        .value_kind:     global_buffer
      - .offset:         24
        .size:           4
        .value_kind:     by_value
      - .offset:         28
        .size:           4
        .value_kind:     by_value
      - .actual_access:  read_only
        .address_space:  global
        .offset:         32
        .size:           8
        .value_kind:     global_buffer
      - .actual_access:  read_only
        .address_space:  global
        .offset:         40
        .size:           8
        .value_kind:     global_buffer
      - .actual_access:  read_only
        .address_space:  global
        .offset:         48
        .size:           8
        .value_kind:     global_buffer
      - .offset:         56
        .size:           4
        .value_kind:     by_value
      - .actual_access:  read_only
        .address_space:  global
        .offset:         64
        .size:           8
        .value_kind:     global_buffer
      - .offset:         72
        .size:           4
        .value_kind:     by_value
      - .offset:         76
        .size:           4
        .value_kind:     by_value
      - .offset:         80
        .size:           4
        .value_kind:     by_value
      - .actual_access:  read_only
        .address_space:  global
        .offset:         88
        .size:           8
        .value_kind:     global_buffer
      - .actual_access:  read_only
        .address_space:  global
        .offset:         96
        .size:           8
        .value_kind:     global_buffer
      - .actual_access:  read_only
        .address_space:  global
        .offset:         104
        .size:           8
        .value_kind:     global_buffer
      - .actual_access:  read_only
        .address_space:  global
        .offset:         112
        .size:           8
        .value_kind:     global_buffer
      - .offset:         120
        .size:           4
        .value_kind:     by_value
      - .address_space:  global
        .offset:         128
        .size:           8
        .value_kind:     global_buffer
      - .address_space:  global
        .offset:         136
        .size:           8
        .value_kind:     global_buffer
      - .offset:         144
        .size:           4
        .value_kind:     hidden_block_count_x
      - .offset:         148
        .size:           4
        .value_kind:     hidden_block_count_y
      - .offset:         152
        .size:           4
        .value_kind:     hidden_block_count_z
      - .offset:         156
        .size:           2
        .value_kind:     hidden_group_size_x
      - .offset:         158
        .size:           2
        .value_kind:     hidden_group_size_y
      - .offset:         160
        .size:           2
        .value_kind:     hidden_group_size_z
      - .offset:         162
        .size:           2
        .value_kind:     hidden_remainder_x
      - .offset:         164
        .size:           2
        .value_kind:     hidden_remainder_y
      - .offset:         166
        .size:           2
        .value_kind:     hidden_remainder_z
      - .offset:         184
        .size:           8
        .value_kind:     hidden_global_offset_x
      - .offset:         192
        .size:           8
        .value_kind:     hidden_global_offset_y
      - .offset:         200
        .size:           8
        .value_kind:     hidden_global_offset_z
      - .offset:         208
        .size:           2
        .value_kind:     hidden_grid_dims
      - .offset:         224
        .size:           8
        .value_kind:     hidden_hostcall_buffer
    .group_segment_fixed_size: 0
    .kernarg_segment_align: 8
    .kernarg_segment_size: 400
    .language:       OpenCL C
    .language_version:
      - 2
      - 0
    .max_flat_workgroup_size: 256
    .name:           _Z39paged_attention_ll4mi_QKV_mfma16_kernelIDF16_DF16_LN4vllm18Fp8KVCacheDataTypeE0EhLi32ELi128ELi256ELb0ELi13EEvPKT_PKT0_S7_ifPKiS9_S9_iPKfiiiPfSC_PS2_PT2_iSB_SB_
    .private_segment_fixed_size: 64
    .sgpr_count:     36
    .sgpr_spill_count: 0
    .symbol:         _Z39paged_attention_ll4mi_QKV_mfma16_kernelIDF16_DF16_LN4vllm18Fp8KVCacheDataTypeE0EhLi32ELi128ELi256ELb0ELi13EEvPKT_PKT0_S7_ifPKiS9_S9_iPKfiiiPfSC_PS2_PT2_iSB_SB_.kd
    .uniform_work_group_size: 1
    .uses_dynamic_stack: false
    .vgpr_count:     51
    .vgpr_spill_count: 0
    .wavefront_size: 32
  - .args:
      - .actual_access:  read_only
        .address_space:  global
        .offset:         0
        .size:           8
        .value_kind:     global_buffer
      - .actual_access:  read_only
        .address_space:  global
        .offset:         8
        .size:           8
        .value_kind:     global_buffer
      - .actual_access:  read_only
        .address_space:  global
        .offset:         16
        .size:           8
        .value_kind:     global_buffer
      - .offset:         24
        .size:           4
        .value_kind:     by_value
      - .offset:         28
        .size:           4
        .value_kind:     by_value
      - .actual_access:  read_only
        .address_space:  global
        .offset:         32
        .size:           8
        .value_kind:     global_buffer
      - .actual_access:  read_only
        .address_space:  global
        .offset:         40
        .size:           8
        .value_kind:     global_buffer
      - .actual_access:  read_only
        .address_space:  global
        .offset:         48
        .size:           8
        .value_kind:     global_buffer
      - .offset:         56
        .size:           4
        .value_kind:     by_value
      - .actual_access:  read_only
        .address_space:  global
        .offset:         64
        .size:           8
        .value_kind:     global_buffer
      - .offset:         72
        .size:           4
        .value_kind:     by_value
      - .offset:         76
        .size:           4
        .value_kind:     by_value
      - .offset:         80
        .size:           4
        .value_kind:     by_value
      - .actual_access:  read_only
        .address_space:  global
        .offset:         88
        .size:           8
        .value_kind:     global_buffer
      - .actual_access:  read_only
        .address_space:  global
        .offset:         96
        .size:           8
        .value_kind:     global_buffer
      - .actual_access:  read_only
        .address_space:  global
        .offset:         104
        .size:           8
        .value_kind:     global_buffer
      - .actual_access:  read_only
        .address_space:  global
        .offset:         112
        .size:           8
        .value_kind:     global_buffer
      - .offset:         120
        .size:           4
        .value_kind:     by_value
      - .address_space:  global
        .offset:         128
        .size:           8
        .value_kind:     global_buffer
      - .address_space:  global
        .offset:         136
        .size:           8
        .value_kind:     global_buffer
      - .offset:         144
        .size:           4
        .value_kind:     hidden_block_count_x
      - .offset:         148
        .size:           4
        .value_kind:     hidden_block_count_y
      - .offset:         152
        .size:           4
        .value_kind:     hidden_block_count_z
      - .offset:         156
        .size:           2
        .value_kind:     hidden_group_size_x
      - .offset:         158
        .size:           2
        .value_kind:     hidden_group_size_y
      - .offset:         160
        .size:           2
        .value_kind:     hidden_group_size_z
      - .offset:         162
        .size:           2
        .value_kind:     hidden_remainder_x
      - .offset:         164
        .size:           2
        .value_kind:     hidden_remainder_y
      - .offset:         166
        .size:           2
        .value_kind:     hidden_remainder_z
      - .offset:         184
        .size:           8
        .value_kind:     hidden_global_offset_x
      - .offset:         192
        .size:           8
        .value_kind:     hidden_global_offset_y
      - .offset:         200
        .size:           8
        .value_kind:     hidden_global_offset_z
      - .offset:         208
        .size:           2
        .value_kind:     hidden_grid_dims
      - .offset:         224
        .size:           8
        .value_kind:     hidden_hostcall_buffer
    .group_segment_fixed_size: 0
    .kernarg_segment_align: 8
    .kernarg_segment_size: 400
    .language:       OpenCL C
    .language_version:
      - 2
      - 0
    .max_flat_workgroup_size: 256
    .name:           _Z39paged_attention_ll4mi_QKV_mfma16_kernelIDF16_DF16_LN4vllm18Fp8KVCacheDataTypeE0EhLi32ELi128ELi256ELb0ELi14EEvPKT_PKT0_S7_ifPKiS9_S9_iPKfiiiPfSC_PS2_PT2_iSB_SB_
    .private_segment_fixed_size: 64
    .sgpr_count:     36
    .sgpr_spill_count: 0
    .symbol:         _Z39paged_attention_ll4mi_QKV_mfma16_kernelIDF16_DF16_LN4vllm18Fp8KVCacheDataTypeE0EhLi32ELi128ELi256ELb0ELi14EEvPKT_PKT0_S7_ifPKiS9_S9_iPKfiiiPfSC_PS2_PT2_iSB_SB_.kd
    .uniform_work_group_size: 1
    .uses_dynamic_stack: false
    .vgpr_count:     51
    .vgpr_spill_count: 0
    .wavefront_size: 32
  - .args:
      - .actual_access:  read_only
        .address_space:  global
        .offset:         0
        .size:           8
        .value_kind:     global_buffer
      - .actual_access:  read_only
        .address_space:  global
        .offset:         8
        .size:           8
        .value_kind:     global_buffer
      - .actual_access:  read_only
        .address_space:  global
        .offset:         16
        .size:           8
        .value_kind:     global_buffer
      - .offset:         24
        .size:           4
        .value_kind:     by_value
      - .offset:         28
        .size:           4
        .value_kind:     by_value
      - .actual_access:  read_only
        .address_space:  global
        .offset:         32
        .size:           8
        .value_kind:     global_buffer
      - .actual_access:  read_only
        .address_space:  global
        .offset:         40
        .size:           8
        .value_kind:     global_buffer
      - .actual_access:  read_only
        .address_space:  global
        .offset:         48
        .size:           8
        .value_kind:     global_buffer
      - .offset:         56
        .size:           4
        .value_kind:     by_value
      - .actual_access:  read_only
        .address_space:  global
        .offset:         64
        .size:           8
        .value_kind:     global_buffer
      - .offset:         72
        .size:           4
        .value_kind:     by_value
      - .offset:         76
        .size:           4
        .value_kind:     by_value
      - .offset:         80
        .size:           4
        .value_kind:     by_value
      - .actual_access:  read_only
        .address_space:  global
        .offset:         88
        .size:           8
        .value_kind:     global_buffer
      - .actual_access:  read_only
        .address_space:  global
        .offset:         96
        .size:           8
        .value_kind:     global_buffer
      - .actual_access:  read_only
        .address_space:  global
        .offset:         104
        .size:           8
        .value_kind:     global_buffer
      - .actual_access:  read_only
        .address_space:  global
        .offset:         112
        .size:           8
        .value_kind:     global_buffer
      - .offset:         120
        .size:           4
        .value_kind:     by_value
      - .address_space:  global
        .offset:         128
        .size:           8
        .value_kind:     global_buffer
      - .address_space:  global
        .offset:         136
        .size:           8
        .value_kind:     global_buffer
      - .offset:         144
        .size:           4
        .value_kind:     hidden_block_count_x
      - .offset:         148
        .size:           4
        .value_kind:     hidden_block_count_y
      - .offset:         152
        .size:           4
        .value_kind:     hidden_block_count_z
      - .offset:         156
        .size:           2
        .value_kind:     hidden_group_size_x
      - .offset:         158
        .size:           2
        .value_kind:     hidden_group_size_y
      - .offset:         160
        .size:           2
        .value_kind:     hidden_group_size_z
      - .offset:         162
        .size:           2
        .value_kind:     hidden_remainder_x
      - .offset:         164
        .size:           2
        .value_kind:     hidden_remainder_y
      - .offset:         166
        .size:           2
        .value_kind:     hidden_remainder_z
      - .offset:         184
        .size:           8
        .value_kind:     hidden_global_offset_x
      - .offset:         192
        .size:           8
        .value_kind:     hidden_global_offset_y
      - .offset:         200
        .size:           8
        .value_kind:     hidden_global_offset_z
      - .offset:         208
        .size:           2
        .value_kind:     hidden_grid_dims
      - .offset:         224
        .size:           8
        .value_kind:     hidden_hostcall_buffer
    .group_segment_fixed_size: 0
    .kernarg_segment_align: 8
    .kernarg_segment_size: 400
    .language:       OpenCL C
    .language_version:
      - 2
      - 0
    .max_flat_workgroup_size: 256
    .name:           _Z39paged_attention_ll4mi_QKV_mfma16_kernelIDF16_DF16_LN4vllm18Fp8KVCacheDataTypeE0EhLi32ELi128ELi256ELb0ELi15EEvPKT_PKT0_S7_ifPKiS9_S9_iPKfiiiPfSC_PS2_PT2_iSB_SB_
    .private_segment_fixed_size: 64
    .sgpr_count:     36
    .sgpr_spill_count: 0
    .symbol:         _Z39paged_attention_ll4mi_QKV_mfma16_kernelIDF16_DF16_LN4vllm18Fp8KVCacheDataTypeE0EhLi32ELi128ELi256ELb0ELi15EEvPKT_PKT0_S7_ifPKiS9_S9_iPKfiiiPfSC_PS2_PT2_iSB_SB_.kd
    .uniform_work_group_size: 1
    .uses_dynamic_stack: false
    .vgpr_count:     51
    .vgpr_spill_count: 0
    .wavefront_size: 32
  - .args:
      - .actual_access:  read_only
        .address_space:  global
        .offset:         0
        .size:           8
        .value_kind:     global_buffer
      - .actual_access:  read_only
        .address_space:  global
        .offset:         8
        .size:           8
        .value_kind:     global_buffer
      - .actual_access:  read_only
        .address_space:  global
        .offset:         16
        .size:           8
        .value_kind:     global_buffer
      - .offset:         24
        .size:           4
        .value_kind:     by_value
      - .offset:         28
        .size:           4
        .value_kind:     by_value
      - .actual_access:  read_only
        .address_space:  global
        .offset:         32
        .size:           8
        .value_kind:     global_buffer
      - .actual_access:  read_only
        .address_space:  global
        .offset:         40
        .size:           8
        .value_kind:     global_buffer
      - .actual_access:  read_only
        .address_space:  global
        .offset:         48
        .size:           8
        .value_kind:     global_buffer
      - .offset:         56
        .size:           4
        .value_kind:     by_value
      - .actual_access:  read_only
        .address_space:  global
        .offset:         64
        .size:           8
        .value_kind:     global_buffer
      - .offset:         72
        .size:           4
        .value_kind:     by_value
      - .offset:         76
        .size:           4
        .value_kind:     by_value
      - .offset:         80
        .size:           4
        .value_kind:     by_value
      - .actual_access:  read_only
        .address_space:  global
        .offset:         88
        .size:           8
        .value_kind:     global_buffer
      - .actual_access:  read_only
        .address_space:  global
        .offset:         96
        .size:           8
        .value_kind:     global_buffer
      - .actual_access:  read_only
        .address_space:  global
        .offset:         104
        .size:           8
        .value_kind:     global_buffer
      - .actual_access:  read_only
        .address_space:  global
        .offset:         112
        .size:           8
        .value_kind:     global_buffer
      - .offset:         120
        .size:           4
        .value_kind:     by_value
      - .address_space:  global
        .offset:         128
        .size:           8
        .value_kind:     global_buffer
      - .address_space:  global
        .offset:         136
        .size:           8
        .value_kind:     global_buffer
      - .offset:         144
        .size:           4
        .value_kind:     hidden_block_count_x
      - .offset:         148
        .size:           4
        .value_kind:     hidden_block_count_y
      - .offset:         152
        .size:           4
        .value_kind:     hidden_block_count_z
      - .offset:         156
        .size:           2
        .value_kind:     hidden_group_size_x
      - .offset:         158
        .size:           2
        .value_kind:     hidden_group_size_y
      - .offset:         160
        .size:           2
        .value_kind:     hidden_group_size_z
      - .offset:         162
        .size:           2
        .value_kind:     hidden_remainder_x
      - .offset:         164
        .size:           2
        .value_kind:     hidden_remainder_y
      - .offset:         166
        .size:           2
        .value_kind:     hidden_remainder_z
      - .offset:         184
        .size:           8
        .value_kind:     hidden_global_offset_x
      - .offset:         192
        .size:           8
        .value_kind:     hidden_global_offset_y
      - .offset:         200
        .size:           8
        .value_kind:     hidden_global_offset_z
      - .offset:         208
        .size:           2
        .value_kind:     hidden_grid_dims
      - .offset:         224
        .size:           8
        .value_kind:     hidden_hostcall_buffer
    .group_segment_fixed_size: 0
    .kernarg_segment_align: 8
    .kernarg_segment_size: 400
    .language:       OpenCL C
    .language_version:
      - 2
      - 0
    .max_flat_workgroup_size: 256
    .name:           _Z39paged_attention_ll4mi_QKV_mfma16_kernelIDF16_DF16_LN4vllm18Fp8KVCacheDataTypeE0EhLi32ELi128ELi256ELb0ELi16EEvPKT_PKT0_S7_ifPKiS9_S9_iPKfiiiPfSC_PS2_PT2_iSB_SB_
    .private_segment_fixed_size: 64
    .sgpr_count:     36
    .sgpr_spill_count: 0
    .symbol:         _Z39paged_attention_ll4mi_QKV_mfma16_kernelIDF16_DF16_LN4vllm18Fp8KVCacheDataTypeE0EhLi32ELi128ELi256ELb0ELi16EEvPKT_PKT0_S7_ifPKiS9_S9_iPKfiiiPfSC_PS2_PT2_iSB_SB_.kd
    .uniform_work_group_size: 1
    .uses_dynamic_stack: false
    .vgpr_count:     51
    .vgpr_spill_count: 0
    .wavefront_size: 32
  - .args:
      - .actual_access:  read_only
        .address_space:  global
        .offset:         0
        .size:           8
        .value_kind:     global_buffer
      - .actual_access:  read_only
        .address_space:  global
        .offset:         8
        .size:           8
        .value_kind:     global_buffer
      - .actual_access:  read_only
        .address_space:  global
        .offset:         16
        .size:           8
        .value_kind:     global_buffer
      - .offset:         24
        .size:           4
        .value_kind:     by_value
      - .offset:         28
        .size:           4
        .value_kind:     by_value
      - .actual_access:  read_only
        .address_space:  global
        .offset:         32
        .size:           8
        .value_kind:     global_buffer
      - .actual_access:  read_only
        .address_space:  global
        .offset:         40
        .size:           8
        .value_kind:     global_buffer
      - .actual_access:  read_only
        .address_space:  global
        .offset:         48
        .size:           8
        .value_kind:     global_buffer
      - .offset:         56
        .size:           4
        .value_kind:     by_value
      - .actual_access:  read_only
        .address_space:  global
        .offset:         64
        .size:           8
        .value_kind:     global_buffer
      - .offset:         72
        .size:           4
        .value_kind:     by_value
      - .offset:         76
        .size:           4
        .value_kind:     by_value
      - .offset:         80
        .size:           4
        .value_kind:     by_value
      - .actual_access:  read_only
        .address_space:  global
        .offset:         88
        .size:           8
        .value_kind:     global_buffer
      - .actual_access:  read_only
        .address_space:  global
        .offset:         96
        .size:           8
        .value_kind:     global_buffer
      - .actual_access:  read_only
        .address_space:  global
        .offset:         104
        .size:           8
        .value_kind:     global_buffer
      - .actual_access:  read_only
        .address_space:  global
        .offset:         112
        .size:           8
        .value_kind:     global_buffer
      - .offset:         120
        .size:           4
        .value_kind:     by_value
      - .address_space:  global
        .offset:         128
        .size:           8
        .value_kind:     global_buffer
      - .address_space:  global
        .offset:         136
        .size:           8
        .value_kind:     global_buffer
      - .offset:         144
        .size:           4
        .value_kind:     hidden_block_count_x
      - .offset:         148
        .size:           4
        .value_kind:     hidden_block_count_y
      - .offset:         152
        .size:           4
        .value_kind:     hidden_block_count_z
      - .offset:         156
        .size:           2
        .value_kind:     hidden_group_size_x
      - .offset:         158
        .size:           2
        .value_kind:     hidden_group_size_y
      - .offset:         160
        .size:           2
        .value_kind:     hidden_group_size_z
      - .offset:         162
        .size:           2
        .value_kind:     hidden_remainder_x
      - .offset:         164
        .size:           2
        .value_kind:     hidden_remainder_y
      - .offset:         166
        .size:           2
        .value_kind:     hidden_remainder_z
      - .offset:         184
        .size:           8
        .value_kind:     hidden_global_offset_x
      - .offset:         192
        .size:           8
        .value_kind:     hidden_global_offset_y
      - .offset:         200
        .size:           8
        .value_kind:     hidden_global_offset_z
      - .offset:         208
        .size:           2
        .value_kind:     hidden_grid_dims
      - .offset:         224
        .size:           8
        .value_kind:     hidden_hostcall_buffer
    .group_segment_fixed_size: 0
    .kernarg_segment_align: 8
    .kernarg_segment_size: 400
    .language:       OpenCL C
    .language_version:
      - 2
      - 0
    .max_flat_workgroup_size: 256
    .name:           _Z39paged_attention_ll4mi_QKV_mfma16_kernelIDF16_DF16_LN4vllm18Fp8KVCacheDataTypeE0EhLi32ELi128ELi256ELb0ELi1EEvPKT_PKT0_S7_ifPKiS9_S9_iPKfiiiPfSC_PS2_PT2_iSB_SB_
    .private_segment_fixed_size: 64
    .sgpr_count:     36
    .sgpr_spill_count: 0
    .symbol:         _Z39paged_attention_ll4mi_QKV_mfma16_kernelIDF16_DF16_LN4vllm18Fp8KVCacheDataTypeE0EhLi32ELi128ELi256ELb0ELi1EEvPKT_PKT0_S7_ifPKiS9_S9_iPKfiiiPfSC_PS2_PT2_iSB_SB_.kd
    .uniform_work_group_size: 1
    .uses_dynamic_stack: false
    .vgpr_count:     51
    .vgpr_spill_count: 0
    .wavefront_size: 32
  - .args:
      - .actual_access:  read_only
        .address_space:  global
        .offset:         0
        .size:           8
        .value_kind:     global_buffer
      - .actual_access:  read_only
        .address_space:  global
        .offset:         8
        .size:           8
        .value_kind:     global_buffer
      - .actual_access:  read_only
        .address_space:  global
        .offset:         16
        .size:           8
        .value_kind:     global_buffer
      - .offset:         24
        .size:           4
        .value_kind:     by_value
      - .offset:         28
        .size:           4
        .value_kind:     by_value
      - .actual_access:  read_only
        .address_space:  global
        .offset:         32
        .size:           8
        .value_kind:     global_buffer
      - .actual_access:  read_only
        .address_space:  global
        .offset:         40
        .size:           8
        .value_kind:     global_buffer
      - .actual_access:  read_only
        .address_space:  global
        .offset:         48
        .size:           8
        .value_kind:     global_buffer
      - .offset:         56
        .size:           4
        .value_kind:     by_value
      - .actual_access:  read_only
        .address_space:  global
        .offset:         64
        .size:           8
        .value_kind:     global_buffer
      - .offset:         72
        .size:           4
        .value_kind:     by_value
      - .offset:         76
        .size:           4
        .value_kind:     by_value
      - .offset:         80
        .size:           4
        .value_kind:     by_value
      - .actual_access:  read_only
        .address_space:  global
        .offset:         88
        .size:           8
        .value_kind:     global_buffer
      - .actual_access:  read_only
        .address_space:  global
        .offset:         96
        .size:           8
        .value_kind:     global_buffer
      - .actual_access:  read_only
        .address_space:  global
        .offset:         104
        .size:           8
        .value_kind:     global_buffer
      - .actual_access:  read_only
        .address_space:  global
        .offset:         112
        .size:           8
        .value_kind:     global_buffer
      - .offset:         120
        .size:           4
        .value_kind:     by_value
      - .address_space:  global
        .offset:         128
        .size:           8
        .value_kind:     global_buffer
      - .address_space:  global
        .offset:         136
        .size:           8
        .value_kind:     global_buffer
      - .offset:         144
        .size:           4
        .value_kind:     hidden_block_count_x
      - .offset:         148
        .size:           4
        .value_kind:     hidden_block_count_y
      - .offset:         152
        .size:           4
        .value_kind:     hidden_block_count_z
      - .offset:         156
        .size:           2
        .value_kind:     hidden_group_size_x
      - .offset:         158
        .size:           2
        .value_kind:     hidden_group_size_y
      - .offset:         160
        .size:           2
        .value_kind:     hidden_group_size_z
      - .offset:         162
        .size:           2
        .value_kind:     hidden_remainder_x
      - .offset:         164
        .size:           2
        .value_kind:     hidden_remainder_y
      - .offset:         166
        .size:           2
        .value_kind:     hidden_remainder_z
      - .offset:         184
        .size:           8
        .value_kind:     hidden_global_offset_x
      - .offset:         192
        .size:           8
        .value_kind:     hidden_global_offset_y
      - .offset:         200
        .size:           8
        .value_kind:     hidden_global_offset_z
      - .offset:         208
        .size:           2
        .value_kind:     hidden_grid_dims
      - .offset:         224
        .size:           8
        .value_kind:     hidden_hostcall_buffer
    .group_segment_fixed_size: 0
    .kernarg_segment_align: 8
    .kernarg_segment_size: 400
    .language:       OpenCL C
    .language_version:
      - 2
      - 0
    .max_flat_workgroup_size: 256
    .name:           _Z39paged_attention_ll4mi_QKV_mfma16_kernelIDF16_DF16_LN4vllm18Fp8KVCacheDataTypeE0EhLi32ELi128ELi256ELb0ELi2EEvPKT_PKT0_S7_ifPKiS9_S9_iPKfiiiPfSC_PS2_PT2_iSB_SB_
    .private_segment_fixed_size: 64
    .sgpr_count:     36
    .sgpr_spill_count: 0
    .symbol:         _Z39paged_attention_ll4mi_QKV_mfma16_kernelIDF16_DF16_LN4vllm18Fp8KVCacheDataTypeE0EhLi32ELi128ELi256ELb0ELi2EEvPKT_PKT0_S7_ifPKiS9_S9_iPKfiiiPfSC_PS2_PT2_iSB_SB_.kd
    .uniform_work_group_size: 1
    .uses_dynamic_stack: false
    .vgpr_count:     51
    .vgpr_spill_count: 0
    .wavefront_size: 32
  - .args:
      - .actual_access:  read_only
        .address_space:  global
        .offset:         0
        .size:           8
        .value_kind:     global_buffer
      - .actual_access:  read_only
        .address_space:  global
        .offset:         8
        .size:           8
        .value_kind:     global_buffer
      - .actual_access:  read_only
        .address_space:  global
        .offset:         16
        .size:           8
        .value_kind:     global_buffer
      - .offset:         24
        .size:           4
        .value_kind:     by_value
      - .offset:         28
        .size:           4
        .value_kind:     by_value
      - .actual_access:  read_only
        .address_space:  global
        .offset:         32
        .size:           8
        .value_kind:     global_buffer
      - .actual_access:  read_only
        .address_space:  global
        .offset:         40
        .size:           8
        .value_kind:     global_buffer
      - .actual_access:  read_only
        .address_space:  global
        .offset:         48
        .size:           8
        .value_kind:     global_buffer
      - .offset:         56
        .size:           4
        .value_kind:     by_value
      - .actual_access:  read_only
        .address_space:  global
        .offset:         64
        .size:           8
        .value_kind:     global_buffer
      - .offset:         72
        .size:           4
        .value_kind:     by_value
      - .offset:         76
        .size:           4
        .value_kind:     by_value
      - .offset:         80
        .size:           4
        .value_kind:     by_value
      - .actual_access:  read_only
        .address_space:  global
        .offset:         88
        .size:           8
        .value_kind:     global_buffer
      - .actual_access:  read_only
        .address_space:  global
        .offset:         96
        .size:           8
        .value_kind:     global_buffer
      - .actual_access:  read_only
        .address_space:  global
        .offset:         104
        .size:           8
        .value_kind:     global_buffer
      - .actual_access:  read_only
        .address_space:  global
        .offset:         112
        .size:           8
        .value_kind:     global_buffer
      - .offset:         120
        .size:           4
        .value_kind:     by_value
      - .address_space:  global
        .offset:         128
        .size:           8
        .value_kind:     global_buffer
      - .address_space:  global
        .offset:         136
        .size:           8
        .value_kind:     global_buffer
      - .offset:         144
        .size:           4
        .value_kind:     hidden_block_count_x
      - .offset:         148
        .size:           4
        .value_kind:     hidden_block_count_y
      - .offset:         152
        .size:           4
        .value_kind:     hidden_block_count_z
      - .offset:         156
        .size:           2
        .value_kind:     hidden_group_size_x
      - .offset:         158
        .size:           2
        .value_kind:     hidden_group_size_y
      - .offset:         160
        .size:           2
        .value_kind:     hidden_group_size_z
      - .offset:         162
        .size:           2
        .value_kind:     hidden_remainder_x
      - .offset:         164
        .size:           2
        .value_kind:     hidden_remainder_y
      - .offset:         166
        .size:           2
        .value_kind:     hidden_remainder_z
      - .offset:         184
        .size:           8
        .value_kind:     hidden_global_offset_x
      - .offset:         192
        .size:           8
        .value_kind:     hidden_global_offset_y
      - .offset:         200
        .size:           8
        .value_kind:     hidden_global_offset_z
      - .offset:         208
        .size:           2
        .value_kind:     hidden_grid_dims
      - .offset:         224
        .size:           8
        .value_kind:     hidden_hostcall_buffer
    .group_segment_fixed_size: 0
    .kernarg_segment_align: 8
    .kernarg_segment_size: 400
    .language:       OpenCL C
    .language_version:
      - 2
      - 0
    .max_flat_workgroup_size: 256
    .name:           _Z39paged_attention_ll4mi_QKV_mfma16_kernelIDF16_DF16_LN4vllm18Fp8KVCacheDataTypeE0EhLi32ELi128ELi256ELb0ELi3EEvPKT_PKT0_S7_ifPKiS9_S9_iPKfiiiPfSC_PS2_PT2_iSB_SB_
    .private_segment_fixed_size: 64
    .sgpr_count:     36
    .sgpr_spill_count: 0
    .symbol:         _Z39paged_attention_ll4mi_QKV_mfma16_kernelIDF16_DF16_LN4vllm18Fp8KVCacheDataTypeE0EhLi32ELi128ELi256ELb0ELi3EEvPKT_PKT0_S7_ifPKiS9_S9_iPKfiiiPfSC_PS2_PT2_iSB_SB_.kd
    .uniform_work_group_size: 1
    .uses_dynamic_stack: false
    .vgpr_count:     51
    .vgpr_spill_count: 0
    .wavefront_size: 32
  - .args:
      - .actual_access:  read_only
        .address_space:  global
        .offset:         0
        .size:           8
        .value_kind:     global_buffer
      - .actual_access:  read_only
        .address_space:  global
        .offset:         8
        .size:           8
        .value_kind:     global_buffer
      - .actual_access:  read_only
        .address_space:  global
        .offset:         16
        .size:           8
        .value_kind:     global_buffer
      - .offset:         24
        .size:           4
        .value_kind:     by_value
      - .offset:         28
        .size:           4
        .value_kind:     by_value
      - .actual_access:  read_only
        .address_space:  global
        .offset:         32
        .size:           8
        .value_kind:     global_buffer
      - .actual_access:  read_only
        .address_space:  global
        .offset:         40
        .size:           8
        .value_kind:     global_buffer
      - .actual_access:  read_only
        .address_space:  global
        .offset:         48
        .size:           8
        .value_kind:     global_buffer
      - .offset:         56
        .size:           4
        .value_kind:     by_value
      - .actual_access:  read_only
        .address_space:  global
        .offset:         64
        .size:           8
        .value_kind:     global_buffer
      - .offset:         72
        .size:           4
        .value_kind:     by_value
      - .offset:         76
        .size:           4
        .value_kind:     by_value
      - .offset:         80
        .size:           4
        .value_kind:     by_value
      - .actual_access:  read_only
        .address_space:  global
        .offset:         88
        .size:           8
        .value_kind:     global_buffer
      - .actual_access:  read_only
        .address_space:  global
        .offset:         96
        .size:           8
        .value_kind:     global_buffer
      - .actual_access:  read_only
        .address_space:  global
        .offset:         104
        .size:           8
        .value_kind:     global_buffer
      - .actual_access:  read_only
        .address_space:  global
        .offset:         112
        .size:           8
        .value_kind:     global_buffer
      - .offset:         120
        .size:           4
        .value_kind:     by_value
      - .address_space:  global
        .offset:         128
        .size:           8
        .value_kind:     global_buffer
      - .address_space:  global
        .offset:         136
        .size:           8
        .value_kind:     global_buffer
      - .offset:         144
        .size:           4
        .value_kind:     hidden_block_count_x
      - .offset:         148
        .size:           4
        .value_kind:     hidden_block_count_y
      - .offset:         152
        .size:           4
        .value_kind:     hidden_block_count_z
      - .offset:         156
        .size:           2
        .value_kind:     hidden_group_size_x
      - .offset:         158
        .size:           2
        .value_kind:     hidden_group_size_y
      - .offset:         160
        .size:           2
        .value_kind:     hidden_group_size_z
      - .offset:         162
        .size:           2
        .value_kind:     hidden_remainder_x
      - .offset:         164
        .size:           2
        .value_kind:     hidden_remainder_y
      - .offset:         166
        .size:           2
        .value_kind:     hidden_remainder_z
      - .offset:         184
        .size:           8
        .value_kind:     hidden_global_offset_x
      - .offset:         192
        .size:           8
        .value_kind:     hidden_global_offset_y
      - .offset:         200
        .size:           8
        .value_kind:     hidden_global_offset_z
      - .offset:         208
        .size:           2
        .value_kind:     hidden_grid_dims
      - .offset:         224
        .size:           8
        .value_kind:     hidden_hostcall_buffer
    .group_segment_fixed_size: 0
    .kernarg_segment_align: 8
    .kernarg_segment_size: 400
    .language:       OpenCL C
    .language_version:
      - 2
      - 0
    .max_flat_workgroup_size: 256
    .name:           _Z39paged_attention_ll4mi_QKV_mfma16_kernelIDF16_DF16_LN4vllm18Fp8KVCacheDataTypeE0EhLi32ELi128ELi256ELb0ELi4EEvPKT_PKT0_S7_ifPKiS9_S9_iPKfiiiPfSC_PS2_PT2_iSB_SB_
    .private_segment_fixed_size: 64
    .sgpr_count:     36
    .sgpr_spill_count: 0
    .symbol:         _Z39paged_attention_ll4mi_QKV_mfma16_kernelIDF16_DF16_LN4vllm18Fp8KVCacheDataTypeE0EhLi32ELi128ELi256ELb0ELi4EEvPKT_PKT0_S7_ifPKiS9_S9_iPKfiiiPfSC_PS2_PT2_iSB_SB_.kd
    .uniform_work_group_size: 1
    .uses_dynamic_stack: false
    .vgpr_count:     51
    .vgpr_spill_count: 0
    .wavefront_size: 32
  - .args:
      - .actual_access:  read_only
        .address_space:  global
        .offset:         0
        .size:           8
        .value_kind:     global_buffer
      - .actual_access:  read_only
        .address_space:  global
        .offset:         8
        .size:           8
        .value_kind:     global_buffer
      - .actual_access:  read_only
        .address_space:  global
        .offset:         16
        .size:           8
        .value_kind:     global_buffer
      - .offset:         24
        .size:           4
        .value_kind:     by_value
      - .offset:         28
        .size:           4
        .value_kind:     by_value
      - .actual_access:  read_only
        .address_space:  global
        .offset:         32
        .size:           8
        .value_kind:     global_buffer
      - .actual_access:  read_only
        .address_space:  global
        .offset:         40
        .size:           8
        .value_kind:     global_buffer
      - .actual_access:  read_only
        .address_space:  global
        .offset:         48
        .size:           8
        .value_kind:     global_buffer
      - .offset:         56
        .size:           4
        .value_kind:     by_value
      - .actual_access:  read_only
        .address_space:  global
        .offset:         64
        .size:           8
        .value_kind:     global_buffer
      - .offset:         72
        .size:           4
        .value_kind:     by_value
      - .offset:         76
        .size:           4
        .value_kind:     by_value
      - .offset:         80
        .size:           4
        .value_kind:     by_value
      - .actual_access:  read_only
        .address_space:  global
        .offset:         88
        .size:           8
        .value_kind:     global_buffer
      - .actual_access:  read_only
        .address_space:  global
        .offset:         96
        .size:           8
        .value_kind:     global_buffer
      - .actual_access:  read_only
        .address_space:  global
        .offset:         104
        .size:           8
        .value_kind:     global_buffer
      - .actual_access:  read_only
        .address_space:  global
        .offset:         112
        .size:           8
        .value_kind:     global_buffer
      - .offset:         120
        .size:           4
        .value_kind:     by_value
      - .address_space:  global
        .offset:         128
        .size:           8
        .value_kind:     global_buffer
      - .address_space:  global
        .offset:         136
        .size:           8
        .value_kind:     global_buffer
      - .offset:         144
        .size:           4
        .value_kind:     hidden_block_count_x
      - .offset:         148
        .size:           4
        .value_kind:     hidden_block_count_y
      - .offset:         152
        .size:           4
        .value_kind:     hidden_block_count_z
      - .offset:         156
        .size:           2
        .value_kind:     hidden_group_size_x
      - .offset:         158
        .size:           2
        .value_kind:     hidden_group_size_y
      - .offset:         160
        .size:           2
        .value_kind:     hidden_group_size_z
      - .offset:         162
        .size:           2
        .value_kind:     hidden_remainder_x
      - .offset:         164
        .size:           2
        .value_kind:     hidden_remainder_y
      - .offset:         166
        .size:           2
        .value_kind:     hidden_remainder_z
      - .offset:         184
        .size:           8
        .value_kind:     hidden_global_offset_x
      - .offset:         192
        .size:           8
        .value_kind:     hidden_global_offset_y
      - .offset:         200
        .size:           8
        .value_kind:     hidden_global_offset_z
      - .offset:         208
        .size:           2
        .value_kind:     hidden_grid_dims
      - .offset:         224
        .size:           8
        .value_kind:     hidden_hostcall_buffer
    .group_segment_fixed_size: 0
    .kernarg_segment_align: 8
    .kernarg_segment_size: 400
    .language:       OpenCL C
    .language_version:
      - 2
      - 0
    .max_flat_workgroup_size: 256
    .name:           _Z38paged_attention_ll4mi_QKV_mfma4_kernelIDF16_DF16_LN4vllm18Fp8KVCacheDataTypeE0EDF16_Li32ELi128ELi256ELb1ELi1EEvPKT_PKT0_S7_ifPKiS9_S9_iPKfiiiPfSC_PS2_PT2_iSB_SB_
    .private_segment_fixed_size: 64
    .sgpr_count:     36
    .sgpr_spill_count: 0
    .symbol:         _Z38paged_attention_ll4mi_QKV_mfma4_kernelIDF16_DF16_LN4vllm18Fp8KVCacheDataTypeE0EDF16_Li32ELi128ELi256ELb1ELi1EEvPKT_PKT0_S7_ifPKiS9_S9_iPKfiiiPfSC_PS2_PT2_iSB_SB_.kd
    .uniform_work_group_size: 1
    .uses_dynamic_stack: false
    .vgpr_count:     51
    .vgpr_spill_count: 0
    .wavefront_size: 32
  - .args:
      - .actual_access:  read_only
        .address_space:  global
        .offset:         0
        .size:           8
        .value_kind:     global_buffer
      - .actual_access:  read_only
        .address_space:  global
        .offset:         8
        .size:           8
        .value_kind:     global_buffer
      - .actual_access:  read_only
        .address_space:  global
        .offset:         16
        .size:           8
        .value_kind:     global_buffer
      - .offset:         24
        .size:           4
        .value_kind:     by_value
      - .offset:         28
        .size:           4
        .value_kind:     by_value
      - .actual_access:  read_only
        .address_space:  global
        .offset:         32
        .size:           8
        .value_kind:     global_buffer
      - .actual_access:  read_only
        .address_space:  global
        .offset:         40
        .size:           8
        .value_kind:     global_buffer
      - .actual_access:  read_only
        .address_space:  global
        .offset:         48
        .size:           8
        .value_kind:     global_buffer
      - .offset:         56
        .size:           4
        .value_kind:     by_value
      - .actual_access:  read_only
        .address_space:  global
        .offset:         64
        .size:           8
        .value_kind:     global_buffer
      - .offset:         72
        .size:           4
        .value_kind:     by_value
      - .offset:         76
        .size:           4
        .value_kind:     by_value
      - .offset:         80
        .size:           4
        .value_kind:     by_value
      - .actual_access:  read_only
        .address_space:  global
        .offset:         88
        .size:           8
        .value_kind:     global_buffer
      - .actual_access:  read_only
        .address_space:  global
        .offset:         96
        .size:           8
        .value_kind:     global_buffer
      - .actual_access:  read_only
        .address_space:  global
        .offset:         104
        .size:           8
        .value_kind:     global_buffer
      - .actual_access:  read_only
        .address_space:  global
        .offset:         112
        .size:           8
        .value_kind:     global_buffer
      - .offset:         120
        .size:           4
        .value_kind:     by_value
      - .address_space:  global
        .offset:         128
        .size:           8
        .value_kind:     global_buffer
      - .address_space:  global
        .offset:         136
        .size:           8
        .value_kind:     global_buffer
      - .offset:         144
        .size:           4
        .value_kind:     hidden_block_count_x
      - .offset:         148
        .size:           4
        .value_kind:     hidden_block_count_y
      - .offset:         152
        .size:           4
        .value_kind:     hidden_block_count_z
      - .offset:         156
        .size:           2
        .value_kind:     hidden_group_size_x
      - .offset:         158
        .size:           2
        .value_kind:     hidden_group_size_y
      - .offset:         160
        .size:           2
        .value_kind:     hidden_group_size_z
      - .offset:         162
        .size:           2
        .value_kind:     hidden_remainder_x
      - .offset:         164
        .size:           2
        .value_kind:     hidden_remainder_y
      - .offset:         166
        .size:           2
        .value_kind:     hidden_remainder_z
      - .offset:         184
        .size:           8
        .value_kind:     hidden_global_offset_x
      - .offset:         192
        .size:           8
        .value_kind:     hidden_global_offset_y
      - .offset:         200
        .size:           8
        .value_kind:     hidden_global_offset_z
      - .offset:         208
        .size:           2
        .value_kind:     hidden_grid_dims
      - .offset:         224
        .size:           8
        .value_kind:     hidden_hostcall_buffer
    .group_segment_fixed_size: 0
    .kernarg_segment_align: 8
    .kernarg_segment_size: 400
    .language:       OpenCL C
    .language_version:
      - 2
      - 0
    .max_flat_workgroup_size: 256
    .name:           _Z38paged_attention_ll4mi_QKV_mfma4_kernelIDF16_DF16_LN4vllm18Fp8KVCacheDataTypeE0EDF16_Li32ELi128ELi256ELb1ELi2EEvPKT_PKT0_S7_ifPKiS9_S9_iPKfiiiPfSC_PS2_PT2_iSB_SB_
    .private_segment_fixed_size: 64
    .sgpr_count:     36
    .sgpr_spill_count: 0
    .symbol:         _Z38paged_attention_ll4mi_QKV_mfma4_kernelIDF16_DF16_LN4vllm18Fp8KVCacheDataTypeE0EDF16_Li32ELi128ELi256ELb1ELi2EEvPKT_PKT0_S7_ifPKiS9_S9_iPKfiiiPfSC_PS2_PT2_iSB_SB_.kd
    .uniform_work_group_size: 1
    .uses_dynamic_stack: false
    .vgpr_count:     51
    .vgpr_spill_count: 0
    .wavefront_size: 32
  - .args:
      - .actual_access:  read_only
        .address_space:  global
        .offset:         0
        .size:           8
        .value_kind:     global_buffer
      - .actual_access:  read_only
        .address_space:  global
        .offset:         8
        .size:           8
        .value_kind:     global_buffer
      - .actual_access:  read_only
        .address_space:  global
        .offset:         16
        .size:           8
        .value_kind:     global_buffer
      - .offset:         24
        .size:           4
        .value_kind:     by_value
      - .offset:         28
        .size:           4
        .value_kind:     by_value
      - .actual_access:  read_only
        .address_space:  global
        .offset:         32
        .size:           8
        .value_kind:     global_buffer
      - .actual_access:  read_only
        .address_space:  global
        .offset:         40
        .size:           8
        .value_kind:     global_buffer
      - .actual_access:  read_only
        .address_space:  global
        .offset:         48
        .size:           8
        .value_kind:     global_buffer
      - .offset:         56
        .size:           4
        .value_kind:     by_value
      - .actual_access:  read_only
        .address_space:  global
        .offset:         64
        .size:           8
        .value_kind:     global_buffer
      - .offset:         72
        .size:           4
        .value_kind:     by_value
      - .offset:         76
        .size:           4
        .value_kind:     by_value
      - .offset:         80
        .size:           4
        .value_kind:     by_value
      - .actual_access:  read_only
        .address_space:  global
        .offset:         88
        .size:           8
        .value_kind:     global_buffer
      - .actual_access:  read_only
        .address_space:  global
        .offset:         96
        .size:           8
        .value_kind:     global_buffer
      - .actual_access:  read_only
        .address_space:  global
        .offset:         104
        .size:           8
        .value_kind:     global_buffer
      - .actual_access:  read_only
        .address_space:  global
        .offset:         112
        .size:           8
        .value_kind:     global_buffer
      - .offset:         120
        .size:           4
        .value_kind:     by_value
      - .address_space:  global
        .offset:         128
        .size:           8
        .value_kind:     global_buffer
      - .address_space:  global
        .offset:         136
        .size:           8
        .value_kind:     global_buffer
      - .offset:         144
        .size:           4
        .value_kind:     hidden_block_count_x
      - .offset:         148
        .size:           4
        .value_kind:     hidden_block_count_y
      - .offset:         152
        .size:           4
        .value_kind:     hidden_block_count_z
      - .offset:         156
        .size:           2
        .value_kind:     hidden_group_size_x
      - .offset:         158
        .size:           2
        .value_kind:     hidden_group_size_y
      - .offset:         160
        .size:           2
        .value_kind:     hidden_group_size_z
      - .offset:         162
        .size:           2
        .value_kind:     hidden_remainder_x
      - .offset:         164
        .size:           2
        .value_kind:     hidden_remainder_y
      - .offset:         166
        .size:           2
        .value_kind:     hidden_remainder_z
      - .offset:         184
        .size:           8
        .value_kind:     hidden_global_offset_x
      - .offset:         192
        .size:           8
        .value_kind:     hidden_global_offset_y
      - .offset:         200
        .size:           8
        .value_kind:     hidden_global_offset_z
      - .offset:         208
        .size:           2
        .value_kind:     hidden_grid_dims
      - .offset:         224
        .size:           8
        .value_kind:     hidden_hostcall_buffer
    .group_segment_fixed_size: 0
    .kernarg_segment_align: 8
    .kernarg_segment_size: 400
    .language:       OpenCL C
    .language_version:
      - 2
      - 0
    .max_flat_workgroup_size: 256
    .name:           _Z38paged_attention_ll4mi_QKV_mfma4_kernelIDF16_DF16_LN4vllm18Fp8KVCacheDataTypeE0EDF16_Li32ELi128ELi256ELb1ELi3EEvPKT_PKT0_S7_ifPKiS9_S9_iPKfiiiPfSC_PS2_PT2_iSB_SB_
    .private_segment_fixed_size: 64
    .sgpr_count:     36
    .sgpr_spill_count: 0
    .symbol:         _Z38paged_attention_ll4mi_QKV_mfma4_kernelIDF16_DF16_LN4vllm18Fp8KVCacheDataTypeE0EDF16_Li32ELi128ELi256ELb1ELi3EEvPKT_PKT0_S7_ifPKiS9_S9_iPKfiiiPfSC_PS2_PT2_iSB_SB_.kd
    .uniform_work_group_size: 1
    .uses_dynamic_stack: false
    .vgpr_count:     51
    .vgpr_spill_count: 0
    .wavefront_size: 32
  - .args:
      - .actual_access:  read_only
        .address_space:  global
        .offset:         0
        .size:           8
        .value_kind:     global_buffer
      - .actual_access:  read_only
        .address_space:  global
        .offset:         8
        .size:           8
        .value_kind:     global_buffer
      - .actual_access:  read_only
        .address_space:  global
        .offset:         16
        .size:           8
        .value_kind:     global_buffer
      - .offset:         24
        .size:           4
        .value_kind:     by_value
      - .offset:         28
        .size:           4
        .value_kind:     by_value
      - .actual_access:  read_only
        .address_space:  global
        .offset:         32
        .size:           8
        .value_kind:     global_buffer
      - .actual_access:  read_only
        .address_space:  global
        .offset:         40
        .size:           8
        .value_kind:     global_buffer
      - .actual_access:  read_only
        .address_space:  global
        .offset:         48
        .size:           8
        .value_kind:     global_buffer
      - .offset:         56
        .size:           4
        .value_kind:     by_value
      - .actual_access:  read_only
        .address_space:  global
        .offset:         64
        .size:           8
        .value_kind:     global_buffer
      - .offset:         72
        .size:           4
        .value_kind:     by_value
      - .offset:         76
        .size:           4
        .value_kind:     by_value
      - .offset:         80
        .size:           4
        .value_kind:     by_value
      - .actual_access:  read_only
        .address_space:  global
        .offset:         88
        .size:           8
        .value_kind:     global_buffer
      - .actual_access:  read_only
        .address_space:  global
        .offset:         96
        .size:           8
        .value_kind:     global_buffer
      - .actual_access:  read_only
        .address_space:  global
        .offset:         104
        .size:           8
        .value_kind:     global_buffer
      - .actual_access:  read_only
        .address_space:  global
        .offset:         112
        .size:           8
        .value_kind:     global_buffer
      - .offset:         120
        .size:           4
        .value_kind:     by_value
      - .address_space:  global
        .offset:         128
        .size:           8
        .value_kind:     global_buffer
      - .address_space:  global
        .offset:         136
        .size:           8
        .value_kind:     global_buffer
      - .offset:         144
        .size:           4
        .value_kind:     hidden_block_count_x
      - .offset:         148
        .size:           4
        .value_kind:     hidden_block_count_y
      - .offset:         152
        .size:           4
        .value_kind:     hidden_block_count_z
      - .offset:         156
        .size:           2
        .value_kind:     hidden_group_size_x
      - .offset:         158
        .size:           2
        .value_kind:     hidden_group_size_y
      - .offset:         160
        .size:           2
        .value_kind:     hidden_group_size_z
      - .offset:         162
        .size:           2
        .value_kind:     hidden_remainder_x
      - .offset:         164
        .size:           2
        .value_kind:     hidden_remainder_y
      - .offset:         166
        .size:           2
        .value_kind:     hidden_remainder_z
      - .offset:         184
        .size:           8
        .value_kind:     hidden_global_offset_x
      - .offset:         192
        .size:           8
        .value_kind:     hidden_global_offset_y
      - .offset:         200
        .size:           8
        .value_kind:     hidden_global_offset_z
      - .offset:         208
        .size:           2
        .value_kind:     hidden_grid_dims
      - .offset:         224
        .size:           8
        .value_kind:     hidden_hostcall_buffer
    .group_segment_fixed_size: 0
    .kernarg_segment_align: 8
    .kernarg_segment_size: 400
    .language:       OpenCL C
    .language_version:
      - 2
      - 0
    .max_flat_workgroup_size: 256
    .name:           _Z38paged_attention_ll4mi_QKV_mfma4_kernelIDF16_DF16_LN4vllm18Fp8KVCacheDataTypeE0EDF16_Li32ELi128ELi256ELb1ELi4EEvPKT_PKT0_S7_ifPKiS9_S9_iPKfiiiPfSC_PS2_PT2_iSB_SB_
    .private_segment_fixed_size: 64
    .sgpr_count:     36
    .sgpr_spill_count: 0
    .symbol:         _Z38paged_attention_ll4mi_QKV_mfma4_kernelIDF16_DF16_LN4vllm18Fp8KVCacheDataTypeE0EDF16_Li32ELi128ELi256ELb1ELi4EEvPKT_PKT0_S7_ifPKiS9_S9_iPKfiiiPfSC_PS2_PT2_iSB_SB_.kd
    .uniform_work_group_size: 1
    .uses_dynamic_stack: false
    .vgpr_count:     51
    .vgpr_spill_count: 0
    .wavefront_size: 32
  - .args:
      - .actual_access:  read_only
        .address_space:  global
        .offset:         0
        .size:           8
        .value_kind:     global_buffer
      - .actual_access:  read_only
        .address_space:  global
        .offset:         8
        .size:           8
        .value_kind:     global_buffer
      - .actual_access:  read_only
        .address_space:  global
        .offset:         16
        .size:           8
        .value_kind:     global_buffer
      - .offset:         24
        .size:           4
        .value_kind:     by_value
      - .offset:         28
        .size:           4
        .value_kind:     by_value
      - .actual_access:  read_only
        .address_space:  global
        .offset:         32
        .size:           8
        .value_kind:     global_buffer
      - .actual_access:  read_only
        .address_space:  global
        .offset:         40
        .size:           8
        .value_kind:     global_buffer
      - .actual_access:  read_only
        .address_space:  global
        .offset:         48
        .size:           8
        .value_kind:     global_buffer
      - .offset:         56
        .size:           4
        .value_kind:     by_value
      - .actual_access:  read_only
        .address_space:  global
        .offset:         64
        .size:           8
        .value_kind:     global_buffer
      - .offset:         72
        .size:           4
        .value_kind:     by_value
      - .offset:         76
        .size:           4
        .value_kind:     by_value
      - .offset:         80
        .size:           4
        .value_kind:     by_value
      - .actual_access:  read_only
        .address_space:  global
        .offset:         88
        .size:           8
        .value_kind:     global_buffer
      - .actual_access:  read_only
        .address_space:  global
        .offset:         96
        .size:           8
        .value_kind:     global_buffer
      - .actual_access:  read_only
        .address_space:  global
        .offset:         104
        .size:           8
        .value_kind:     global_buffer
      - .actual_access:  read_only
        .address_space:  global
        .offset:         112
        .size:           8
        .value_kind:     global_buffer
      - .offset:         120
        .size:           4
        .value_kind:     by_value
      - .address_space:  global
        .offset:         128
        .size:           8
        .value_kind:     global_buffer
      - .address_space:  global
        .offset:         136
        .size:           8
        .value_kind:     global_buffer
      - .offset:         144
        .size:           4
        .value_kind:     hidden_block_count_x
      - .offset:         148
        .size:           4
        .value_kind:     hidden_block_count_y
      - .offset:         152
        .size:           4
        .value_kind:     hidden_block_count_z
      - .offset:         156
        .size:           2
        .value_kind:     hidden_group_size_x
      - .offset:         158
        .size:           2
        .value_kind:     hidden_group_size_y
      - .offset:         160
        .size:           2
        .value_kind:     hidden_group_size_z
      - .offset:         162
        .size:           2
        .value_kind:     hidden_remainder_x
      - .offset:         164
        .size:           2
        .value_kind:     hidden_remainder_y
      - .offset:         166
        .size:           2
        .value_kind:     hidden_remainder_z
      - .offset:         184
        .size:           8
        .value_kind:     hidden_global_offset_x
      - .offset:         192
        .size:           8
        .value_kind:     hidden_global_offset_y
      - .offset:         200
        .size:           8
        .value_kind:     hidden_global_offset_z
      - .offset:         208
        .size:           2
        .value_kind:     hidden_grid_dims
      - .offset:         224
        .size:           8
        .value_kind:     hidden_hostcall_buffer
    .group_segment_fixed_size: 0
    .kernarg_segment_align: 8
    .kernarg_segment_size: 400
    .language:       OpenCL C
    .language_version:
      - 2
      - 0
    .max_flat_workgroup_size: 256
    .name:           _Z39paged_attention_ll4mi_QKV_mfma16_kernelIDF16_DF16_LN4vllm18Fp8KVCacheDataTypeE0EDF16_Li32ELi128ELi256ELb1ELi5EEvPKT_PKT0_S7_ifPKiS9_S9_iPKfiiiPfSC_PS2_PT2_iSB_SB_
    .private_segment_fixed_size: 64
    .sgpr_count:     36
    .sgpr_spill_count: 0
    .symbol:         _Z39paged_attention_ll4mi_QKV_mfma16_kernelIDF16_DF16_LN4vllm18Fp8KVCacheDataTypeE0EDF16_Li32ELi128ELi256ELb1ELi5EEvPKT_PKT0_S7_ifPKiS9_S9_iPKfiiiPfSC_PS2_PT2_iSB_SB_.kd
    .uniform_work_group_size: 1
    .uses_dynamic_stack: false
    .vgpr_count:     51
    .vgpr_spill_count: 0
    .wavefront_size: 32
  - .args:
      - .actual_access:  read_only
        .address_space:  global
        .offset:         0
        .size:           8
        .value_kind:     global_buffer
      - .actual_access:  read_only
        .address_space:  global
        .offset:         8
        .size:           8
        .value_kind:     global_buffer
      - .actual_access:  read_only
        .address_space:  global
        .offset:         16
        .size:           8
        .value_kind:     global_buffer
      - .offset:         24
        .size:           4
        .value_kind:     by_value
      - .offset:         28
        .size:           4
        .value_kind:     by_value
      - .actual_access:  read_only
        .address_space:  global
        .offset:         32
        .size:           8
        .value_kind:     global_buffer
      - .actual_access:  read_only
        .address_space:  global
        .offset:         40
        .size:           8
        .value_kind:     global_buffer
      - .actual_access:  read_only
        .address_space:  global
        .offset:         48
        .size:           8
        .value_kind:     global_buffer
      - .offset:         56
        .size:           4
        .value_kind:     by_value
      - .actual_access:  read_only
        .address_space:  global
        .offset:         64
        .size:           8
        .value_kind:     global_buffer
      - .offset:         72
        .size:           4
        .value_kind:     by_value
      - .offset:         76
        .size:           4
        .value_kind:     by_value
      - .offset:         80
        .size:           4
        .value_kind:     by_value
      - .actual_access:  read_only
        .address_space:  global
        .offset:         88
        .size:           8
        .value_kind:     global_buffer
      - .actual_access:  read_only
        .address_space:  global
        .offset:         96
        .size:           8
        .value_kind:     global_buffer
      - .actual_access:  read_only
        .address_space:  global
        .offset:         104
        .size:           8
        .value_kind:     global_buffer
      - .actual_access:  read_only
        .address_space:  global
        .offset:         112
        .size:           8
        .value_kind:     global_buffer
      - .offset:         120
        .size:           4
        .value_kind:     by_value
      - .address_space:  global
        .offset:         128
        .size:           8
        .value_kind:     global_buffer
      - .address_space:  global
        .offset:         136
        .size:           8
        .value_kind:     global_buffer
      - .offset:         144
        .size:           4
        .value_kind:     hidden_block_count_x
      - .offset:         148
        .size:           4
        .value_kind:     hidden_block_count_y
      - .offset:         152
        .size:           4
        .value_kind:     hidden_block_count_z
      - .offset:         156
        .size:           2
        .value_kind:     hidden_group_size_x
      - .offset:         158
        .size:           2
        .value_kind:     hidden_group_size_y
      - .offset:         160
        .size:           2
        .value_kind:     hidden_group_size_z
      - .offset:         162
        .size:           2
        .value_kind:     hidden_remainder_x
      - .offset:         164
        .size:           2
        .value_kind:     hidden_remainder_y
      - .offset:         166
        .size:           2
        .value_kind:     hidden_remainder_z
      - .offset:         184
        .size:           8
        .value_kind:     hidden_global_offset_x
      - .offset:         192
        .size:           8
        .value_kind:     hidden_global_offset_y
      - .offset:         200
        .size:           8
        .value_kind:     hidden_global_offset_z
      - .offset:         208
        .size:           2
        .value_kind:     hidden_grid_dims
      - .offset:         224
        .size:           8
        .value_kind:     hidden_hostcall_buffer
    .group_segment_fixed_size: 0
    .kernarg_segment_align: 8
    .kernarg_segment_size: 400
    .language:       OpenCL C
    .language_version:
      - 2
      - 0
    .max_flat_workgroup_size: 256
    .name:           _Z39paged_attention_ll4mi_QKV_mfma16_kernelIDF16_DF16_LN4vllm18Fp8KVCacheDataTypeE0EDF16_Li32ELi128ELi256ELb1ELi6EEvPKT_PKT0_S7_ifPKiS9_S9_iPKfiiiPfSC_PS2_PT2_iSB_SB_
    .private_segment_fixed_size: 64
    .sgpr_count:     36
    .sgpr_spill_count: 0
    .symbol:         _Z39paged_attention_ll4mi_QKV_mfma16_kernelIDF16_DF16_LN4vllm18Fp8KVCacheDataTypeE0EDF16_Li32ELi128ELi256ELb1ELi6EEvPKT_PKT0_S7_ifPKiS9_S9_iPKfiiiPfSC_PS2_PT2_iSB_SB_.kd
    .uniform_work_group_size: 1
    .uses_dynamic_stack: false
    .vgpr_count:     51
    .vgpr_spill_count: 0
    .wavefront_size: 32
  - .args:
      - .actual_access:  read_only
        .address_space:  global
        .offset:         0
        .size:           8
        .value_kind:     global_buffer
      - .actual_access:  read_only
        .address_space:  global
        .offset:         8
        .size:           8
        .value_kind:     global_buffer
      - .actual_access:  read_only
        .address_space:  global
        .offset:         16
        .size:           8
        .value_kind:     global_buffer
      - .offset:         24
        .size:           4
        .value_kind:     by_value
      - .offset:         28
        .size:           4
        .value_kind:     by_value
      - .actual_access:  read_only
        .address_space:  global
        .offset:         32
        .size:           8
        .value_kind:     global_buffer
      - .actual_access:  read_only
        .address_space:  global
        .offset:         40
        .size:           8
        .value_kind:     global_buffer
      - .actual_access:  read_only
        .address_space:  global
        .offset:         48
        .size:           8
        .value_kind:     global_buffer
      - .offset:         56
        .size:           4
        .value_kind:     by_value
      - .actual_access:  read_only
        .address_space:  global
        .offset:         64
        .size:           8
        .value_kind:     global_buffer
      - .offset:         72
        .size:           4
        .value_kind:     by_value
      - .offset:         76
        .size:           4
        .value_kind:     by_value
      - .offset:         80
        .size:           4
        .value_kind:     by_value
      - .actual_access:  read_only
        .address_space:  global
        .offset:         88
        .size:           8
        .value_kind:     global_buffer
      - .actual_access:  read_only
        .address_space:  global
        .offset:         96
        .size:           8
        .value_kind:     global_buffer
      - .actual_access:  read_only
        .address_space:  global
        .offset:         104
        .size:           8
        .value_kind:     global_buffer
      - .actual_access:  read_only
        .address_space:  global
        .offset:         112
        .size:           8
        .value_kind:     global_buffer
      - .offset:         120
        .size:           4
        .value_kind:     by_value
      - .address_space:  global
        .offset:         128
        .size:           8
        .value_kind:     global_buffer
      - .address_space:  global
        .offset:         136
        .size:           8
        .value_kind:     global_buffer
      - .offset:         144
        .size:           4
        .value_kind:     hidden_block_count_x
      - .offset:         148
        .size:           4
        .value_kind:     hidden_block_count_y
      - .offset:         152
        .size:           4
        .value_kind:     hidden_block_count_z
      - .offset:         156
        .size:           2
        .value_kind:     hidden_group_size_x
      - .offset:         158
        .size:           2
        .value_kind:     hidden_group_size_y
      - .offset:         160
        .size:           2
        .value_kind:     hidden_group_size_z
      - .offset:         162
        .size:           2
        .value_kind:     hidden_remainder_x
      - .offset:         164
        .size:           2
        .value_kind:     hidden_remainder_y
      - .offset:         166
        .size:           2
        .value_kind:     hidden_remainder_z
      - .offset:         184
        .size:           8
        .value_kind:     hidden_global_offset_x
      - .offset:         192
        .size:           8
        .value_kind:     hidden_global_offset_y
      - .offset:         200
        .size:           8
        .value_kind:     hidden_global_offset_z
      - .offset:         208
        .size:           2
        .value_kind:     hidden_grid_dims
      - .offset:         224
        .size:           8
        .value_kind:     hidden_hostcall_buffer
    .group_segment_fixed_size: 0
    .kernarg_segment_align: 8
    .kernarg_segment_size: 400
    .language:       OpenCL C
    .language_version:
      - 2
      - 0
    .max_flat_workgroup_size: 256
    .name:           _Z39paged_attention_ll4mi_QKV_mfma16_kernelIDF16_DF16_LN4vllm18Fp8KVCacheDataTypeE0EDF16_Li32ELi128ELi256ELb1ELi7EEvPKT_PKT0_S7_ifPKiS9_S9_iPKfiiiPfSC_PS2_PT2_iSB_SB_
    .private_segment_fixed_size: 64
    .sgpr_count:     36
    .sgpr_spill_count: 0
    .symbol:         _Z39paged_attention_ll4mi_QKV_mfma16_kernelIDF16_DF16_LN4vllm18Fp8KVCacheDataTypeE0EDF16_Li32ELi128ELi256ELb1ELi7EEvPKT_PKT0_S7_ifPKiS9_S9_iPKfiiiPfSC_PS2_PT2_iSB_SB_.kd
    .uniform_work_group_size: 1
    .uses_dynamic_stack: false
    .vgpr_count:     51
    .vgpr_spill_count: 0
    .wavefront_size: 32
  - .args:
      - .actual_access:  read_only
        .address_space:  global
        .offset:         0
        .size:           8
        .value_kind:     global_buffer
      - .actual_access:  read_only
        .address_space:  global
        .offset:         8
        .size:           8
        .value_kind:     global_buffer
      - .actual_access:  read_only
        .address_space:  global
        .offset:         16
        .size:           8
        .value_kind:     global_buffer
      - .offset:         24
        .size:           4
        .value_kind:     by_value
      - .offset:         28
        .size:           4
        .value_kind:     by_value
      - .actual_access:  read_only
        .address_space:  global
        .offset:         32
        .size:           8
        .value_kind:     global_buffer
      - .actual_access:  read_only
        .address_space:  global
        .offset:         40
        .size:           8
        .value_kind:     global_buffer
      - .actual_access:  read_only
        .address_space:  global
        .offset:         48
        .size:           8
        .value_kind:     global_buffer
      - .offset:         56
        .size:           4
        .value_kind:     by_value
      - .actual_access:  read_only
        .address_space:  global
        .offset:         64
        .size:           8
        .value_kind:     global_buffer
      - .offset:         72
        .size:           4
        .value_kind:     by_value
      - .offset:         76
        .size:           4
        .value_kind:     by_value
      - .offset:         80
        .size:           4
        .value_kind:     by_value
      - .actual_access:  read_only
        .address_space:  global
        .offset:         88
        .size:           8
        .value_kind:     global_buffer
      - .actual_access:  read_only
        .address_space:  global
        .offset:         96
        .size:           8
        .value_kind:     global_buffer
      - .actual_access:  read_only
        .address_space:  global
        .offset:         104
        .size:           8
        .value_kind:     global_buffer
      - .actual_access:  read_only
        .address_space:  global
        .offset:         112
        .size:           8
        .value_kind:     global_buffer
      - .offset:         120
        .size:           4
        .value_kind:     by_value
      - .address_space:  global
        .offset:         128
        .size:           8
        .value_kind:     global_buffer
      - .address_space:  global
        .offset:         136
        .size:           8
        .value_kind:     global_buffer
      - .offset:         144
        .size:           4
        .value_kind:     hidden_block_count_x
      - .offset:         148
        .size:           4
        .value_kind:     hidden_block_count_y
      - .offset:         152
        .size:           4
        .value_kind:     hidden_block_count_z
      - .offset:         156
        .size:           2
        .value_kind:     hidden_group_size_x
      - .offset:         158
        .size:           2
        .value_kind:     hidden_group_size_y
      - .offset:         160
        .size:           2
        .value_kind:     hidden_group_size_z
      - .offset:         162
        .size:           2
        .value_kind:     hidden_remainder_x
      - .offset:         164
        .size:           2
        .value_kind:     hidden_remainder_y
      - .offset:         166
        .size:           2
        .value_kind:     hidden_remainder_z
      - .offset:         184
        .size:           8
        .value_kind:     hidden_global_offset_x
      - .offset:         192
        .size:           8
        .value_kind:     hidden_global_offset_y
      - .offset:         200
        .size:           8
        .value_kind:     hidden_global_offset_z
      - .offset:         208
        .size:           2
        .value_kind:     hidden_grid_dims
      - .offset:         224
        .size:           8
        .value_kind:     hidden_hostcall_buffer
    .group_segment_fixed_size: 0
    .kernarg_segment_align: 8
    .kernarg_segment_size: 400
    .language:       OpenCL C
    .language_version:
      - 2
      - 0
    .max_flat_workgroup_size: 256
    .name:           _Z39paged_attention_ll4mi_QKV_mfma16_kernelIDF16_DF16_LN4vllm18Fp8KVCacheDataTypeE0EDF16_Li32ELi128ELi256ELb1ELi8EEvPKT_PKT0_S7_ifPKiS9_S9_iPKfiiiPfSC_PS2_PT2_iSB_SB_
    .private_segment_fixed_size: 64
    .sgpr_count:     36
    .sgpr_spill_count: 0
    .symbol:         _Z39paged_attention_ll4mi_QKV_mfma16_kernelIDF16_DF16_LN4vllm18Fp8KVCacheDataTypeE0EDF16_Li32ELi128ELi256ELb1ELi8EEvPKT_PKT0_S7_ifPKiS9_S9_iPKfiiiPfSC_PS2_PT2_iSB_SB_.kd
    .uniform_work_group_size: 1
    .uses_dynamic_stack: false
    .vgpr_count:     51
    .vgpr_spill_count: 0
    .wavefront_size: 32
  - .args:
      - .actual_access:  read_only
        .address_space:  global
        .offset:         0
        .size:           8
        .value_kind:     global_buffer
      - .actual_access:  read_only
        .address_space:  global
        .offset:         8
        .size:           8
        .value_kind:     global_buffer
      - .actual_access:  read_only
        .address_space:  global
        .offset:         16
        .size:           8
        .value_kind:     global_buffer
      - .offset:         24
        .size:           4
        .value_kind:     by_value
      - .offset:         28
        .size:           4
        .value_kind:     by_value
      - .actual_access:  read_only
        .address_space:  global
        .offset:         32
        .size:           8
        .value_kind:     global_buffer
      - .actual_access:  read_only
        .address_space:  global
        .offset:         40
        .size:           8
        .value_kind:     global_buffer
      - .actual_access:  read_only
        .address_space:  global
        .offset:         48
        .size:           8
        .value_kind:     global_buffer
      - .offset:         56
        .size:           4
        .value_kind:     by_value
      - .actual_access:  read_only
        .address_space:  global
        .offset:         64
        .size:           8
        .value_kind:     global_buffer
      - .offset:         72
        .size:           4
        .value_kind:     by_value
      - .offset:         76
        .size:           4
        .value_kind:     by_value
      - .offset:         80
        .size:           4
        .value_kind:     by_value
      - .actual_access:  read_only
        .address_space:  global
        .offset:         88
        .size:           8
        .value_kind:     global_buffer
      - .actual_access:  read_only
        .address_space:  global
        .offset:         96
        .size:           8
        .value_kind:     global_buffer
      - .actual_access:  read_only
        .address_space:  global
        .offset:         104
        .size:           8
        .value_kind:     global_buffer
      - .actual_access:  read_only
        .address_space:  global
        .offset:         112
        .size:           8
        .value_kind:     global_buffer
      - .offset:         120
        .size:           4
        .value_kind:     by_value
      - .address_space:  global
        .offset:         128
        .size:           8
        .value_kind:     global_buffer
      - .address_space:  global
        .offset:         136
        .size:           8
        .value_kind:     global_buffer
      - .offset:         144
        .size:           4
        .value_kind:     hidden_block_count_x
      - .offset:         148
        .size:           4
        .value_kind:     hidden_block_count_y
      - .offset:         152
        .size:           4
        .value_kind:     hidden_block_count_z
      - .offset:         156
        .size:           2
        .value_kind:     hidden_group_size_x
      - .offset:         158
        .size:           2
        .value_kind:     hidden_group_size_y
      - .offset:         160
        .size:           2
        .value_kind:     hidden_group_size_z
      - .offset:         162
        .size:           2
        .value_kind:     hidden_remainder_x
      - .offset:         164
        .size:           2
        .value_kind:     hidden_remainder_y
      - .offset:         166
        .size:           2
        .value_kind:     hidden_remainder_z
      - .offset:         184
        .size:           8
        .value_kind:     hidden_global_offset_x
      - .offset:         192
        .size:           8
        .value_kind:     hidden_global_offset_y
      - .offset:         200
        .size:           8
        .value_kind:     hidden_global_offset_z
      - .offset:         208
        .size:           2
        .value_kind:     hidden_grid_dims
      - .offset:         224
        .size:           8
        .value_kind:     hidden_hostcall_buffer
    .group_segment_fixed_size: 0
    .kernarg_segment_align: 8
    .kernarg_segment_size: 400
    .language:       OpenCL C
    .language_version:
      - 2
      - 0
    .max_flat_workgroup_size: 256
    .name:           _Z39paged_attention_ll4mi_QKV_mfma16_kernelIDF16_DF16_LN4vllm18Fp8KVCacheDataTypeE0EDF16_Li32ELi128ELi256ELb1ELi9EEvPKT_PKT0_S7_ifPKiS9_S9_iPKfiiiPfSC_PS2_PT2_iSB_SB_
    .private_segment_fixed_size: 64
    .sgpr_count:     36
    .sgpr_spill_count: 0
    .symbol:         _Z39paged_attention_ll4mi_QKV_mfma16_kernelIDF16_DF16_LN4vllm18Fp8KVCacheDataTypeE0EDF16_Li32ELi128ELi256ELb1ELi9EEvPKT_PKT0_S7_ifPKiS9_S9_iPKfiiiPfSC_PS2_PT2_iSB_SB_.kd
    .uniform_work_group_size: 1
    .uses_dynamic_stack: false
    .vgpr_count:     51
    .vgpr_spill_count: 0
    .wavefront_size: 32
  - .args:
      - .actual_access:  read_only
        .address_space:  global
        .offset:         0
        .size:           8
        .value_kind:     global_buffer
      - .actual_access:  read_only
        .address_space:  global
        .offset:         8
        .size:           8
        .value_kind:     global_buffer
      - .actual_access:  read_only
        .address_space:  global
        .offset:         16
        .size:           8
        .value_kind:     global_buffer
      - .offset:         24
        .size:           4
        .value_kind:     by_value
      - .offset:         28
        .size:           4
        .value_kind:     by_value
      - .actual_access:  read_only
        .address_space:  global
        .offset:         32
        .size:           8
        .value_kind:     global_buffer
      - .actual_access:  read_only
        .address_space:  global
        .offset:         40
        .size:           8
        .value_kind:     global_buffer
      - .actual_access:  read_only
        .address_space:  global
        .offset:         48
        .size:           8
        .value_kind:     global_buffer
      - .offset:         56
        .size:           4
        .value_kind:     by_value
      - .actual_access:  read_only
        .address_space:  global
        .offset:         64
        .size:           8
        .value_kind:     global_buffer
      - .offset:         72
        .size:           4
        .value_kind:     by_value
      - .offset:         76
        .size:           4
        .value_kind:     by_value
      - .offset:         80
        .size:           4
        .value_kind:     by_value
      - .actual_access:  read_only
        .address_space:  global
        .offset:         88
        .size:           8
        .value_kind:     global_buffer
      - .actual_access:  read_only
        .address_space:  global
        .offset:         96
        .size:           8
        .value_kind:     global_buffer
      - .actual_access:  read_only
        .address_space:  global
        .offset:         104
        .size:           8
        .value_kind:     global_buffer
      - .actual_access:  read_only
        .address_space:  global
        .offset:         112
        .size:           8
        .value_kind:     global_buffer
      - .offset:         120
        .size:           4
        .value_kind:     by_value
      - .address_space:  global
        .offset:         128
        .size:           8
        .value_kind:     global_buffer
      - .address_space:  global
        .offset:         136
        .size:           8
        .value_kind:     global_buffer
      - .offset:         144
        .size:           4
        .value_kind:     hidden_block_count_x
      - .offset:         148
        .size:           4
        .value_kind:     hidden_block_count_y
      - .offset:         152
        .size:           4
        .value_kind:     hidden_block_count_z
      - .offset:         156
        .size:           2
        .value_kind:     hidden_group_size_x
      - .offset:         158
        .size:           2
        .value_kind:     hidden_group_size_y
      - .offset:         160
        .size:           2
        .value_kind:     hidden_group_size_z
      - .offset:         162
        .size:           2
        .value_kind:     hidden_remainder_x
      - .offset:         164
        .size:           2
        .value_kind:     hidden_remainder_y
      - .offset:         166
        .size:           2
        .value_kind:     hidden_remainder_z
      - .offset:         184
        .size:           8
        .value_kind:     hidden_global_offset_x
      - .offset:         192
        .size:           8
        .value_kind:     hidden_global_offset_y
      - .offset:         200
        .size:           8
        .value_kind:     hidden_global_offset_z
      - .offset:         208
        .size:           2
        .value_kind:     hidden_grid_dims
      - .offset:         224
        .size:           8
        .value_kind:     hidden_hostcall_buffer
    .group_segment_fixed_size: 0
    .kernarg_segment_align: 8
    .kernarg_segment_size: 400
    .language:       OpenCL C
    .language_version:
      - 2
      - 0
    .max_flat_workgroup_size: 256
    .name:           _Z39paged_attention_ll4mi_QKV_mfma16_kernelIDF16_DF16_LN4vllm18Fp8KVCacheDataTypeE0EDF16_Li32ELi128ELi256ELb1ELi10EEvPKT_PKT0_S7_ifPKiS9_S9_iPKfiiiPfSC_PS2_PT2_iSB_SB_
    .private_segment_fixed_size: 64
    .sgpr_count:     36
    .sgpr_spill_count: 0
    .symbol:         _Z39paged_attention_ll4mi_QKV_mfma16_kernelIDF16_DF16_LN4vllm18Fp8KVCacheDataTypeE0EDF16_Li32ELi128ELi256ELb1ELi10EEvPKT_PKT0_S7_ifPKiS9_S9_iPKfiiiPfSC_PS2_PT2_iSB_SB_.kd
    .uniform_work_group_size: 1
    .uses_dynamic_stack: false
    .vgpr_count:     51
    .vgpr_spill_count: 0
    .wavefront_size: 32
  - .args:
      - .actual_access:  read_only
        .address_space:  global
        .offset:         0
        .size:           8
        .value_kind:     global_buffer
      - .actual_access:  read_only
        .address_space:  global
        .offset:         8
        .size:           8
        .value_kind:     global_buffer
      - .actual_access:  read_only
        .address_space:  global
        .offset:         16
        .size:           8
        .value_kind:     global_buffer
      - .offset:         24
        .size:           4
        .value_kind:     by_value
      - .offset:         28
        .size:           4
        .value_kind:     by_value
      - .actual_access:  read_only
        .address_space:  global
        .offset:         32
        .size:           8
        .value_kind:     global_buffer
      - .actual_access:  read_only
        .address_space:  global
        .offset:         40
        .size:           8
        .value_kind:     global_buffer
      - .actual_access:  read_only
        .address_space:  global
        .offset:         48
        .size:           8
        .value_kind:     global_buffer
      - .offset:         56
        .size:           4
        .value_kind:     by_value
      - .actual_access:  read_only
        .address_space:  global
        .offset:         64
        .size:           8
        .value_kind:     global_buffer
      - .offset:         72
        .size:           4
        .value_kind:     by_value
      - .offset:         76
        .size:           4
        .value_kind:     by_value
      - .offset:         80
        .size:           4
        .value_kind:     by_value
      - .actual_access:  read_only
        .address_space:  global
        .offset:         88
        .size:           8
        .value_kind:     global_buffer
      - .actual_access:  read_only
        .address_space:  global
        .offset:         96
        .size:           8
        .value_kind:     global_buffer
      - .actual_access:  read_only
        .address_space:  global
        .offset:         104
        .size:           8
        .value_kind:     global_buffer
      - .actual_access:  read_only
        .address_space:  global
        .offset:         112
        .size:           8
        .value_kind:     global_buffer
      - .offset:         120
        .size:           4
        .value_kind:     by_value
      - .address_space:  global
        .offset:         128
        .size:           8
        .value_kind:     global_buffer
      - .address_space:  global
        .offset:         136
        .size:           8
        .value_kind:     global_buffer
      - .offset:         144
        .size:           4
        .value_kind:     hidden_block_count_x
      - .offset:         148
        .size:           4
        .value_kind:     hidden_block_count_y
      - .offset:         152
        .size:           4
        .value_kind:     hidden_block_count_z
      - .offset:         156
        .size:           2
        .value_kind:     hidden_group_size_x
      - .offset:         158
        .size:           2
        .value_kind:     hidden_group_size_y
      - .offset:         160
        .size:           2
        .value_kind:     hidden_group_size_z
      - .offset:         162
        .size:           2
        .value_kind:     hidden_remainder_x
      - .offset:         164
        .size:           2
        .value_kind:     hidden_remainder_y
      - .offset:         166
        .size:           2
        .value_kind:     hidden_remainder_z
      - .offset:         184
        .size:           8
        .value_kind:     hidden_global_offset_x
      - .offset:         192
        .size:           8
        .value_kind:     hidden_global_offset_y
      - .offset:         200
        .size:           8
        .value_kind:     hidden_global_offset_z
      - .offset:         208
        .size:           2
        .value_kind:     hidden_grid_dims
      - .offset:         224
        .size:           8
        .value_kind:     hidden_hostcall_buffer
    .group_segment_fixed_size: 0
    .kernarg_segment_align: 8
    .kernarg_segment_size: 400
    .language:       OpenCL C
    .language_version:
      - 2
      - 0
    .max_flat_workgroup_size: 256
    .name:           _Z39paged_attention_ll4mi_QKV_mfma16_kernelIDF16_DF16_LN4vllm18Fp8KVCacheDataTypeE0EDF16_Li32ELi128ELi256ELb1ELi11EEvPKT_PKT0_S7_ifPKiS9_S9_iPKfiiiPfSC_PS2_PT2_iSB_SB_
    .private_segment_fixed_size: 64
    .sgpr_count:     36
    .sgpr_spill_count: 0
    .symbol:         _Z39paged_attention_ll4mi_QKV_mfma16_kernelIDF16_DF16_LN4vllm18Fp8KVCacheDataTypeE0EDF16_Li32ELi128ELi256ELb1ELi11EEvPKT_PKT0_S7_ifPKiS9_S9_iPKfiiiPfSC_PS2_PT2_iSB_SB_.kd
    .uniform_work_group_size: 1
    .uses_dynamic_stack: false
    .vgpr_count:     51
    .vgpr_spill_count: 0
    .wavefront_size: 32
  - .args:
      - .actual_access:  read_only
        .address_space:  global
        .offset:         0
        .size:           8
        .value_kind:     global_buffer
      - .actual_access:  read_only
        .address_space:  global
        .offset:         8
        .size:           8
        .value_kind:     global_buffer
      - .actual_access:  read_only
        .address_space:  global
        .offset:         16
        .size:           8
        .value_kind:     global_buffer
      - .offset:         24
        .size:           4
        .value_kind:     by_value
      - .offset:         28
        .size:           4
        .value_kind:     by_value
      - .actual_access:  read_only
        .address_space:  global
        .offset:         32
        .size:           8
        .value_kind:     global_buffer
      - .actual_access:  read_only
        .address_space:  global
        .offset:         40
        .size:           8
        .value_kind:     global_buffer
      - .actual_access:  read_only
        .address_space:  global
        .offset:         48
        .size:           8
        .value_kind:     global_buffer
      - .offset:         56
        .size:           4
        .value_kind:     by_value
      - .actual_access:  read_only
        .address_space:  global
        .offset:         64
        .size:           8
        .value_kind:     global_buffer
      - .offset:         72
        .size:           4
        .value_kind:     by_value
      - .offset:         76
        .size:           4
        .value_kind:     by_value
      - .offset:         80
        .size:           4
        .value_kind:     by_value
      - .actual_access:  read_only
        .address_space:  global
        .offset:         88
        .size:           8
        .value_kind:     global_buffer
      - .actual_access:  read_only
        .address_space:  global
        .offset:         96
        .size:           8
        .value_kind:     global_buffer
      - .actual_access:  read_only
        .address_space:  global
        .offset:         104
        .size:           8
        .value_kind:     global_buffer
      - .actual_access:  read_only
        .address_space:  global
        .offset:         112
        .size:           8
        .value_kind:     global_buffer
      - .offset:         120
        .size:           4
        .value_kind:     by_value
      - .address_space:  global
        .offset:         128
        .size:           8
        .value_kind:     global_buffer
      - .address_space:  global
        .offset:         136
        .size:           8
        .value_kind:     global_buffer
      - .offset:         144
        .size:           4
        .value_kind:     hidden_block_count_x
      - .offset:         148
        .size:           4
        .value_kind:     hidden_block_count_y
      - .offset:         152
        .size:           4
        .value_kind:     hidden_block_count_z
      - .offset:         156
        .size:           2
        .value_kind:     hidden_group_size_x
      - .offset:         158
        .size:           2
        .value_kind:     hidden_group_size_y
      - .offset:         160
        .size:           2
        .value_kind:     hidden_group_size_z
      - .offset:         162
        .size:           2
        .value_kind:     hidden_remainder_x
      - .offset:         164
        .size:           2
        .value_kind:     hidden_remainder_y
      - .offset:         166
        .size:           2
        .value_kind:     hidden_remainder_z
      - .offset:         184
        .size:           8
        .value_kind:     hidden_global_offset_x
      - .offset:         192
        .size:           8
        .value_kind:     hidden_global_offset_y
      - .offset:         200
        .size:           8
        .value_kind:     hidden_global_offset_z
      - .offset:         208
        .size:           2
        .value_kind:     hidden_grid_dims
      - .offset:         224
        .size:           8
        .value_kind:     hidden_hostcall_buffer
    .group_segment_fixed_size: 0
    .kernarg_segment_align: 8
    .kernarg_segment_size: 400
    .language:       OpenCL C
    .language_version:
      - 2
      - 0
    .max_flat_workgroup_size: 256
    .name:           _Z39paged_attention_ll4mi_QKV_mfma16_kernelIDF16_DF16_LN4vllm18Fp8KVCacheDataTypeE0EDF16_Li32ELi128ELi256ELb1ELi12EEvPKT_PKT0_S7_ifPKiS9_S9_iPKfiiiPfSC_PS2_PT2_iSB_SB_
    .private_segment_fixed_size: 64
    .sgpr_count:     36
    .sgpr_spill_count: 0
    .symbol:         _Z39paged_attention_ll4mi_QKV_mfma16_kernelIDF16_DF16_LN4vllm18Fp8KVCacheDataTypeE0EDF16_Li32ELi128ELi256ELb1ELi12EEvPKT_PKT0_S7_ifPKiS9_S9_iPKfiiiPfSC_PS2_PT2_iSB_SB_.kd
    .uniform_work_group_size: 1
    .uses_dynamic_stack: false
    .vgpr_count:     51
    .vgpr_spill_count: 0
    .wavefront_size: 32
  - .args:
      - .actual_access:  read_only
        .address_space:  global
        .offset:         0
        .size:           8
        .value_kind:     global_buffer
      - .actual_access:  read_only
        .address_space:  global
        .offset:         8
        .size:           8
        .value_kind:     global_buffer
      - .actual_access:  read_only
        .address_space:  global
        .offset:         16
        .size:           8
        .value_kind:     global_buffer
      - .offset:         24
        .size:           4
        .value_kind:     by_value
      - .offset:         28
        .size:           4
        .value_kind:     by_value
      - .actual_access:  read_only
        .address_space:  global
        .offset:         32
        .size:           8
        .value_kind:     global_buffer
      - .actual_access:  read_only
        .address_space:  global
        .offset:         40
        .size:           8
        .value_kind:     global_buffer
      - .actual_access:  read_only
        .address_space:  global
        .offset:         48
        .size:           8
        .value_kind:     global_buffer
      - .offset:         56
        .size:           4
        .value_kind:     by_value
      - .actual_access:  read_only
        .address_space:  global
        .offset:         64
        .size:           8
        .value_kind:     global_buffer
      - .offset:         72
        .size:           4
        .value_kind:     by_value
      - .offset:         76
        .size:           4
        .value_kind:     by_value
      - .offset:         80
        .size:           4
        .value_kind:     by_value
      - .actual_access:  read_only
        .address_space:  global
        .offset:         88
        .size:           8
        .value_kind:     global_buffer
      - .actual_access:  read_only
        .address_space:  global
        .offset:         96
        .size:           8
        .value_kind:     global_buffer
      - .actual_access:  read_only
        .address_space:  global
        .offset:         104
        .size:           8
        .value_kind:     global_buffer
      - .actual_access:  read_only
        .address_space:  global
        .offset:         112
        .size:           8
        .value_kind:     global_buffer
      - .offset:         120
        .size:           4
        .value_kind:     by_value
      - .address_space:  global
        .offset:         128
        .size:           8
        .value_kind:     global_buffer
      - .address_space:  global
        .offset:         136
        .size:           8
        .value_kind:     global_buffer
      - .offset:         144
        .size:           4
        .value_kind:     hidden_block_count_x
      - .offset:         148
        .size:           4
        .value_kind:     hidden_block_count_y
      - .offset:         152
        .size:           4
        .value_kind:     hidden_block_count_z
      - .offset:         156
        .size:           2
        .value_kind:     hidden_group_size_x
      - .offset:         158
        .size:           2
        .value_kind:     hidden_group_size_y
      - .offset:         160
        .size:           2
        .value_kind:     hidden_group_size_z
      - .offset:         162
        .size:           2
        .value_kind:     hidden_remainder_x
      - .offset:         164
        .size:           2
        .value_kind:     hidden_remainder_y
      - .offset:         166
        .size:           2
        .value_kind:     hidden_remainder_z
      - .offset:         184
        .size:           8
        .value_kind:     hidden_global_offset_x
      - .offset:         192
        .size:           8
        .value_kind:     hidden_global_offset_y
      - .offset:         200
        .size:           8
        .value_kind:     hidden_global_offset_z
      - .offset:         208
        .size:           2
        .value_kind:     hidden_grid_dims
      - .offset:         224
        .size:           8
        .value_kind:     hidden_hostcall_buffer
    .group_segment_fixed_size: 0
    .kernarg_segment_align: 8
    .kernarg_segment_size: 400
    .language:       OpenCL C
    .language_version:
      - 2
      - 0
    .max_flat_workgroup_size: 256
    .name:           _Z39paged_attention_ll4mi_QKV_mfma16_kernelIDF16_DF16_LN4vllm18Fp8KVCacheDataTypeE0EDF16_Li32ELi128ELi256ELb1ELi13EEvPKT_PKT0_S7_ifPKiS9_S9_iPKfiiiPfSC_PS2_PT2_iSB_SB_
    .private_segment_fixed_size: 64
    .sgpr_count:     36
    .sgpr_spill_count: 0
    .symbol:         _Z39paged_attention_ll4mi_QKV_mfma16_kernelIDF16_DF16_LN4vllm18Fp8KVCacheDataTypeE0EDF16_Li32ELi128ELi256ELb1ELi13EEvPKT_PKT0_S7_ifPKiS9_S9_iPKfiiiPfSC_PS2_PT2_iSB_SB_.kd
    .uniform_work_group_size: 1
    .uses_dynamic_stack: false
    .vgpr_count:     51
    .vgpr_spill_count: 0
    .wavefront_size: 32
  - .args:
      - .actual_access:  read_only
        .address_space:  global
        .offset:         0
        .size:           8
        .value_kind:     global_buffer
      - .actual_access:  read_only
        .address_space:  global
        .offset:         8
        .size:           8
        .value_kind:     global_buffer
      - .actual_access:  read_only
        .address_space:  global
        .offset:         16
        .size:           8
        .value_kind:     global_buffer
      - .offset:         24
        .size:           4
        .value_kind:     by_value
      - .offset:         28
        .size:           4
        .value_kind:     by_value
      - .actual_access:  read_only
        .address_space:  global
        .offset:         32
        .size:           8
        .value_kind:     global_buffer
      - .actual_access:  read_only
        .address_space:  global
        .offset:         40
        .size:           8
        .value_kind:     global_buffer
      - .actual_access:  read_only
        .address_space:  global
        .offset:         48
        .size:           8
        .value_kind:     global_buffer
      - .offset:         56
        .size:           4
        .value_kind:     by_value
      - .actual_access:  read_only
        .address_space:  global
        .offset:         64
        .size:           8
        .value_kind:     global_buffer
      - .offset:         72
        .size:           4
        .value_kind:     by_value
      - .offset:         76
        .size:           4
        .value_kind:     by_value
      - .offset:         80
        .size:           4
        .value_kind:     by_value
      - .actual_access:  read_only
        .address_space:  global
        .offset:         88
        .size:           8
        .value_kind:     global_buffer
      - .actual_access:  read_only
        .address_space:  global
        .offset:         96
        .size:           8
        .value_kind:     global_buffer
      - .actual_access:  read_only
        .address_space:  global
        .offset:         104
        .size:           8
        .value_kind:     global_buffer
      - .actual_access:  read_only
        .address_space:  global
        .offset:         112
        .size:           8
        .value_kind:     global_buffer
      - .offset:         120
        .size:           4
        .value_kind:     by_value
      - .address_space:  global
        .offset:         128
        .size:           8
        .value_kind:     global_buffer
      - .address_space:  global
        .offset:         136
        .size:           8
        .value_kind:     global_buffer
      - .offset:         144
        .size:           4
        .value_kind:     hidden_block_count_x
      - .offset:         148
        .size:           4
        .value_kind:     hidden_block_count_y
      - .offset:         152
        .size:           4
        .value_kind:     hidden_block_count_z
      - .offset:         156
        .size:           2
        .value_kind:     hidden_group_size_x
      - .offset:         158
        .size:           2
        .value_kind:     hidden_group_size_y
      - .offset:         160
        .size:           2
        .value_kind:     hidden_group_size_z
      - .offset:         162
        .size:           2
        .value_kind:     hidden_remainder_x
      - .offset:         164
        .size:           2
        .value_kind:     hidden_remainder_y
      - .offset:         166
        .size:           2
        .value_kind:     hidden_remainder_z
      - .offset:         184
        .size:           8
        .value_kind:     hidden_global_offset_x
      - .offset:         192
        .size:           8
        .value_kind:     hidden_global_offset_y
      - .offset:         200
        .size:           8
        .value_kind:     hidden_global_offset_z
      - .offset:         208
        .size:           2
        .value_kind:     hidden_grid_dims
      - .offset:         224
        .size:           8
        .value_kind:     hidden_hostcall_buffer
    .group_segment_fixed_size: 0
    .kernarg_segment_align: 8
    .kernarg_segment_size: 400
    .language:       OpenCL C
    .language_version:
      - 2
      - 0
    .max_flat_workgroup_size: 256
    .name:           _Z39paged_attention_ll4mi_QKV_mfma16_kernelIDF16_DF16_LN4vllm18Fp8KVCacheDataTypeE0EDF16_Li32ELi128ELi256ELb1ELi14EEvPKT_PKT0_S7_ifPKiS9_S9_iPKfiiiPfSC_PS2_PT2_iSB_SB_
    .private_segment_fixed_size: 64
    .sgpr_count:     36
    .sgpr_spill_count: 0
    .symbol:         _Z39paged_attention_ll4mi_QKV_mfma16_kernelIDF16_DF16_LN4vllm18Fp8KVCacheDataTypeE0EDF16_Li32ELi128ELi256ELb1ELi14EEvPKT_PKT0_S7_ifPKiS9_S9_iPKfiiiPfSC_PS2_PT2_iSB_SB_.kd
    .uniform_work_group_size: 1
    .uses_dynamic_stack: false
    .vgpr_count:     51
    .vgpr_spill_count: 0
    .wavefront_size: 32
  - .args:
      - .actual_access:  read_only
        .address_space:  global
        .offset:         0
        .size:           8
        .value_kind:     global_buffer
      - .actual_access:  read_only
        .address_space:  global
        .offset:         8
        .size:           8
        .value_kind:     global_buffer
      - .actual_access:  read_only
        .address_space:  global
        .offset:         16
        .size:           8
        .value_kind:     global_buffer
      - .offset:         24
        .size:           4
        .value_kind:     by_value
      - .offset:         28
        .size:           4
        .value_kind:     by_value
      - .actual_access:  read_only
        .address_space:  global
        .offset:         32
        .size:           8
        .value_kind:     global_buffer
      - .actual_access:  read_only
        .address_space:  global
        .offset:         40
        .size:           8
        .value_kind:     global_buffer
      - .actual_access:  read_only
        .address_space:  global
        .offset:         48
        .size:           8
        .value_kind:     global_buffer
      - .offset:         56
        .size:           4
        .value_kind:     by_value
      - .actual_access:  read_only
        .address_space:  global
        .offset:         64
        .size:           8
        .value_kind:     global_buffer
      - .offset:         72
        .size:           4
        .value_kind:     by_value
      - .offset:         76
        .size:           4
        .value_kind:     by_value
      - .offset:         80
        .size:           4
        .value_kind:     by_value
      - .actual_access:  read_only
        .address_space:  global
        .offset:         88
        .size:           8
        .value_kind:     global_buffer
      - .actual_access:  read_only
        .address_space:  global
        .offset:         96
        .size:           8
        .value_kind:     global_buffer
      - .actual_access:  read_only
        .address_space:  global
        .offset:         104
        .size:           8
        .value_kind:     global_buffer
      - .actual_access:  read_only
        .address_space:  global
        .offset:         112
        .size:           8
        .value_kind:     global_buffer
      - .offset:         120
        .size:           4
        .value_kind:     by_value
      - .address_space:  global
        .offset:         128
        .size:           8
        .value_kind:     global_buffer
      - .address_space:  global
        .offset:         136
        .size:           8
        .value_kind:     global_buffer
      - .offset:         144
        .size:           4
        .value_kind:     hidden_block_count_x
      - .offset:         148
        .size:           4
        .value_kind:     hidden_block_count_y
      - .offset:         152
        .size:           4
        .value_kind:     hidden_block_count_z
      - .offset:         156
        .size:           2
        .value_kind:     hidden_group_size_x
      - .offset:         158
        .size:           2
        .value_kind:     hidden_group_size_y
      - .offset:         160
        .size:           2
        .value_kind:     hidden_group_size_z
      - .offset:         162
        .size:           2
        .value_kind:     hidden_remainder_x
      - .offset:         164
        .size:           2
        .value_kind:     hidden_remainder_y
      - .offset:         166
        .size:           2
        .value_kind:     hidden_remainder_z
      - .offset:         184
        .size:           8
        .value_kind:     hidden_global_offset_x
      - .offset:         192
        .size:           8
        .value_kind:     hidden_global_offset_y
      - .offset:         200
        .size:           8
        .value_kind:     hidden_global_offset_z
      - .offset:         208
        .size:           2
        .value_kind:     hidden_grid_dims
      - .offset:         224
        .size:           8
        .value_kind:     hidden_hostcall_buffer
    .group_segment_fixed_size: 0
    .kernarg_segment_align: 8
    .kernarg_segment_size: 400
    .language:       OpenCL C
    .language_version:
      - 2
      - 0
    .max_flat_workgroup_size: 256
    .name:           _Z39paged_attention_ll4mi_QKV_mfma16_kernelIDF16_DF16_LN4vllm18Fp8KVCacheDataTypeE0EDF16_Li32ELi128ELi256ELb1ELi15EEvPKT_PKT0_S7_ifPKiS9_S9_iPKfiiiPfSC_PS2_PT2_iSB_SB_
    .private_segment_fixed_size: 64
    .sgpr_count:     36
    .sgpr_spill_count: 0
    .symbol:         _Z39paged_attention_ll4mi_QKV_mfma16_kernelIDF16_DF16_LN4vllm18Fp8KVCacheDataTypeE0EDF16_Li32ELi128ELi256ELb1ELi15EEvPKT_PKT0_S7_ifPKiS9_S9_iPKfiiiPfSC_PS2_PT2_iSB_SB_.kd
    .uniform_work_group_size: 1
    .uses_dynamic_stack: false
    .vgpr_count:     51
    .vgpr_spill_count: 0
    .wavefront_size: 32
  - .args:
      - .actual_access:  read_only
        .address_space:  global
        .offset:         0
        .size:           8
        .value_kind:     global_buffer
      - .actual_access:  read_only
        .address_space:  global
        .offset:         8
        .size:           8
        .value_kind:     global_buffer
      - .actual_access:  read_only
        .address_space:  global
        .offset:         16
        .size:           8
        .value_kind:     global_buffer
      - .offset:         24
        .size:           4
        .value_kind:     by_value
      - .offset:         28
        .size:           4
        .value_kind:     by_value
      - .actual_access:  read_only
        .address_space:  global
        .offset:         32
        .size:           8
        .value_kind:     global_buffer
      - .actual_access:  read_only
        .address_space:  global
        .offset:         40
        .size:           8
        .value_kind:     global_buffer
      - .actual_access:  read_only
        .address_space:  global
        .offset:         48
        .size:           8
        .value_kind:     global_buffer
      - .offset:         56
        .size:           4
        .value_kind:     by_value
      - .actual_access:  read_only
        .address_space:  global
        .offset:         64
        .size:           8
        .value_kind:     global_buffer
      - .offset:         72
        .size:           4
        .value_kind:     by_value
      - .offset:         76
        .size:           4
        .value_kind:     by_value
      - .offset:         80
        .size:           4
        .value_kind:     by_value
      - .actual_access:  read_only
        .address_space:  global
        .offset:         88
        .size:           8
        .value_kind:     global_buffer
      - .actual_access:  read_only
        .address_space:  global
        .offset:         96
        .size:           8
        .value_kind:     global_buffer
      - .actual_access:  read_only
        .address_space:  global
        .offset:         104
        .size:           8
        .value_kind:     global_buffer
      - .actual_access:  read_only
        .address_space:  global
        .offset:         112
        .size:           8
        .value_kind:     global_buffer
      - .offset:         120
        .size:           4
        .value_kind:     by_value
      - .address_space:  global
        .offset:         128
        .size:           8
        .value_kind:     global_buffer
      - .address_space:  global
        .offset:         136
        .size:           8
        .value_kind:     global_buffer
      - .offset:         144
        .size:           4
        .value_kind:     hidden_block_count_x
      - .offset:         148
        .size:           4
        .value_kind:     hidden_block_count_y
      - .offset:         152
        .size:           4
        .value_kind:     hidden_block_count_z
      - .offset:         156
        .size:           2
        .value_kind:     hidden_group_size_x
      - .offset:         158
        .size:           2
        .value_kind:     hidden_group_size_y
      - .offset:         160
        .size:           2
        .value_kind:     hidden_group_size_z
      - .offset:         162
        .size:           2
        .value_kind:     hidden_remainder_x
      - .offset:         164
        .size:           2
        .value_kind:     hidden_remainder_y
      - .offset:         166
        .size:           2
        .value_kind:     hidden_remainder_z
      - .offset:         184
        .size:           8
        .value_kind:     hidden_global_offset_x
      - .offset:         192
        .size:           8
        .value_kind:     hidden_global_offset_y
      - .offset:         200
        .size:           8
        .value_kind:     hidden_global_offset_z
      - .offset:         208
        .size:           2
        .value_kind:     hidden_grid_dims
      - .offset:         224
        .size:           8
        .value_kind:     hidden_hostcall_buffer
    .group_segment_fixed_size: 0
    .kernarg_segment_align: 8
    .kernarg_segment_size: 400
    .language:       OpenCL C
    .language_version:
      - 2
      - 0
    .max_flat_workgroup_size: 256
    .name:           _Z39paged_attention_ll4mi_QKV_mfma16_kernelIDF16_DF16_LN4vllm18Fp8KVCacheDataTypeE0EDF16_Li32ELi128ELi256ELb1ELi16EEvPKT_PKT0_S7_ifPKiS9_S9_iPKfiiiPfSC_PS2_PT2_iSB_SB_
    .private_segment_fixed_size: 64
    .sgpr_count:     36
    .sgpr_spill_count: 0
    .symbol:         _Z39paged_attention_ll4mi_QKV_mfma16_kernelIDF16_DF16_LN4vllm18Fp8KVCacheDataTypeE0EDF16_Li32ELi128ELi256ELb1ELi16EEvPKT_PKT0_S7_ifPKiS9_S9_iPKfiiiPfSC_PS2_PT2_iSB_SB_.kd
    .uniform_work_group_size: 1
    .uses_dynamic_stack: false
    .vgpr_count:     51
    .vgpr_spill_count: 0
    .wavefront_size: 32
  - .args:
      - .actual_access:  read_only
        .address_space:  global
        .offset:         0
        .size:           8
        .value_kind:     global_buffer
      - .actual_access:  read_only
        .address_space:  global
        .offset:         8
        .size:           8
        .value_kind:     global_buffer
      - .actual_access:  read_only
        .address_space:  global
        .offset:         16
        .size:           8
        .value_kind:     global_buffer
      - .offset:         24
        .size:           4
        .value_kind:     by_value
      - .offset:         28
        .size:           4
        .value_kind:     by_value
      - .actual_access:  read_only
        .address_space:  global
        .offset:         32
        .size:           8
        .value_kind:     global_buffer
      - .actual_access:  read_only
        .address_space:  global
        .offset:         40
        .size:           8
        .value_kind:     global_buffer
      - .actual_access:  read_only
        .address_space:  global
        .offset:         48
        .size:           8
        .value_kind:     global_buffer
      - .offset:         56
        .size:           4
        .value_kind:     by_value
      - .actual_access:  read_only
        .address_space:  global
        .offset:         64
        .size:           8
        .value_kind:     global_buffer
      - .offset:         72
        .size:           4
        .value_kind:     by_value
      - .offset:         76
        .size:           4
        .value_kind:     by_value
      - .offset:         80
        .size:           4
        .value_kind:     by_value
      - .actual_access:  read_only
        .address_space:  global
        .offset:         88
        .size:           8
        .value_kind:     global_buffer
      - .actual_access:  read_only
        .address_space:  global
        .offset:         96
        .size:           8
        .value_kind:     global_buffer
      - .actual_access:  read_only
        .address_space:  global
        .offset:         104
        .size:           8
        .value_kind:     global_buffer
      - .actual_access:  read_only
        .address_space:  global
        .offset:         112
        .size:           8
        .value_kind:     global_buffer
      - .offset:         120
        .size:           4
        .value_kind:     by_value
      - .address_space:  global
        .offset:         128
        .size:           8
        .value_kind:     global_buffer
      - .address_space:  global
        .offset:         136
        .size:           8
        .value_kind:     global_buffer
      - .offset:         144
        .size:           4
        .value_kind:     hidden_block_count_x
      - .offset:         148
        .size:           4
        .value_kind:     hidden_block_count_y
      - .offset:         152
        .size:           4
        .value_kind:     hidden_block_count_z
      - .offset:         156
        .size:           2
        .value_kind:     hidden_group_size_x
      - .offset:         158
        .size:           2
        .value_kind:     hidden_group_size_y
      - .offset:         160
        .size:           2
        .value_kind:     hidden_group_size_z
      - .offset:         162
        .size:           2
        .value_kind:     hidden_remainder_x
      - .offset:         164
        .size:           2
        .value_kind:     hidden_remainder_y
      - .offset:         166
        .size:           2
        .value_kind:     hidden_remainder_z
      - .offset:         184
        .size:           8
        .value_kind:     hidden_global_offset_x
      - .offset:         192
        .size:           8
        .value_kind:     hidden_global_offset_y
      - .offset:         200
        .size:           8
        .value_kind:     hidden_global_offset_z
      - .offset:         208
        .size:           2
        .value_kind:     hidden_grid_dims
      - .offset:         224
        .size:           8
        .value_kind:     hidden_hostcall_buffer
    .group_segment_fixed_size: 0
    .kernarg_segment_align: 8
    .kernarg_segment_size: 400
    .language:       OpenCL C
    .language_version:
      - 2
      - 0
    .max_flat_workgroup_size: 256
    .name:           _Z39paged_attention_ll4mi_QKV_mfma16_kernelIDF16_DF16_LN4vllm18Fp8KVCacheDataTypeE0EDF16_Li32ELi128ELi256ELb1ELi1EEvPKT_PKT0_S7_ifPKiS9_S9_iPKfiiiPfSC_PS2_PT2_iSB_SB_
    .private_segment_fixed_size: 64
    .sgpr_count:     36
    .sgpr_spill_count: 0
    .symbol:         _Z39paged_attention_ll4mi_QKV_mfma16_kernelIDF16_DF16_LN4vllm18Fp8KVCacheDataTypeE0EDF16_Li32ELi128ELi256ELb1ELi1EEvPKT_PKT0_S7_ifPKiS9_S9_iPKfiiiPfSC_PS2_PT2_iSB_SB_.kd
    .uniform_work_group_size: 1
    .uses_dynamic_stack: false
    .vgpr_count:     51
    .vgpr_spill_count: 0
    .wavefront_size: 32
  - .args:
      - .actual_access:  read_only
        .address_space:  global
        .offset:         0
        .size:           8
        .value_kind:     global_buffer
      - .actual_access:  read_only
        .address_space:  global
        .offset:         8
        .size:           8
        .value_kind:     global_buffer
      - .actual_access:  read_only
        .address_space:  global
        .offset:         16
        .size:           8
        .value_kind:     global_buffer
      - .offset:         24
        .size:           4
        .value_kind:     by_value
      - .offset:         28
        .size:           4
        .value_kind:     by_value
      - .actual_access:  read_only
        .address_space:  global
        .offset:         32
        .size:           8
        .value_kind:     global_buffer
      - .actual_access:  read_only
        .address_space:  global
        .offset:         40
        .size:           8
        .value_kind:     global_buffer
      - .actual_access:  read_only
        .address_space:  global
        .offset:         48
        .size:           8
        .value_kind:     global_buffer
      - .offset:         56
        .size:           4
        .value_kind:     by_value
      - .actual_access:  read_only
        .address_space:  global
        .offset:         64
        .size:           8
        .value_kind:     global_buffer
      - .offset:         72
        .size:           4
        .value_kind:     by_value
      - .offset:         76
        .size:           4
        .value_kind:     by_value
      - .offset:         80
        .size:           4
        .value_kind:     by_value
      - .actual_access:  read_only
        .address_space:  global
        .offset:         88
        .size:           8
        .value_kind:     global_buffer
      - .actual_access:  read_only
        .address_space:  global
        .offset:         96
        .size:           8
        .value_kind:     global_buffer
      - .actual_access:  read_only
        .address_space:  global
        .offset:         104
        .size:           8
        .value_kind:     global_buffer
      - .actual_access:  read_only
        .address_space:  global
        .offset:         112
        .size:           8
        .value_kind:     global_buffer
      - .offset:         120
        .size:           4
        .value_kind:     by_value
      - .address_space:  global
        .offset:         128
        .size:           8
        .value_kind:     global_buffer
      - .address_space:  global
        .offset:         136
        .size:           8
        .value_kind:     global_buffer
      - .offset:         144
        .size:           4
        .value_kind:     hidden_block_count_x
      - .offset:         148
        .size:           4
        .value_kind:     hidden_block_count_y
      - .offset:         152
        .size:           4
        .value_kind:     hidden_block_count_z
      - .offset:         156
        .size:           2
        .value_kind:     hidden_group_size_x
      - .offset:         158
        .size:           2
        .value_kind:     hidden_group_size_y
      - .offset:         160
        .size:           2
        .value_kind:     hidden_group_size_z
      - .offset:         162
        .size:           2
        .value_kind:     hidden_remainder_x
      - .offset:         164
        .size:           2
        .value_kind:     hidden_remainder_y
      - .offset:         166
        .size:           2
        .value_kind:     hidden_remainder_z
      - .offset:         184
        .size:           8
        .value_kind:     hidden_global_offset_x
      - .offset:         192
        .size:           8
        .value_kind:     hidden_global_offset_y
      - .offset:         200
        .size:           8
        .value_kind:     hidden_global_offset_z
      - .offset:         208
        .size:           2
        .value_kind:     hidden_grid_dims
      - .offset:         224
        .size:           8
        .value_kind:     hidden_hostcall_buffer
    .group_segment_fixed_size: 0
    .kernarg_segment_align: 8
    .kernarg_segment_size: 400
    .language:       OpenCL C
    .language_version:
      - 2
      - 0
    .max_flat_workgroup_size: 256
    .name:           _Z39paged_attention_ll4mi_QKV_mfma16_kernelIDF16_DF16_LN4vllm18Fp8KVCacheDataTypeE0EDF16_Li32ELi128ELi256ELb1ELi2EEvPKT_PKT0_S7_ifPKiS9_S9_iPKfiiiPfSC_PS2_PT2_iSB_SB_
    .private_segment_fixed_size: 64
    .sgpr_count:     36
    .sgpr_spill_count: 0
    .symbol:         _Z39paged_attention_ll4mi_QKV_mfma16_kernelIDF16_DF16_LN4vllm18Fp8KVCacheDataTypeE0EDF16_Li32ELi128ELi256ELb1ELi2EEvPKT_PKT0_S7_ifPKiS9_S9_iPKfiiiPfSC_PS2_PT2_iSB_SB_.kd
    .uniform_work_group_size: 1
    .uses_dynamic_stack: false
    .vgpr_count:     51
    .vgpr_spill_count: 0
    .wavefront_size: 32
  - .args:
      - .actual_access:  read_only
        .address_space:  global
        .offset:         0
        .size:           8
        .value_kind:     global_buffer
      - .actual_access:  read_only
        .address_space:  global
        .offset:         8
        .size:           8
        .value_kind:     global_buffer
      - .actual_access:  read_only
        .address_space:  global
        .offset:         16
        .size:           8
        .value_kind:     global_buffer
      - .offset:         24
        .size:           4
        .value_kind:     by_value
      - .offset:         28
        .size:           4
        .value_kind:     by_value
      - .actual_access:  read_only
        .address_space:  global
        .offset:         32
        .size:           8
        .value_kind:     global_buffer
      - .actual_access:  read_only
        .address_space:  global
        .offset:         40
        .size:           8
        .value_kind:     global_buffer
      - .actual_access:  read_only
        .address_space:  global
        .offset:         48
        .size:           8
        .value_kind:     global_buffer
      - .offset:         56
        .size:           4
        .value_kind:     by_value
      - .actual_access:  read_only
        .address_space:  global
        .offset:         64
        .size:           8
        .value_kind:     global_buffer
      - .offset:         72
        .size:           4
        .value_kind:     by_value
      - .offset:         76
        .size:           4
        .value_kind:     by_value
      - .offset:         80
        .size:           4
        .value_kind:     by_value
      - .actual_access:  read_only
        .address_space:  global
        .offset:         88
        .size:           8
        .value_kind:     global_buffer
      - .actual_access:  read_only
        .address_space:  global
        .offset:         96
        .size:           8
        .value_kind:     global_buffer
      - .actual_access:  read_only
        .address_space:  global
        .offset:         104
        .size:           8
        .value_kind:     global_buffer
      - .actual_access:  read_only
        .address_space:  global
        .offset:         112
        .size:           8
        .value_kind:     global_buffer
      - .offset:         120
        .size:           4
        .value_kind:     by_value
      - .address_space:  global
        .offset:         128
        .size:           8
        .value_kind:     global_buffer
      - .address_space:  global
        .offset:         136
        .size:           8
        .value_kind:     global_buffer
      - .offset:         144
        .size:           4
        .value_kind:     hidden_block_count_x
      - .offset:         148
        .size:           4
        .value_kind:     hidden_block_count_y
      - .offset:         152
        .size:           4
        .value_kind:     hidden_block_count_z
      - .offset:         156
        .size:           2
        .value_kind:     hidden_group_size_x
      - .offset:         158
        .size:           2
        .value_kind:     hidden_group_size_y
      - .offset:         160
        .size:           2
        .value_kind:     hidden_group_size_z
      - .offset:         162
        .size:           2
        .value_kind:     hidden_remainder_x
      - .offset:         164
        .size:           2
        .value_kind:     hidden_remainder_y
      - .offset:         166
        .size:           2
        .value_kind:     hidden_remainder_z
      - .offset:         184
        .size:           8
        .value_kind:     hidden_global_offset_x
      - .offset:         192
        .size:           8
        .value_kind:     hidden_global_offset_y
      - .offset:         200
        .size:           8
        .value_kind:     hidden_global_offset_z
      - .offset:         208
        .size:           2
        .value_kind:     hidden_grid_dims
      - .offset:         224
        .size:           8
        .value_kind:     hidden_hostcall_buffer
    .group_segment_fixed_size: 0
    .kernarg_segment_align: 8
    .kernarg_segment_size: 400
    .language:       OpenCL C
    .language_version:
      - 2
      - 0
    .max_flat_workgroup_size: 256
    .name:           _Z39paged_attention_ll4mi_QKV_mfma16_kernelIDF16_DF16_LN4vllm18Fp8KVCacheDataTypeE0EDF16_Li32ELi128ELi256ELb1ELi3EEvPKT_PKT0_S7_ifPKiS9_S9_iPKfiiiPfSC_PS2_PT2_iSB_SB_
    .private_segment_fixed_size: 64
    .sgpr_count:     36
    .sgpr_spill_count: 0
    .symbol:         _Z39paged_attention_ll4mi_QKV_mfma16_kernelIDF16_DF16_LN4vllm18Fp8KVCacheDataTypeE0EDF16_Li32ELi128ELi256ELb1ELi3EEvPKT_PKT0_S7_ifPKiS9_S9_iPKfiiiPfSC_PS2_PT2_iSB_SB_.kd
    .uniform_work_group_size: 1
    .uses_dynamic_stack: false
    .vgpr_count:     51
    .vgpr_spill_count: 0
    .wavefront_size: 32
  - .args:
      - .actual_access:  read_only
        .address_space:  global
        .offset:         0
        .size:           8
        .value_kind:     global_buffer
      - .actual_access:  read_only
        .address_space:  global
        .offset:         8
        .size:           8
        .value_kind:     global_buffer
      - .actual_access:  read_only
        .address_space:  global
        .offset:         16
        .size:           8
        .value_kind:     global_buffer
      - .offset:         24
        .size:           4
        .value_kind:     by_value
      - .offset:         28
        .size:           4
        .value_kind:     by_value
      - .actual_access:  read_only
        .address_space:  global
        .offset:         32
        .size:           8
        .value_kind:     global_buffer
      - .actual_access:  read_only
        .address_space:  global
        .offset:         40
        .size:           8
        .value_kind:     global_buffer
      - .actual_access:  read_only
        .address_space:  global
        .offset:         48
        .size:           8
        .value_kind:     global_buffer
      - .offset:         56
        .size:           4
        .value_kind:     by_value
      - .actual_access:  read_only
        .address_space:  global
        .offset:         64
        .size:           8
        .value_kind:     global_buffer
      - .offset:         72
        .size:           4
        .value_kind:     by_value
      - .offset:         76
        .size:           4
        .value_kind:     by_value
      - .offset:         80
        .size:           4
        .value_kind:     by_value
      - .actual_access:  read_only
        .address_space:  global
        .offset:         88
        .size:           8
        .value_kind:     global_buffer
      - .actual_access:  read_only
        .address_space:  global
        .offset:         96
        .size:           8
        .value_kind:     global_buffer
      - .actual_access:  read_only
        .address_space:  global
        .offset:         104
        .size:           8
        .value_kind:     global_buffer
      - .actual_access:  read_only
        .address_space:  global
        .offset:         112
        .size:           8
        .value_kind:     global_buffer
      - .offset:         120
        .size:           4
        .value_kind:     by_value
      - .address_space:  global
        .offset:         128
        .size:           8
        .value_kind:     global_buffer
      - .address_space:  global
        .offset:         136
        .size:           8
        .value_kind:     global_buffer
      - .offset:         144
        .size:           4
        .value_kind:     hidden_block_count_x
      - .offset:         148
        .size:           4
        .value_kind:     hidden_block_count_y
      - .offset:         152
        .size:           4
        .value_kind:     hidden_block_count_z
      - .offset:         156
        .size:           2
        .value_kind:     hidden_group_size_x
      - .offset:         158
        .size:           2
        .value_kind:     hidden_group_size_y
      - .offset:         160
        .size:           2
        .value_kind:     hidden_group_size_z
      - .offset:         162
        .size:           2
        .value_kind:     hidden_remainder_x
      - .offset:         164
        .size:           2
        .value_kind:     hidden_remainder_y
      - .offset:         166
        .size:           2
        .value_kind:     hidden_remainder_z
      - .offset:         184
        .size:           8
        .value_kind:     hidden_global_offset_x
      - .offset:         192
        .size:           8
        .value_kind:     hidden_global_offset_y
      - .offset:         200
        .size:           8
        .value_kind:     hidden_global_offset_z
      - .offset:         208
        .size:           2
        .value_kind:     hidden_grid_dims
      - .offset:         224
        .size:           8
        .value_kind:     hidden_hostcall_buffer
    .group_segment_fixed_size: 0
    .kernarg_segment_align: 8
    .kernarg_segment_size: 400
    .language:       OpenCL C
    .language_version:
      - 2
      - 0
    .max_flat_workgroup_size: 256
    .name:           _Z39paged_attention_ll4mi_QKV_mfma16_kernelIDF16_DF16_LN4vllm18Fp8KVCacheDataTypeE0EDF16_Li32ELi128ELi256ELb1ELi4EEvPKT_PKT0_S7_ifPKiS9_S9_iPKfiiiPfSC_PS2_PT2_iSB_SB_
    .private_segment_fixed_size: 64
    .sgpr_count:     36
    .sgpr_spill_count: 0
    .symbol:         _Z39paged_attention_ll4mi_QKV_mfma16_kernelIDF16_DF16_LN4vllm18Fp8KVCacheDataTypeE0EDF16_Li32ELi128ELi256ELb1ELi4EEvPKT_PKT0_S7_ifPKiS9_S9_iPKfiiiPfSC_PS2_PT2_iSB_SB_.kd
    .uniform_work_group_size: 1
    .uses_dynamic_stack: false
    .vgpr_count:     51
    .vgpr_spill_count: 0
    .wavefront_size: 32
  - .args:
      - .actual_access:  read_only
        .address_space:  global
        .offset:         0
        .size:           8
        .value_kind:     global_buffer
      - .actual_access:  read_only
        .address_space:  global
        .offset:         8
        .size:           8
        .value_kind:     global_buffer
      - .actual_access:  read_only
        .address_space:  global
        .offset:         16
        .size:           8
        .value_kind:     global_buffer
      - .offset:         24
        .size:           4
        .value_kind:     by_value
      - .offset:         28
        .size:           4
        .value_kind:     by_value
      - .actual_access:  read_only
        .address_space:  global
        .offset:         32
        .size:           8
        .value_kind:     global_buffer
      - .actual_access:  read_only
        .address_space:  global
        .offset:         40
        .size:           8
        .value_kind:     global_buffer
      - .actual_access:  read_only
        .address_space:  global
        .offset:         48
        .size:           8
        .value_kind:     global_buffer
      - .offset:         56
        .size:           4
        .value_kind:     by_value
      - .actual_access:  read_only
        .address_space:  global
        .offset:         64
        .size:           8
        .value_kind:     global_buffer
      - .offset:         72
        .size:           4
        .value_kind:     by_value
      - .offset:         76
        .size:           4
        .value_kind:     by_value
      - .offset:         80
        .size:           4
        .value_kind:     by_value
      - .actual_access:  read_only
        .address_space:  global
        .offset:         88
        .size:           8
        .value_kind:     global_buffer
      - .actual_access:  read_only
        .address_space:  global
        .offset:         96
        .size:           8
        .value_kind:     global_buffer
      - .actual_access:  read_only
        .address_space:  global
        .offset:         104
        .size:           8
        .value_kind:     global_buffer
      - .actual_access:  read_only
        .address_space:  global
        .offset:         112
        .size:           8
        .value_kind:     global_buffer
      - .offset:         120
        .size:           4
        .value_kind:     by_value
      - .address_space:  global
        .offset:         128
        .size:           8
        .value_kind:     global_buffer
      - .address_space:  global
        .offset:         136
        .size:           8
        .value_kind:     global_buffer
      - .offset:         144
        .size:           4
        .value_kind:     hidden_block_count_x
      - .offset:         148
        .size:           4
        .value_kind:     hidden_block_count_y
      - .offset:         152
        .size:           4
        .value_kind:     hidden_block_count_z
      - .offset:         156
        .size:           2
        .value_kind:     hidden_group_size_x
      - .offset:         158
        .size:           2
        .value_kind:     hidden_group_size_y
      - .offset:         160
        .size:           2
        .value_kind:     hidden_group_size_z
      - .offset:         162
        .size:           2
        .value_kind:     hidden_remainder_x
      - .offset:         164
        .size:           2
        .value_kind:     hidden_remainder_y
      - .offset:         166
        .size:           2
        .value_kind:     hidden_remainder_z
      - .offset:         184
        .size:           8
        .value_kind:     hidden_global_offset_x
      - .offset:         192
        .size:           8
        .value_kind:     hidden_global_offset_y
      - .offset:         200
        .size:           8
        .value_kind:     hidden_global_offset_z
      - .offset:         208
        .size:           2
        .value_kind:     hidden_grid_dims
      - .offset:         224
        .size:           8
        .value_kind:     hidden_hostcall_buffer
    .group_segment_fixed_size: 0
    .kernarg_segment_align: 8
    .kernarg_segment_size: 400
    .language:       OpenCL C
    .language_version:
      - 2
      - 0
    .max_flat_workgroup_size: 256
    .name:           _Z38paged_attention_ll4mi_QKV_mfma4_kernelIDF16_DF16_LN4vllm18Fp8KVCacheDataTypeE0EDF16_Li32ELi128ELi256ELb0ELi1EEvPKT_PKT0_S7_ifPKiS9_S9_iPKfiiiPfSC_PS2_PT2_iSB_SB_
    .private_segment_fixed_size: 64
    .sgpr_count:     36
    .sgpr_spill_count: 0
    .symbol:         _Z38paged_attention_ll4mi_QKV_mfma4_kernelIDF16_DF16_LN4vllm18Fp8KVCacheDataTypeE0EDF16_Li32ELi128ELi256ELb0ELi1EEvPKT_PKT0_S7_ifPKiS9_S9_iPKfiiiPfSC_PS2_PT2_iSB_SB_.kd
    .uniform_work_group_size: 1
    .uses_dynamic_stack: false
    .vgpr_count:     51
    .vgpr_spill_count: 0
    .wavefront_size: 32
  - .args:
      - .actual_access:  read_only
        .address_space:  global
        .offset:         0
        .size:           8
        .value_kind:     global_buffer
      - .actual_access:  read_only
        .address_space:  global
        .offset:         8
        .size:           8
        .value_kind:     global_buffer
      - .actual_access:  read_only
        .address_space:  global
        .offset:         16
        .size:           8
        .value_kind:     global_buffer
      - .offset:         24
        .size:           4
        .value_kind:     by_value
      - .offset:         28
        .size:           4
        .value_kind:     by_value
      - .actual_access:  read_only
        .address_space:  global
        .offset:         32
        .size:           8
        .value_kind:     global_buffer
      - .actual_access:  read_only
        .address_space:  global
        .offset:         40
        .size:           8
        .value_kind:     global_buffer
      - .actual_access:  read_only
        .address_space:  global
        .offset:         48
        .size:           8
        .value_kind:     global_buffer
      - .offset:         56
        .size:           4
        .value_kind:     by_value
      - .actual_access:  read_only
        .address_space:  global
        .offset:         64
        .size:           8
        .value_kind:     global_buffer
      - .offset:         72
        .size:           4
        .value_kind:     by_value
      - .offset:         76
        .size:           4
        .value_kind:     by_value
      - .offset:         80
        .size:           4
        .value_kind:     by_value
      - .actual_access:  read_only
        .address_space:  global
        .offset:         88
        .size:           8
        .value_kind:     global_buffer
      - .actual_access:  read_only
        .address_space:  global
        .offset:         96
        .size:           8
        .value_kind:     global_buffer
      - .actual_access:  read_only
        .address_space:  global
        .offset:         104
        .size:           8
        .value_kind:     global_buffer
      - .actual_access:  read_only
        .address_space:  global
        .offset:         112
        .size:           8
        .value_kind:     global_buffer
      - .offset:         120
        .size:           4
        .value_kind:     by_value
      - .address_space:  global
        .offset:         128
        .size:           8
        .value_kind:     global_buffer
      - .address_space:  global
        .offset:         136
        .size:           8
        .value_kind:     global_buffer
      - .offset:         144
        .size:           4
        .value_kind:     hidden_block_count_x
      - .offset:         148
        .size:           4
        .value_kind:     hidden_block_count_y
      - .offset:         152
        .size:           4
        .value_kind:     hidden_block_count_z
      - .offset:         156
        .size:           2
        .value_kind:     hidden_group_size_x
      - .offset:         158
        .size:           2
        .value_kind:     hidden_group_size_y
      - .offset:         160
        .size:           2
        .value_kind:     hidden_group_size_z
      - .offset:         162
        .size:           2
        .value_kind:     hidden_remainder_x
      - .offset:         164
        .size:           2
        .value_kind:     hidden_remainder_y
      - .offset:         166
        .size:           2
        .value_kind:     hidden_remainder_z
      - .offset:         184
        .size:           8
        .value_kind:     hidden_global_offset_x
      - .offset:         192
        .size:           8
        .value_kind:     hidden_global_offset_y
      - .offset:         200
        .size:           8
        .value_kind:     hidden_global_offset_z
      - .offset:         208
        .size:           2
        .value_kind:     hidden_grid_dims
      - .offset:         224
        .size:           8
        .value_kind:     hidden_hostcall_buffer
    .group_segment_fixed_size: 0
    .kernarg_segment_align: 8
    .kernarg_segment_size: 400
    .language:       OpenCL C
    .language_version:
      - 2
      - 0
    .max_flat_workgroup_size: 256
    .name:           _Z38paged_attention_ll4mi_QKV_mfma4_kernelIDF16_DF16_LN4vllm18Fp8KVCacheDataTypeE0EDF16_Li32ELi128ELi256ELb0ELi2EEvPKT_PKT0_S7_ifPKiS9_S9_iPKfiiiPfSC_PS2_PT2_iSB_SB_
    .private_segment_fixed_size: 64
    .sgpr_count:     36
    .sgpr_spill_count: 0
    .symbol:         _Z38paged_attention_ll4mi_QKV_mfma4_kernelIDF16_DF16_LN4vllm18Fp8KVCacheDataTypeE0EDF16_Li32ELi128ELi256ELb0ELi2EEvPKT_PKT0_S7_ifPKiS9_S9_iPKfiiiPfSC_PS2_PT2_iSB_SB_.kd
    .uniform_work_group_size: 1
    .uses_dynamic_stack: false
    .vgpr_count:     51
    .vgpr_spill_count: 0
    .wavefront_size: 32
  - .args:
      - .actual_access:  read_only
        .address_space:  global
        .offset:         0
        .size:           8
        .value_kind:     global_buffer
      - .actual_access:  read_only
        .address_space:  global
        .offset:         8
        .size:           8
        .value_kind:     global_buffer
      - .actual_access:  read_only
        .address_space:  global
        .offset:         16
        .size:           8
        .value_kind:     global_buffer
      - .offset:         24
        .size:           4
        .value_kind:     by_value
      - .offset:         28
        .size:           4
        .value_kind:     by_value
      - .actual_access:  read_only
        .address_space:  global
        .offset:         32
        .size:           8
        .value_kind:     global_buffer
      - .actual_access:  read_only
        .address_space:  global
        .offset:         40
        .size:           8
        .value_kind:     global_buffer
      - .actual_access:  read_only
        .address_space:  global
        .offset:         48
        .size:           8
        .value_kind:     global_buffer
      - .offset:         56
        .size:           4
        .value_kind:     by_value
      - .actual_access:  read_only
        .address_space:  global
        .offset:         64
        .size:           8
        .value_kind:     global_buffer
      - .offset:         72
        .size:           4
        .value_kind:     by_value
      - .offset:         76
        .size:           4
        .value_kind:     by_value
      - .offset:         80
        .size:           4
        .value_kind:     by_value
      - .actual_access:  read_only
        .address_space:  global
        .offset:         88
        .size:           8
        .value_kind:     global_buffer
      - .actual_access:  read_only
        .address_space:  global
        .offset:         96
        .size:           8
        .value_kind:     global_buffer
      - .actual_access:  read_only
        .address_space:  global
        .offset:         104
        .size:           8
        .value_kind:     global_buffer
      - .actual_access:  read_only
        .address_space:  global
        .offset:         112
        .size:           8
        .value_kind:     global_buffer
      - .offset:         120
        .size:           4
        .value_kind:     by_value
      - .address_space:  global
        .offset:         128
        .size:           8
        .value_kind:     global_buffer
      - .address_space:  global
        .offset:         136
        .size:           8
        .value_kind:     global_buffer
      - .offset:         144
        .size:           4
        .value_kind:     hidden_block_count_x
      - .offset:         148
        .size:           4
        .value_kind:     hidden_block_count_y
      - .offset:         152
        .size:           4
        .value_kind:     hidden_block_count_z
      - .offset:         156
        .size:           2
        .value_kind:     hidden_group_size_x
      - .offset:         158
        .size:           2
        .value_kind:     hidden_group_size_y
      - .offset:         160
        .size:           2
        .value_kind:     hidden_group_size_z
      - .offset:         162
        .size:           2
        .value_kind:     hidden_remainder_x
      - .offset:         164
        .size:           2
        .value_kind:     hidden_remainder_y
      - .offset:         166
        .size:           2
        .value_kind:     hidden_remainder_z
      - .offset:         184
        .size:           8
        .value_kind:     hidden_global_offset_x
      - .offset:         192
        .size:           8
        .value_kind:     hidden_global_offset_y
      - .offset:         200
        .size:           8
        .value_kind:     hidden_global_offset_z
      - .offset:         208
        .size:           2
        .value_kind:     hidden_grid_dims
      - .offset:         224
        .size:           8
        .value_kind:     hidden_hostcall_buffer
    .group_segment_fixed_size: 0
    .kernarg_segment_align: 8
    .kernarg_segment_size: 400
    .language:       OpenCL C
    .language_version:
      - 2
      - 0
    .max_flat_workgroup_size: 256
    .name:           _Z38paged_attention_ll4mi_QKV_mfma4_kernelIDF16_DF16_LN4vllm18Fp8KVCacheDataTypeE0EDF16_Li32ELi128ELi256ELb0ELi3EEvPKT_PKT0_S7_ifPKiS9_S9_iPKfiiiPfSC_PS2_PT2_iSB_SB_
    .private_segment_fixed_size: 64
    .sgpr_count:     36
    .sgpr_spill_count: 0
    .symbol:         _Z38paged_attention_ll4mi_QKV_mfma4_kernelIDF16_DF16_LN4vllm18Fp8KVCacheDataTypeE0EDF16_Li32ELi128ELi256ELb0ELi3EEvPKT_PKT0_S7_ifPKiS9_S9_iPKfiiiPfSC_PS2_PT2_iSB_SB_.kd
    .uniform_work_group_size: 1
    .uses_dynamic_stack: false
    .vgpr_count:     51
    .vgpr_spill_count: 0
    .wavefront_size: 32
  - .args:
      - .actual_access:  read_only
        .address_space:  global
        .offset:         0
        .size:           8
        .value_kind:     global_buffer
      - .actual_access:  read_only
        .address_space:  global
        .offset:         8
        .size:           8
        .value_kind:     global_buffer
      - .actual_access:  read_only
        .address_space:  global
        .offset:         16
        .size:           8
        .value_kind:     global_buffer
      - .offset:         24
        .size:           4
        .value_kind:     by_value
      - .offset:         28
        .size:           4
        .value_kind:     by_value
      - .actual_access:  read_only
        .address_space:  global
        .offset:         32
        .size:           8
        .value_kind:     global_buffer
      - .actual_access:  read_only
        .address_space:  global
        .offset:         40
        .size:           8
        .value_kind:     global_buffer
      - .actual_access:  read_only
        .address_space:  global
        .offset:         48
        .size:           8
        .value_kind:     global_buffer
      - .offset:         56
        .size:           4
        .value_kind:     by_value
      - .actual_access:  read_only
        .address_space:  global
        .offset:         64
        .size:           8
        .value_kind:     global_buffer
      - .offset:         72
        .size:           4
        .value_kind:     by_value
      - .offset:         76
        .size:           4
        .value_kind:     by_value
      - .offset:         80
        .size:           4
        .value_kind:     by_value
      - .actual_access:  read_only
        .address_space:  global
        .offset:         88
        .size:           8
        .value_kind:     global_buffer
      - .actual_access:  read_only
        .address_space:  global
        .offset:         96
        .size:           8
        .value_kind:     global_buffer
      - .actual_access:  read_only
        .address_space:  global
        .offset:         104
        .size:           8
        .value_kind:     global_buffer
      - .actual_access:  read_only
        .address_space:  global
        .offset:         112
        .size:           8
        .value_kind:     global_buffer
      - .offset:         120
        .size:           4
        .value_kind:     by_value
      - .address_space:  global
        .offset:         128
        .size:           8
        .value_kind:     global_buffer
      - .address_space:  global
        .offset:         136
        .size:           8
        .value_kind:     global_buffer
      - .offset:         144
        .size:           4
        .value_kind:     hidden_block_count_x
      - .offset:         148
        .size:           4
        .value_kind:     hidden_block_count_y
      - .offset:         152
        .size:           4
        .value_kind:     hidden_block_count_z
      - .offset:         156
        .size:           2
        .value_kind:     hidden_group_size_x
      - .offset:         158
        .size:           2
        .value_kind:     hidden_group_size_y
      - .offset:         160
        .size:           2
        .value_kind:     hidden_group_size_z
      - .offset:         162
        .size:           2
        .value_kind:     hidden_remainder_x
      - .offset:         164
        .size:           2
        .value_kind:     hidden_remainder_y
      - .offset:         166
        .size:           2
        .value_kind:     hidden_remainder_z
      - .offset:         184
        .size:           8
        .value_kind:     hidden_global_offset_x
      - .offset:         192
        .size:           8
        .value_kind:     hidden_global_offset_y
      - .offset:         200
        .size:           8
        .value_kind:     hidden_global_offset_z
      - .offset:         208
        .size:           2
        .value_kind:     hidden_grid_dims
      - .offset:         224
        .size:           8
        .value_kind:     hidden_hostcall_buffer
    .group_segment_fixed_size: 0
    .kernarg_segment_align: 8
    .kernarg_segment_size: 400
    .language:       OpenCL C
    .language_version:
      - 2
      - 0
    .max_flat_workgroup_size: 256
    .name:           _Z38paged_attention_ll4mi_QKV_mfma4_kernelIDF16_DF16_LN4vllm18Fp8KVCacheDataTypeE0EDF16_Li32ELi128ELi256ELb0ELi4EEvPKT_PKT0_S7_ifPKiS9_S9_iPKfiiiPfSC_PS2_PT2_iSB_SB_
    .private_segment_fixed_size: 64
    .sgpr_count:     36
    .sgpr_spill_count: 0
    .symbol:         _Z38paged_attention_ll4mi_QKV_mfma4_kernelIDF16_DF16_LN4vllm18Fp8KVCacheDataTypeE0EDF16_Li32ELi128ELi256ELb0ELi4EEvPKT_PKT0_S7_ifPKiS9_S9_iPKfiiiPfSC_PS2_PT2_iSB_SB_.kd
    .uniform_work_group_size: 1
    .uses_dynamic_stack: false
    .vgpr_count:     51
    .vgpr_spill_count: 0
    .wavefront_size: 32
  - .args:
      - .actual_access:  read_only
        .address_space:  global
        .offset:         0
        .size:           8
        .value_kind:     global_buffer
      - .actual_access:  read_only
        .address_space:  global
        .offset:         8
        .size:           8
        .value_kind:     global_buffer
      - .actual_access:  read_only
        .address_space:  global
        .offset:         16
        .size:           8
        .value_kind:     global_buffer
      - .offset:         24
        .size:           4
        .value_kind:     by_value
      - .offset:         28
        .size:           4
        .value_kind:     by_value
      - .actual_access:  read_only
        .address_space:  global
        .offset:         32
        .size:           8
        .value_kind:     global_buffer
      - .actual_access:  read_only
        .address_space:  global
        .offset:         40
        .size:           8
        .value_kind:     global_buffer
      - .actual_access:  read_only
        .address_space:  global
        .offset:         48
        .size:           8
        .value_kind:     global_buffer
      - .offset:         56
        .size:           4
        .value_kind:     by_value
      - .actual_access:  read_only
        .address_space:  global
        .offset:         64
        .size:           8
        .value_kind:     global_buffer
      - .offset:         72
        .size:           4
        .value_kind:     by_value
      - .offset:         76
        .size:           4
        .value_kind:     by_value
      - .offset:         80
        .size:           4
        .value_kind:     by_value
      - .actual_access:  read_only
        .address_space:  global
        .offset:         88
        .size:           8
        .value_kind:     global_buffer
      - .actual_access:  read_only
        .address_space:  global
        .offset:         96
        .size:           8
        .value_kind:     global_buffer
      - .actual_access:  read_only
        .address_space:  global
        .offset:         104
        .size:           8
        .value_kind:     global_buffer
      - .actual_access:  read_only
        .address_space:  global
        .offset:         112
        .size:           8
        .value_kind:     global_buffer
      - .offset:         120
        .size:           4
        .value_kind:     by_value
      - .address_space:  global
        .offset:         128
        .size:           8
        .value_kind:     global_buffer
      - .address_space:  global
        .offset:         136
        .size:           8
        .value_kind:     global_buffer
      - .offset:         144
        .size:           4
        .value_kind:     hidden_block_count_x
      - .offset:         148
        .size:           4
        .value_kind:     hidden_block_count_y
      - .offset:         152
        .size:           4
        .value_kind:     hidden_block_count_z
      - .offset:         156
        .size:           2
        .value_kind:     hidden_group_size_x
      - .offset:         158
        .size:           2
        .value_kind:     hidden_group_size_y
      - .offset:         160
        .size:           2
        .value_kind:     hidden_group_size_z
      - .offset:         162
        .size:           2
        .value_kind:     hidden_remainder_x
      - .offset:         164
        .size:           2
        .value_kind:     hidden_remainder_y
      - .offset:         166
        .size:           2
        .value_kind:     hidden_remainder_z
      - .offset:         184
        .size:           8
        .value_kind:     hidden_global_offset_x
      - .offset:         192
        .size:           8
        .value_kind:     hidden_global_offset_y
      - .offset:         200
        .size:           8
        .value_kind:     hidden_global_offset_z
      - .offset:         208
        .size:           2
        .value_kind:     hidden_grid_dims
      - .offset:         224
        .size:           8
        .value_kind:     hidden_hostcall_buffer
    .group_segment_fixed_size: 0
    .kernarg_segment_align: 8
    .kernarg_segment_size: 400
    .language:       OpenCL C
    .language_version:
      - 2
      - 0
    .max_flat_workgroup_size: 256
    .name:           _Z39paged_attention_ll4mi_QKV_mfma16_kernelIDF16_DF16_LN4vllm18Fp8KVCacheDataTypeE0EDF16_Li32ELi128ELi256ELb0ELi5EEvPKT_PKT0_S7_ifPKiS9_S9_iPKfiiiPfSC_PS2_PT2_iSB_SB_
    .private_segment_fixed_size: 64
    .sgpr_count:     36
    .sgpr_spill_count: 0
    .symbol:         _Z39paged_attention_ll4mi_QKV_mfma16_kernelIDF16_DF16_LN4vllm18Fp8KVCacheDataTypeE0EDF16_Li32ELi128ELi256ELb0ELi5EEvPKT_PKT0_S7_ifPKiS9_S9_iPKfiiiPfSC_PS2_PT2_iSB_SB_.kd
    .uniform_work_group_size: 1
    .uses_dynamic_stack: false
    .vgpr_count:     51
    .vgpr_spill_count: 0
    .wavefront_size: 32
  - .args:
      - .actual_access:  read_only
        .address_space:  global
        .offset:         0
        .size:           8
        .value_kind:     global_buffer
      - .actual_access:  read_only
        .address_space:  global
        .offset:         8
        .size:           8
        .value_kind:     global_buffer
      - .actual_access:  read_only
        .address_space:  global
        .offset:         16
        .size:           8
        .value_kind:     global_buffer
      - .offset:         24
        .size:           4
        .value_kind:     by_value
      - .offset:         28
        .size:           4
        .value_kind:     by_value
      - .actual_access:  read_only
        .address_space:  global
        .offset:         32
        .size:           8
        .value_kind:     global_buffer
      - .actual_access:  read_only
        .address_space:  global
        .offset:         40
        .size:           8
        .value_kind:     global_buffer
      - .actual_access:  read_only
        .address_space:  global
        .offset:         48
        .size:           8
        .value_kind:     global_buffer
      - .offset:         56
        .size:           4
        .value_kind:     by_value
      - .actual_access:  read_only
        .address_space:  global
        .offset:         64
        .size:           8
        .value_kind:     global_buffer
      - .offset:         72
        .size:           4
        .value_kind:     by_value
      - .offset:         76
        .size:           4
        .value_kind:     by_value
      - .offset:         80
        .size:           4
        .value_kind:     by_value
      - .actual_access:  read_only
        .address_space:  global
        .offset:         88
        .size:           8
        .value_kind:     global_buffer
      - .actual_access:  read_only
        .address_space:  global
        .offset:         96
        .size:           8
        .value_kind:     global_buffer
      - .actual_access:  read_only
        .address_space:  global
        .offset:         104
        .size:           8
        .value_kind:     global_buffer
      - .actual_access:  read_only
        .address_space:  global
        .offset:         112
        .size:           8
        .value_kind:     global_buffer
      - .offset:         120
        .size:           4
        .value_kind:     by_value
      - .address_space:  global
        .offset:         128
        .size:           8
        .value_kind:     global_buffer
      - .address_space:  global
        .offset:         136
        .size:           8
        .value_kind:     global_buffer
      - .offset:         144
        .size:           4
        .value_kind:     hidden_block_count_x
      - .offset:         148
        .size:           4
        .value_kind:     hidden_block_count_y
      - .offset:         152
        .size:           4
        .value_kind:     hidden_block_count_z
      - .offset:         156
        .size:           2
        .value_kind:     hidden_group_size_x
      - .offset:         158
        .size:           2
        .value_kind:     hidden_group_size_y
      - .offset:         160
        .size:           2
        .value_kind:     hidden_group_size_z
      - .offset:         162
        .size:           2
        .value_kind:     hidden_remainder_x
      - .offset:         164
        .size:           2
        .value_kind:     hidden_remainder_y
      - .offset:         166
        .size:           2
        .value_kind:     hidden_remainder_z
      - .offset:         184
        .size:           8
        .value_kind:     hidden_global_offset_x
      - .offset:         192
        .size:           8
        .value_kind:     hidden_global_offset_y
      - .offset:         200
        .size:           8
        .value_kind:     hidden_global_offset_z
      - .offset:         208
        .size:           2
        .value_kind:     hidden_grid_dims
      - .offset:         224
        .size:           8
        .value_kind:     hidden_hostcall_buffer
    .group_segment_fixed_size: 0
    .kernarg_segment_align: 8
    .kernarg_segment_size: 400
    .language:       OpenCL C
    .language_version:
      - 2
      - 0
    .max_flat_workgroup_size: 256
    .name:           _Z39paged_attention_ll4mi_QKV_mfma16_kernelIDF16_DF16_LN4vllm18Fp8KVCacheDataTypeE0EDF16_Li32ELi128ELi256ELb0ELi6EEvPKT_PKT0_S7_ifPKiS9_S9_iPKfiiiPfSC_PS2_PT2_iSB_SB_
    .private_segment_fixed_size: 64
    .sgpr_count:     36
    .sgpr_spill_count: 0
    .symbol:         _Z39paged_attention_ll4mi_QKV_mfma16_kernelIDF16_DF16_LN4vllm18Fp8KVCacheDataTypeE0EDF16_Li32ELi128ELi256ELb0ELi6EEvPKT_PKT0_S7_ifPKiS9_S9_iPKfiiiPfSC_PS2_PT2_iSB_SB_.kd
    .uniform_work_group_size: 1
    .uses_dynamic_stack: false
    .vgpr_count:     51
    .vgpr_spill_count: 0
    .wavefront_size: 32
  - .args:
      - .actual_access:  read_only
        .address_space:  global
        .offset:         0
        .size:           8
        .value_kind:     global_buffer
      - .actual_access:  read_only
        .address_space:  global
        .offset:         8
        .size:           8
        .value_kind:     global_buffer
      - .actual_access:  read_only
        .address_space:  global
        .offset:         16
        .size:           8
        .value_kind:     global_buffer
      - .offset:         24
        .size:           4
        .value_kind:     by_value
      - .offset:         28
        .size:           4
        .value_kind:     by_value
      - .actual_access:  read_only
        .address_space:  global
        .offset:         32
        .size:           8
        .value_kind:     global_buffer
      - .actual_access:  read_only
        .address_space:  global
        .offset:         40
        .size:           8
        .value_kind:     global_buffer
      - .actual_access:  read_only
        .address_space:  global
        .offset:         48
        .size:           8
        .value_kind:     global_buffer
      - .offset:         56
        .size:           4
        .value_kind:     by_value
      - .actual_access:  read_only
        .address_space:  global
        .offset:         64
        .size:           8
        .value_kind:     global_buffer
      - .offset:         72
        .size:           4
        .value_kind:     by_value
      - .offset:         76
        .size:           4
        .value_kind:     by_value
      - .offset:         80
        .size:           4
        .value_kind:     by_value
      - .actual_access:  read_only
        .address_space:  global
        .offset:         88
        .size:           8
        .value_kind:     global_buffer
      - .actual_access:  read_only
        .address_space:  global
        .offset:         96
        .size:           8
        .value_kind:     global_buffer
      - .actual_access:  read_only
        .address_space:  global
        .offset:         104
        .size:           8
        .value_kind:     global_buffer
      - .actual_access:  read_only
        .address_space:  global
        .offset:         112
        .size:           8
        .value_kind:     global_buffer
      - .offset:         120
        .size:           4
        .value_kind:     by_value
      - .address_space:  global
        .offset:         128
        .size:           8
        .value_kind:     global_buffer
      - .address_space:  global
        .offset:         136
        .size:           8
        .value_kind:     global_buffer
      - .offset:         144
        .size:           4
        .value_kind:     hidden_block_count_x
      - .offset:         148
        .size:           4
        .value_kind:     hidden_block_count_y
      - .offset:         152
        .size:           4
        .value_kind:     hidden_block_count_z
      - .offset:         156
        .size:           2
        .value_kind:     hidden_group_size_x
      - .offset:         158
        .size:           2
        .value_kind:     hidden_group_size_y
      - .offset:         160
        .size:           2
        .value_kind:     hidden_group_size_z
      - .offset:         162
        .size:           2
        .value_kind:     hidden_remainder_x
      - .offset:         164
        .size:           2
        .value_kind:     hidden_remainder_y
      - .offset:         166
        .size:           2
        .value_kind:     hidden_remainder_z
      - .offset:         184
        .size:           8
        .value_kind:     hidden_global_offset_x
      - .offset:         192
        .size:           8
        .value_kind:     hidden_global_offset_y
      - .offset:         200
        .size:           8
        .value_kind:     hidden_global_offset_z
      - .offset:         208
        .size:           2
        .value_kind:     hidden_grid_dims
      - .offset:         224
        .size:           8
        .value_kind:     hidden_hostcall_buffer
    .group_segment_fixed_size: 0
    .kernarg_segment_align: 8
    .kernarg_segment_size: 400
    .language:       OpenCL C
    .language_version:
      - 2
      - 0
    .max_flat_workgroup_size: 256
    .name:           _Z39paged_attention_ll4mi_QKV_mfma16_kernelIDF16_DF16_LN4vllm18Fp8KVCacheDataTypeE0EDF16_Li32ELi128ELi256ELb0ELi7EEvPKT_PKT0_S7_ifPKiS9_S9_iPKfiiiPfSC_PS2_PT2_iSB_SB_
    .private_segment_fixed_size: 64
    .sgpr_count:     36
    .sgpr_spill_count: 0
    .symbol:         _Z39paged_attention_ll4mi_QKV_mfma16_kernelIDF16_DF16_LN4vllm18Fp8KVCacheDataTypeE0EDF16_Li32ELi128ELi256ELb0ELi7EEvPKT_PKT0_S7_ifPKiS9_S9_iPKfiiiPfSC_PS2_PT2_iSB_SB_.kd
    .uniform_work_group_size: 1
    .uses_dynamic_stack: false
    .vgpr_count:     51
    .vgpr_spill_count: 0
    .wavefront_size: 32
  - .args:
      - .actual_access:  read_only
        .address_space:  global
        .offset:         0
        .size:           8
        .value_kind:     global_buffer
      - .actual_access:  read_only
        .address_space:  global
        .offset:         8
        .size:           8
        .value_kind:     global_buffer
      - .actual_access:  read_only
        .address_space:  global
        .offset:         16
        .size:           8
        .value_kind:     global_buffer
      - .offset:         24
        .size:           4
        .value_kind:     by_value
      - .offset:         28
        .size:           4
        .value_kind:     by_value
      - .actual_access:  read_only
        .address_space:  global
        .offset:         32
        .size:           8
        .value_kind:     global_buffer
      - .actual_access:  read_only
        .address_space:  global
        .offset:         40
        .size:           8
        .value_kind:     global_buffer
      - .actual_access:  read_only
        .address_space:  global
        .offset:         48
        .size:           8
        .value_kind:     global_buffer
      - .offset:         56
        .size:           4
        .value_kind:     by_value
      - .actual_access:  read_only
        .address_space:  global
        .offset:         64
        .size:           8
        .value_kind:     global_buffer
      - .offset:         72
        .size:           4
        .value_kind:     by_value
      - .offset:         76
        .size:           4
        .value_kind:     by_value
      - .offset:         80
        .size:           4
        .value_kind:     by_value
      - .actual_access:  read_only
        .address_space:  global
        .offset:         88
        .size:           8
        .value_kind:     global_buffer
      - .actual_access:  read_only
        .address_space:  global
        .offset:         96
        .size:           8
        .value_kind:     global_buffer
      - .actual_access:  read_only
        .address_space:  global
        .offset:         104
        .size:           8
        .value_kind:     global_buffer
      - .actual_access:  read_only
        .address_space:  global
        .offset:         112
        .size:           8
        .value_kind:     global_buffer
      - .offset:         120
        .size:           4
        .value_kind:     by_value
      - .address_space:  global
        .offset:         128
        .size:           8
        .value_kind:     global_buffer
      - .address_space:  global
        .offset:         136
        .size:           8
        .value_kind:     global_buffer
      - .offset:         144
        .size:           4
        .value_kind:     hidden_block_count_x
      - .offset:         148
        .size:           4
        .value_kind:     hidden_block_count_y
      - .offset:         152
        .size:           4
        .value_kind:     hidden_block_count_z
      - .offset:         156
        .size:           2
        .value_kind:     hidden_group_size_x
      - .offset:         158
        .size:           2
        .value_kind:     hidden_group_size_y
      - .offset:         160
        .size:           2
        .value_kind:     hidden_group_size_z
      - .offset:         162
        .size:           2
        .value_kind:     hidden_remainder_x
      - .offset:         164
        .size:           2
        .value_kind:     hidden_remainder_y
      - .offset:         166
        .size:           2
        .value_kind:     hidden_remainder_z
      - .offset:         184
        .size:           8
        .value_kind:     hidden_global_offset_x
      - .offset:         192
        .size:           8
        .value_kind:     hidden_global_offset_y
      - .offset:         200
        .size:           8
        .value_kind:     hidden_global_offset_z
      - .offset:         208
        .size:           2
        .value_kind:     hidden_grid_dims
      - .offset:         224
        .size:           8
        .value_kind:     hidden_hostcall_buffer
    .group_segment_fixed_size: 0
    .kernarg_segment_align: 8
    .kernarg_segment_size: 400
    .language:       OpenCL C
    .language_version:
      - 2
      - 0
    .max_flat_workgroup_size: 256
    .name:           _Z39paged_attention_ll4mi_QKV_mfma16_kernelIDF16_DF16_LN4vllm18Fp8KVCacheDataTypeE0EDF16_Li32ELi128ELi256ELb0ELi8EEvPKT_PKT0_S7_ifPKiS9_S9_iPKfiiiPfSC_PS2_PT2_iSB_SB_
    .private_segment_fixed_size: 64
    .sgpr_count:     36
    .sgpr_spill_count: 0
    .symbol:         _Z39paged_attention_ll4mi_QKV_mfma16_kernelIDF16_DF16_LN4vllm18Fp8KVCacheDataTypeE0EDF16_Li32ELi128ELi256ELb0ELi8EEvPKT_PKT0_S7_ifPKiS9_S9_iPKfiiiPfSC_PS2_PT2_iSB_SB_.kd
    .uniform_work_group_size: 1
    .uses_dynamic_stack: false
    .vgpr_count:     51
    .vgpr_spill_count: 0
    .wavefront_size: 32
  - .args:
      - .actual_access:  read_only
        .address_space:  global
        .offset:         0
        .size:           8
        .value_kind:     global_buffer
      - .actual_access:  read_only
        .address_space:  global
        .offset:         8
        .size:           8
        .value_kind:     global_buffer
      - .actual_access:  read_only
        .address_space:  global
        .offset:         16
        .size:           8
        .value_kind:     global_buffer
      - .offset:         24
        .size:           4
        .value_kind:     by_value
      - .offset:         28
        .size:           4
        .value_kind:     by_value
      - .actual_access:  read_only
        .address_space:  global
        .offset:         32
        .size:           8
        .value_kind:     global_buffer
      - .actual_access:  read_only
        .address_space:  global
        .offset:         40
        .size:           8
        .value_kind:     global_buffer
      - .actual_access:  read_only
        .address_space:  global
        .offset:         48
        .size:           8
        .value_kind:     global_buffer
      - .offset:         56
        .size:           4
        .value_kind:     by_value
      - .actual_access:  read_only
        .address_space:  global
        .offset:         64
        .size:           8
        .value_kind:     global_buffer
      - .offset:         72
        .size:           4
        .value_kind:     by_value
      - .offset:         76
        .size:           4
        .value_kind:     by_value
      - .offset:         80
        .size:           4
        .value_kind:     by_value
      - .actual_access:  read_only
        .address_space:  global
        .offset:         88
        .size:           8
        .value_kind:     global_buffer
      - .actual_access:  read_only
        .address_space:  global
        .offset:         96
        .size:           8
        .value_kind:     global_buffer
      - .actual_access:  read_only
        .address_space:  global
        .offset:         104
        .size:           8
        .value_kind:     global_buffer
      - .actual_access:  read_only
        .address_space:  global
        .offset:         112
        .size:           8
        .value_kind:     global_buffer
      - .offset:         120
        .size:           4
        .value_kind:     by_value
      - .address_space:  global
        .offset:         128
        .size:           8
        .value_kind:     global_buffer
      - .address_space:  global
        .offset:         136
        .size:           8
        .value_kind:     global_buffer
      - .offset:         144
        .size:           4
        .value_kind:     hidden_block_count_x
      - .offset:         148
        .size:           4
        .value_kind:     hidden_block_count_y
      - .offset:         152
        .size:           4
        .value_kind:     hidden_block_count_z
      - .offset:         156
        .size:           2
        .value_kind:     hidden_group_size_x
      - .offset:         158
        .size:           2
        .value_kind:     hidden_group_size_y
      - .offset:         160
        .size:           2
        .value_kind:     hidden_group_size_z
      - .offset:         162
        .size:           2
        .value_kind:     hidden_remainder_x
      - .offset:         164
        .size:           2
        .value_kind:     hidden_remainder_y
      - .offset:         166
        .size:           2
        .value_kind:     hidden_remainder_z
      - .offset:         184
        .size:           8
        .value_kind:     hidden_global_offset_x
      - .offset:         192
        .size:           8
        .value_kind:     hidden_global_offset_y
      - .offset:         200
        .size:           8
        .value_kind:     hidden_global_offset_z
      - .offset:         208
        .size:           2
        .value_kind:     hidden_grid_dims
      - .offset:         224
        .size:           8
        .value_kind:     hidden_hostcall_buffer
    .group_segment_fixed_size: 0
    .kernarg_segment_align: 8
    .kernarg_segment_size: 400
    .language:       OpenCL C
    .language_version:
      - 2
      - 0
    .max_flat_workgroup_size: 256
    .name:           _Z39paged_attention_ll4mi_QKV_mfma16_kernelIDF16_DF16_LN4vllm18Fp8KVCacheDataTypeE0EDF16_Li32ELi128ELi256ELb0ELi9EEvPKT_PKT0_S7_ifPKiS9_S9_iPKfiiiPfSC_PS2_PT2_iSB_SB_
    .private_segment_fixed_size: 64
    .sgpr_count:     36
    .sgpr_spill_count: 0
    .symbol:         _Z39paged_attention_ll4mi_QKV_mfma16_kernelIDF16_DF16_LN4vllm18Fp8KVCacheDataTypeE0EDF16_Li32ELi128ELi256ELb0ELi9EEvPKT_PKT0_S7_ifPKiS9_S9_iPKfiiiPfSC_PS2_PT2_iSB_SB_.kd
    .uniform_work_group_size: 1
    .uses_dynamic_stack: false
    .vgpr_count:     51
    .vgpr_spill_count: 0
    .wavefront_size: 32
  - .args:
      - .actual_access:  read_only
        .address_space:  global
        .offset:         0
        .size:           8
        .value_kind:     global_buffer
      - .actual_access:  read_only
        .address_space:  global
        .offset:         8
        .size:           8
        .value_kind:     global_buffer
      - .actual_access:  read_only
        .address_space:  global
        .offset:         16
        .size:           8
        .value_kind:     global_buffer
      - .offset:         24
        .size:           4
        .value_kind:     by_value
      - .offset:         28
        .size:           4
        .value_kind:     by_value
      - .actual_access:  read_only
        .address_space:  global
        .offset:         32
        .size:           8
        .value_kind:     global_buffer
      - .actual_access:  read_only
        .address_space:  global
        .offset:         40
        .size:           8
        .value_kind:     global_buffer
      - .actual_access:  read_only
        .address_space:  global
        .offset:         48
        .size:           8
        .value_kind:     global_buffer
      - .offset:         56
        .size:           4
        .value_kind:     by_value
      - .actual_access:  read_only
        .address_space:  global
        .offset:         64
        .size:           8
        .value_kind:     global_buffer
      - .offset:         72
        .size:           4
        .value_kind:     by_value
      - .offset:         76
        .size:           4
        .value_kind:     by_value
      - .offset:         80
        .size:           4
        .value_kind:     by_value
      - .actual_access:  read_only
        .address_space:  global
        .offset:         88
        .size:           8
        .value_kind:     global_buffer
      - .actual_access:  read_only
        .address_space:  global
        .offset:         96
        .size:           8
        .value_kind:     global_buffer
      - .actual_access:  read_only
        .address_space:  global
        .offset:         104
        .size:           8
        .value_kind:     global_buffer
      - .actual_access:  read_only
        .address_space:  global
        .offset:         112
        .size:           8
        .value_kind:     global_buffer
      - .offset:         120
        .size:           4
        .value_kind:     by_value
      - .address_space:  global
        .offset:         128
        .size:           8
        .value_kind:     global_buffer
      - .address_space:  global
        .offset:         136
        .size:           8
        .value_kind:     global_buffer
      - .offset:         144
        .size:           4
        .value_kind:     hidden_block_count_x
      - .offset:         148
        .size:           4
        .value_kind:     hidden_block_count_y
      - .offset:         152
        .size:           4
        .value_kind:     hidden_block_count_z
      - .offset:         156
        .size:           2
        .value_kind:     hidden_group_size_x
      - .offset:         158
        .size:           2
        .value_kind:     hidden_group_size_y
      - .offset:         160
        .size:           2
        .value_kind:     hidden_group_size_z
      - .offset:         162
        .size:           2
        .value_kind:     hidden_remainder_x
      - .offset:         164
        .size:           2
        .value_kind:     hidden_remainder_y
      - .offset:         166
        .size:           2
        .value_kind:     hidden_remainder_z
      - .offset:         184
        .size:           8
        .value_kind:     hidden_global_offset_x
      - .offset:         192
        .size:           8
        .value_kind:     hidden_global_offset_y
      - .offset:         200
        .size:           8
        .value_kind:     hidden_global_offset_z
      - .offset:         208
        .size:           2
        .value_kind:     hidden_grid_dims
      - .offset:         224
        .size:           8
        .value_kind:     hidden_hostcall_buffer
    .group_segment_fixed_size: 0
    .kernarg_segment_align: 8
    .kernarg_segment_size: 400
    .language:       OpenCL C
    .language_version:
      - 2
      - 0
    .max_flat_workgroup_size: 256
    .name:           _Z39paged_attention_ll4mi_QKV_mfma16_kernelIDF16_DF16_LN4vllm18Fp8KVCacheDataTypeE0EDF16_Li32ELi128ELi256ELb0ELi10EEvPKT_PKT0_S7_ifPKiS9_S9_iPKfiiiPfSC_PS2_PT2_iSB_SB_
    .private_segment_fixed_size: 64
    .sgpr_count:     36
    .sgpr_spill_count: 0
    .symbol:         _Z39paged_attention_ll4mi_QKV_mfma16_kernelIDF16_DF16_LN4vllm18Fp8KVCacheDataTypeE0EDF16_Li32ELi128ELi256ELb0ELi10EEvPKT_PKT0_S7_ifPKiS9_S9_iPKfiiiPfSC_PS2_PT2_iSB_SB_.kd
    .uniform_work_group_size: 1
    .uses_dynamic_stack: false
    .vgpr_count:     51
    .vgpr_spill_count: 0
    .wavefront_size: 32
  - .args:
      - .actual_access:  read_only
        .address_space:  global
        .offset:         0
        .size:           8
        .value_kind:     global_buffer
      - .actual_access:  read_only
        .address_space:  global
        .offset:         8
        .size:           8
        .value_kind:     global_buffer
      - .actual_access:  read_only
        .address_space:  global
        .offset:         16
        .size:           8
        .value_kind:     global_buffer
      - .offset:         24
        .size:           4
        .value_kind:     by_value
      - .offset:         28
        .size:           4
        .value_kind:     by_value
      - .actual_access:  read_only
        .address_space:  global
        .offset:         32
        .size:           8
        .value_kind:     global_buffer
      - .actual_access:  read_only
        .address_space:  global
        .offset:         40
        .size:           8
        .value_kind:     global_buffer
      - .actual_access:  read_only
        .address_space:  global
        .offset:         48
        .size:           8
        .value_kind:     global_buffer
      - .offset:         56
        .size:           4
        .value_kind:     by_value
      - .actual_access:  read_only
        .address_space:  global
        .offset:         64
        .size:           8
        .value_kind:     global_buffer
      - .offset:         72
        .size:           4
        .value_kind:     by_value
      - .offset:         76
        .size:           4
        .value_kind:     by_value
      - .offset:         80
        .size:           4
        .value_kind:     by_value
      - .actual_access:  read_only
        .address_space:  global
        .offset:         88
        .size:           8
        .value_kind:     global_buffer
      - .actual_access:  read_only
        .address_space:  global
        .offset:         96
        .size:           8
        .value_kind:     global_buffer
      - .actual_access:  read_only
        .address_space:  global
        .offset:         104
        .size:           8
        .value_kind:     global_buffer
      - .actual_access:  read_only
        .address_space:  global
        .offset:         112
        .size:           8
        .value_kind:     global_buffer
      - .offset:         120
        .size:           4
        .value_kind:     by_value
      - .address_space:  global
        .offset:         128
        .size:           8
        .value_kind:     global_buffer
      - .address_space:  global
        .offset:         136
        .size:           8
        .value_kind:     global_buffer
      - .offset:         144
        .size:           4
        .value_kind:     hidden_block_count_x
      - .offset:         148
        .size:           4
        .value_kind:     hidden_block_count_y
      - .offset:         152
        .size:           4
        .value_kind:     hidden_block_count_z
      - .offset:         156
        .size:           2
        .value_kind:     hidden_group_size_x
      - .offset:         158
        .size:           2
        .value_kind:     hidden_group_size_y
      - .offset:         160
        .size:           2
        .value_kind:     hidden_group_size_z
      - .offset:         162
        .size:           2
        .value_kind:     hidden_remainder_x
      - .offset:         164
        .size:           2
        .value_kind:     hidden_remainder_y
      - .offset:         166
        .size:           2
        .value_kind:     hidden_remainder_z
      - .offset:         184
        .size:           8
        .value_kind:     hidden_global_offset_x
      - .offset:         192
        .size:           8
        .value_kind:     hidden_global_offset_y
      - .offset:         200
        .size:           8
        .value_kind:     hidden_global_offset_z
      - .offset:         208
        .size:           2
        .value_kind:     hidden_grid_dims
      - .offset:         224
        .size:           8
        .value_kind:     hidden_hostcall_buffer
    .group_segment_fixed_size: 0
    .kernarg_segment_align: 8
    .kernarg_segment_size: 400
    .language:       OpenCL C
    .language_version:
      - 2
      - 0
    .max_flat_workgroup_size: 256
    .name:           _Z39paged_attention_ll4mi_QKV_mfma16_kernelIDF16_DF16_LN4vllm18Fp8KVCacheDataTypeE0EDF16_Li32ELi128ELi256ELb0ELi11EEvPKT_PKT0_S7_ifPKiS9_S9_iPKfiiiPfSC_PS2_PT2_iSB_SB_
    .private_segment_fixed_size: 64
    .sgpr_count:     36
    .sgpr_spill_count: 0
    .symbol:         _Z39paged_attention_ll4mi_QKV_mfma16_kernelIDF16_DF16_LN4vllm18Fp8KVCacheDataTypeE0EDF16_Li32ELi128ELi256ELb0ELi11EEvPKT_PKT0_S7_ifPKiS9_S9_iPKfiiiPfSC_PS2_PT2_iSB_SB_.kd
    .uniform_work_group_size: 1
    .uses_dynamic_stack: false
    .vgpr_count:     51
    .vgpr_spill_count: 0
    .wavefront_size: 32
  - .args:
      - .actual_access:  read_only
        .address_space:  global
        .offset:         0
        .size:           8
        .value_kind:     global_buffer
      - .actual_access:  read_only
        .address_space:  global
        .offset:         8
        .size:           8
        .value_kind:     global_buffer
      - .actual_access:  read_only
        .address_space:  global
        .offset:         16
        .size:           8
        .value_kind:     global_buffer
      - .offset:         24
        .size:           4
        .value_kind:     by_value
      - .offset:         28
        .size:           4
        .value_kind:     by_value
      - .actual_access:  read_only
        .address_space:  global
        .offset:         32
        .size:           8
        .value_kind:     global_buffer
      - .actual_access:  read_only
        .address_space:  global
        .offset:         40
        .size:           8
        .value_kind:     global_buffer
      - .actual_access:  read_only
        .address_space:  global
        .offset:         48
        .size:           8
        .value_kind:     global_buffer
      - .offset:         56
        .size:           4
        .value_kind:     by_value
      - .actual_access:  read_only
        .address_space:  global
        .offset:         64
        .size:           8
        .value_kind:     global_buffer
      - .offset:         72
        .size:           4
        .value_kind:     by_value
      - .offset:         76
        .size:           4
        .value_kind:     by_value
      - .offset:         80
        .size:           4
        .value_kind:     by_value
      - .actual_access:  read_only
        .address_space:  global
        .offset:         88
        .size:           8
        .value_kind:     global_buffer
      - .actual_access:  read_only
        .address_space:  global
        .offset:         96
        .size:           8
        .value_kind:     global_buffer
      - .actual_access:  read_only
        .address_space:  global
        .offset:         104
        .size:           8
        .value_kind:     global_buffer
      - .actual_access:  read_only
        .address_space:  global
        .offset:         112
        .size:           8
        .value_kind:     global_buffer
      - .offset:         120
        .size:           4
        .value_kind:     by_value
      - .address_space:  global
        .offset:         128
        .size:           8
        .value_kind:     global_buffer
      - .address_space:  global
        .offset:         136
        .size:           8
        .value_kind:     global_buffer
      - .offset:         144
        .size:           4
        .value_kind:     hidden_block_count_x
      - .offset:         148
        .size:           4
        .value_kind:     hidden_block_count_y
      - .offset:         152
        .size:           4
        .value_kind:     hidden_block_count_z
      - .offset:         156
        .size:           2
        .value_kind:     hidden_group_size_x
      - .offset:         158
        .size:           2
        .value_kind:     hidden_group_size_y
      - .offset:         160
        .size:           2
        .value_kind:     hidden_group_size_z
      - .offset:         162
        .size:           2
        .value_kind:     hidden_remainder_x
      - .offset:         164
        .size:           2
        .value_kind:     hidden_remainder_y
      - .offset:         166
        .size:           2
        .value_kind:     hidden_remainder_z
      - .offset:         184
        .size:           8
        .value_kind:     hidden_global_offset_x
      - .offset:         192
        .size:           8
        .value_kind:     hidden_global_offset_y
      - .offset:         200
        .size:           8
        .value_kind:     hidden_global_offset_z
      - .offset:         208
        .size:           2
        .value_kind:     hidden_grid_dims
      - .offset:         224
        .size:           8
        .value_kind:     hidden_hostcall_buffer
    .group_segment_fixed_size: 0
    .kernarg_segment_align: 8
    .kernarg_segment_size: 400
    .language:       OpenCL C
    .language_version:
      - 2
      - 0
    .max_flat_workgroup_size: 256
    .name:           _Z39paged_attention_ll4mi_QKV_mfma16_kernelIDF16_DF16_LN4vllm18Fp8KVCacheDataTypeE0EDF16_Li32ELi128ELi256ELb0ELi12EEvPKT_PKT0_S7_ifPKiS9_S9_iPKfiiiPfSC_PS2_PT2_iSB_SB_
    .private_segment_fixed_size: 64
    .sgpr_count:     36
    .sgpr_spill_count: 0
    .symbol:         _Z39paged_attention_ll4mi_QKV_mfma16_kernelIDF16_DF16_LN4vllm18Fp8KVCacheDataTypeE0EDF16_Li32ELi128ELi256ELb0ELi12EEvPKT_PKT0_S7_ifPKiS9_S9_iPKfiiiPfSC_PS2_PT2_iSB_SB_.kd
    .uniform_work_group_size: 1
    .uses_dynamic_stack: false
    .vgpr_count:     51
    .vgpr_spill_count: 0
    .wavefront_size: 32
  - .args:
      - .actual_access:  read_only
        .address_space:  global
        .offset:         0
        .size:           8
        .value_kind:     global_buffer
      - .actual_access:  read_only
        .address_space:  global
        .offset:         8
        .size:           8
        .value_kind:     global_buffer
      - .actual_access:  read_only
        .address_space:  global
        .offset:         16
        .size:           8
        .value_kind:     global_buffer
      - .offset:         24
        .size:           4
        .value_kind:     by_value
      - .offset:         28
        .size:           4
        .value_kind:     by_value
      - .actual_access:  read_only
        .address_space:  global
        .offset:         32
        .size:           8
        .value_kind:     global_buffer
      - .actual_access:  read_only
        .address_space:  global
        .offset:         40
        .size:           8
        .value_kind:     global_buffer
      - .actual_access:  read_only
        .address_space:  global
        .offset:         48
        .size:           8
        .value_kind:     global_buffer
      - .offset:         56
        .size:           4
        .value_kind:     by_value
      - .actual_access:  read_only
        .address_space:  global
        .offset:         64
        .size:           8
        .value_kind:     global_buffer
      - .offset:         72
        .size:           4
        .value_kind:     by_value
      - .offset:         76
        .size:           4
        .value_kind:     by_value
      - .offset:         80
        .size:           4
        .value_kind:     by_value
      - .actual_access:  read_only
        .address_space:  global
        .offset:         88
        .size:           8
        .value_kind:     global_buffer
      - .actual_access:  read_only
        .address_space:  global
        .offset:         96
        .size:           8
        .value_kind:     global_buffer
      - .actual_access:  read_only
        .address_space:  global
        .offset:         104
        .size:           8
        .value_kind:     global_buffer
      - .actual_access:  read_only
        .address_space:  global
        .offset:         112
        .size:           8
        .value_kind:     global_buffer
      - .offset:         120
        .size:           4
        .value_kind:     by_value
      - .address_space:  global
        .offset:         128
        .size:           8
        .value_kind:     global_buffer
      - .address_space:  global
        .offset:         136
        .size:           8
        .value_kind:     global_buffer
      - .offset:         144
        .size:           4
        .value_kind:     hidden_block_count_x
      - .offset:         148
        .size:           4
        .value_kind:     hidden_block_count_y
      - .offset:         152
        .size:           4
        .value_kind:     hidden_block_count_z
      - .offset:         156
        .size:           2
        .value_kind:     hidden_group_size_x
      - .offset:         158
        .size:           2
        .value_kind:     hidden_group_size_y
      - .offset:         160
        .size:           2
        .value_kind:     hidden_group_size_z
      - .offset:         162
        .size:           2
        .value_kind:     hidden_remainder_x
      - .offset:         164
        .size:           2
        .value_kind:     hidden_remainder_y
      - .offset:         166
        .size:           2
        .value_kind:     hidden_remainder_z
      - .offset:         184
        .size:           8
        .value_kind:     hidden_global_offset_x
      - .offset:         192
        .size:           8
        .value_kind:     hidden_global_offset_y
      - .offset:         200
        .size:           8
        .value_kind:     hidden_global_offset_z
      - .offset:         208
        .size:           2
        .value_kind:     hidden_grid_dims
      - .offset:         224
        .size:           8
        .value_kind:     hidden_hostcall_buffer
    .group_segment_fixed_size: 0
    .kernarg_segment_align: 8
    .kernarg_segment_size: 400
    .language:       OpenCL C
    .language_version:
      - 2
      - 0
    .max_flat_workgroup_size: 256
    .name:           _Z39paged_attention_ll4mi_QKV_mfma16_kernelIDF16_DF16_LN4vllm18Fp8KVCacheDataTypeE0EDF16_Li32ELi128ELi256ELb0ELi13EEvPKT_PKT0_S7_ifPKiS9_S9_iPKfiiiPfSC_PS2_PT2_iSB_SB_
    .private_segment_fixed_size: 64
    .sgpr_count:     36
    .sgpr_spill_count: 0
    .symbol:         _Z39paged_attention_ll4mi_QKV_mfma16_kernelIDF16_DF16_LN4vllm18Fp8KVCacheDataTypeE0EDF16_Li32ELi128ELi256ELb0ELi13EEvPKT_PKT0_S7_ifPKiS9_S9_iPKfiiiPfSC_PS2_PT2_iSB_SB_.kd
    .uniform_work_group_size: 1
    .uses_dynamic_stack: false
    .vgpr_count:     51
    .vgpr_spill_count: 0
    .wavefront_size: 32
  - .args:
      - .actual_access:  read_only
        .address_space:  global
        .offset:         0
        .size:           8
        .value_kind:     global_buffer
      - .actual_access:  read_only
        .address_space:  global
        .offset:         8
        .size:           8
        .value_kind:     global_buffer
      - .actual_access:  read_only
        .address_space:  global
        .offset:         16
        .size:           8
        .value_kind:     global_buffer
      - .offset:         24
        .size:           4
        .value_kind:     by_value
      - .offset:         28
        .size:           4
        .value_kind:     by_value
      - .actual_access:  read_only
        .address_space:  global
        .offset:         32
        .size:           8
        .value_kind:     global_buffer
      - .actual_access:  read_only
        .address_space:  global
        .offset:         40
        .size:           8
        .value_kind:     global_buffer
      - .actual_access:  read_only
        .address_space:  global
        .offset:         48
        .size:           8
        .value_kind:     global_buffer
      - .offset:         56
        .size:           4
        .value_kind:     by_value
      - .actual_access:  read_only
        .address_space:  global
        .offset:         64
        .size:           8
        .value_kind:     global_buffer
      - .offset:         72
        .size:           4
        .value_kind:     by_value
      - .offset:         76
        .size:           4
        .value_kind:     by_value
      - .offset:         80
        .size:           4
        .value_kind:     by_value
      - .actual_access:  read_only
        .address_space:  global
        .offset:         88
        .size:           8
        .value_kind:     global_buffer
      - .actual_access:  read_only
        .address_space:  global
        .offset:         96
        .size:           8
        .value_kind:     global_buffer
      - .actual_access:  read_only
        .address_space:  global
        .offset:         104
        .size:           8
        .value_kind:     global_buffer
      - .actual_access:  read_only
        .address_space:  global
        .offset:         112
        .size:           8
        .value_kind:     global_buffer
      - .offset:         120
        .size:           4
        .value_kind:     by_value
      - .address_space:  global
        .offset:         128
        .size:           8
        .value_kind:     global_buffer
      - .address_space:  global
        .offset:         136
        .size:           8
        .value_kind:     global_buffer
      - .offset:         144
        .size:           4
        .value_kind:     hidden_block_count_x
      - .offset:         148
        .size:           4
        .value_kind:     hidden_block_count_y
      - .offset:         152
        .size:           4
        .value_kind:     hidden_block_count_z
      - .offset:         156
        .size:           2
        .value_kind:     hidden_group_size_x
      - .offset:         158
        .size:           2
        .value_kind:     hidden_group_size_y
      - .offset:         160
        .size:           2
        .value_kind:     hidden_group_size_z
      - .offset:         162
        .size:           2
        .value_kind:     hidden_remainder_x
      - .offset:         164
        .size:           2
        .value_kind:     hidden_remainder_y
      - .offset:         166
        .size:           2
        .value_kind:     hidden_remainder_z
      - .offset:         184
        .size:           8
        .value_kind:     hidden_global_offset_x
      - .offset:         192
        .size:           8
        .value_kind:     hidden_global_offset_y
      - .offset:         200
        .size:           8
        .value_kind:     hidden_global_offset_z
      - .offset:         208
        .size:           2
        .value_kind:     hidden_grid_dims
      - .offset:         224
        .size:           8
        .value_kind:     hidden_hostcall_buffer
    .group_segment_fixed_size: 0
    .kernarg_segment_align: 8
    .kernarg_segment_size: 400
    .language:       OpenCL C
    .language_version:
      - 2
      - 0
    .max_flat_workgroup_size: 256
    .name:           _Z39paged_attention_ll4mi_QKV_mfma16_kernelIDF16_DF16_LN4vllm18Fp8KVCacheDataTypeE0EDF16_Li32ELi128ELi256ELb0ELi14EEvPKT_PKT0_S7_ifPKiS9_S9_iPKfiiiPfSC_PS2_PT2_iSB_SB_
    .private_segment_fixed_size: 64
    .sgpr_count:     36
    .sgpr_spill_count: 0
    .symbol:         _Z39paged_attention_ll4mi_QKV_mfma16_kernelIDF16_DF16_LN4vllm18Fp8KVCacheDataTypeE0EDF16_Li32ELi128ELi256ELb0ELi14EEvPKT_PKT0_S7_ifPKiS9_S9_iPKfiiiPfSC_PS2_PT2_iSB_SB_.kd
    .uniform_work_group_size: 1
    .uses_dynamic_stack: false
    .vgpr_count:     51
    .vgpr_spill_count: 0
    .wavefront_size: 32
  - .args:
      - .actual_access:  read_only
        .address_space:  global
        .offset:         0
        .size:           8
        .value_kind:     global_buffer
      - .actual_access:  read_only
        .address_space:  global
        .offset:         8
        .size:           8
        .value_kind:     global_buffer
      - .actual_access:  read_only
        .address_space:  global
        .offset:         16
        .size:           8
        .value_kind:     global_buffer
      - .offset:         24
        .size:           4
        .value_kind:     by_value
      - .offset:         28
        .size:           4
        .value_kind:     by_value
      - .actual_access:  read_only
        .address_space:  global
        .offset:         32
        .size:           8
        .value_kind:     global_buffer
      - .actual_access:  read_only
        .address_space:  global
        .offset:         40
        .size:           8
        .value_kind:     global_buffer
      - .actual_access:  read_only
        .address_space:  global
        .offset:         48
        .size:           8
        .value_kind:     global_buffer
      - .offset:         56
        .size:           4
        .value_kind:     by_value
      - .actual_access:  read_only
        .address_space:  global
        .offset:         64
        .size:           8
        .value_kind:     global_buffer
      - .offset:         72
        .size:           4
        .value_kind:     by_value
      - .offset:         76
        .size:           4
        .value_kind:     by_value
      - .offset:         80
        .size:           4
        .value_kind:     by_value
      - .actual_access:  read_only
        .address_space:  global
        .offset:         88
        .size:           8
        .value_kind:     global_buffer
      - .actual_access:  read_only
        .address_space:  global
        .offset:         96
        .size:           8
        .value_kind:     global_buffer
      - .actual_access:  read_only
        .address_space:  global
        .offset:         104
        .size:           8
        .value_kind:     global_buffer
      - .actual_access:  read_only
        .address_space:  global
        .offset:         112
        .size:           8
        .value_kind:     global_buffer
      - .offset:         120
        .size:           4
        .value_kind:     by_value
      - .address_space:  global
        .offset:         128
        .size:           8
        .value_kind:     global_buffer
      - .address_space:  global
        .offset:         136
        .size:           8
        .value_kind:     global_buffer
      - .offset:         144
        .size:           4
        .value_kind:     hidden_block_count_x
      - .offset:         148
        .size:           4
        .value_kind:     hidden_block_count_y
      - .offset:         152
        .size:           4
        .value_kind:     hidden_block_count_z
      - .offset:         156
        .size:           2
        .value_kind:     hidden_group_size_x
      - .offset:         158
        .size:           2
        .value_kind:     hidden_group_size_y
      - .offset:         160
        .size:           2
        .value_kind:     hidden_group_size_z
      - .offset:         162
        .size:           2
        .value_kind:     hidden_remainder_x
      - .offset:         164
        .size:           2
        .value_kind:     hidden_remainder_y
      - .offset:         166
        .size:           2
        .value_kind:     hidden_remainder_z
      - .offset:         184
        .size:           8
        .value_kind:     hidden_global_offset_x
      - .offset:         192
        .size:           8
        .value_kind:     hidden_global_offset_y
      - .offset:         200
        .size:           8
        .value_kind:     hidden_global_offset_z
      - .offset:         208
        .size:           2
        .value_kind:     hidden_grid_dims
      - .offset:         224
        .size:           8
        .value_kind:     hidden_hostcall_buffer
    .group_segment_fixed_size: 0
    .kernarg_segment_align: 8
    .kernarg_segment_size: 400
    .language:       OpenCL C
    .language_version:
      - 2
      - 0
    .max_flat_workgroup_size: 256
    .name:           _Z39paged_attention_ll4mi_QKV_mfma16_kernelIDF16_DF16_LN4vllm18Fp8KVCacheDataTypeE0EDF16_Li32ELi128ELi256ELb0ELi15EEvPKT_PKT0_S7_ifPKiS9_S9_iPKfiiiPfSC_PS2_PT2_iSB_SB_
    .private_segment_fixed_size: 64
    .sgpr_count:     36
    .sgpr_spill_count: 0
    .symbol:         _Z39paged_attention_ll4mi_QKV_mfma16_kernelIDF16_DF16_LN4vllm18Fp8KVCacheDataTypeE0EDF16_Li32ELi128ELi256ELb0ELi15EEvPKT_PKT0_S7_ifPKiS9_S9_iPKfiiiPfSC_PS2_PT2_iSB_SB_.kd
    .uniform_work_group_size: 1
    .uses_dynamic_stack: false
    .vgpr_count:     51
    .vgpr_spill_count: 0
    .wavefront_size: 32
  - .args:
      - .actual_access:  read_only
        .address_space:  global
        .offset:         0
        .size:           8
        .value_kind:     global_buffer
      - .actual_access:  read_only
        .address_space:  global
        .offset:         8
        .size:           8
        .value_kind:     global_buffer
      - .actual_access:  read_only
        .address_space:  global
        .offset:         16
        .size:           8
        .value_kind:     global_buffer
      - .offset:         24
        .size:           4
        .value_kind:     by_value
      - .offset:         28
        .size:           4
        .value_kind:     by_value
      - .actual_access:  read_only
        .address_space:  global
        .offset:         32
        .size:           8
        .value_kind:     global_buffer
      - .actual_access:  read_only
        .address_space:  global
        .offset:         40
        .size:           8
        .value_kind:     global_buffer
      - .actual_access:  read_only
        .address_space:  global
        .offset:         48
        .size:           8
        .value_kind:     global_buffer
      - .offset:         56
        .size:           4
        .value_kind:     by_value
      - .actual_access:  read_only
        .address_space:  global
        .offset:         64
        .size:           8
        .value_kind:     global_buffer
      - .offset:         72
        .size:           4
        .value_kind:     by_value
      - .offset:         76
        .size:           4
        .value_kind:     by_value
      - .offset:         80
        .size:           4
        .value_kind:     by_value
      - .actual_access:  read_only
        .address_space:  global
        .offset:         88
        .size:           8
        .value_kind:     global_buffer
      - .actual_access:  read_only
        .address_space:  global
        .offset:         96
        .size:           8
        .value_kind:     global_buffer
      - .actual_access:  read_only
        .address_space:  global
        .offset:         104
        .size:           8
        .value_kind:     global_buffer
      - .actual_access:  read_only
        .address_space:  global
        .offset:         112
        .size:           8
        .value_kind:     global_buffer
      - .offset:         120
        .size:           4
        .value_kind:     by_value
      - .address_space:  global
        .offset:         128
        .size:           8
        .value_kind:     global_buffer
      - .address_space:  global
        .offset:         136
        .size:           8
        .value_kind:     global_buffer
      - .offset:         144
        .size:           4
        .value_kind:     hidden_block_count_x
      - .offset:         148
        .size:           4
        .value_kind:     hidden_block_count_y
      - .offset:         152
        .size:           4
        .value_kind:     hidden_block_count_z
      - .offset:         156
        .size:           2
        .value_kind:     hidden_group_size_x
      - .offset:         158
        .size:           2
        .value_kind:     hidden_group_size_y
      - .offset:         160
        .size:           2
        .value_kind:     hidden_group_size_z
      - .offset:         162
        .size:           2
        .value_kind:     hidden_remainder_x
      - .offset:         164
        .size:           2
        .value_kind:     hidden_remainder_y
      - .offset:         166
        .size:           2
        .value_kind:     hidden_remainder_z
      - .offset:         184
        .size:           8
        .value_kind:     hidden_global_offset_x
      - .offset:         192
        .size:           8
        .value_kind:     hidden_global_offset_y
      - .offset:         200
        .size:           8
        .value_kind:     hidden_global_offset_z
      - .offset:         208
        .size:           2
        .value_kind:     hidden_grid_dims
      - .offset:         224
        .size:           8
        .value_kind:     hidden_hostcall_buffer
    .group_segment_fixed_size: 0
    .kernarg_segment_align: 8
    .kernarg_segment_size: 400
    .language:       OpenCL C
    .language_version:
      - 2
      - 0
    .max_flat_workgroup_size: 256
    .name:           _Z39paged_attention_ll4mi_QKV_mfma16_kernelIDF16_DF16_LN4vllm18Fp8KVCacheDataTypeE0EDF16_Li32ELi128ELi256ELb0ELi16EEvPKT_PKT0_S7_ifPKiS9_S9_iPKfiiiPfSC_PS2_PT2_iSB_SB_
    .private_segment_fixed_size: 64
    .sgpr_count:     36
    .sgpr_spill_count: 0
    .symbol:         _Z39paged_attention_ll4mi_QKV_mfma16_kernelIDF16_DF16_LN4vllm18Fp8KVCacheDataTypeE0EDF16_Li32ELi128ELi256ELb0ELi16EEvPKT_PKT0_S7_ifPKiS9_S9_iPKfiiiPfSC_PS2_PT2_iSB_SB_.kd
    .uniform_work_group_size: 1
    .uses_dynamic_stack: false
    .vgpr_count:     51
    .vgpr_spill_count: 0
    .wavefront_size: 32
  - .args:
      - .actual_access:  read_only
        .address_space:  global
        .offset:         0
        .size:           8
        .value_kind:     global_buffer
      - .actual_access:  read_only
        .address_space:  global
        .offset:         8
        .size:           8
        .value_kind:     global_buffer
      - .actual_access:  read_only
        .address_space:  global
        .offset:         16
        .size:           8
        .value_kind:     global_buffer
      - .offset:         24
        .size:           4
        .value_kind:     by_value
      - .offset:         28
        .size:           4
        .value_kind:     by_value
      - .actual_access:  read_only
        .address_space:  global
        .offset:         32
        .size:           8
        .value_kind:     global_buffer
      - .actual_access:  read_only
        .address_space:  global
        .offset:         40
        .size:           8
        .value_kind:     global_buffer
      - .actual_access:  read_only
        .address_space:  global
        .offset:         48
        .size:           8
        .value_kind:     global_buffer
      - .offset:         56
        .size:           4
        .value_kind:     by_value
      - .actual_access:  read_only
        .address_space:  global
        .offset:         64
        .size:           8
        .value_kind:     global_buffer
      - .offset:         72
        .size:           4
        .value_kind:     by_value
      - .offset:         76
        .size:           4
        .value_kind:     by_value
      - .offset:         80
        .size:           4
        .value_kind:     by_value
      - .actual_access:  read_only
        .address_space:  global
        .offset:         88
        .size:           8
        .value_kind:     global_buffer
      - .actual_access:  read_only
        .address_space:  global
        .offset:         96
        .size:           8
        .value_kind:     global_buffer
      - .actual_access:  read_only
        .address_space:  global
        .offset:         104
        .size:           8
        .value_kind:     global_buffer
      - .actual_access:  read_only
        .address_space:  global
        .offset:         112
        .size:           8
        .value_kind:     global_buffer
      - .offset:         120
        .size:           4
        .value_kind:     by_value
      - .address_space:  global
        .offset:         128
        .size:           8
        .value_kind:     global_buffer
      - .address_space:  global
        .offset:         136
        .size:           8
        .value_kind:     global_buffer
      - .offset:         144
        .size:           4
        .value_kind:     hidden_block_count_x
      - .offset:         148
        .size:           4
        .value_kind:     hidden_block_count_y
      - .offset:         152
        .size:           4
        .value_kind:     hidden_block_count_z
      - .offset:         156
        .size:           2
        .value_kind:     hidden_group_size_x
      - .offset:         158
        .size:           2
        .value_kind:     hidden_group_size_y
      - .offset:         160
        .size:           2
        .value_kind:     hidden_group_size_z
      - .offset:         162
        .size:           2
        .value_kind:     hidden_remainder_x
      - .offset:         164
        .size:           2
        .value_kind:     hidden_remainder_y
      - .offset:         166
        .size:           2
        .value_kind:     hidden_remainder_z
      - .offset:         184
        .size:           8
        .value_kind:     hidden_global_offset_x
      - .offset:         192
        .size:           8
        .value_kind:     hidden_global_offset_y
      - .offset:         200
        .size:           8
        .value_kind:     hidden_global_offset_z
      - .offset:         208
        .size:           2
        .value_kind:     hidden_grid_dims
      - .offset:         224
        .size:           8
        .value_kind:     hidden_hostcall_buffer
    .group_segment_fixed_size: 0
    .kernarg_segment_align: 8
    .kernarg_segment_size: 400
    .language:       OpenCL C
    .language_version:
      - 2
      - 0
    .max_flat_workgroup_size: 256
    .name:           _Z39paged_attention_ll4mi_QKV_mfma16_kernelIDF16_DF16_LN4vllm18Fp8KVCacheDataTypeE0EDF16_Li32ELi128ELi256ELb0ELi1EEvPKT_PKT0_S7_ifPKiS9_S9_iPKfiiiPfSC_PS2_PT2_iSB_SB_
    .private_segment_fixed_size: 64
    .sgpr_count:     36
    .sgpr_spill_count: 0
    .symbol:         _Z39paged_attention_ll4mi_QKV_mfma16_kernelIDF16_DF16_LN4vllm18Fp8KVCacheDataTypeE0EDF16_Li32ELi128ELi256ELb0ELi1EEvPKT_PKT0_S7_ifPKiS9_S9_iPKfiiiPfSC_PS2_PT2_iSB_SB_.kd
    .uniform_work_group_size: 1
    .uses_dynamic_stack: false
    .vgpr_count:     51
    .vgpr_spill_count: 0
    .wavefront_size: 32
  - .args:
      - .actual_access:  read_only
        .address_space:  global
        .offset:         0
        .size:           8
        .value_kind:     global_buffer
      - .actual_access:  read_only
        .address_space:  global
        .offset:         8
        .size:           8
        .value_kind:     global_buffer
      - .actual_access:  read_only
        .address_space:  global
        .offset:         16
        .size:           8
        .value_kind:     global_buffer
      - .offset:         24
        .size:           4
        .value_kind:     by_value
      - .offset:         28
        .size:           4
        .value_kind:     by_value
      - .actual_access:  read_only
        .address_space:  global
        .offset:         32
        .size:           8
        .value_kind:     global_buffer
      - .actual_access:  read_only
        .address_space:  global
        .offset:         40
        .size:           8
        .value_kind:     global_buffer
      - .actual_access:  read_only
        .address_space:  global
        .offset:         48
        .size:           8
        .value_kind:     global_buffer
      - .offset:         56
        .size:           4
        .value_kind:     by_value
      - .actual_access:  read_only
        .address_space:  global
        .offset:         64
        .size:           8
        .value_kind:     global_buffer
      - .offset:         72
        .size:           4
        .value_kind:     by_value
      - .offset:         76
        .size:           4
        .value_kind:     by_value
      - .offset:         80
        .size:           4
        .value_kind:     by_value
      - .actual_access:  read_only
        .address_space:  global
        .offset:         88
        .size:           8
        .value_kind:     global_buffer
      - .actual_access:  read_only
        .address_space:  global
        .offset:         96
        .size:           8
        .value_kind:     global_buffer
      - .actual_access:  read_only
        .address_space:  global
        .offset:         104
        .size:           8
        .value_kind:     global_buffer
      - .actual_access:  read_only
        .address_space:  global
        .offset:         112
        .size:           8
        .value_kind:     global_buffer
      - .offset:         120
        .size:           4
        .value_kind:     by_value
      - .address_space:  global
        .offset:         128
        .size:           8
        .value_kind:     global_buffer
      - .address_space:  global
        .offset:         136
        .size:           8
        .value_kind:     global_buffer
      - .offset:         144
        .size:           4
        .value_kind:     hidden_block_count_x
      - .offset:         148
        .size:           4
        .value_kind:     hidden_block_count_y
      - .offset:         152
        .size:           4
        .value_kind:     hidden_block_count_z
      - .offset:         156
        .size:           2
        .value_kind:     hidden_group_size_x
      - .offset:         158
        .size:           2
        .value_kind:     hidden_group_size_y
      - .offset:         160
        .size:           2
        .value_kind:     hidden_group_size_z
      - .offset:         162
        .size:           2
        .value_kind:     hidden_remainder_x
      - .offset:         164
        .size:           2
        .value_kind:     hidden_remainder_y
      - .offset:         166
        .size:           2
        .value_kind:     hidden_remainder_z
      - .offset:         184
        .size:           8
        .value_kind:     hidden_global_offset_x
      - .offset:         192
        .size:           8
        .value_kind:     hidden_global_offset_y
      - .offset:         200
        .size:           8
        .value_kind:     hidden_global_offset_z
      - .offset:         208
        .size:           2
        .value_kind:     hidden_grid_dims
      - .offset:         224
        .size:           8
        .value_kind:     hidden_hostcall_buffer
    .group_segment_fixed_size: 0
    .kernarg_segment_align: 8
    .kernarg_segment_size: 400
    .language:       OpenCL C
    .language_version:
      - 2
      - 0
    .max_flat_workgroup_size: 256
    .name:           _Z39paged_attention_ll4mi_QKV_mfma16_kernelIDF16_DF16_LN4vllm18Fp8KVCacheDataTypeE0EDF16_Li32ELi128ELi256ELb0ELi2EEvPKT_PKT0_S7_ifPKiS9_S9_iPKfiiiPfSC_PS2_PT2_iSB_SB_
    .private_segment_fixed_size: 64
    .sgpr_count:     36
    .sgpr_spill_count: 0
    .symbol:         _Z39paged_attention_ll4mi_QKV_mfma16_kernelIDF16_DF16_LN4vllm18Fp8KVCacheDataTypeE0EDF16_Li32ELi128ELi256ELb0ELi2EEvPKT_PKT0_S7_ifPKiS9_S9_iPKfiiiPfSC_PS2_PT2_iSB_SB_.kd
    .uniform_work_group_size: 1
    .uses_dynamic_stack: false
    .vgpr_count:     51
    .vgpr_spill_count: 0
    .wavefront_size: 32
  - .args:
      - .actual_access:  read_only
        .address_space:  global
        .offset:         0
        .size:           8
        .value_kind:     global_buffer
      - .actual_access:  read_only
        .address_space:  global
        .offset:         8
        .size:           8
        .value_kind:     global_buffer
      - .actual_access:  read_only
        .address_space:  global
        .offset:         16
        .size:           8
        .value_kind:     global_buffer
      - .offset:         24
        .size:           4
        .value_kind:     by_value
      - .offset:         28
        .size:           4
        .value_kind:     by_value
      - .actual_access:  read_only
        .address_space:  global
        .offset:         32
        .size:           8
        .value_kind:     global_buffer
      - .actual_access:  read_only
        .address_space:  global
        .offset:         40
        .size:           8
        .value_kind:     global_buffer
      - .actual_access:  read_only
        .address_space:  global
        .offset:         48
        .size:           8
        .value_kind:     global_buffer
      - .offset:         56
        .size:           4
        .value_kind:     by_value
      - .actual_access:  read_only
        .address_space:  global
        .offset:         64
        .size:           8
        .value_kind:     global_buffer
      - .offset:         72
        .size:           4
        .value_kind:     by_value
      - .offset:         76
        .size:           4
        .value_kind:     by_value
      - .offset:         80
        .size:           4
        .value_kind:     by_value
      - .actual_access:  read_only
        .address_space:  global
        .offset:         88
        .size:           8
        .value_kind:     global_buffer
      - .actual_access:  read_only
        .address_space:  global
        .offset:         96
        .size:           8
        .value_kind:     global_buffer
      - .actual_access:  read_only
        .address_space:  global
        .offset:         104
        .size:           8
        .value_kind:     global_buffer
      - .actual_access:  read_only
        .address_space:  global
        .offset:         112
        .size:           8
        .value_kind:     global_buffer
      - .offset:         120
        .size:           4
        .value_kind:     by_value
      - .address_space:  global
        .offset:         128
        .size:           8
        .value_kind:     global_buffer
      - .address_space:  global
        .offset:         136
        .size:           8
        .value_kind:     global_buffer
      - .offset:         144
        .size:           4
        .value_kind:     hidden_block_count_x
      - .offset:         148
        .size:           4
        .value_kind:     hidden_block_count_y
      - .offset:         152
        .size:           4
        .value_kind:     hidden_block_count_z
      - .offset:         156
        .size:           2
        .value_kind:     hidden_group_size_x
      - .offset:         158
        .size:           2
        .value_kind:     hidden_group_size_y
      - .offset:         160
        .size:           2
        .value_kind:     hidden_group_size_z
      - .offset:         162
        .size:           2
        .value_kind:     hidden_remainder_x
      - .offset:         164
        .size:           2
        .value_kind:     hidden_remainder_y
      - .offset:         166
        .size:           2
        .value_kind:     hidden_remainder_z
      - .offset:         184
        .size:           8
        .value_kind:     hidden_global_offset_x
      - .offset:         192
        .size:           8
        .value_kind:     hidden_global_offset_y
      - .offset:         200
        .size:           8
        .value_kind:     hidden_global_offset_z
      - .offset:         208
        .size:           2
        .value_kind:     hidden_grid_dims
      - .offset:         224
        .size:           8
        .value_kind:     hidden_hostcall_buffer
    .group_segment_fixed_size: 0
    .kernarg_segment_align: 8
    .kernarg_segment_size: 400
    .language:       OpenCL C
    .language_version:
      - 2
      - 0
    .max_flat_workgroup_size: 256
    .name:           _Z39paged_attention_ll4mi_QKV_mfma16_kernelIDF16_DF16_LN4vllm18Fp8KVCacheDataTypeE0EDF16_Li32ELi128ELi256ELb0ELi3EEvPKT_PKT0_S7_ifPKiS9_S9_iPKfiiiPfSC_PS2_PT2_iSB_SB_
    .private_segment_fixed_size: 64
    .sgpr_count:     36
    .sgpr_spill_count: 0
    .symbol:         _Z39paged_attention_ll4mi_QKV_mfma16_kernelIDF16_DF16_LN4vllm18Fp8KVCacheDataTypeE0EDF16_Li32ELi128ELi256ELb0ELi3EEvPKT_PKT0_S7_ifPKiS9_S9_iPKfiiiPfSC_PS2_PT2_iSB_SB_.kd
    .uniform_work_group_size: 1
    .uses_dynamic_stack: false
    .vgpr_count:     51
    .vgpr_spill_count: 0
    .wavefront_size: 32
  - .args:
      - .actual_access:  read_only
        .address_space:  global
        .offset:         0
        .size:           8
        .value_kind:     global_buffer
      - .actual_access:  read_only
        .address_space:  global
        .offset:         8
        .size:           8
        .value_kind:     global_buffer
      - .actual_access:  read_only
        .address_space:  global
        .offset:         16
        .size:           8
        .value_kind:     global_buffer
      - .offset:         24
        .size:           4
        .value_kind:     by_value
      - .offset:         28
        .size:           4
        .value_kind:     by_value
      - .actual_access:  read_only
        .address_space:  global
        .offset:         32
        .size:           8
        .value_kind:     global_buffer
      - .actual_access:  read_only
        .address_space:  global
        .offset:         40
        .size:           8
        .value_kind:     global_buffer
      - .actual_access:  read_only
        .address_space:  global
        .offset:         48
        .size:           8
        .value_kind:     global_buffer
      - .offset:         56
        .size:           4
        .value_kind:     by_value
      - .actual_access:  read_only
        .address_space:  global
        .offset:         64
        .size:           8
        .value_kind:     global_buffer
      - .offset:         72
        .size:           4
        .value_kind:     by_value
      - .offset:         76
        .size:           4
        .value_kind:     by_value
      - .offset:         80
        .size:           4
        .value_kind:     by_value
      - .actual_access:  read_only
        .address_space:  global
        .offset:         88
        .size:           8
        .value_kind:     global_buffer
      - .actual_access:  read_only
        .address_space:  global
        .offset:         96
        .size:           8
        .value_kind:     global_buffer
      - .actual_access:  read_only
        .address_space:  global
        .offset:         104
        .size:           8
        .value_kind:     global_buffer
      - .actual_access:  read_only
        .address_space:  global
        .offset:         112
        .size:           8
        .value_kind:     global_buffer
      - .offset:         120
        .size:           4
        .value_kind:     by_value
      - .address_space:  global
        .offset:         128
        .size:           8
        .value_kind:     global_buffer
      - .address_space:  global
        .offset:         136
        .size:           8
        .value_kind:     global_buffer
      - .offset:         144
        .size:           4
        .value_kind:     hidden_block_count_x
      - .offset:         148
        .size:           4
        .value_kind:     hidden_block_count_y
      - .offset:         152
        .size:           4
        .value_kind:     hidden_block_count_z
      - .offset:         156
        .size:           2
        .value_kind:     hidden_group_size_x
      - .offset:         158
        .size:           2
        .value_kind:     hidden_group_size_y
      - .offset:         160
        .size:           2
        .value_kind:     hidden_group_size_z
      - .offset:         162
        .size:           2
        .value_kind:     hidden_remainder_x
      - .offset:         164
        .size:           2
        .value_kind:     hidden_remainder_y
      - .offset:         166
        .size:           2
        .value_kind:     hidden_remainder_z
      - .offset:         184
        .size:           8
        .value_kind:     hidden_global_offset_x
      - .offset:         192
        .size:           8
        .value_kind:     hidden_global_offset_y
      - .offset:         200
        .size:           8
        .value_kind:     hidden_global_offset_z
      - .offset:         208
        .size:           2
        .value_kind:     hidden_grid_dims
      - .offset:         224
        .size:           8
        .value_kind:     hidden_hostcall_buffer
    .group_segment_fixed_size: 0
    .kernarg_segment_align: 8
    .kernarg_segment_size: 400
    .language:       OpenCL C
    .language_version:
      - 2
      - 0
    .max_flat_workgroup_size: 256
    .name:           _Z39paged_attention_ll4mi_QKV_mfma16_kernelIDF16_DF16_LN4vllm18Fp8KVCacheDataTypeE0EDF16_Li32ELi128ELi256ELb0ELi4EEvPKT_PKT0_S7_ifPKiS9_S9_iPKfiiiPfSC_PS2_PT2_iSB_SB_
    .private_segment_fixed_size: 64
    .sgpr_count:     36
    .sgpr_spill_count: 0
    .symbol:         _Z39paged_attention_ll4mi_QKV_mfma16_kernelIDF16_DF16_LN4vllm18Fp8KVCacheDataTypeE0EDF16_Li32ELi128ELi256ELb0ELi4EEvPKT_PKT0_S7_ifPKiS9_S9_iPKfiiiPfSC_PS2_PT2_iSB_SB_.kd
    .uniform_work_group_size: 1
    .uses_dynamic_stack: false
    .vgpr_count:     51
    .vgpr_spill_count: 0
    .wavefront_size: 32
  - .args:
      - .actual_access:  read_only
        .address_space:  global
        .offset:         0
        .size:           8
        .value_kind:     global_buffer
      - .actual_access:  read_only
        .address_space:  global
        .offset:         8
        .size:           8
        .value_kind:     global_buffer
      - .actual_access:  read_only
        .address_space:  global
        .offset:         16
        .size:           8
        .value_kind:     global_buffer
      - .offset:         24
        .size:           4
        .value_kind:     by_value
      - .offset:         28
        .size:           4
        .value_kind:     by_value
      - .actual_access:  read_only
        .address_space:  global
        .offset:         32
        .size:           8
        .value_kind:     global_buffer
      - .actual_access:  read_only
        .address_space:  global
        .offset:         40
        .size:           8
        .value_kind:     global_buffer
      - .actual_access:  read_only
        .address_space:  global
        .offset:         48
        .size:           8
        .value_kind:     global_buffer
      - .offset:         56
        .size:           4
        .value_kind:     by_value
      - .actual_access:  read_only
        .address_space:  global
        .offset:         64
        .size:           8
        .value_kind:     global_buffer
      - .offset:         72
        .size:           4
        .value_kind:     by_value
      - .offset:         76
        .size:           4
        .value_kind:     by_value
      - .offset:         80
        .size:           4
        .value_kind:     by_value
      - .actual_access:  read_only
        .address_space:  global
        .offset:         88
        .size:           8
        .value_kind:     global_buffer
      - .actual_access:  read_only
        .address_space:  global
        .offset:         96
        .size:           8
        .value_kind:     global_buffer
      - .actual_access:  read_only
        .address_space:  global
        .offset:         104
        .size:           8
        .value_kind:     global_buffer
      - .actual_access:  read_only
        .address_space:  global
        .offset:         112
        .size:           8
        .value_kind:     global_buffer
      - .offset:         120
        .size:           4
        .value_kind:     by_value
      - .address_space:  global
        .offset:         128
        .size:           8
        .value_kind:     global_buffer
      - .address_space:  global
        .offset:         136
        .size:           8
        .value_kind:     global_buffer
      - .offset:         144
        .size:           4
        .value_kind:     hidden_block_count_x
      - .offset:         148
        .size:           4
        .value_kind:     hidden_block_count_y
      - .offset:         152
        .size:           4
        .value_kind:     hidden_block_count_z
      - .offset:         156
        .size:           2
        .value_kind:     hidden_group_size_x
      - .offset:         158
        .size:           2
        .value_kind:     hidden_group_size_y
      - .offset:         160
        .size:           2
        .value_kind:     hidden_group_size_z
      - .offset:         162
        .size:           2
        .value_kind:     hidden_remainder_x
      - .offset:         164
        .size:           2
        .value_kind:     hidden_remainder_y
      - .offset:         166
        .size:           2
        .value_kind:     hidden_remainder_z
      - .offset:         184
        .size:           8
        .value_kind:     hidden_global_offset_x
      - .offset:         192
        .size:           8
        .value_kind:     hidden_global_offset_y
      - .offset:         200
        .size:           8
        .value_kind:     hidden_global_offset_z
      - .offset:         208
        .size:           2
        .value_kind:     hidden_grid_dims
      - .offset:         224
        .size:           8
        .value_kind:     hidden_hostcall_buffer
    .group_segment_fixed_size: 0
    .kernarg_segment_align: 8
    .kernarg_segment_size: 400
    .language:       OpenCL C
    .language_version:
      - 2
      - 0
    .max_flat_workgroup_size: 256
    .name:           _Z38paged_attention_ll4mi_QKV_mfma4_kernelI14__hip_bfloat16S0_LN4vllm18Fp8KVCacheDataTypeE0EhLi16ELi64ELi256ELb1ELi1EEvPKT_PKT0_S8_ifPKiSA_SA_iPKfiiiPfSD_PS3_PT2_iSC_SC_
    .private_segment_fixed_size: 64
    .sgpr_count:     36
    .sgpr_spill_count: 0
    .symbol:         _Z38paged_attention_ll4mi_QKV_mfma4_kernelI14__hip_bfloat16S0_LN4vllm18Fp8KVCacheDataTypeE0EhLi16ELi64ELi256ELb1ELi1EEvPKT_PKT0_S8_ifPKiSA_SA_iPKfiiiPfSD_PS3_PT2_iSC_SC_.kd
    .uniform_work_group_size: 1
    .uses_dynamic_stack: false
    .vgpr_count:     51
    .vgpr_spill_count: 0
    .wavefront_size: 32
  - .args:
      - .actual_access:  read_only
        .address_space:  global
        .offset:         0
        .size:           8
        .value_kind:     global_buffer
      - .actual_access:  read_only
        .address_space:  global
        .offset:         8
        .size:           8
        .value_kind:     global_buffer
      - .actual_access:  read_only
        .address_space:  global
        .offset:         16
        .size:           8
        .value_kind:     global_buffer
      - .offset:         24
        .size:           4
        .value_kind:     by_value
      - .offset:         28
        .size:           4
        .value_kind:     by_value
      - .actual_access:  read_only
        .address_space:  global
        .offset:         32
        .size:           8
        .value_kind:     global_buffer
      - .actual_access:  read_only
        .address_space:  global
        .offset:         40
        .size:           8
        .value_kind:     global_buffer
      - .actual_access:  read_only
        .address_space:  global
        .offset:         48
        .size:           8
        .value_kind:     global_buffer
      - .offset:         56
        .size:           4
        .value_kind:     by_value
      - .actual_access:  read_only
        .address_space:  global
        .offset:         64
        .size:           8
        .value_kind:     global_buffer
      - .offset:         72
        .size:           4
        .value_kind:     by_value
      - .offset:         76
        .size:           4
        .value_kind:     by_value
      - .offset:         80
        .size:           4
        .value_kind:     by_value
      - .actual_access:  read_only
        .address_space:  global
        .offset:         88
        .size:           8
        .value_kind:     global_buffer
      - .actual_access:  read_only
        .address_space:  global
        .offset:         96
        .size:           8
        .value_kind:     global_buffer
      - .actual_access:  read_only
        .address_space:  global
        .offset:         104
        .size:           8
        .value_kind:     global_buffer
      - .actual_access:  read_only
        .address_space:  global
        .offset:         112
        .size:           8
        .value_kind:     global_buffer
      - .offset:         120
        .size:           4
        .value_kind:     by_value
      - .address_space:  global
        .offset:         128
        .size:           8
        .value_kind:     global_buffer
      - .address_space:  global
        .offset:         136
        .size:           8
        .value_kind:     global_buffer
      - .offset:         144
        .size:           4
        .value_kind:     hidden_block_count_x
      - .offset:         148
        .size:           4
        .value_kind:     hidden_block_count_y
      - .offset:         152
        .size:           4
        .value_kind:     hidden_block_count_z
      - .offset:         156
        .size:           2
        .value_kind:     hidden_group_size_x
      - .offset:         158
        .size:           2
        .value_kind:     hidden_group_size_y
      - .offset:         160
        .size:           2
        .value_kind:     hidden_group_size_z
      - .offset:         162
        .size:           2
        .value_kind:     hidden_remainder_x
      - .offset:         164
        .size:           2
        .value_kind:     hidden_remainder_y
      - .offset:         166
        .size:           2
        .value_kind:     hidden_remainder_z
      - .offset:         184
        .size:           8
        .value_kind:     hidden_global_offset_x
      - .offset:         192
        .size:           8
        .value_kind:     hidden_global_offset_y
      - .offset:         200
        .size:           8
        .value_kind:     hidden_global_offset_z
      - .offset:         208
        .size:           2
        .value_kind:     hidden_grid_dims
      - .offset:         224
        .size:           8
        .value_kind:     hidden_hostcall_buffer
    .group_segment_fixed_size: 0
    .kernarg_segment_align: 8
    .kernarg_segment_size: 400
    .language:       OpenCL C
    .language_version:
      - 2
      - 0
    .max_flat_workgroup_size: 256
    .name:           _Z38paged_attention_ll4mi_QKV_mfma4_kernelI14__hip_bfloat16S0_LN4vllm18Fp8KVCacheDataTypeE0EhLi16ELi64ELi256ELb1ELi2EEvPKT_PKT0_S8_ifPKiSA_SA_iPKfiiiPfSD_PS3_PT2_iSC_SC_
    .private_segment_fixed_size: 64
    .sgpr_count:     36
    .sgpr_spill_count: 0
    .symbol:         _Z38paged_attention_ll4mi_QKV_mfma4_kernelI14__hip_bfloat16S0_LN4vllm18Fp8KVCacheDataTypeE0EhLi16ELi64ELi256ELb1ELi2EEvPKT_PKT0_S8_ifPKiSA_SA_iPKfiiiPfSD_PS3_PT2_iSC_SC_.kd
    .uniform_work_group_size: 1
    .uses_dynamic_stack: false
    .vgpr_count:     51
    .vgpr_spill_count: 0
    .wavefront_size: 32
  - .args:
      - .actual_access:  read_only
        .address_space:  global
        .offset:         0
        .size:           8
        .value_kind:     global_buffer
      - .actual_access:  read_only
        .address_space:  global
        .offset:         8
        .size:           8
        .value_kind:     global_buffer
      - .actual_access:  read_only
        .address_space:  global
        .offset:         16
        .size:           8
        .value_kind:     global_buffer
      - .offset:         24
        .size:           4
        .value_kind:     by_value
      - .offset:         28
        .size:           4
        .value_kind:     by_value
      - .actual_access:  read_only
        .address_space:  global
        .offset:         32
        .size:           8
        .value_kind:     global_buffer
      - .actual_access:  read_only
        .address_space:  global
        .offset:         40
        .size:           8
        .value_kind:     global_buffer
      - .actual_access:  read_only
        .address_space:  global
        .offset:         48
        .size:           8
        .value_kind:     global_buffer
      - .offset:         56
        .size:           4
        .value_kind:     by_value
      - .actual_access:  read_only
        .address_space:  global
        .offset:         64
        .size:           8
        .value_kind:     global_buffer
      - .offset:         72
        .size:           4
        .value_kind:     by_value
      - .offset:         76
        .size:           4
        .value_kind:     by_value
      - .offset:         80
        .size:           4
        .value_kind:     by_value
      - .actual_access:  read_only
        .address_space:  global
        .offset:         88
        .size:           8
        .value_kind:     global_buffer
      - .actual_access:  read_only
        .address_space:  global
        .offset:         96
        .size:           8
        .value_kind:     global_buffer
      - .actual_access:  read_only
        .address_space:  global
        .offset:         104
        .size:           8
        .value_kind:     global_buffer
      - .actual_access:  read_only
        .address_space:  global
        .offset:         112
        .size:           8
        .value_kind:     global_buffer
      - .offset:         120
        .size:           4
        .value_kind:     by_value
      - .address_space:  global
        .offset:         128
        .size:           8
        .value_kind:     global_buffer
      - .address_space:  global
        .offset:         136
        .size:           8
        .value_kind:     global_buffer
      - .offset:         144
        .size:           4
        .value_kind:     hidden_block_count_x
      - .offset:         148
        .size:           4
        .value_kind:     hidden_block_count_y
      - .offset:         152
        .size:           4
        .value_kind:     hidden_block_count_z
      - .offset:         156
        .size:           2
        .value_kind:     hidden_group_size_x
      - .offset:         158
        .size:           2
        .value_kind:     hidden_group_size_y
      - .offset:         160
        .size:           2
        .value_kind:     hidden_group_size_z
      - .offset:         162
        .size:           2
        .value_kind:     hidden_remainder_x
      - .offset:         164
        .size:           2
        .value_kind:     hidden_remainder_y
      - .offset:         166
        .size:           2
        .value_kind:     hidden_remainder_z
      - .offset:         184
        .size:           8
        .value_kind:     hidden_global_offset_x
      - .offset:         192
        .size:           8
        .value_kind:     hidden_global_offset_y
      - .offset:         200
        .size:           8
        .value_kind:     hidden_global_offset_z
      - .offset:         208
        .size:           2
        .value_kind:     hidden_grid_dims
      - .offset:         224
        .size:           8
        .value_kind:     hidden_hostcall_buffer
    .group_segment_fixed_size: 0
    .kernarg_segment_align: 8
    .kernarg_segment_size: 400
    .language:       OpenCL C
    .language_version:
      - 2
      - 0
    .max_flat_workgroup_size: 256
    .name:           _Z38paged_attention_ll4mi_QKV_mfma4_kernelI14__hip_bfloat16S0_LN4vllm18Fp8KVCacheDataTypeE0EhLi16ELi64ELi256ELb1ELi3EEvPKT_PKT0_S8_ifPKiSA_SA_iPKfiiiPfSD_PS3_PT2_iSC_SC_
    .private_segment_fixed_size: 64
    .sgpr_count:     36
    .sgpr_spill_count: 0
    .symbol:         _Z38paged_attention_ll4mi_QKV_mfma4_kernelI14__hip_bfloat16S0_LN4vllm18Fp8KVCacheDataTypeE0EhLi16ELi64ELi256ELb1ELi3EEvPKT_PKT0_S8_ifPKiSA_SA_iPKfiiiPfSD_PS3_PT2_iSC_SC_.kd
    .uniform_work_group_size: 1
    .uses_dynamic_stack: false
    .vgpr_count:     51
    .vgpr_spill_count: 0
    .wavefront_size: 32
  - .args:
      - .actual_access:  read_only
        .address_space:  global
        .offset:         0
        .size:           8
        .value_kind:     global_buffer
      - .actual_access:  read_only
        .address_space:  global
        .offset:         8
        .size:           8
        .value_kind:     global_buffer
      - .actual_access:  read_only
        .address_space:  global
        .offset:         16
        .size:           8
        .value_kind:     global_buffer
      - .offset:         24
        .size:           4
        .value_kind:     by_value
      - .offset:         28
        .size:           4
        .value_kind:     by_value
      - .actual_access:  read_only
        .address_space:  global
        .offset:         32
        .size:           8
        .value_kind:     global_buffer
      - .actual_access:  read_only
        .address_space:  global
        .offset:         40
        .size:           8
        .value_kind:     global_buffer
      - .actual_access:  read_only
        .address_space:  global
        .offset:         48
        .size:           8
        .value_kind:     global_buffer
      - .offset:         56
        .size:           4
        .value_kind:     by_value
      - .actual_access:  read_only
        .address_space:  global
        .offset:         64
        .size:           8
        .value_kind:     global_buffer
      - .offset:         72
        .size:           4
        .value_kind:     by_value
      - .offset:         76
        .size:           4
        .value_kind:     by_value
      - .offset:         80
        .size:           4
        .value_kind:     by_value
      - .actual_access:  read_only
        .address_space:  global
        .offset:         88
        .size:           8
        .value_kind:     global_buffer
      - .actual_access:  read_only
        .address_space:  global
        .offset:         96
        .size:           8
        .value_kind:     global_buffer
      - .actual_access:  read_only
        .address_space:  global
        .offset:         104
        .size:           8
        .value_kind:     global_buffer
      - .actual_access:  read_only
        .address_space:  global
        .offset:         112
        .size:           8
        .value_kind:     global_buffer
      - .offset:         120
        .size:           4
        .value_kind:     by_value
      - .address_space:  global
        .offset:         128
        .size:           8
        .value_kind:     global_buffer
      - .address_space:  global
        .offset:         136
        .size:           8
        .value_kind:     global_buffer
      - .offset:         144
        .size:           4
        .value_kind:     hidden_block_count_x
      - .offset:         148
        .size:           4
        .value_kind:     hidden_block_count_y
      - .offset:         152
        .size:           4
        .value_kind:     hidden_block_count_z
      - .offset:         156
        .size:           2
        .value_kind:     hidden_group_size_x
      - .offset:         158
        .size:           2
        .value_kind:     hidden_group_size_y
      - .offset:         160
        .size:           2
        .value_kind:     hidden_group_size_z
      - .offset:         162
        .size:           2
        .value_kind:     hidden_remainder_x
      - .offset:         164
        .size:           2
        .value_kind:     hidden_remainder_y
      - .offset:         166
        .size:           2
        .value_kind:     hidden_remainder_z
      - .offset:         184
        .size:           8
        .value_kind:     hidden_global_offset_x
      - .offset:         192
        .size:           8
        .value_kind:     hidden_global_offset_y
      - .offset:         200
        .size:           8
        .value_kind:     hidden_global_offset_z
      - .offset:         208
        .size:           2
        .value_kind:     hidden_grid_dims
      - .offset:         224
        .size:           8
        .value_kind:     hidden_hostcall_buffer
    .group_segment_fixed_size: 0
    .kernarg_segment_align: 8
    .kernarg_segment_size: 400
    .language:       OpenCL C
    .language_version:
      - 2
      - 0
    .max_flat_workgroup_size: 256
    .name:           _Z38paged_attention_ll4mi_QKV_mfma4_kernelI14__hip_bfloat16S0_LN4vllm18Fp8KVCacheDataTypeE0EhLi16ELi64ELi256ELb1ELi4EEvPKT_PKT0_S8_ifPKiSA_SA_iPKfiiiPfSD_PS3_PT2_iSC_SC_
    .private_segment_fixed_size: 64
    .sgpr_count:     36
    .sgpr_spill_count: 0
    .symbol:         _Z38paged_attention_ll4mi_QKV_mfma4_kernelI14__hip_bfloat16S0_LN4vllm18Fp8KVCacheDataTypeE0EhLi16ELi64ELi256ELb1ELi4EEvPKT_PKT0_S8_ifPKiSA_SA_iPKfiiiPfSD_PS3_PT2_iSC_SC_.kd
    .uniform_work_group_size: 1
    .uses_dynamic_stack: false
    .vgpr_count:     51
    .vgpr_spill_count: 0
    .wavefront_size: 32
  - .args:
      - .actual_access:  read_only
        .address_space:  global
        .offset:         0
        .size:           8
        .value_kind:     global_buffer
      - .actual_access:  read_only
        .address_space:  global
        .offset:         8
        .size:           8
        .value_kind:     global_buffer
      - .actual_access:  read_only
        .address_space:  global
        .offset:         16
        .size:           8
        .value_kind:     global_buffer
      - .offset:         24
        .size:           4
        .value_kind:     by_value
      - .offset:         28
        .size:           4
        .value_kind:     by_value
      - .actual_access:  read_only
        .address_space:  global
        .offset:         32
        .size:           8
        .value_kind:     global_buffer
      - .actual_access:  read_only
        .address_space:  global
        .offset:         40
        .size:           8
        .value_kind:     global_buffer
      - .actual_access:  read_only
        .address_space:  global
        .offset:         48
        .size:           8
        .value_kind:     global_buffer
      - .offset:         56
        .size:           4
        .value_kind:     by_value
      - .actual_access:  read_only
        .address_space:  global
        .offset:         64
        .size:           8
        .value_kind:     global_buffer
      - .offset:         72
        .size:           4
        .value_kind:     by_value
      - .offset:         76
        .size:           4
        .value_kind:     by_value
      - .offset:         80
        .size:           4
        .value_kind:     by_value
      - .actual_access:  read_only
        .address_space:  global
        .offset:         88
        .size:           8
        .value_kind:     global_buffer
      - .actual_access:  read_only
        .address_space:  global
        .offset:         96
        .size:           8
        .value_kind:     global_buffer
      - .actual_access:  read_only
        .address_space:  global
        .offset:         104
        .size:           8
        .value_kind:     global_buffer
      - .actual_access:  read_only
        .address_space:  global
        .offset:         112
        .size:           8
        .value_kind:     global_buffer
      - .offset:         120
        .size:           4
        .value_kind:     by_value
      - .address_space:  global
        .offset:         128
        .size:           8
        .value_kind:     global_buffer
      - .address_space:  global
        .offset:         136
        .size:           8
        .value_kind:     global_buffer
      - .offset:         144
        .size:           4
        .value_kind:     hidden_block_count_x
      - .offset:         148
        .size:           4
        .value_kind:     hidden_block_count_y
      - .offset:         152
        .size:           4
        .value_kind:     hidden_block_count_z
      - .offset:         156
        .size:           2
        .value_kind:     hidden_group_size_x
      - .offset:         158
        .size:           2
        .value_kind:     hidden_group_size_y
      - .offset:         160
        .size:           2
        .value_kind:     hidden_group_size_z
      - .offset:         162
        .size:           2
        .value_kind:     hidden_remainder_x
      - .offset:         164
        .size:           2
        .value_kind:     hidden_remainder_y
      - .offset:         166
        .size:           2
        .value_kind:     hidden_remainder_z
      - .offset:         184
        .size:           8
        .value_kind:     hidden_global_offset_x
      - .offset:         192
        .size:           8
        .value_kind:     hidden_global_offset_y
      - .offset:         200
        .size:           8
        .value_kind:     hidden_global_offset_z
      - .offset:         208
        .size:           2
        .value_kind:     hidden_grid_dims
      - .offset:         224
        .size:           8
        .value_kind:     hidden_hostcall_buffer
    .group_segment_fixed_size: 0
    .kernarg_segment_align: 8
    .kernarg_segment_size: 400
    .language:       OpenCL C
    .language_version:
      - 2
      - 0
    .max_flat_workgroup_size: 256
    .name:           _Z39paged_attention_ll4mi_QKV_mfma16_kernelI14__hip_bfloat16S0_LN4vllm18Fp8KVCacheDataTypeE0EhLi16ELi64ELi256ELb1ELi5EEvPKT_PKT0_S8_ifPKiSA_SA_iPKfiiiPfSD_PS3_PT2_iSC_SC_
    .private_segment_fixed_size: 64
    .sgpr_count:     36
    .sgpr_spill_count: 0
    .symbol:         _Z39paged_attention_ll4mi_QKV_mfma16_kernelI14__hip_bfloat16S0_LN4vllm18Fp8KVCacheDataTypeE0EhLi16ELi64ELi256ELb1ELi5EEvPKT_PKT0_S8_ifPKiSA_SA_iPKfiiiPfSD_PS3_PT2_iSC_SC_.kd
    .uniform_work_group_size: 1
    .uses_dynamic_stack: false
    .vgpr_count:     51
    .vgpr_spill_count: 0
    .wavefront_size: 32
  - .args:
      - .actual_access:  read_only
        .address_space:  global
        .offset:         0
        .size:           8
        .value_kind:     global_buffer
      - .actual_access:  read_only
        .address_space:  global
        .offset:         8
        .size:           8
        .value_kind:     global_buffer
      - .actual_access:  read_only
        .address_space:  global
        .offset:         16
        .size:           8
        .value_kind:     global_buffer
      - .offset:         24
        .size:           4
        .value_kind:     by_value
      - .offset:         28
        .size:           4
        .value_kind:     by_value
      - .actual_access:  read_only
        .address_space:  global
        .offset:         32
        .size:           8
        .value_kind:     global_buffer
      - .actual_access:  read_only
        .address_space:  global
        .offset:         40
        .size:           8
        .value_kind:     global_buffer
      - .actual_access:  read_only
        .address_space:  global
        .offset:         48
        .size:           8
        .value_kind:     global_buffer
      - .offset:         56
        .size:           4
        .value_kind:     by_value
      - .actual_access:  read_only
        .address_space:  global
        .offset:         64
        .size:           8
        .value_kind:     global_buffer
      - .offset:         72
        .size:           4
        .value_kind:     by_value
      - .offset:         76
        .size:           4
        .value_kind:     by_value
      - .offset:         80
        .size:           4
        .value_kind:     by_value
      - .actual_access:  read_only
        .address_space:  global
        .offset:         88
        .size:           8
        .value_kind:     global_buffer
      - .actual_access:  read_only
        .address_space:  global
        .offset:         96
        .size:           8
        .value_kind:     global_buffer
      - .actual_access:  read_only
        .address_space:  global
        .offset:         104
        .size:           8
        .value_kind:     global_buffer
      - .actual_access:  read_only
        .address_space:  global
        .offset:         112
        .size:           8
        .value_kind:     global_buffer
      - .offset:         120
        .size:           4
        .value_kind:     by_value
      - .address_space:  global
        .offset:         128
        .size:           8
        .value_kind:     global_buffer
      - .address_space:  global
        .offset:         136
        .size:           8
        .value_kind:     global_buffer
      - .offset:         144
        .size:           4
        .value_kind:     hidden_block_count_x
      - .offset:         148
        .size:           4
        .value_kind:     hidden_block_count_y
      - .offset:         152
        .size:           4
        .value_kind:     hidden_block_count_z
      - .offset:         156
        .size:           2
        .value_kind:     hidden_group_size_x
      - .offset:         158
        .size:           2
        .value_kind:     hidden_group_size_y
      - .offset:         160
        .size:           2
        .value_kind:     hidden_group_size_z
      - .offset:         162
        .size:           2
        .value_kind:     hidden_remainder_x
      - .offset:         164
        .size:           2
        .value_kind:     hidden_remainder_y
      - .offset:         166
        .size:           2
        .value_kind:     hidden_remainder_z
      - .offset:         184
        .size:           8
        .value_kind:     hidden_global_offset_x
      - .offset:         192
        .size:           8
        .value_kind:     hidden_global_offset_y
      - .offset:         200
        .size:           8
        .value_kind:     hidden_global_offset_z
      - .offset:         208
        .size:           2
        .value_kind:     hidden_grid_dims
      - .offset:         224
        .size:           8
        .value_kind:     hidden_hostcall_buffer
    .group_segment_fixed_size: 0
    .kernarg_segment_align: 8
    .kernarg_segment_size: 400
    .language:       OpenCL C
    .language_version:
      - 2
      - 0
    .max_flat_workgroup_size: 256
    .name:           _Z39paged_attention_ll4mi_QKV_mfma16_kernelI14__hip_bfloat16S0_LN4vllm18Fp8KVCacheDataTypeE0EhLi16ELi64ELi256ELb1ELi6EEvPKT_PKT0_S8_ifPKiSA_SA_iPKfiiiPfSD_PS3_PT2_iSC_SC_
    .private_segment_fixed_size: 64
    .sgpr_count:     36
    .sgpr_spill_count: 0
    .symbol:         _Z39paged_attention_ll4mi_QKV_mfma16_kernelI14__hip_bfloat16S0_LN4vllm18Fp8KVCacheDataTypeE0EhLi16ELi64ELi256ELb1ELi6EEvPKT_PKT0_S8_ifPKiSA_SA_iPKfiiiPfSD_PS3_PT2_iSC_SC_.kd
    .uniform_work_group_size: 1
    .uses_dynamic_stack: false
    .vgpr_count:     51
    .vgpr_spill_count: 0
    .wavefront_size: 32
  - .args:
      - .actual_access:  read_only
        .address_space:  global
        .offset:         0
        .size:           8
        .value_kind:     global_buffer
      - .actual_access:  read_only
        .address_space:  global
        .offset:         8
        .size:           8
        .value_kind:     global_buffer
      - .actual_access:  read_only
        .address_space:  global
        .offset:         16
        .size:           8
        .value_kind:     global_buffer
      - .offset:         24
        .size:           4
        .value_kind:     by_value
      - .offset:         28
        .size:           4
        .value_kind:     by_value
      - .actual_access:  read_only
        .address_space:  global
        .offset:         32
        .size:           8
        .value_kind:     global_buffer
      - .actual_access:  read_only
        .address_space:  global
        .offset:         40
        .size:           8
        .value_kind:     global_buffer
      - .actual_access:  read_only
        .address_space:  global
        .offset:         48
        .size:           8
        .value_kind:     global_buffer
      - .offset:         56
        .size:           4
        .value_kind:     by_value
      - .actual_access:  read_only
        .address_space:  global
        .offset:         64
        .size:           8
        .value_kind:     global_buffer
      - .offset:         72
        .size:           4
        .value_kind:     by_value
      - .offset:         76
        .size:           4
        .value_kind:     by_value
      - .offset:         80
        .size:           4
        .value_kind:     by_value
      - .actual_access:  read_only
        .address_space:  global
        .offset:         88
        .size:           8
        .value_kind:     global_buffer
      - .actual_access:  read_only
        .address_space:  global
        .offset:         96
        .size:           8
        .value_kind:     global_buffer
      - .actual_access:  read_only
        .address_space:  global
        .offset:         104
        .size:           8
        .value_kind:     global_buffer
      - .actual_access:  read_only
        .address_space:  global
        .offset:         112
        .size:           8
        .value_kind:     global_buffer
      - .offset:         120
        .size:           4
        .value_kind:     by_value
      - .address_space:  global
        .offset:         128
        .size:           8
        .value_kind:     global_buffer
      - .address_space:  global
        .offset:         136
        .size:           8
        .value_kind:     global_buffer
      - .offset:         144
        .size:           4
        .value_kind:     hidden_block_count_x
      - .offset:         148
        .size:           4
        .value_kind:     hidden_block_count_y
      - .offset:         152
        .size:           4
        .value_kind:     hidden_block_count_z
      - .offset:         156
        .size:           2
        .value_kind:     hidden_group_size_x
      - .offset:         158
        .size:           2
        .value_kind:     hidden_group_size_y
      - .offset:         160
        .size:           2
        .value_kind:     hidden_group_size_z
      - .offset:         162
        .size:           2
        .value_kind:     hidden_remainder_x
      - .offset:         164
        .size:           2
        .value_kind:     hidden_remainder_y
      - .offset:         166
        .size:           2
        .value_kind:     hidden_remainder_z
      - .offset:         184
        .size:           8
        .value_kind:     hidden_global_offset_x
      - .offset:         192
        .size:           8
        .value_kind:     hidden_global_offset_y
      - .offset:         200
        .size:           8
        .value_kind:     hidden_global_offset_z
      - .offset:         208
        .size:           2
        .value_kind:     hidden_grid_dims
      - .offset:         224
        .size:           8
        .value_kind:     hidden_hostcall_buffer
    .group_segment_fixed_size: 0
    .kernarg_segment_align: 8
    .kernarg_segment_size: 400
    .language:       OpenCL C
    .language_version:
      - 2
      - 0
    .max_flat_workgroup_size: 256
    .name:           _Z39paged_attention_ll4mi_QKV_mfma16_kernelI14__hip_bfloat16S0_LN4vllm18Fp8KVCacheDataTypeE0EhLi16ELi64ELi256ELb1ELi7EEvPKT_PKT0_S8_ifPKiSA_SA_iPKfiiiPfSD_PS3_PT2_iSC_SC_
    .private_segment_fixed_size: 64
    .sgpr_count:     36
    .sgpr_spill_count: 0
    .symbol:         _Z39paged_attention_ll4mi_QKV_mfma16_kernelI14__hip_bfloat16S0_LN4vllm18Fp8KVCacheDataTypeE0EhLi16ELi64ELi256ELb1ELi7EEvPKT_PKT0_S8_ifPKiSA_SA_iPKfiiiPfSD_PS3_PT2_iSC_SC_.kd
    .uniform_work_group_size: 1
    .uses_dynamic_stack: false
    .vgpr_count:     51
    .vgpr_spill_count: 0
    .wavefront_size: 32
  - .args:
      - .actual_access:  read_only
        .address_space:  global
        .offset:         0
        .size:           8
        .value_kind:     global_buffer
      - .actual_access:  read_only
        .address_space:  global
        .offset:         8
        .size:           8
        .value_kind:     global_buffer
      - .actual_access:  read_only
        .address_space:  global
        .offset:         16
        .size:           8
        .value_kind:     global_buffer
      - .offset:         24
        .size:           4
        .value_kind:     by_value
      - .offset:         28
        .size:           4
        .value_kind:     by_value
      - .actual_access:  read_only
        .address_space:  global
        .offset:         32
        .size:           8
        .value_kind:     global_buffer
      - .actual_access:  read_only
        .address_space:  global
        .offset:         40
        .size:           8
        .value_kind:     global_buffer
      - .actual_access:  read_only
        .address_space:  global
        .offset:         48
        .size:           8
        .value_kind:     global_buffer
      - .offset:         56
        .size:           4
        .value_kind:     by_value
      - .actual_access:  read_only
        .address_space:  global
        .offset:         64
        .size:           8
        .value_kind:     global_buffer
      - .offset:         72
        .size:           4
        .value_kind:     by_value
      - .offset:         76
        .size:           4
        .value_kind:     by_value
      - .offset:         80
        .size:           4
        .value_kind:     by_value
      - .actual_access:  read_only
        .address_space:  global
        .offset:         88
        .size:           8
        .value_kind:     global_buffer
      - .actual_access:  read_only
        .address_space:  global
        .offset:         96
        .size:           8
        .value_kind:     global_buffer
      - .actual_access:  read_only
        .address_space:  global
        .offset:         104
        .size:           8
        .value_kind:     global_buffer
      - .actual_access:  read_only
        .address_space:  global
        .offset:         112
        .size:           8
        .value_kind:     global_buffer
      - .offset:         120
        .size:           4
        .value_kind:     by_value
      - .address_space:  global
        .offset:         128
        .size:           8
        .value_kind:     global_buffer
      - .address_space:  global
        .offset:         136
        .size:           8
        .value_kind:     global_buffer
      - .offset:         144
        .size:           4
        .value_kind:     hidden_block_count_x
      - .offset:         148
        .size:           4
        .value_kind:     hidden_block_count_y
      - .offset:         152
        .size:           4
        .value_kind:     hidden_block_count_z
      - .offset:         156
        .size:           2
        .value_kind:     hidden_group_size_x
      - .offset:         158
        .size:           2
        .value_kind:     hidden_group_size_y
      - .offset:         160
        .size:           2
        .value_kind:     hidden_group_size_z
      - .offset:         162
        .size:           2
        .value_kind:     hidden_remainder_x
      - .offset:         164
        .size:           2
        .value_kind:     hidden_remainder_y
      - .offset:         166
        .size:           2
        .value_kind:     hidden_remainder_z
      - .offset:         184
        .size:           8
        .value_kind:     hidden_global_offset_x
      - .offset:         192
        .size:           8
        .value_kind:     hidden_global_offset_y
      - .offset:         200
        .size:           8
        .value_kind:     hidden_global_offset_z
      - .offset:         208
        .size:           2
        .value_kind:     hidden_grid_dims
      - .offset:         224
        .size:           8
        .value_kind:     hidden_hostcall_buffer
    .group_segment_fixed_size: 0
    .kernarg_segment_align: 8
    .kernarg_segment_size: 400
    .language:       OpenCL C
    .language_version:
      - 2
      - 0
    .max_flat_workgroup_size: 256
    .name:           _Z39paged_attention_ll4mi_QKV_mfma16_kernelI14__hip_bfloat16S0_LN4vllm18Fp8KVCacheDataTypeE0EhLi16ELi64ELi256ELb1ELi8EEvPKT_PKT0_S8_ifPKiSA_SA_iPKfiiiPfSD_PS3_PT2_iSC_SC_
    .private_segment_fixed_size: 64
    .sgpr_count:     36
    .sgpr_spill_count: 0
    .symbol:         _Z39paged_attention_ll4mi_QKV_mfma16_kernelI14__hip_bfloat16S0_LN4vllm18Fp8KVCacheDataTypeE0EhLi16ELi64ELi256ELb1ELi8EEvPKT_PKT0_S8_ifPKiSA_SA_iPKfiiiPfSD_PS3_PT2_iSC_SC_.kd
    .uniform_work_group_size: 1
    .uses_dynamic_stack: false
    .vgpr_count:     51
    .vgpr_spill_count: 0
    .wavefront_size: 32
  - .args:
      - .actual_access:  read_only
        .address_space:  global
        .offset:         0
        .size:           8
        .value_kind:     global_buffer
      - .actual_access:  read_only
        .address_space:  global
        .offset:         8
        .size:           8
        .value_kind:     global_buffer
      - .actual_access:  read_only
        .address_space:  global
        .offset:         16
        .size:           8
        .value_kind:     global_buffer
      - .offset:         24
        .size:           4
        .value_kind:     by_value
      - .offset:         28
        .size:           4
        .value_kind:     by_value
      - .actual_access:  read_only
        .address_space:  global
        .offset:         32
        .size:           8
        .value_kind:     global_buffer
      - .actual_access:  read_only
        .address_space:  global
        .offset:         40
        .size:           8
        .value_kind:     global_buffer
      - .actual_access:  read_only
        .address_space:  global
        .offset:         48
        .size:           8
        .value_kind:     global_buffer
      - .offset:         56
        .size:           4
        .value_kind:     by_value
      - .actual_access:  read_only
        .address_space:  global
        .offset:         64
        .size:           8
        .value_kind:     global_buffer
      - .offset:         72
        .size:           4
        .value_kind:     by_value
      - .offset:         76
        .size:           4
        .value_kind:     by_value
      - .offset:         80
        .size:           4
        .value_kind:     by_value
      - .actual_access:  read_only
        .address_space:  global
        .offset:         88
        .size:           8
        .value_kind:     global_buffer
      - .actual_access:  read_only
        .address_space:  global
        .offset:         96
        .size:           8
        .value_kind:     global_buffer
      - .actual_access:  read_only
        .address_space:  global
        .offset:         104
        .size:           8
        .value_kind:     global_buffer
      - .actual_access:  read_only
        .address_space:  global
        .offset:         112
        .size:           8
        .value_kind:     global_buffer
      - .offset:         120
        .size:           4
        .value_kind:     by_value
      - .address_space:  global
        .offset:         128
        .size:           8
        .value_kind:     global_buffer
      - .address_space:  global
        .offset:         136
        .size:           8
        .value_kind:     global_buffer
      - .offset:         144
        .size:           4
        .value_kind:     hidden_block_count_x
      - .offset:         148
        .size:           4
        .value_kind:     hidden_block_count_y
      - .offset:         152
        .size:           4
        .value_kind:     hidden_block_count_z
      - .offset:         156
        .size:           2
        .value_kind:     hidden_group_size_x
      - .offset:         158
        .size:           2
        .value_kind:     hidden_group_size_y
      - .offset:         160
        .size:           2
        .value_kind:     hidden_group_size_z
      - .offset:         162
        .size:           2
        .value_kind:     hidden_remainder_x
      - .offset:         164
        .size:           2
        .value_kind:     hidden_remainder_y
      - .offset:         166
        .size:           2
        .value_kind:     hidden_remainder_z
      - .offset:         184
        .size:           8
        .value_kind:     hidden_global_offset_x
      - .offset:         192
        .size:           8
        .value_kind:     hidden_global_offset_y
      - .offset:         200
        .size:           8
        .value_kind:     hidden_global_offset_z
      - .offset:         208
        .size:           2
        .value_kind:     hidden_grid_dims
      - .offset:         224
        .size:           8
        .value_kind:     hidden_hostcall_buffer
    .group_segment_fixed_size: 0
    .kernarg_segment_align: 8
    .kernarg_segment_size: 400
    .language:       OpenCL C
    .language_version:
      - 2
      - 0
    .max_flat_workgroup_size: 256
    .name:           _Z39paged_attention_ll4mi_QKV_mfma16_kernelI14__hip_bfloat16S0_LN4vllm18Fp8KVCacheDataTypeE0EhLi16ELi64ELi256ELb1ELi9EEvPKT_PKT0_S8_ifPKiSA_SA_iPKfiiiPfSD_PS3_PT2_iSC_SC_
    .private_segment_fixed_size: 64
    .sgpr_count:     36
    .sgpr_spill_count: 0
    .symbol:         _Z39paged_attention_ll4mi_QKV_mfma16_kernelI14__hip_bfloat16S0_LN4vllm18Fp8KVCacheDataTypeE0EhLi16ELi64ELi256ELb1ELi9EEvPKT_PKT0_S8_ifPKiSA_SA_iPKfiiiPfSD_PS3_PT2_iSC_SC_.kd
    .uniform_work_group_size: 1
    .uses_dynamic_stack: false
    .vgpr_count:     51
    .vgpr_spill_count: 0
    .wavefront_size: 32
  - .args:
      - .actual_access:  read_only
        .address_space:  global
        .offset:         0
        .size:           8
        .value_kind:     global_buffer
      - .actual_access:  read_only
        .address_space:  global
        .offset:         8
        .size:           8
        .value_kind:     global_buffer
      - .actual_access:  read_only
        .address_space:  global
        .offset:         16
        .size:           8
        .value_kind:     global_buffer
      - .offset:         24
        .size:           4
        .value_kind:     by_value
      - .offset:         28
        .size:           4
        .value_kind:     by_value
      - .actual_access:  read_only
        .address_space:  global
        .offset:         32
        .size:           8
        .value_kind:     global_buffer
      - .actual_access:  read_only
        .address_space:  global
        .offset:         40
        .size:           8
        .value_kind:     global_buffer
      - .actual_access:  read_only
        .address_space:  global
        .offset:         48
        .size:           8
        .value_kind:     global_buffer
      - .offset:         56
        .size:           4
        .value_kind:     by_value
      - .actual_access:  read_only
        .address_space:  global
        .offset:         64
        .size:           8
        .value_kind:     global_buffer
      - .offset:         72
        .size:           4
        .value_kind:     by_value
      - .offset:         76
        .size:           4
        .value_kind:     by_value
      - .offset:         80
        .size:           4
        .value_kind:     by_value
      - .actual_access:  read_only
        .address_space:  global
        .offset:         88
        .size:           8
        .value_kind:     global_buffer
      - .actual_access:  read_only
        .address_space:  global
        .offset:         96
        .size:           8
        .value_kind:     global_buffer
      - .actual_access:  read_only
        .address_space:  global
        .offset:         104
        .size:           8
        .value_kind:     global_buffer
      - .actual_access:  read_only
        .address_space:  global
        .offset:         112
        .size:           8
        .value_kind:     global_buffer
      - .offset:         120
        .size:           4
        .value_kind:     by_value
      - .address_space:  global
        .offset:         128
        .size:           8
        .value_kind:     global_buffer
      - .address_space:  global
        .offset:         136
        .size:           8
        .value_kind:     global_buffer
      - .offset:         144
        .size:           4
        .value_kind:     hidden_block_count_x
      - .offset:         148
        .size:           4
        .value_kind:     hidden_block_count_y
      - .offset:         152
        .size:           4
        .value_kind:     hidden_block_count_z
      - .offset:         156
        .size:           2
        .value_kind:     hidden_group_size_x
      - .offset:         158
        .size:           2
        .value_kind:     hidden_group_size_y
      - .offset:         160
        .size:           2
        .value_kind:     hidden_group_size_z
      - .offset:         162
        .size:           2
        .value_kind:     hidden_remainder_x
      - .offset:         164
        .size:           2
        .value_kind:     hidden_remainder_y
      - .offset:         166
        .size:           2
        .value_kind:     hidden_remainder_z
      - .offset:         184
        .size:           8
        .value_kind:     hidden_global_offset_x
      - .offset:         192
        .size:           8
        .value_kind:     hidden_global_offset_y
      - .offset:         200
        .size:           8
        .value_kind:     hidden_global_offset_z
      - .offset:         208
        .size:           2
        .value_kind:     hidden_grid_dims
      - .offset:         224
        .size:           8
        .value_kind:     hidden_hostcall_buffer
    .group_segment_fixed_size: 0
    .kernarg_segment_align: 8
    .kernarg_segment_size: 400
    .language:       OpenCL C
    .language_version:
      - 2
      - 0
    .max_flat_workgroup_size: 256
    .name:           _Z39paged_attention_ll4mi_QKV_mfma16_kernelI14__hip_bfloat16S0_LN4vllm18Fp8KVCacheDataTypeE0EhLi16ELi64ELi256ELb1ELi10EEvPKT_PKT0_S8_ifPKiSA_SA_iPKfiiiPfSD_PS3_PT2_iSC_SC_
    .private_segment_fixed_size: 64
    .sgpr_count:     36
    .sgpr_spill_count: 0
    .symbol:         _Z39paged_attention_ll4mi_QKV_mfma16_kernelI14__hip_bfloat16S0_LN4vllm18Fp8KVCacheDataTypeE0EhLi16ELi64ELi256ELb1ELi10EEvPKT_PKT0_S8_ifPKiSA_SA_iPKfiiiPfSD_PS3_PT2_iSC_SC_.kd
    .uniform_work_group_size: 1
    .uses_dynamic_stack: false
    .vgpr_count:     51
    .vgpr_spill_count: 0
    .wavefront_size: 32
  - .args:
      - .actual_access:  read_only
        .address_space:  global
        .offset:         0
        .size:           8
        .value_kind:     global_buffer
      - .actual_access:  read_only
        .address_space:  global
        .offset:         8
        .size:           8
        .value_kind:     global_buffer
      - .actual_access:  read_only
        .address_space:  global
        .offset:         16
        .size:           8
        .value_kind:     global_buffer
      - .offset:         24
        .size:           4
        .value_kind:     by_value
      - .offset:         28
        .size:           4
        .value_kind:     by_value
      - .actual_access:  read_only
        .address_space:  global
        .offset:         32
        .size:           8
        .value_kind:     global_buffer
      - .actual_access:  read_only
        .address_space:  global
        .offset:         40
        .size:           8
        .value_kind:     global_buffer
      - .actual_access:  read_only
        .address_space:  global
        .offset:         48
        .size:           8
        .value_kind:     global_buffer
      - .offset:         56
        .size:           4
        .value_kind:     by_value
      - .actual_access:  read_only
        .address_space:  global
        .offset:         64
        .size:           8
        .value_kind:     global_buffer
      - .offset:         72
        .size:           4
        .value_kind:     by_value
      - .offset:         76
        .size:           4
        .value_kind:     by_value
      - .offset:         80
        .size:           4
        .value_kind:     by_value
      - .actual_access:  read_only
        .address_space:  global
        .offset:         88
        .size:           8
        .value_kind:     global_buffer
      - .actual_access:  read_only
        .address_space:  global
        .offset:         96
        .size:           8
        .value_kind:     global_buffer
      - .actual_access:  read_only
        .address_space:  global
        .offset:         104
        .size:           8
        .value_kind:     global_buffer
      - .actual_access:  read_only
        .address_space:  global
        .offset:         112
        .size:           8
        .value_kind:     global_buffer
      - .offset:         120
        .size:           4
        .value_kind:     by_value
      - .address_space:  global
        .offset:         128
        .size:           8
        .value_kind:     global_buffer
      - .address_space:  global
        .offset:         136
        .size:           8
        .value_kind:     global_buffer
      - .offset:         144
        .size:           4
        .value_kind:     hidden_block_count_x
      - .offset:         148
        .size:           4
        .value_kind:     hidden_block_count_y
      - .offset:         152
        .size:           4
        .value_kind:     hidden_block_count_z
      - .offset:         156
        .size:           2
        .value_kind:     hidden_group_size_x
      - .offset:         158
        .size:           2
        .value_kind:     hidden_group_size_y
      - .offset:         160
        .size:           2
        .value_kind:     hidden_group_size_z
      - .offset:         162
        .size:           2
        .value_kind:     hidden_remainder_x
      - .offset:         164
        .size:           2
        .value_kind:     hidden_remainder_y
      - .offset:         166
        .size:           2
        .value_kind:     hidden_remainder_z
      - .offset:         184
        .size:           8
        .value_kind:     hidden_global_offset_x
      - .offset:         192
        .size:           8
        .value_kind:     hidden_global_offset_y
      - .offset:         200
        .size:           8
        .value_kind:     hidden_global_offset_z
      - .offset:         208
        .size:           2
        .value_kind:     hidden_grid_dims
      - .offset:         224
        .size:           8
        .value_kind:     hidden_hostcall_buffer
    .group_segment_fixed_size: 0
    .kernarg_segment_align: 8
    .kernarg_segment_size: 400
    .language:       OpenCL C
    .language_version:
      - 2
      - 0
    .max_flat_workgroup_size: 256
    .name:           _Z39paged_attention_ll4mi_QKV_mfma16_kernelI14__hip_bfloat16S0_LN4vllm18Fp8KVCacheDataTypeE0EhLi16ELi64ELi256ELb1ELi11EEvPKT_PKT0_S8_ifPKiSA_SA_iPKfiiiPfSD_PS3_PT2_iSC_SC_
    .private_segment_fixed_size: 64
    .sgpr_count:     36
    .sgpr_spill_count: 0
    .symbol:         _Z39paged_attention_ll4mi_QKV_mfma16_kernelI14__hip_bfloat16S0_LN4vllm18Fp8KVCacheDataTypeE0EhLi16ELi64ELi256ELb1ELi11EEvPKT_PKT0_S8_ifPKiSA_SA_iPKfiiiPfSD_PS3_PT2_iSC_SC_.kd
    .uniform_work_group_size: 1
    .uses_dynamic_stack: false
    .vgpr_count:     51
    .vgpr_spill_count: 0
    .wavefront_size: 32
  - .args:
      - .actual_access:  read_only
        .address_space:  global
        .offset:         0
        .size:           8
        .value_kind:     global_buffer
      - .actual_access:  read_only
        .address_space:  global
        .offset:         8
        .size:           8
        .value_kind:     global_buffer
      - .actual_access:  read_only
        .address_space:  global
        .offset:         16
        .size:           8
        .value_kind:     global_buffer
      - .offset:         24
        .size:           4
        .value_kind:     by_value
      - .offset:         28
        .size:           4
        .value_kind:     by_value
      - .actual_access:  read_only
        .address_space:  global
        .offset:         32
        .size:           8
        .value_kind:     global_buffer
      - .actual_access:  read_only
        .address_space:  global
        .offset:         40
        .size:           8
        .value_kind:     global_buffer
      - .actual_access:  read_only
        .address_space:  global
        .offset:         48
        .size:           8
        .value_kind:     global_buffer
      - .offset:         56
        .size:           4
        .value_kind:     by_value
      - .actual_access:  read_only
        .address_space:  global
        .offset:         64
        .size:           8
        .value_kind:     global_buffer
      - .offset:         72
        .size:           4
        .value_kind:     by_value
      - .offset:         76
        .size:           4
        .value_kind:     by_value
      - .offset:         80
        .size:           4
        .value_kind:     by_value
      - .actual_access:  read_only
        .address_space:  global
        .offset:         88
        .size:           8
        .value_kind:     global_buffer
      - .actual_access:  read_only
        .address_space:  global
        .offset:         96
        .size:           8
        .value_kind:     global_buffer
      - .actual_access:  read_only
        .address_space:  global
        .offset:         104
        .size:           8
        .value_kind:     global_buffer
      - .actual_access:  read_only
        .address_space:  global
        .offset:         112
        .size:           8
        .value_kind:     global_buffer
      - .offset:         120
        .size:           4
        .value_kind:     by_value
      - .address_space:  global
        .offset:         128
        .size:           8
        .value_kind:     global_buffer
      - .address_space:  global
        .offset:         136
        .size:           8
        .value_kind:     global_buffer
      - .offset:         144
        .size:           4
        .value_kind:     hidden_block_count_x
      - .offset:         148
        .size:           4
        .value_kind:     hidden_block_count_y
      - .offset:         152
        .size:           4
        .value_kind:     hidden_block_count_z
      - .offset:         156
        .size:           2
        .value_kind:     hidden_group_size_x
      - .offset:         158
        .size:           2
        .value_kind:     hidden_group_size_y
      - .offset:         160
        .size:           2
        .value_kind:     hidden_group_size_z
      - .offset:         162
        .size:           2
        .value_kind:     hidden_remainder_x
      - .offset:         164
        .size:           2
        .value_kind:     hidden_remainder_y
      - .offset:         166
        .size:           2
        .value_kind:     hidden_remainder_z
      - .offset:         184
        .size:           8
        .value_kind:     hidden_global_offset_x
      - .offset:         192
        .size:           8
        .value_kind:     hidden_global_offset_y
      - .offset:         200
        .size:           8
        .value_kind:     hidden_global_offset_z
      - .offset:         208
        .size:           2
        .value_kind:     hidden_grid_dims
      - .offset:         224
        .size:           8
        .value_kind:     hidden_hostcall_buffer
    .group_segment_fixed_size: 0
    .kernarg_segment_align: 8
    .kernarg_segment_size: 400
    .language:       OpenCL C
    .language_version:
      - 2
      - 0
    .max_flat_workgroup_size: 256
    .name:           _Z39paged_attention_ll4mi_QKV_mfma16_kernelI14__hip_bfloat16S0_LN4vllm18Fp8KVCacheDataTypeE0EhLi16ELi64ELi256ELb1ELi12EEvPKT_PKT0_S8_ifPKiSA_SA_iPKfiiiPfSD_PS3_PT2_iSC_SC_
    .private_segment_fixed_size: 64
    .sgpr_count:     36
    .sgpr_spill_count: 0
    .symbol:         _Z39paged_attention_ll4mi_QKV_mfma16_kernelI14__hip_bfloat16S0_LN4vllm18Fp8KVCacheDataTypeE0EhLi16ELi64ELi256ELb1ELi12EEvPKT_PKT0_S8_ifPKiSA_SA_iPKfiiiPfSD_PS3_PT2_iSC_SC_.kd
    .uniform_work_group_size: 1
    .uses_dynamic_stack: false
    .vgpr_count:     51
    .vgpr_spill_count: 0
    .wavefront_size: 32
  - .args:
      - .actual_access:  read_only
        .address_space:  global
        .offset:         0
        .size:           8
        .value_kind:     global_buffer
      - .actual_access:  read_only
        .address_space:  global
        .offset:         8
        .size:           8
        .value_kind:     global_buffer
      - .actual_access:  read_only
        .address_space:  global
        .offset:         16
        .size:           8
        .value_kind:     global_buffer
      - .offset:         24
        .size:           4
        .value_kind:     by_value
      - .offset:         28
        .size:           4
        .value_kind:     by_value
      - .actual_access:  read_only
        .address_space:  global
        .offset:         32
        .size:           8
        .value_kind:     global_buffer
      - .actual_access:  read_only
        .address_space:  global
        .offset:         40
        .size:           8
        .value_kind:     global_buffer
      - .actual_access:  read_only
        .address_space:  global
        .offset:         48
        .size:           8
        .value_kind:     global_buffer
      - .offset:         56
        .size:           4
        .value_kind:     by_value
      - .actual_access:  read_only
        .address_space:  global
        .offset:         64
        .size:           8
        .value_kind:     global_buffer
      - .offset:         72
        .size:           4
        .value_kind:     by_value
      - .offset:         76
        .size:           4
        .value_kind:     by_value
      - .offset:         80
        .size:           4
        .value_kind:     by_value
      - .actual_access:  read_only
        .address_space:  global
        .offset:         88
        .size:           8
        .value_kind:     global_buffer
      - .actual_access:  read_only
        .address_space:  global
        .offset:         96
        .size:           8
        .value_kind:     global_buffer
      - .actual_access:  read_only
        .address_space:  global
        .offset:         104
        .size:           8
        .value_kind:     global_buffer
      - .actual_access:  read_only
        .address_space:  global
        .offset:         112
        .size:           8
        .value_kind:     global_buffer
      - .offset:         120
        .size:           4
        .value_kind:     by_value
      - .address_space:  global
        .offset:         128
        .size:           8
        .value_kind:     global_buffer
      - .address_space:  global
        .offset:         136
        .size:           8
        .value_kind:     global_buffer
      - .offset:         144
        .size:           4
        .value_kind:     hidden_block_count_x
      - .offset:         148
        .size:           4
        .value_kind:     hidden_block_count_y
      - .offset:         152
        .size:           4
        .value_kind:     hidden_block_count_z
      - .offset:         156
        .size:           2
        .value_kind:     hidden_group_size_x
      - .offset:         158
        .size:           2
        .value_kind:     hidden_group_size_y
      - .offset:         160
        .size:           2
        .value_kind:     hidden_group_size_z
      - .offset:         162
        .size:           2
        .value_kind:     hidden_remainder_x
      - .offset:         164
        .size:           2
        .value_kind:     hidden_remainder_y
      - .offset:         166
        .size:           2
        .value_kind:     hidden_remainder_z
      - .offset:         184
        .size:           8
        .value_kind:     hidden_global_offset_x
      - .offset:         192
        .size:           8
        .value_kind:     hidden_global_offset_y
      - .offset:         200
        .size:           8
        .value_kind:     hidden_global_offset_z
      - .offset:         208
        .size:           2
        .value_kind:     hidden_grid_dims
      - .offset:         224
        .size:           8
        .value_kind:     hidden_hostcall_buffer
    .group_segment_fixed_size: 0
    .kernarg_segment_align: 8
    .kernarg_segment_size: 400
    .language:       OpenCL C
    .language_version:
      - 2
      - 0
    .max_flat_workgroup_size: 256
    .name:           _Z39paged_attention_ll4mi_QKV_mfma16_kernelI14__hip_bfloat16S0_LN4vllm18Fp8KVCacheDataTypeE0EhLi16ELi64ELi256ELb1ELi13EEvPKT_PKT0_S8_ifPKiSA_SA_iPKfiiiPfSD_PS3_PT2_iSC_SC_
    .private_segment_fixed_size: 64
    .sgpr_count:     36
    .sgpr_spill_count: 0
    .symbol:         _Z39paged_attention_ll4mi_QKV_mfma16_kernelI14__hip_bfloat16S0_LN4vllm18Fp8KVCacheDataTypeE0EhLi16ELi64ELi256ELb1ELi13EEvPKT_PKT0_S8_ifPKiSA_SA_iPKfiiiPfSD_PS3_PT2_iSC_SC_.kd
    .uniform_work_group_size: 1
    .uses_dynamic_stack: false
    .vgpr_count:     51
    .vgpr_spill_count: 0
    .wavefront_size: 32
  - .args:
      - .actual_access:  read_only
        .address_space:  global
        .offset:         0
        .size:           8
        .value_kind:     global_buffer
      - .actual_access:  read_only
        .address_space:  global
        .offset:         8
        .size:           8
        .value_kind:     global_buffer
      - .actual_access:  read_only
        .address_space:  global
        .offset:         16
        .size:           8
        .value_kind:     global_buffer
      - .offset:         24
        .size:           4
        .value_kind:     by_value
      - .offset:         28
        .size:           4
        .value_kind:     by_value
      - .actual_access:  read_only
        .address_space:  global
        .offset:         32
        .size:           8
        .value_kind:     global_buffer
      - .actual_access:  read_only
        .address_space:  global
        .offset:         40
        .size:           8
        .value_kind:     global_buffer
      - .actual_access:  read_only
        .address_space:  global
        .offset:         48
        .size:           8
        .value_kind:     global_buffer
      - .offset:         56
        .size:           4
        .value_kind:     by_value
      - .actual_access:  read_only
        .address_space:  global
        .offset:         64
        .size:           8
        .value_kind:     global_buffer
      - .offset:         72
        .size:           4
        .value_kind:     by_value
      - .offset:         76
        .size:           4
        .value_kind:     by_value
      - .offset:         80
        .size:           4
        .value_kind:     by_value
      - .actual_access:  read_only
        .address_space:  global
        .offset:         88
        .size:           8
        .value_kind:     global_buffer
      - .actual_access:  read_only
        .address_space:  global
        .offset:         96
        .size:           8
        .value_kind:     global_buffer
      - .actual_access:  read_only
        .address_space:  global
        .offset:         104
        .size:           8
        .value_kind:     global_buffer
      - .actual_access:  read_only
        .address_space:  global
        .offset:         112
        .size:           8
        .value_kind:     global_buffer
      - .offset:         120
        .size:           4
        .value_kind:     by_value
      - .address_space:  global
        .offset:         128
        .size:           8
        .value_kind:     global_buffer
      - .address_space:  global
        .offset:         136
        .size:           8
        .value_kind:     global_buffer
      - .offset:         144
        .size:           4
        .value_kind:     hidden_block_count_x
      - .offset:         148
        .size:           4
        .value_kind:     hidden_block_count_y
      - .offset:         152
        .size:           4
        .value_kind:     hidden_block_count_z
      - .offset:         156
        .size:           2
        .value_kind:     hidden_group_size_x
      - .offset:         158
        .size:           2
        .value_kind:     hidden_group_size_y
      - .offset:         160
        .size:           2
        .value_kind:     hidden_group_size_z
      - .offset:         162
        .size:           2
        .value_kind:     hidden_remainder_x
      - .offset:         164
        .size:           2
        .value_kind:     hidden_remainder_y
      - .offset:         166
        .size:           2
        .value_kind:     hidden_remainder_z
      - .offset:         184
        .size:           8
        .value_kind:     hidden_global_offset_x
      - .offset:         192
        .size:           8
        .value_kind:     hidden_global_offset_y
      - .offset:         200
        .size:           8
        .value_kind:     hidden_global_offset_z
      - .offset:         208
        .size:           2
        .value_kind:     hidden_grid_dims
      - .offset:         224
        .size:           8
        .value_kind:     hidden_hostcall_buffer
    .group_segment_fixed_size: 0
    .kernarg_segment_align: 8
    .kernarg_segment_size: 400
    .language:       OpenCL C
    .language_version:
      - 2
      - 0
    .max_flat_workgroup_size: 256
    .name:           _Z39paged_attention_ll4mi_QKV_mfma16_kernelI14__hip_bfloat16S0_LN4vllm18Fp8KVCacheDataTypeE0EhLi16ELi64ELi256ELb1ELi14EEvPKT_PKT0_S8_ifPKiSA_SA_iPKfiiiPfSD_PS3_PT2_iSC_SC_
    .private_segment_fixed_size: 64
    .sgpr_count:     36
    .sgpr_spill_count: 0
    .symbol:         _Z39paged_attention_ll4mi_QKV_mfma16_kernelI14__hip_bfloat16S0_LN4vllm18Fp8KVCacheDataTypeE0EhLi16ELi64ELi256ELb1ELi14EEvPKT_PKT0_S8_ifPKiSA_SA_iPKfiiiPfSD_PS3_PT2_iSC_SC_.kd
    .uniform_work_group_size: 1
    .uses_dynamic_stack: false
    .vgpr_count:     51
    .vgpr_spill_count: 0
    .wavefront_size: 32
  - .args:
      - .actual_access:  read_only
        .address_space:  global
        .offset:         0
        .size:           8
        .value_kind:     global_buffer
      - .actual_access:  read_only
        .address_space:  global
        .offset:         8
        .size:           8
        .value_kind:     global_buffer
      - .actual_access:  read_only
        .address_space:  global
        .offset:         16
        .size:           8
        .value_kind:     global_buffer
      - .offset:         24
        .size:           4
        .value_kind:     by_value
      - .offset:         28
        .size:           4
        .value_kind:     by_value
      - .actual_access:  read_only
        .address_space:  global
        .offset:         32
        .size:           8
        .value_kind:     global_buffer
      - .actual_access:  read_only
        .address_space:  global
        .offset:         40
        .size:           8
        .value_kind:     global_buffer
      - .actual_access:  read_only
        .address_space:  global
        .offset:         48
        .size:           8
        .value_kind:     global_buffer
      - .offset:         56
        .size:           4
        .value_kind:     by_value
      - .actual_access:  read_only
        .address_space:  global
        .offset:         64
        .size:           8
        .value_kind:     global_buffer
      - .offset:         72
        .size:           4
        .value_kind:     by_value
      - .offset:         76
        .size:           4
        .value_kind:     by_value
      - .offset:         80
        .size:           4
        .value_kind:     by_value
      - .actual_access:  read_only
        .address_space:  global
        .offset:         88
        .size:           8
        .value_kind:     global_buffer
      - .actual_access:  read_only
        .address_space:  global
        .offset:         96
        .size:           8
        .value_kind:     global_buffer
      - .actual_access:  read_only
        .address_space:  global
        .offset:         104
        .size:           8
        .value_kind:     global_buffer
      - .actual_access:  read_only
        .address_space:  global
        .offset:         112
        .size:           8
        .value_kind:     global_buffer
      - .offset:         120
        .size:           4
        .value_kind:     by_value
      - .address_space:  global
        .offset:         128
        .size:           8
        .value_kind:     global_buffer
      - .address_space:  global
        .offset:         136
        .size:           8
        .value_kind:     global_buffer
      - .offset:         144
        .size:           4
        .value_kind:     hidden_block_count_x
      - .offset:         148
        .size:           4
        .value_kind:     hidden_block_count_y
      - .offset:         152
        .size:           4
        .value_kind:     hidden_block_count_z
      - .offset:         156
        .size:           2
        .value_kind:     hidden_group_size_x
      - .offset:         158
        .size:           2
        .value_kind:     hidden_group_size_y
      - .offset:         160
        .size:           2
        .value_kind:     hidden_group_size_z
      - .offset:         162
        .size:           2
        .value_kind:     hidden_remainder_x
      - .offset:         164
        .size:           2
        .value_kind:     hidden_remainder_y
      - .offset:         166
        .size:           2
        .value_kind:     hidden_remainder_z
      - .offset:         184
        .size:           8
        .value_kind:     hidden_global_offset_x
      - .offset:         192
        .size:           8
        .value_kind:     hidden_global_offset_y
      - .offset:         200
        .size:           8
        .value_kind:     hidden_global_offset_z
      - .offset:         208
        .size:           2
        .value_kind:     hidden_grid_dims
      - .offset:         224
        .size:           8
        .value_kind:     hidden_hostcall_buffer
    .group_segment_fixed_size: 0
    .kernarg_segment_align: 8
    .kernarg_segment_size: 400
    .language:       OpenCL C
    .language_version:
      - 2
      - 0
    .max_flat_workgroup_size: 256
    .name:           _Z39paged_attention_ll4mi_QKV_mfma16_kernelI14__hip_bfloat16S0_LN4vllm18Fp8KVCacheDataTypeE0EhLi16ELi64ELi256ELb1ELi15EEvPKT_PKT0_S8_ifPKiSA_SA_iPKfiiiPfSD_PS3_PT2_iSC_SC_
    .private_segment_fixed_size: 64
    .sgpr_count:     36
    .sgpr_spill_count: 0
    .symbol:         _Z39paged_attention_ll4mi_QKV_mfma16_kernelI14__hip_bfloat16S0_LN4vllm18Fp8KVCacheDataTypeE0EhLi16ELi64ELi256ELb1ELi15EEvPKT_PKT0_S8_ifPKiSA_SA_iPKfiiiPfSD_PS3_PT2_iSC_SC_.kd
    .uniform_work_group_size: 1
    .uses_dynamic_stack: false
    .vgpr_count:     51
    .vgpr_spill_count: 0
    .wavefront_size: 32
  - .args:
      - .actual_access:  read_only
        .address_space:  global
        .offset:         0
        .size:           8
        .value_kind:     global_buffer
      - .actual_access:  read_only
        .address_space:  global
        .offset:         8
        .size:           8
        .value_kind:     global_buffer
      - .actual_access:  read_only
        .address_space:  global
        .offset:         16
        .size:           8
        .value_kind:     global_buffer
      - .offset:         24
        .size:           4
        .value_kind:     by_value
      - .offset:         28
        .size:           4
        .value_kind:     by_value
      - .actual_access:  read_only
        .address_space:  global
        .offset:         32
        .size:           8
        .value_kind:     global_buffer
      - .actual_access:  read_only
        .address_space:  global
        .offset:         40
        .size:           8
        .value_kind:     global_buffer
      - .actual_access:  read_only
        .address_space:  global
        .offset:         48
        .size:           8
        .value_kind:     global_buffer
      - .offset:         56
        .size:           4
        .value_kind:     by_value
      - .actual_access:  read_only
        .address_space:  global
        .offset:         64
        .size:           8
        .value_kind:     global_buffer
      - .offset:         72
        .size:           4
        .value_kind:     by_value
      - .offset:         76
        .size:           4
        .value_kind:     by_value
      - .offset:         80
        .size:           4
        .value_kind:     by_value
      - .actual_access:  read_only
        .address_space:  global
        .offset:         88
        .size:           8
        .value_kind:     global_buffer
      - .actual_access:  read_only
        .address_space:  global
        .offset:         96
        .size:           8
        .value_kind:     global_buffer
      - .actual_access:  read_only
        .address_space:  global
        .offset:         104
        .size:           8
        .value_kind:     global_buffer
      - .actual_access:  read_only
        .address_space:  global
        .offset:         112
        .size:           8
        .value_kind:     global_buffer
      - .offset:         120
        .size:           4
        .value_kind:     by_value
      - .address_space:  global
        .offset:         128
        .size:           8
        .value_kind:     global_buffer
      - .address_space:  global
        .offset:         136
        .size:           8
        .value_kind:     global_buffer
      - .offset:         144
        .size:           4
        .value_kind:     hidden_block_count_x
      - .offset:         148
        .size:           4
        .value_kind:     hidden_block_count_y
      - .offset:         152
        .size:           4
        .value_kind:     hidden_block_count_z
      - .offset:         156
        .size:           2
        .value_kind:     hidden_group_size_x
      - .offset:         158
        .size:           2
        .value_kind:     hidden_group_size_y
      - .offset:         160
        .size:           2
        .value_kind:     hidden_group_size_z
      - .offset:         162
        .size:           2
        .value_kind:     hidden_remainder_x
      - .offset:         164
        .size:           2
        .value_kind:     hidden_remainder_y
      - .offset:         166
        .size:           2
        .value_kind:     hidden_remainder_z
      - .offset:         184
        .size:           8
        .value_kind:     hidden_global_offset_x
      - .offset:         192
        .size:           8
        .value_kind:     hidden_global_offset_y
      - .offset:         200
        .size:           8
        .value_kind:     hidden_global_offset_z
      - .offset:         208
        .size:           2
        .value_kind:     hidden_grid_dims
      - .offset:         224
        .size:           8
        .value_kind:     hidden_hostcall_buffer
    .group_segment_fixed_size: 0
    .kernarg_segment_align: 8
    .kernarg_segment_size: 400
    .language:       OpenCL C
    .language_version:
      - 2
      - 0
    .max_flat_workgroup_size: 256
    .name:           _Z39paged_attention_ll4mi_QKV_mfma16_kernelI14__hip_bfloat16S0_LN4vllm18Fp8KVCacheDataTypeE0EhLi16ELi64ELi256ELb1ELi16EEvPKT_PKT0_S8_ifPKiSA_SA_iPKfiiiPfSD_PS3_PT2_iSC_SC_
    .private_segment_fixed_size: 64
    .sgpr_count:     36
    .sgpr_spill_count: 0
    .symbol:         _Z39paged_attention_ll4mi_QKV_mfma16_kernelI14__hip_bfloat16S0_LN4vllm18Fp8KVCacheDataTypeE0EhLi16ELi64ELi256ELb1ELi16EEvPKT_PKT0_S8_ifPKiSA_SA_iPKfiiiPfSD_PS3_PT2_iSC_SC_.kd
    .uniform_work_group_size: 1
    .uses_dynamic_stack: false
    .vgpr_count:     51
    .vgpr_spill_count: 0
    .wavefront_size: 32
  - .args:
      - .actual_access:  read_only
        .address_space:  global
        .offset:         0
        .size:           8
        .value_kind:     global_buffer
      - .actual_access:  read_only
        .address_space:  global
        .offset:         8
        .size:           8
        .value_kind:     global_buffer
      - .actual_access:  read_only
        .address_space:  global
        .offset:         16
        .size:           8
        .value_kind:     global_buffer
      - .actual_access:  read_only
        .address_space:  global
        .offset:         24
        .size:           8
        .value_kind:     global_buffer
      - .actual_access:  read_only
        .address_space:  global
        .offset:         32
        .size:           8
        .value_kind:     global_buffer
      - .actual_access:  read_only
        .address_space:  global
        .offset:         40
        .size:           8
        .value_kind:     global_buffer
      - .offset:         48
        .size:           4
        .value_kind:     by_value
      - .actual_access:  read_only
        .address_space:  global
        .offset:         56
        .size:           8
        .value_kind:     global_buffer
      - .offset:         64
        .size:           4
        .value_kind:     hidden_block_count_x
      - .offset:         68
        .size:           4
        .value_kind:     hidden_block_count_y
      - .offset:         72
        .size:           4
        .value_kind:     hidden_block_count_z
      - .offset:         76
        .size:           2
        .value_kind:     hidden_group_size_x
      - .offset:         78
        .size:           2
        .value_kind:     hidden_group_size_y
      - .offset:         80
        .size:           2
        .value_kind:     hidden_group_size_z
      - .offset:         82
        .size:           2
        .value_kind:     hidden_remainder_x
      - .offset:         84
        .size:           2
        .value_kind:     hidden_remainder_y
      - .offset:         86
        .size:           2
        .value_kind:     hidden_remainder_z
      - .offset:         104
        .size:           8
        .value_kind:     hidden_global_offset_x
      - .offset:         112
        .size:           8
        .value_kind:     hidden_global_offset_y
      - .offset:         120
        .size:           8
        .value_kind:     hidden_global_offset_z
      - .offset:         128
        .size:           2
        .value_kind:     hidden_grid_dims
      - .offset:         144
        .size:           8
        .value_kind:     hidden_hostcall_buffer
    .group_segment_fixed_size: 0
    .kernarg_segment_align: 8
    .kernarg_segment_size: 320
    .language:       OpenCL C
    .language_version:
      - 2
      - 0
    .max_flat_workgroup_size: 64
    .name:           _Z35paged_attention_ll4mi_reduce_kernelI14__hip_bfloat16hLi64ELi64ELi256ELi1EEvPT0_PKfS4_PKT_PKiS9_iS4_
    .private_segment_fixed_size: 64
    .sgpr_count:     36
    .sgpr_spill_count: 0
    .symbol:         _Z35paged_attention_ll4mi_reduce_kernelI14__hip_bfloat16hLi64ELi64ELi256ELi1EEvPT0_PKfS4_PKT_PKiS9_iS4_.kd
    .uniform_work_group_size: 1
    .uses_dynamic_stack: false
    .vgpr_count:     51
    .vgpr_spill_count: 0
    .wavefront_size: 32
  - .args:
      - .actual_access:  read_only
        .address_space:  global
        .offset:         0
        .size:           8
        .value_kind:     global_buffer
      - .actual_access:  read_only
        .address_space:  global
        .offset:         8
        .size:           8
        .value_kind:     global_buffer
      - .actual_access:  read_only
        .address_space:  global
        .offset:         16
        .size:           8
        .value_kind:     global_buffer
      - .actual_access:  read_only
        .address_space:  global
        .offset:         24
        .size:           8
        .value_kind:     global_buffer
      - .actual_access:  read_only
        .address_space:  global
        .offset:         32
        .size:           8
        .value_kind:     global_buffer
      - .actual_access:  read_only
        .address_space:  global
        .offset:         40
        .size:           8
        .value_kind:     global_buffer
      - .offset:         48
        .size:           4
        .value_kind:     by_value
      - .actual_access:  read_only
        .address_space:  global
        .offset:         56
        .size:           8
        .value_kind:     global_buffer
      - .offset:         64
        .size:           4
        .value_kind:     hidden_block_count_x
      - .offset:         68
        .size:           4
        .value_kind:     hidden_block_count_y
      - .offset:         72
        .size:           4
        .value_kind:     hidden_block_count_z
      - .offset:         76
        .size:           2
        .value_kind:     hidden_group_size_x
      - .offset:         78
        .size:           2
        .value_kind:     hidden_group_size_y
      - .offset:         80
        .size:           2
        .value_kind:     hidden_group_size_z
      - .offset:         82
        .size:           2
        .value_kind:     hidden_remainder_x
      - .offset:         84
        .size:           2
        .value_kind:     hidden_remainder_y
      - .offset:         86
        .size:           2
        .value_kind:     hidden_remainder_z
      - .offset:         104
        .size:           8
        .value_kind:     hidden_global_offset_x
      - .offset:         112
        .size:           8
        .value_kind:     hidden_global_offset_y
      - .offset:         120
        .size:           8
        .value_kind:     hidden_global_offset_z
      - .offset:         128
        .size:           2
        .value_kind:     hidden_grid_dims
      - .offset:         144
        .size:           8
        .value_kind:     hidden_hostcall_buffer
    .group_segment_fixed_size: 0
    .kernarg_segment_align: 8
    .kernarg_segment_size: 320
    .language:       OpenCL C
    .language_version:
      - 2
      - 0
    .max_flat_workgroup_size: 64
    .name:           _Z35paged_attention_ll4mi_reduce_kernelI14__hip_bfloat16hLi64ELi64ELi256ELi2EEvPT0_PKfS4_PKT_PKiS9_iS4_
    .private_segment_fixed_size: 64
    .sgpr_count:     36
    .sgpr_spill_count: 0
    .symbol:         _Z35paged_attention_ll4mi_reduce_kernelI14__hip_bfloat16hLi64ELi64ELi256ELi2EEvPT0_PKfS4_PKT_PKiS9_iS4_.kd
    .uniform_work_group_size: 1
    .uses_dynamic_stack: false
    .vgpr_count:     51
    .vgpr_spill_count: 0
    .wavefront_size: 32
  - .args:
      - .actual_access:  read_only
        .address_space:  global
        .offset:         0
        .size:           8
        .value_kind:     global_buffer
      - .actual_access:  read_only
        .address_space:  global
        .offset:         8
        .size:           8
        .value_kind:     global_buffer
      - .actual_access:  read_only
        .address_space:  global
        .offset:         16
        .size:           8
        .value_kind:     global_buffer
      - .actual_access:  read_only
        .address_space:  global
        .offset:         24
        .size:           8
        .value_kind:     global_buffer
      - .actual_access:  read_only
        .address_space:  global
        .offset:         32
        .size:           8
        .value_kind:     global_buffer
      - .actual_access:  read_only
        .address_space:  global
        .offset:         40
        .size:           8
        .value_kind:     global_buffer
      - .offset:         48
        .size:           4
        .value_kind:     by_value
      - .actual_access:  read_only
        .address_space:  global
        .offset:         56
        .size:           8
        .value_kind:     global_buffer
      - .offset:         64
        .size:           4
        .value_kind:     hidden_block_count_x
      - .offset:         68
        .size:           4
        .value_kind:     hidden_block_count_y
      - .offset:         72
        .size:           4
        .value_kind:     hidden_block_count_z
      - .offset:         76
        .size:           2
        .value_kind:     hidden_group_size_x
      - .offset:         78
        .size:           2
        .value_kind:     hidden_group_size_y
      - .offset:         80
        .size:           2
        .value_kind:     hidden_group_size_z
      - .offset:         82
        .size:           2
        .value_kind:     hidden_remainder_x
      - .offset:         84
        .size:           2
        .value_kind:     hidden_remainder_y
      - .offset:         86
        .size:           2
        .value_kind:     hidden_remainder_z
      - .offset:         104
        .size:           8
        .value_kind:     hidden_global_offset_x
      - .offset:         112
        .size:           8
        .value_kind:     hidden_global_offset_y
      - .offset:         120
        .size:           8
        .value_kind:     hidden_global_offset_z
      - .offset:         128
        .size:           2
        .value_kind:     hidden_grid_dims
      - .offset:         144
        .size:           8
        .value_kind:     hidden_hostcall_buffer
    .group_segment_fixed_size: 0
    .kernarg_segment_align: 8
    .kernarg_segment_size: 320
    .language:       OpenCL C
    .language_version:
      - 2
      - 0
    .max_flat_workgroup_size: 64
    .name:           _Z35paged_attention_ll4mi_reduce_kernelI14__hip_bfloat16hLi64ELi64ELi256ELi3EEvPT0_PKfS4_PKT_PKiS9_iS4_
    .private_segment_fixed_size: 64
    .sgpr_count:     36
    .sgpr_spill_count: 0
    .symbol:         _Z35paged_attention_ll4mi_reduce_kernelI14__hip_bfloat16hLi64ELi64ELi256ELi3EEvPT0_PKfS4_PKT_PKiS9_iS4_.kd
    .uniform_work_group_size: 1
    .uses_dynamic_stack: false
    .vgpr_count:     51
    .vgpr_spill_count: 0
    .wavefront_size: 32
  - .args:
      - .actual_access:  read_only
        .address_space:  global
        .offset:         0
        .size:           8
        .value_kind:     global_buffer
      - .actual_access:  read_only
        .address_space:  global
        .offset:         8
        .size:           8
        .value_kind:     global_buffer
      - .actual_access:  read_only
        .address_space:  global
        .offset:         16
        .size:           8
        .value_kind:     global_buffer
      - .actual_access:  read_only
        .address_space:  global
        .offset:         24
        .size:           8
        .value_kind:     global_buffer
      - .actual_access:  read_only
        .address_space:  global
        .offset:         32
        .size:           8
        .value_kind:     global_buffer
      - .actual_access:  read_only
        .address_space:  global
        .offset:         40
        .size:           8
        .value_kind:     global_buffer
      - .offset:         48
        .size:           4
        .value_kind:     by_value
      - .actual_access:  read_only
        .address_space:  global
        .offset:         56
        .size:           8
        .value_kind:     global_buffer
      - .offset:         64
        .size:           4
        .value_kind:     hidden_block_count_x
      - .offset:         68
        .size:           4
        .value_kind:     hidden_block_count_y
      - .offset:         72
        .size:           4
        .value_kind:     hidden_block_count_z
      - .offset:         76
        .size:           2
        .value_kind:     hidden_group_size_x
      - .offset:         78
        .size:           2
        .value_kind:     hidden_group_size_y
      - .offset:         80
        .size:           2
        .value_kind:     hidden_group_size_z
      - .offset:         82
        .size:           2
        .value_kind:     hidden_remainder_x
      - .offset:         84
        .size:           2
        .value_kind:     hidden_remainder_y
      - .offset:         86
        .size:           2
        .value_kind:     hidden_remainder_z
      - .offset:         104
        .size:           8
        .value_kind:     hidden_global_offset_x
      - .offset:         112
        .size:           8
        .value_kind:     hidden_global_offset_y
      - .offset:         120
        .size:           8
        .value_kind:     hidden_global_offset_z
      - .offset:         128
        .size:           2
        .value_kind:     hidden_grid_dims
      - .offset:         144
        .size:           8
        .value_kind:     hidden_hostcall_buffer
    .group_segment_fixed_size: 0
    .kernarg_segment_align: 8
    .kernarg_segment_size: 320
    .language:       OpenCL C
    .language_version:
      - 2
      - 0
    .max_flat_workgroup_size: 64
    .name:           _Z35paged_attention_ll4mi_reduce_kernelI14__hip_bfloat16hLi64ELi64ELi256ELi4EEvPT0_PKfS4_PKT_PKiS9_iS4_
    .private_segment_fixed_size: 64
    .sgpr_count:     36
    .sgpr_spill_count: 0
    .symbol:         _Z35paged_attention_ll4mi_reduce_kernelI14__hip_bfloat16hLi64ELi64ELi256ELi4EEvPT0_PKfS4_PKT_PKiS9_iS4_.kd
    .uniform_work_group_size: 1
    .uses_dynamic_stack: false
    .vgpr_count:     51
    .vgpr_spill_count: 0
    .wavefront_size: 32
  - .args:
      - .actual_access:  read_only
        .address_space:  global
        .offset:         0
        .size:           8
        .value_kind:     global_buffer
      - .actual_access:  read_only
        .address_space:  global
        .offset:         8
        .size:           8
        .value_kind:     global_buffer
      - .actual_access:  read_only
        .address_space:  global
        .offset:         16
        .size:           8
        .value_kind:     global_buffer
      - .actual_access:  read_only
        .address_space:  global
        .offset:         24
        .size:           8
        .value_kind:     global_buffer
      - .actual_access:  read_only
        .address_space:  global
        .offset:         32
        .size:           8
        .value_kind:     global_buffer
      - .actual_access:  read_only
        .address_space:  global
        .offset:         40
        .size:           8
        .value_kind:     global_buffer
      - .offset:         48
        .size:           4
        .value_kind:     by_value
      - .actual_access:  read_only
        .address_space:  global
        .offset:         56
        .size:           8
        .value_kind:     global_buffer
      - .offset:         64
        .size:           4
        .value_kind:     hidden_block_count_x
      - .offset:         68
        .size:           4
        .value_kind:     hidden_block_count_y
      - .offset:         72
        .size:           4
        .value_kind:     hidden_block_count_z
      - .offset:         76
        .size:           2
        .value_kind:     hidden_group_size_x
      - .offset:         78
        .size:           2
        .value_kind:     hidden_group_size_y
      - .offset:         80
        .size:           2
        .value_kind:     hidden_group_size_z
      - .offset:         82
        .size:           2
        .value_kind:     hidden_remainder_x
      - .offset:         84
        .size:           2
        .value_kind:     hidden_remainder_y
      - .offset:         86
        .size:           2
        .value_kind:     hidden_remainder_z
      - .offset:         104
        .size:           8
        .value_kind:     hidden_global_offset_x
      - .offset:         112
        .size:           8
        .value_kind:     hidden_global_offset_y
      - .offset:         120
        .size:           8
        .value_kind:     hidden_global_offset_z
      - .offset:         128
        .size:           2
        .value_kind:     hidden_grid_dims
      - .offset:         144
        .size:           8
        .value_kind:     hidden_hostcall_buffer
    .group_segment_fixed_size: 0
    .kernarg_segment_align: 8
    .kernarg_segment_size: 320
    .language:       OpenCL C
    .language_version:
      - 2
      - 0
    .max_flat_workgroup_size: 64
    .name:           _Z35paged_attention_ll4mi_reduce_kernelI14__hip_bfloat16hLi64ELi64ELi256ELi5EEvPT0_PKfS4_PKT_PKiS9_iS4_
    .private_segment_fixed_size: 64
    .sgpr_count:     36
    .sgpr_spill_count: 0
    .symbol:         _Z35paged_attention_ll4mi_reduce_kernelI14__hip_bfloat16hLi64ELi64ELi256ELi5EEvPT0_PKfS4_PKT_PKiS9_iS4_.kd
    .uniform_work_group_size: 1
    .uses_dynamic_stack: false
    .vgpr_count:     51
    .vgpr_spill_count: 0
    .wavefront_size: 32
  - .args:
      - .actual_access:  read_only
        .address_space:  global
        .offset:         0
        .size:           8
        .value_kind:     global_buffer
      - .actual_access:  read_only
        .address_space:  global
        .offset:         8
        .size:           8
        .value_kind:     global_buffer
      - .actual_access:  read_only
        .address_space:  global
        .offset:         16
        .size:           8
        .value_kind:     global_buffer
      - .actual_access:  read_only
        .address_space:  global
        .offset:         24
        .size:           8
        .value_kind:     global_buffer
      - .actual_access:  read_only
        .address_space:  global
        .offset:         32
        .size:           8
        .value_kind:     global_buffer
      - .actual_access:  read_only
        .address_space:  global
        .offset:         40
        .size:           8
        .value_kind:     global_buffer
      - .offset:         48
        .size:           4
        .value_kind:     by_value
      - .actual_access:  read_only
        .address_space:  global
        .offset:         56
        .size:           8
        .value_kind:     global_buffer
      - .offset:         64
        .size:           4
        .value_kind:     hidden_block_count_x
      - .offset:         68
        .size:           4
        .value_kind:     hidden_block_count_y
      - .offset:         72
        .size:           4
        .value_kind:     hidden_block_count_z
      - .offset:         76
        .size:           2
        .value_kind:     hidden_group_size_x
      - .offset:         78
        .size:           2
        .value_kind:     hidden_group_size_y
      - .offset:         80
        .size:           2
        .value_kind:     hidden_group_size_z
      - .offset:         82
        .size:           2
        .value_kind:     hidden_remainder_x
      - .offset:         84
        .size:           2
        .value_kind:     hidden_remainder_y
      - .offset:         86
        .size:           2
        .value_kind:     hidden_remainder_z
      - .offset:         104
        .size:           8
        .value_kind:     hidden_global_offset_x
      - .offset:         112
        .size:           8
        .value_kind:     hidden_global_offset_y
      - .offset:         120
        .size:           8
        .value_kind:     hidden_global_offset_z
      - .offset:         128
        .size:           2
        .value_kind:     hidden_grid_dims
      - .offset:         144
        .size:           8
        .value_kind:     hidden_hostcall_buffer
    .group_segment_fixed_size: 0
    .kernarg_segment_align: 8
    .kernarg_segment_size: 320
    .language:       OpenCL C
    .language_version:
      - 2
      - 0
    .max_flat_workgroup_size: 64
    .name:           _Z35paged_attention_ll4mi_reduce_kernelI14__hip_bfloat16hLi64ELi64ELi256ELi6EEvPT0_PKfS4_PKT_PKiS9_iS4_
    .private_segment_fixed_size: 64
    .sgpr_count:     36
    .sgpr_spill_count: 0
    .symbol:         _Z35paged_attention_ll4mi_reduce_kernelI14__hip_bfloat16hLi64ELi64ELi256ELi6EEvPT0_PKfS4_PKT_PKiS9_iS4_.kd
    .uniform_work_group_size: 1
    .uses_dynamic_stack: false
    .vgpr_count:     51
    .vgpr_spill_count: 0
    .wavefront_size: 32
  - .args:
      - .actual_access:  read_only
        .address_space:  global
        .offset:         0
        .size:           8
        .value_kind:     global_buffer
      - .actual_access:  read_only
        .address_space:  global
        .offset:         8
        .size:           8
        .value_kind:     global_buffer
      - .actual_access:  read_only
        .address_space:  global
        .offset:         16
        .size:           8
        .value_kind:     global_buffer
      - .actual_access:  read_only
        .address_space:  global
        .offset:         24
        .size:           8
        .value_kind:     global_buffer
      - .actual_access:  read_only
        .address_space:  global
        .offset:         32
        .size:           8
        .value_kind:     global_buffer
      - .actual_access:  read_only
        .address_space:  global
        .offset:         40
        .size:           8
        .value_kind:     global_buffer
      - .offset:         48
        .size:           4
        .value_kind:     by_value
      - .actual_access:  read_only
        .address_space:  global
        .offset:         56
        .size:           8
        .value_kind:     global_buffer
      - .offset:         64
        .size:           4
        .value_kind:     hidden_block_count_x
      - .offset:         68
        .size:           4
        .value_kind:     hidden_block_count_y
      - .offset:         72
        .size:           4
        .value_kind:     hidden_block_count_z
      - .offset:         76
        .size:           2
        .value_kind:     hidden_group_size_x
      - .offset:         78
        .size:           2
        .value_kind:     hidden_group_size_y
      - .offset:         80
        .size:           2
        .value_kind:     hidden_group_size_z
      - .offset:         82
        .size:           2
        .value_kind:     hidden_remainder_x
      - .offset:         84
        .size:           2
        .value_kind:     hidden_remainder_y
      - .offset:         86
        .size:           2
        .value_kind:     hidden_remainder_z
      - .offset:         104
        .size:           8
        .value_kind:     hidden_global_offset_x
      - .offset:         112
        .size:           8
        .value_kind:     hidden_global_offset_y
      - .offset:         120
        .size:           8
        .value_kind:     hidden_global_offset_z
      - .offset:         128
        .size:           2
        .value_kind:     hidden_grid_dims
      - .offset:         144
        .size:           8
        .value_kind:     hidden_hostcall_buffer
    .group_segment_fixed_size: 0
    .kernarg_segment_align: 8
    .kernarg_segment_size: 320
    .language:       OpenCL C
    .language_version:
      - 2
      - 0
    .max_flat_workgroup_size: 64
    .name:           _Z35paged_attention_ll4mi_reduce_kernelI14__hip_bfloat16hLi64ELi64ELi256ELi7EEvPT0_PKfS4_PKT_PKiS9_iS4_
    .private_segment_fixed_size: 64
    .sgpr_count:     36
    .sgpr_spill_count: 0
    .symbol:         _Z35paged_attention_ll4mi_reduce_kernelI14__hip_bfloat16hLi64ELi64ELi256ELi7EEvPT0_PKfS4_PKT_PKiS9_iS4_.kd
    .uniform_work_group_size: 1
    .uses_dynamic_stack: false
    .vgpr_count:     51
    .vgpr_spill_count: 0
    .wavefront_size: 32
  - .args:
      - .actual_access:  read_only
        .address_space:  global
        .offset:         0
        .size:           8
        .value_kind:     global_buffer
      - .actual_access:  read_only
        .address_space:  global
        .offset:         8
        .size:           8
        .value_kind:     global_buffer
      - .actual_access:  read_only
        .address_space:  global
        .offset:         16
        .size:           8
        .value_kind:     global_buffer
      - .actual_access:  read_only
        .address_space:  global
        .offset:         24
        .size:           8
        .value_kind:     global_buffer
      - .actual_access:  read_only
        .address_space:  global
        .offset:         32
        .size:           8
        .value_kind:     global_buffer
      - .actual_access:  read_only
        .address_space:  global
        .offset:         40
        .size:           8
        .value_kind:     global_buffer
      - .offset:         48
        .size:           4
        .value_kind:     by_value
      - .actual_access:  read_only
        .address_space:  global
        .offset:         56
        .size:           8
        .value_kind:     global_buffer
      - .offset:         64
        .size:           4
        .value_kind:     hidden_block_count_x
      - .offset:         68
        .size:           4
        .value_kind:     hidden_block_count_y
      - .offset:         72
        .size:           4
        .value_kind:     hidden_block_count_z
      - .offset:         76
        .size:           2
        .value_kind:     hidden_group_size_x
      - .offset:         78
        .size:           2
        .value_kind:     hidden_group_size_y
      - .offset:         80
        .size:           2
        .value_kind:     hidden_group_size_z
      - .offset:         82
        .size:           2
        .value_kind:     hidden_remainder_x
      - .offset:         84
        .size:           2
        .value_kind:     hidden_remainder_y
      - .offset:         86
        .size:           2
        .value_kind:     hidden_remainder_z
      - .offset:         104
        .size:           8
        .value_kind:     hidden_global_offset_x
      - .offset:         112
        .size:           8
        .value_kind:     hidden_global_offset_y
      - .offset:         120
        .size:           8
        .value_kind:     hidden_global_offset_z
      - .offset:         128
        .size:           2
        .value_kind:     hidden_grid_dims
      - .offset:         144
        .size:           8
        .value_kind:     hidden_hostcall_buffer
    .group_segment_fixed_size: 0
    .kernarg_segment_align: 8
    .kernarg_segment_size: 320
    .language:       OpenCL C
    .language_version:
      - 2
      - 0
    .max_flat_workgroup_size: 64
    .name:           _Z35paged_attention_ll4mi_reduce_kernelI14__hip_bfloat16hLi64ELi64ELi256ELi8EEvPT0_PKfS4_PKT_PKiS9_iS4_
    .private_segment_fixed_size: 64
    .sgpr_count:     36
    .sgpr_spill_count: 0
    .symbol:         _Z35paged_attention_ll4mi_reduce_kernelI14__hip_bfloat16hLi64ELi64ELi256ELi8EEvPT0_PKfS4_PKT_PKiS9_iS4_.kd
    .uniform_work_group_size: 1
    .uses_dynamic_stack: false
    .vgpr_count:     51
    .vgpr_spill_count: 0
    .wavefront_size: 32
  - .args:
      - .actual_access:  read_only
        .address_space:  global
        .offset:         0
        .size:           8
        .value_kind:     global_buffer
      - .actual_access:  read_only
        .address_space:  global
        .offset:         8
        .size:           8
        .value_kind:     global_buffer
      - .actual_access:  read_only
        .address_space:  global
        .offset:         16
        .size:           8
        .value_kind:     global_buffer
      - .offset:         24
        .size:           4
        .value_kind:     by_value
      - .offset:         28
        .size:           4
        .value_kind:     by_value
      - .actual_access:  read_only
        .address_space:  global
        .offset:         32
        .size:           8
        .value_kind:     global_buffer
      - .actual_access:  read_only
        .address_space:  global
        .offset:         40
        .size:           8
        .value_kind:     global_buffer
      - .actual_access:  read_only
        .address_space:  global
        .offset:         48
        .size:           8
        .value_kind:     global_buffer
      - .offset:         56
        .size:           4
        .value_kind:     by_value
      - .actual_access:  read_only
        .address_space:  global
        .offset:         64
        .size:           8
        .value_kind:     global_buffer
      - .offset:         72
        .size:           4
        .value_kind:     by_value
      - .offset:         76
        .size:           4
        .value_kind:     by_value
      - .offset:         80
        .size:           4
        .value_kind:     by_value
      - .actual_access:  read_only
        .address_space:  global
        .offset:         88
        .size:           8
        .value_kind:     global_buffer
      - .actual_access:  read_only
        .address_space:  global
        .offset:         96
        .size:           8
        .value_kind:     global_buffer
      - .actual_access:  read_only
        .address_space:  global
        .offset:         104
        .size:           8
        .value_kind:     global_buffer
      - .actual_access:  read_only
        .address_space:  global
        .offset:         112
        .size:           8
        .value_kind:     global_buffer
      - .offset:         120
        .size:           4
        .value_kind:     by_value
      - .address_space:  global
        .offset:         128
        .size:           8
        .value_kind:     global_buffer
      - .address_space:  global
        .offset:         136
        .size:           8
        .value_kind:     global_buffer
      - .offset:         144
        .size:           4
        .value_kind:     hidden_block_count_x
      - .offset:         148
        .size:           4
        .value_kind:     hidden_block_count_y
      - .offset:         152
        .size:           4
        .value_kind:     hidden_block_count_z
      - .offset:         156
        .size:           2
        .value_kind:     hidden_group_size_x
      - .offset:         158
        .size:           2
        .value_kind:     hidden_group_size_y
      - .offset:         160
        .size:           2
        .value_kind:     hidden_group_size_z
      - .offset:         162
        .size:           2
        .value_kind:     hidden_remainder_x
      - .offset:         164
        .size:           2
        .value_kind:     hidden_remainder_y
      - .offset:         166
        .size:           2
        .value_kind:     hidden_remainder_z
      - .offset:         184
        .size:           8
        .value_kind:     hidden_global_offset_x
      - .offset:         192
        .size:           8
        .value_kind:     hidden_global_offset_y
      - .offset:         200
        .size:           8
        .value_kind:     hidden_global_offset_z
      - .offset:         208
        .size:           2
        .value_kind:     hidden_grid_dims
      - .offset:         224
        .size:           8
        .value_kind:     hidden_hostcall_buffer
    .group_segment_fixed_size: 0
    .kernarg_segment_align: 8
    .kernarg_segment_size: 400
    .language:       OpenCL C
    .language_version:
      - 2
      - 0
    .max_flat_workgroup_size: 256
    .name:           _Z39paged_attention_ll4mi_QKV_mfma16_kernelI14__hip_bfloat16S0_LN4vllm18Fp8KVCacheDataTypeE0EhLi16ELi64ELi256ELb1ELi1EEvPKT_PKT0_S8_ifPKiSA_SA_iPKfiiiPfSD_PS3_PT2_iSC_SC_
    .private_segment_fixed_size: 64
    .sgpr_count:     36
    .sgpr_spill_count: 0
    .symbol:         _Z39paged_attention_ll4mi_QKV_mfma16_kernelI14__hip_bfloat16S0_LN4vllm18Fp8KVCacheDataTypeE0EhLi16ELi64ELi256ELb1ELi1EEvPKT_PKT0_S8_ifPKiSA_SA_iPKfiiiPfSD_PS3_PT2_iSC_SC_.kd
    .uniform_work_group_size: 1
    .uses_dynamic_stack: false
    .vgpr_count:     51
    .vgpr_spill_count: 0
    .wavefront_size: 32
  - .args:
      - .actual_access:  read_only
        .address_space:  global
        .offset:         0
        .size:           8
        .value_kind:     global_buffer
      - .actual_access:  read_only
        .address_space:  global
        .offset:         8
        .size:           8
        .value_kind:     global_buffer
      - .actual_access:  read_only
        .address_space:  global
        .offset:         16
        .size:           8
        .value_kind:     global_buffer
      - .offset:         24
        .size:           4
        .value_kind:     by_value
      - .offset:         28
        .size:           4
        .value_kind:     by_value
      - .actual_access:  read_only
        .address_space:  global
        .offset:         32
        .size:           8
        .value_kind:     global_buffer
      - .actual_access:  read_only
        .address_space:  global
        .offset:         40
        .size:           8
        .value_kind:     global_buffer
      - .actual_access:  read_only
        .address_space:  global
        .offset:         48
        .size:           8
        .value_kind:     global_buffer
      - .offset:         56
        .size:           4
        .value_kind:     by_value
      - .actual_access:  read_only
        .address_space:  global
        .offset:         64
        .size:           8
        .value_kind:     global_buffer
      - .offset:         72
        .size:           4
        .value_kind:     by_value
      - .offset:         76
        .size:           4
        .value_kind:     by_value
      - .offset:         80
        .size:           4
        .value_kind:     by_value
      - .actual_access:  read_only
        .address_space:  global
        .offset:         88
        .size:           8
        .value_kind:     global_buffer
      - .actual_access:  read_only
        .address_space:  global
        .offset:         96
        .size:           8
        .value_kind:     global_buffer
      - .actual_access:  read_only
        .address_space:  global
        .offset:         104
        .size:           8
        .value_kind:     global_buffer
      - .actual_access:  read_only
        .address_space:  global
        .offset:         112
        .size:           8
        .value_kind:     global_buffer
      - .offset:         120
        .size:           4
        .value_kind:     by_value
      - .address_space:  global
        .offset:         128
        .size:           8
        .value_kind:     global_buffer
      - .address_space:  global
        .offset:         136
        .size:           8
        .value_kind:     global_buffer
      - .offset:         144
        .size:           4
        .value_kind:     hidden_block_count_x
      - .offset:         148
        .size:           4
        .value_kind:     hidden_block_count_y
      - .offset:         152
        .size:           4
        .value_kind:     hidden_block_count_z
      - .offset:         156
        .size:           2
        .value_kind:     hidden_group_size_x
      - .offset:         158
        .size:           2
        .value_kind:     hidden_group_size_y
      - .offset:         160
        .size:           2
        .value_kind:     hidden_group_size_z
      - .offset:         162
        .size:           2
        .value_kind:     hidden_remainder_x
      - .offset:         164
        .size:           2
        .value_kind:     hidden_remainder_y
      - .offset:         166
        .size:           2
        .value_kind:     hidden_remainder_z
      - .offset:         184
        .size:           8
        .value_kind:     hidden_global_offset_x
      - .offset:         192
        .size:           8
        .value_kind:     hidden_global_offset_y
      - .offset:         200
        .size:           8
        .value_kind:     hidden_global_offset_z
      - .offset:         208
        .size:           2
        .value_kind:     hidden_grid_dims
      - .offset:         224
        .size:           8
        .value_kind:     hidden_hostcall_buffer
    .group_segment_fixed_size: 0
    .kernarg_segment_align: 8
    .kernarg_segment_size: 400
    .language:       OpenCL C
    .language_version:
      - 2
      - 0
    .max_flat_workgroup_size: 256
    .name:           _Z39paged_attention_ll4mi_QKV_mfma16_kernelI14__hip_bfloat16S0_LN4vllm18Fp8KVCacheDataTypeE0EhLi16ELi64ELi256ELb1ELi2EEvPKT_PKT0_S8_ifPKiSA_SA_iPKfiiiPfSD_PS3_PT2_iSC_SC_
    .private_segment_fixed_size: 64
    .sgpr_count:     36
    .sgpr_spill_count: 0
    .symbol:         _Z39paged_attention_ll4mi_QKV_mfma16_kernelI14__hip_bfloat16S0_LN4vllm18Fp8KVCacheDataTypeE0EhLi16ELi64ELi256ELb1ELi2EEvPKT_PKT0_S8_ifPKiSA_SA_iPKfiiiPfSD_PS3_PT2_iSC_SC_.kd
    .uniform_work_group_size: 1
    .uses_dynamic_stack: false
    .vgpr_count:     51
    .vgpr_spill_count: 0
    .wavefront_size: 32
  - .args:
      - .actual_access:  read_only
        .address_space:  global
        .offset:         0
        .size:           8
        .value_kind:     global_buffer
      - .actual_access:  read_only
        .address_space:  global
        .offset:         8
        .size:           8
        .value_kind:     global_buffer
      - .actual_access:  read_only
        .address_space:  global
        .offset:         16
        .size:           8
        .value_kind:     global_buffer
      - .offset:         24
        .size:           4
        .value_kind:     by_value
      - .offset:         28
        .size:           4
        .value_kind:     by_value
      - .actual_access:  read_only
        .address_space:  global
        .offset:         32
        .size:           8
        .value_kind:     global_buffer
      - .actual_access:  read_only
        .address_space:  global
        .offset:         40
        .size:           8
        .value_kind:     global_buffer
      - .actual_access:  read_only
        .address_space:  global
        .offset:         48
        .size:           8
        .value_kind:     global_buffer
      - .offset:         56
        .size:           4
        .value_kind:     by_value
      - .actual_access:  read_only
        .address_space:  global
        .offset:         64
        .size:           8
        .value_kind:     global_buffer
      - .offset:         72
        .size:           4
        .value_kind:     by_value
      - .offset:         76
        .size:           4
        .value_kind:     by_value
      - .offset:         80
        .size:           4
        .value_kind:     by_value
      - .actual_access:  read_only
        .address_space:  global
        .offset:         88
        .size:           8
        .value_kind:     global_buffer
      - .actual_access:  read_only
        .address_space:  global
        .offset:         96
        .size:           8
        .value_kind:     global_buffer
      - .actual_access:  read_only
        .address_space:  global
        .offset:         104
        .size:           8
        .value_kind:     global_buffer
      - .actual_access:  read_only
        .address_space:  global
        .offset:         112
        .size:           8
        .value_kind:     global_buffer
      - .offset:         120
        .size:           4
        .value_kind:     by_value
      - .address_space:  global
        .offset:         128
        .size:           8
        .value_kind:     global_buffer
      - .address_space:  global
        .offset:         136
        .size:           8
        .value_kind:     global_buffer
      - .offset:         144
        .size:           4
        .value_kind:     hidden_block_count_x
      - .offset:         148
        .size:           4
        .value_kind:     hidden_block_count_y
      - .offset:         152
        .size:           4
        .value_kind:     hidden_block_count_z
      - .offset:         156
        .size:           2
        .value_kind:     hidden_group_size_x
      - .offset:         158
        .size:           2
        .value_kind:     hidden_group_size_y
      - .offset:         160
        .size:           2
        .value_kind:     hidden_group_size_z
      - .offset:         162
        .size:           2
        .value_kind:     hidden_remainder_x
      - .offset:         164
        .size:           2
        .value_kind:     hidden_remainder_y
      - .offset:         166
        .size:           2
        .value_kind:     hidden_remainder_z
      - .offset:         184
        .size:           8
        .value_kind:     hidden_global_offset_x
      - .offset:         192
        .size:           8
        .value_kind:     hidden_global_offset_y
      - .offset:         200
        .size:           8
        .value_kind:     hidden_global_offset_z
      - .offset:         208
        .size:           2
        .value_kind:     hidden_grid_dims
      - .offset:         224
        .size:           8
        .value_kind:     hidden_hostcall_buffer
    .group_segment_fixed_size: 0
    .kernarg_segment_align: 8
    .kernarg_segment_size: 400
    .language:       OpenCL C
    .language_version:
      - 2
      - 0
    .max_flat_workgroup_size: 256
    .name:           _Z39paged_attention_ll4mi_QKV_mfma16_kernelI14__hip_bfloat16S0_LN4vllm18Fp8KVCacheDataTypeE0EhLi16ELi64ELi256ELb1ELi3EEvPKT_PKT0_S8_ifPKiSA_SA_iPKfiiiPfSD_PS3_PT2_iSC_SC_
    .private_segment_fixed_size: 64
    .sgpr_count:     36
    .sgpr_spill_count: 0
    .symbol:         _Z39paged_attention_ll4mi_QKV_mfma16_kernelI14__hip_bfloat16S0_LN4vllm18Fp8KVCacheDataTypeE0EhLi16ELi64ELi256ELb1ELi3EEvPKT_PKT0_S8_ifPKiSA_SA_iPKfiiiPfSD_PS3_PT2_iSC_SC_.kd
    .uniform_work_group_size: 1
    .uses_dynamic_stack: false
    .vgpr_count:     51
    .vgpr_spill_count: 0
    .wavefront_size: 32
  - .args:
      - .actual_access:  read_only
        .address_space:  global
        .offset:         0
        .size:           8
        .value_kind:     global_buffer
      - .actual_access:  read_only
        .address_space:  global
        .offset:         8
        .size:           8
        .value_kind:     global_buffer
      - .actual_access:  read_only
        .address_space:  global
        .offset:         16
        .size:           8
        .value_kind:     global_buffer
      - .offset:         24
        .size:           4
        .value_kind:     by_value
      - .offset:         28
        .size:           4
        .value_kind:     by_value
      - .actual_access:  read_only
        .address_space:  global
        .offset:         32
        .size:           8
        .value_kind:     global_buffer
      - .actual_access:  read_only
        .address_space:  global
        .offset:         40
        .size:           8
        .value_kind:     global_buffer
      - .actual_access:  read_only
        .address_space:  global
        .offset:         48
        .size:           8
        .value_kind:     global_buffer
      - .offset:         56
        .size:           4
        .value_kind:     by_value
      - .actual_access:  read_only
        .address_space:  global
        .offset:         64
        .size:           8
        .value_kind:     global_buffer
      - .offset:         72
        .size:           4
        .value_kind:     by_value
      - .offset:         76
        .size:           4
        .value_kind:     by_value
      - .offset:         80
        .size:           4
        .value_kind:     by_value
      - .actual_access:  read_only
        .address_space:  global
        .offset:         88
        .size:           8
        .value_kind:     global_buffer
      - .actual_access:  read_only
        .address_space:  global
        .offset:         96
        .size:           8
        .value_kind:     global_buffer
      - .actual_access:  read_only
        .address_space:  global
        .offset:         104
        .size:           8
        .value_kind:     global_buffer
      - .actual_access:  read_only
        .address_space:  global
        .offset:         112
        .size:           8
        .value_kind:     global_buffer
      - .offset:         120
        .size:           4
        .value_kind:     by_value
      - .address_space:  global
        .offset:         128
        .size:           8
        .value_kind:     global_buffer
      - .address_space:  global
        .offset:         136
        .size:           8
        .value_kind:     global_buffer
      - .offset:         144
        .size:           4
        .value_kind:     hidden_block_count_x
      - .offset:         148
        .size:           4
        .value_kind:     hidden_block_count_y
      - .offset:         152
        .size:           4
        .value_kind:     hidden_block_count_z
      - .offset:         156
        .size:           2
        .value_kind:     hidden_group_size_x
      - .offset:         158
        .size:           2
        .value_kind:     hidden_group_size_y
      - .offset:         160
        .size:           2
        .value_kind:     hidden_group_size_z
      - .offset:         162
        .size:           2
        .value_kind:     hidden_remainder_x
      - .offset:         164
        .size:           2
        .value_kind:     hidden_remainder_y
      - .offset:         166
        .size:           2
        .value_kind:     hidden_remainder_z
      - .offset:         184
        .size:           8
        .value_kind:     hidden_global_offset_x
      - .offset:         192
        .size:           8
        .value_kind:     hidden_global_offset_y
      - .offset:         200
        .size:           8
        .value_kind:     hidden_global_offset_z
      - .offset:         208
        .size:           2
        .value_kind:     hidden_grid_dims
      - .offset:         224
        .size:           8
        .value_kind:     hidden_hostcall_buffer
    .group_segment_fixed_size: 0
    .kernarg_segment_align: 8
    .kernarg_segment_size: 400
    .language:       OpenCL C
    .language_version:
      - 2
      - 0
    .max_flat_workgroup_size: 256
    .name:           _Z39paged_attention_ll4mi_QKV_mfma16_kernelI14__hip_bfloat16S0_LN4vllm18Fp8KVCacheDataTypeE0EhLi16ELi64ELi256ELb1ELi4EEvPKT_PKT0_S8_ifPKiSA_SA_iPKfiiiPfSD_PS3_PT2_iSC_SC_
    .private_segment_fixed_size: 64
    .sgpr_count:     36
    .sgpr_spill_count: 0
    .symbol:         _Z39paged_attention_ll4mi_QKV_mfma16_kernelI14__hip_bfloat16S0_LN4vllm18Fp8KVCacheDataTypeE0EhLi16ELi64ELi256ELb1ELi4EEvPKT_PKT0_S8_ifPKiSA_SA_iPKfiiiPfSD_PS3_PT2_iSC_SC_.kd
    .uniform_work_group_size: 1
    .uses_dynamic_stack: false
    .vgpr_count:     51
    .vgpr_spill_count: 0
    .wavefront_size: 32
  - .args:
      - .actual_access:  read_only
        .address_space:  global
        .offset:         0
        .size:           8
        .value_kind:     global_buffer
      - .actual_access:  read_only
        .address_space:  global
        .offset:         8
        .size:           8
        .value_kind:     global_buffer
      - .actual_access:  read_only
        .address_space:  global
        .offset:         16
        .size:           8
        .value_kind:     global_buffer
      - .actual_access:  read_only
        .address_space:  global
        .offset:         24
        .size:           8
        .value_kind:     global_buffer
      - .actual_access:  read_only
        .address_space:  global
        .offset:         32
        .size:           8
        .value_kind:     global_buffer
      - .actual_access:  read_only
        .address_space:  global
        .offset:         40
        .size:           8
        .value_kind:     global_buffer
      - .offset:         48
        .size:           4
        .value_kind:     by_value
      - .actual_access:  read_only
        .address_space:  global
        .offset:         56
        .size:           8
        .value_kind:     global_buffer
      - .offset:         64
        .size:           4
        .value_kind:     hidden_block_count_x
      - .offset:         68
        .size:           4
        .value_kind:     hidden_block_count_y
      - .offset:         72
        .size:           4
        .value_kind:     hidden_block_count_z
      - .offset:         76
        .size:           2
        .value_kind:     hidden_group_size_x
      - .offset:         78
        .size:           2
        .value_kind:     hidden_group_size_y
      - .offset:         80
        .size:           2
        .value_kind:     hidden_group_size_z
      - .offset:         82
        .size:           2
        .value_kind:     hidden_remainder_x
      - .offset:         84
        .size:           2
        .value_kind:     hidden_remainder_y
      - .offset:         86
        .size:           2
        .value_kind:     hidden_remainder_z
      - .offset:         104
        .size:           8
        .value_kind:     hidden_global_offset_x
      - .offset:         112
        .size:           8
        .value_kind:     hidden_global_offset_y
      - .offset:         120
        .size:           8
        .value_kind:     hidden_global_offset_z
      - .offset:         128
        .size:           2
        .value_kind:     hidden_grid_dims
      - .offset:         144
        .size:           8
        .value_kind:     hidden_hostcall_buffer
    .group_segment_fixed_size: 0
    .kernarg_segment_align: 8
    .kernarg_segment_size: 320
    .language:       OpenCL C
    .language_version:
      - 2
      - 0
    .max_flat_workgroup_size: 64
    .name:           _Z35paged_attention_ll4mi_reduce_kernelI14__hip_bfloat16hLi64ELi64ELi256ELi9EEvPT0_PKfS4_PKT_PKiS9_iS4_
    .private_segment_fixed_size: 64
    .sgpr_count:     36
    .sgpr_spill_count: 0
    .symbol:         _Z35paged_attention_ll4mi_reduce_kernelI14__hip_bfloat16hLi64ELi64ELi256ELi9EEvPT0_PKfS4_PKT_PKiS9_iS4_.kd
    .uniform_work_group_size: 1
    .uses_dynamic_stack: false
    .vgpr_count:     51
    .vgpr_spill_count: 0
    .wavefront_size: 32
  - .args:
      - .actual_access:  read_only
        .address_space:  global
        .offset:         0
        .size:           8
        .value_kind:     global_buffer
      - .actual_access:  read_only
        .address_space:  global
        .offset:         8
        .size:           8
        .value_kind:     global_buffer
      - .actual_access:  read_only
        .address_space:  global
        .offset:         16
        .size:           8
        .value_kind:     global_buffer
      - .actual_access:  read_only
        .address_space:  global
        .offset:         24
        .size:           8
        .value_kind:     global_buffer
      - .actual_access:  read_only
        .address_space:  global
        .offset:         32
        .size:           8
        .value_kind:     global_buffer
      - .actual_access:  read_only
        .address_space:  global
        .offset:         40
        .size:           8
        .value_kind:     global_buffer
      - .offset:         48
        .size:           4
        .value_kind:     by_value
      - .actual_access:  read_only
        .address_space:  global
        .offset:         56
        .size:           8
        .value_kind:     global_buffer
      - .offset:         64
        .size:           4
        .value_kind:     hidden_block_count_x
      - .offset:         68
        .size:           4
        .value_kind:     hidden_block_count_y
      - .offset:         72
        .size:           4
        .value_kind:     hidden_block_count_z
      - .offset:         76
        .size:           2
        .value_kind:     hidden_group_size_x
      - .offset:         78
        .size:           2
        .value_kind:     hidden_group_size_y
      - .offset:         80
        .size:           2
        .value_kind:     hidden_group_size_z
      - .offset:         82
        .size:           2
        .value_kind:     hidden_remainder_x
      - .offset:         84
        .size:           2
        .value_kind:     hidden_remainder_y
      - .offset:         86
        .size:           2
        .value_kind:     hidden_remainder_z
      - .offset:         104
        .size:           8
        .value_kind:     hidden_global_offset_x
      - .offset:         112
        .size:           8
        .value_kind:     hidden_global_offset_y
      - .offset:         120
        .size:           8
        .value_kind:     hidden_global_offset_z
      - .offset:         128
        .size:           2
        .value_kind:     hidden_grid_dims
      - .offset:         144
        .size:           8
        .value_kind:     hidden_hostcall_buffer
    .group_segment_fixed_size: 0
    .kernarg_segment_align: 8
    .kernarg_segment_size: 320
    .language:       OpenCL C
    .language_version:
      - 2
      - 0
    .max_flat_workgroup_size: 64
    .name:           _Z35paged_attention_ll4mi_reduce_kernelI14__hip_bfloat16hLi64ELi64ELi256ELi10EEvPT0_PKfS4_PKT_PKiS9_iS4_
    .private_segment_fixed_size: 64
    .sgpr_count:     36
    .sgpr_spill_count: 0
    .symbol:         _Z35paged_attention_ll4mi_reduce_kernelI14__hip_bfloat16hLi64ELi64ELi256ELi10EEvPT0_PKfS4_PKT_PKiS9_iS4_.kd
    .uniform_work_group_size: 1
    .uses_dynamic_stack: false
    .vgpr_count:     51
    .vgpr_spill_count: 0
    .wavefront_size: 32
  - .args:
      - .actual_access:  read_only
        .address_space:  global
        .offset:         0
        .size:           8
        .value_kind:     global_buffer
      - .actual_access:  read_only
        .address_space:  global
        .offset:         8
        .size:           8
        .value_kind:     global_buffer
      - .actual_access:  read_only
        .address_space:  global
        .offset:         16
        .size:           8
        .value_kind:     global_buffer
      - .actual_access:  read_only
        .address_space:  global
        .offset:         24
        .size:           8
        .value_kind:     global_buffer
      - .actual_access:  read_only
        .address_space:  global
        .offset:         32
        .size:           8
        .value_kind:     global_buffer
      - .actual_access:  read_only
        .address_space:  global
        .offset:         40
        .size:           8
        .value_kind:     global_buffer
      - .offset:         48
        .size:           4
        .value_kind:     by_value
      - .actual_access:  read_only
        .address_space:  global
        .offset:         56
        .size:           8
        .value_kind:     global_buffer
      - .offset:         64
        .size:           4
        .value_kind:     hidden_block_count_x
      - .offset:         68
        .size:           4
        .value_kind:     hidden_block_count_y
      - .offset:         72
        .size:           4
        .value_kind:     hidden_block_count_z
      - .offset:         76
        .size:           2
        .value_kind:     hidden_group_size_x
      - .offset:         78
        .size:           2
        .value_kind:     hidden_group_size_y
      - .offset:         80
        .size:           2
        .value_kind:     hidden_group_size_z
      - .offset:         82
        .size:           2
        .value_kind:     hidden_remainder_x
      - .offset:         84
        .size:           2
        .value_kind:     hidden_remainder_y
      - .offset:         86
        .size:           2
        .value_kind:     hidden_remainder_z
      - .offset:         104
        .size:           8
        .value_kind:     hidden_global_offset_x
      - .offset:         112
        .size:           8
        .value_kind:     hidden_global_offset_y
      - .offset:         120
        .size:           8
        .value_kind:     hidden_global_offset_z
      - .offset:         128
        .size:           2
        .value_kind:     hidden_grid_dims
      - .offset:         144
        .size:           8
        .value_kind:     hidden_hostcall_buffer
    .group_segment_fixed_size: 0
    .kernarg_segment_align: 8
    .kernarg_segment_size: 320
    .language:       OpenCL C
    .language_version:
      - 2
      - 0
    .max_flat_workgroup_size: 64
    .name:           _Z35paged_attention_ll4mi_reduce_kernelI14__hip_bfloat16hLi64ELi64ELi256ELi11EEvPT0_PKfS4_PKT_PKiS9_iS4_
    .private_segment_fixed_size: 64
    .sgpr_count:     36
    .sgpr_spill_count: 0
    .symbol:         _Z35paged_attention_ll4mi_reduce_kernelI14__hip_bfloat16hLi64ELi64ELi256ELi11EEvPT0_PKfS4_PKT_PKiS9_iS4_.kd
    .uniform_work_group_size: 1
    .uses_dynamic_stack: false
    .vgpr_count:     51
    .vgpr_spill_count: 0
    .wavefront_size: 32
  - .args:
      - .actual_access:  read_only
        .address_space:  global
        .offset:         0
        .size:           8
        .value_kind:     global_buffer
      - .actual_access:  read_only
        .address_space:  global
        .offset:         8
        .size:           8
        .value_kind:     global_buffer
      - .actual_access:  read_only
        .address_space:  global
        .offset:         16
        .size:           8
        .value_kind:     global_buffer
      - .actual_access:  read_only
        .address_space:  global
        .offset:         24
        .size:           8
        .value_kind:     global_buffer
      - .actual_access:  read_only
        .address_space:  global
        .offset:         32
        .size:           8
        .value_kind:     global_buffer
      - .actual_access:  read_only
        .address_space:  global
        .offset:         40
        .size:           8
        .value_kind:     global_buffer
      - .offset:         48
        .size:           4
        .value_kind:     by_value
      - .actual_access:  read_only
        .address_space:  global
        .offset:         56
        .size:           8
        .value_kind:     global_buffer
      - .offset:         64
        .size:           4
        .value_kind:     hidden_block_count_x
      - .offset:         68
        .size:           4
        .value_kind:     hidden_block_count_y
      - .offset:         72
        .size:           4
        .value_kind:     hidden_block_count_z
      - .offset:         76
        .size:           2
        .value_kind:     hidden_group_size_x
      - .offset:         78
        .size:           2
        .value_kind:     hidden_group_size_y
      - .offset:         80
        .size:           2
        .value_kind:     hidden_group_size_z
      - .offset:         82
        .size:           2
        .value_kind:     hidden_remainder_x
      - .offset:         84
        .size:           2
        .value_kind:     hidden_remainder_y
      - .offset:         86
        .size:           2
        .value_kind:     hidden_remainder_z
      - .offset:         104
        .size:           8
        .value_kind:     hidden_global_offset_x
      - .offset:         112
        .size:           8
        .value_kind:     hidden_global_offset_y
      - .offset:         120
        .size:           8
        .value_kind:     hidden_global_offset_z
      - .offset:         128
        .size:           2
        .value_kind:     hidden_grid_dims
      - .offset:         144
        .size:           8
        .value_kind:     hidden_hostcall_buffer
    .group_segment_fixed_size: 0
    .kernarg_segment_align: 8
    .kernarg_segment_size: 320
    .language:       OpenCL C
    .language_version:
      - 2
      - 0
    .max_flat_workgroup_size: 64
    .name:           _Z35paged_attention_ll4mi_reduce_kernelI14__hip_bfloat16hLi64ELi64ELi256ELi12EEvPT0_PKfS4_PKT_PKiS9_iS4_
    .private_segment_fixed_size: 64
    .sgpr_count:     36
    .sgpr_spill_count: 0
    .symbol:         _Z35paged_attention_ll4mi_reduce_kernelI14__hip_bfloat16hLi64ELi64ELi256ELi12EEvPT0_PKfS4_PKT_PKiS9_iS4_.kd
    .uniform_work_group_size: 1
    .uses_dynamic_stack: false
    .vgpr_count:     51
    .vgpr_spill_count: 0
    .wavefront_size: 32
  - .args:
      - .actual_access:  read_only
        .address_space:  global
        .offset:         0
        .size:           8
        .value_kind:     global_buffer
      - .actual_access:  read_only
        .address_space:  global
        .offset:         8
        .size:           8
        .value_kind:     global_buffer
      - .actual_access:  read_only
        .address_space:  global
        .offset:         16
        .size:           8
        .value_kind:     global_buffer
      - .actual_access:  read_only
        .address_space:  global
        .offset:         24
        .size:           8
        .value_kind:     global_buffer
      - .actual_access:  read_only
        .address_space:  global
        .offset:         32
        .size:           8
        .value_kind:     global_buffer
      - .actual_access:  read_only
        .address_space:  global
        .offset:         40
        .size:           8
        .value_kind:     global_buffer
      - .offset:         48
        .size:           4
        .value_kind:     by_value
      - .actual_access:  read_only
        .address_space:  global
        .offset:         56
        .size:           8
        .value_kind:     global_buffer
      - .offset:         64
        .size:           4
        .value_kind:     hidden_block_count_x
      - .offset:         68
        .size:           4
        .value_kind:     hidden_block_count_y
      - .offset:         72
        .size:           4
        .value_kind:     hidden_block_count_z
      - .offset:         76
        .size:           2
        .value_kind:     hidden_group_size_x
      - .offset:         78
        .size:           2
        .value_kind:     hidden_group_size_y
      - .offset:         80
        .size:           2
        .value_kind:     hidden_group_size_z
      - .offset:         82
        .size:           2
        .value_kind:     hidden_remainder_x
      - .offset:         84
        .size:           2
        .value_kind:     hidden_remainder_y
      - .offset:         86
        .size:           2
        .value_kind:     hidden_remainder_z
      - .offset:         104
        .size:           8
        .value_kind:     hidden_global_offset_x
      - .offset:         112
        .size:           8
        .value_kind:     hidden_global_offset_y
      - .offset:         120
        .size:           8
        .value_kind:     hidden_global_offset_z
      - .offset:         128
        .size:           2
        .value_kind:     hidden_grid_dims
      - .offset:         144
        .size:           8
        .value_kind:     hidden_hostcall_buffer
    .group_segment_fixed_size: 0
    .kernarg_segment_align: 8
    .kernarg_segment_size: 320
    .language:       OpenCL C
    .language_version:
      - 2
      - 0
    .max_flat_workgroup_size: 64
    .name:           _Z35paged_attention_ll4mi_reduce_kernelI14__hip_bfloat16hLi64ELi64ELi256ELi13EEvPT0_PKfS4_PKT_PKiS9_iS4_
    .private_segment_fixed_size: 64
    .sgpr_count:     36
    .sgpr_spill_count: 0
    .symbol:         _Z35paged_attention_ll4mi_reduce_kernelI14__hip_bfloat16hLi64ELi64ELi256ELi13EEvPT0_PKfS4_PKT_PKiS9_iS4_.kd
    .uniform_work_group_size: 1
    .uses_dynamic_stack: false
    .vgpr_count:     51
    .vgpr_spill_count: 0
    .wavefront_size: 32
  - .args:
      - .actual_access:  read_only
        .address_space:  global
        .offset:         0
        .size:           8
        .value_kind:     global_buffer
      - .actual_access:  read_only
        .address_space:  global
        .offset:         8
        .size:           8
        .value_kind:     global_buffer
      - .actual_access:  read_only
        .address_space:  global
        .offset:         16
        .size:           8
        .value_kind:     global_buffer
      - .actual_access:  read_only
        .address_space:  global
        .offset:         24
        .size:           8
        .value_kind:     global_buffer
      - .actual_access:  read_only
        .address_space:  global
        .offset:         32
        .size:           8
        .value_kind:     global_buffer
      - .actual_access:  read_only
        .address_space:  global
        .offset:         40
        .size:           8
        .value_kind:     global_buffer
      - .offset:         48
        .size:           4
        .value_kind:     by_value
      - .actual_access:  read_only
        .address_space:  global
        .offset:         56
        .size:           8
        .value_kind:     global_buffer
      - .offset:         64
        .size:           4
        .value_kind:     hidden_block_count_x
      - .offset:         68
        .size:           4
        .value_kind:     hidden_block_count_y
      - .offset:         72
        .size:           4
        .value_kind:     hidden_block_count_z
      - .offset:         76
        .size:           2
        .value_kind:     hidden_group_size_x
      - .offset:         78
        .size:           2
        .value_kind:     hidden_group_size_y
      - .offset:         80
        .size:           2
        .value_kind:     hidden_group_size_z
      - .offset:         82
        .size:           2
        .value_kind:     hidden_remainder_x
      - .offset:         84
        .size:           2
        .value_kind:     hidden_remainder_y
      - .offset:         86
        .size:           2
        .value_kind:     hidden_remainder_z
      - .offset:         104
        .size:           8
        .value_kind:     hidden_global_offset_x
      - .offset:         112
        .size:           8
        .value_kind:     hidden_global_offset_y
      - .offset:         120
        .size:           8
        .value_kind:     hidden_global_offset_z
      - .offset:         128
        .size:           2
        .value_kind:     hidden_grid_dims
      - .offset:         144
        .size:           8
        .value_kind:     hidden_hostcall_buffer
    .group_segment_fixed_size: 0
    .kernarg_segment_align: 8
    .kernarg_segment_size: 320
    .language:       OpenCL C
    .language_version:
      - 2
      - 0
    .max_flat_workgroup_size: 64
    .name:           _Z35paged_attention_ll4mi_reduce_kernelI14__hip_bfloat16hLi64ELi64ELi256ELi14EEvPT0_PKfS4_PKT_PKiS9_iS4_
    .private_segment_fixed_size: 64
    .sgpr_count:     36
    .sgpr_spill_count: 0
    .symbol:         _Z35paged_attention_ll4mi_reduce_kernelI14__hip_bfloat16hLi64ELi64ELi256ELi14EEvPT0_PKfS4_PKT_PKiS9_iS4_.kd
    .uniform_work_group_size: 1
    .uses_dynamic_stack: false
    .vgpr_count:     51
    .vgpr_spill_count: 0
    .wavefront_size: 32
  - .args:
      - .actual_access:  read_only
        .address_space:  global
        .offset:         0
        .size:           8
        .value_kind:     global_buffer
      - .actual_access:  read_only
        .address_space:  global
        .offset:         8
        .size:           8
        .value_kind:     global_buffer
      - .actual_access:  read_only
        .address_space:  global
        .offset:         16
        .size:           8
        .value_kind:     global_buffer
      - .actual_access:  read_only
        .address_space:  global
        .offset:         24
        .size:           8
        .value_kind:     global_buffer
      - .actual_access:  read_only
        .address_space:  global
        .offset:         32
        .size:           8
        .value_kind:     global_buffer
      - .actual_access:  read_only
        .address_space:  global
        .offset:         40
        .size:           8
        .value_kind:     global_buffer
      - .offset:         48
        .size:           4
        .value_kind:     by_value
      - .actual_access:  read_only
        .address_space:  global
        .offset:         56
        .size:           8
        .value_kind:     global_buffer
      - .offset:         64
        .size:           4
        .value_kind:     hidden_block_count_x
      - .offset:         68
        .size:           4
        .value_kind:     hidden_block_count_y
      - .offset:         72
        .size:           4
        .value_kind:     hidden_block_count_z
      - .offset:         76
        .size:           2
        .value_kind:     hidden_group_size_x
      - .offset:         78
        .size:           2
        .value_kind:     hidden_group_size_y
      - .offset:         80
        .size:           2
        .value_kind:     hidden_group_size_z
      - .offset:         82
        .size:           2
        .value_kind:     hidden_remainder_x
      - .offset:         84
        .size:           2
        .value_kind:     hidden_remainder_y
      - .offset:         86
        .size:           2
        .value_kind:     hidden_remainder_z
      - .offset:         104
        .size:           8
        .value_kind:     hidden_global_offset_x
      - .offset:         112
        .size:           8
        .value_kind:     hidden_global_offset_y
      - .offset:         120
        .size:           8
        .value_kind:     hidden_global_offset_z
      - .offset:         128
        .size:           2
        .value_kind:     hidden_grid_dims
      - .offset:         144
        .size:           8
        .value_kind:     hidden_hostcall_buffer
    .group_segment_fixed_size: 0
    .kernarg_segment_align: 8
    .kernarg_segment_size: 320
    .language:       OpenCL C
    .language_version:
      - 2
      - 0
    .max_flat_workgroup_size: 64
    .name:           _Z35paged_attention_ll4mi_reduce_kernelI14__hip_bfloat16hLi64ELi64ELi256ELi15EEvPT0_PKfS4_PKT_PKiS9_iS4_
    .private_segment_fixed_size: 64
    .sgpr_count:     36
    .sgpr_spill_count: 0
    .symbol:         _Z35paged_attention_ll4mi_reduce_kernelI14__hip_bfloat16hLi64ELi64ELi256ELi15EEvPT0_PKfS4_PKT_PKiS9_iS4_.kd
    .uniform_work_group_size: 1
    .uses_dynamic_stack: false
    .vgpr_count:     51
    .vgpr_spill_count: 0
    .wavefront_size: 32
  - .args:
      - .actual_access:  read_only
        .address_space:  global
        .offset:         0
        .size:           8
        .value_kind:     global_buffer
      - .actual_access:  read_only
        .address_space:  global
        .offset:         8
        .size:           8
        .value_kind:     global_buffer
      - .actual_access:  read_only
        .address_space:  global
        .offset:         16
        .size:           8
        .value_kind:     global_buffer
      - .actual_access:  read_only
        .address_space:  global
        .offset:         24
        .size:           8
        .value_kind:     global_buffer
      - .actual_access:  read_only
        .address_space:  global
        .offset:         32
        .size:           8
        .value_kind:     global_buffer
      - .actual_access:  read_only
        .address_space:  global
        .offset:         40
        .size:           8
        .value_kind:     global_buffer
      - .offset:         48
        .size:           4
        .value_kind:     by_value
      - .actual_access:  read_only
        .address_space:  global
        .offset:         56
        .size:           8
        .value_kind:     global_buffer
      - .offset:         64
        .size:           4
        .value_kind:     hidden_block_count_x
      - .offset:         68
        .size:           4
        .value_kind:     hidden_block_count_y
      - .offset:         72
        .size:           4
        .value_kind:     hidden_block_count_z
      - .offset:         76
        .size:           2
        .value_kind:     hidden_group_size_x
      - .offset:         78
        .size:           2
        .value_kind:     hidden_group_size_y
      - .offset:         80
        .size:           2
        .value_kind:     hidden_group_size_z
      - .offset:         82
        .size:           2
        .value_kind:     hidden_remainder_x
      - .offset:         84
        .size:           2
        .value_kind:     hidden_remainder_y
      - .offset:         86
        .size:           2
        .value_kind:     hidden_remainder_z
      - .offset:         104
        .size:           8
        .value_kind:     hidden_global_offset_x
      - .offset:         112
        .size:           8
        .value_kind:     hidden_global_offset_y
      - .offset:         120
        .size:           8
        .value_kind:     hidden_global_offset_z
      - .offset:         128
        .size:           2
        .value_kind:     hidden_grid_dims
      - .offset:         144
        .size:           8
        .value_kind:     hidden_hostcall_buffer
    .group_segment_fixed_size: 0
    .kernarg_segment_align: 8
    .kernarg_segment_size: 320
    .language:       OpenCL C
    .language_version:
      - 2
      - 0
    .max_flat_workgroup_size: 64
    .name:           _Z35paged_attention_ll4mi_reduce_kernelI14__hip_bfloat16hLi64ELi64ELi256ELi16EEvPT0_PKfS4_PKT_PKiS9_iS4_
    .private_segment_fixed_size: 64
    .sgpr_count:     36
    .sgpr_spill_count: 0
    .symbol:         _Z35paged_attention_ll4mi_reduce_kernelI14__hip_bfloat16hLi64ELi64ELi256ELi16EEvPT0_PKfS4_PKT_PKiS9_iS4_.kd
    .uniform_work_group_size: 1
    .uses_dynamic_stack: false
    .vgpr_count:     51
    .vgpr_spill_count: 0
    .wavefront_size: 32
  - .args:
      - .actual_access:  read_only
        .address_space:  global
        .offset:         0
        .size:           8
        .value_kind:     global_buffer
      - .actual_access:  read_only
        .address_space:  global
        .offset:         8
        .size:           8
        .value_kind:     global_buffer
      - .actual_access:  read_only
        .address_space:  global
        .offset:         16
        .size:           8
        .value_kind:     global_buffer
      - .offset:         24
        .size:           4
        .value_kind:     by_value
      - .offset:         28
        .size:           4
        .value_kind:     by_value
      - .actual_access:  read_only
        .address_space:  global
        .offset:         32
        .size:           8
        .value_kind:     global_buffer
      - .actual_access:  read_only
        .address_space:  global
        .offset:         40
        .size:           8
        .value_kind:     global_buffer
      - .actual_access:  read_only
        .address_space:  global
        .offset:         48
        .size:           8
        .value_kind:     global_buffer
      - .offset:         56
        .size:           4
        .value_kind:     by_value
      - .actual_access:  read_only
        .address_space:  global
        .offset:         64
        .size:           8
        .value_kind:     global_buffer
      - .offset:         72
        .size:           4
        .value_kind:     by_value
      - .offset:         76
        .size:           4
        .value_kind:     by_value
      - .offset:         80
        .size:           4
        .value_kind:     by_value
      - .actual_access:  read_only
        .address_space:  global
        .offset:         88
        .size:           8
        .value_kind:     global_buffer
      - .actual_access:  read_only
        .address_space:  global
        .offset:         96
        .size:           8
        .value_kind:     global_buffer
      - .actual_access:  read_only
        .address_space:  global
        .offset:         104
        .size:           8
        .value_kind:     global_buffer
      - .actual_access:  read_only
        .address_space:  global
        .offset:         112
        .size:           8
        .value_kind:     global_buffer
      - .offset:         120
        .size:           4
        .value_kind:     by_value
      - .address_space:  global
        .offset:         128
        .size:           8
        .value_kind:     global_buffer
      - .address_space:  global
        .offset:         136
        .size:           8
        .value_kind:     global_buffer
      - .offset:         144
        .size:           4
        .value_kind:     hidden_block_count_x
      - .offset:         148
        .size:           4
        .value_kind:     hidden_block_count_y
      - .offset:         152
        .size:           4
        .value_kind:     hidden_block_count_z
      - .offset:         156
        .size:           2
        .value_kind:     hidden_group_size_x
      - .offset:         158
        .size:           2
        .value_kind:     hidden_group_size_y
      - .offset:         160
        .size:           2
        .value_kind:     hidden_group_size_z
      - .offset:         162
        .size:           2
        .value_kind:     hidden_remainder_x
      - .offset:         164
        .size:           2
        .value_kind:     hidden_remainder_y
      - .offset:         166
        .size:           2
        .value_kind:     hidden_remainder_z
      - .offset:         184
        .size:           8
        .value_kind:     hidden_global_offset_x
      - .offset:         192
        .size:           8
        .value_kind:     hidden_global_offset_y
      - .offset:         200
        .size:           8
        .value_kind:     hidden_global_offset_z
      - .offset:         208
        .size:           2
        .value_kind:     hidden_grid_dims
      - .offset:         224
        .size:           8
        .value_kind:     hidden_hostcall_buffer
    .group_segment_fixed_size: 0
    .kernarg_segment_align: 8
    .kernarg_segment_size: 400
    .language:       OpenCL C
    .language_version:
      - 2
      - 0
    .max_flat_workgroup_size: 256
    .name:           _Z38paged_attention_ll4mi_QKV_mfma4_kernelI14__hip_bfloat16S0_LN4vllm18Fp8KVCacheDataTypeE0EhLi16ELi64ELi256ELb0ELi1EEvPKT_PKT0_S8_ifPKiSA_SA_iPKfiiiPfSD_PS3_PT2_iSC_SC_
    .private_segment_fixed_size: 64
    .sgpr_count:     36
    .sgpr_spill_count: 0
    .symbol:         _Z38paged_attention_ll4mi_QKV_mfma4_kernelI14__hip_bfloat16S0_LN4vllm18Fp8KVCacheDataTypeE0EhLi16ELi64ELi256ELb0ELi1EEvPKT_PKT0_S8_ifPKiSA_SA_iPKfiiiPfSD_PS3_PT2_iSC_SC_.kd
    .uniform_work_group_size: 1
    .uses_dynamic_stack: false
    .vgpr_count:     51
    .vgpr_spill_count: 0
    .wavefront_size: 32
  - .args:
      - .actual_access:  read_only
        .address_space:  global
        .offset:         0
        .size:           8
        .value_kind:     global_buffer
      - .actual_access:  read_only
        .address_space:  global
        .offset:         8
        .size:           8
        .value_kind:     global_buffer
      - .actual_access:  read_only
        .address_space:  global
        .offset:         16
        .size:           8
        .value_kind:     global_buffer
      - .offset:         24
        .size:           4
        .value_kind:     by_value
      - .offset:         28
        .size:           4
        .value_kind:     by_value
      - .actual_access:  read_only
        .address_space:  global
        .offset:         32
        .size:           8
        .value_kind:     global_buffer
      - .actual_access:  read_only
        .address_space:  global
        .offset:         40
        .size:           8
        .value_kind:     global_buffer
      - .actual_access:  read_only
        .address_space:  global
        .offset:         48
        .size:           8
        .value_kind:     global_buffer
      - .offset:         56
        .size:           4
        .value_kind:     by_value
      - .actual_access:  read_only
        .address_space:  global
        .offset:         64
        .size:           8
        .value_kind:     global_buffer
      - .offset:         72
        .size:           4
        .value_kind:     by_value
      - .offset:         76
        .size:           4
        .value_kind:     by_value
      - .offset:         80
        .size:           4
        .value_kind:     by_value
      - .actual_access:  read_only
        .address_space:  global
        .offset:         88
        .size:           8
        .value_kind:     global_buffer
      - .actual_access:  read_only
        .address_space:  global
        .offset:         96
        .size:           8
        .value_kind:     global_buffer
      - .actual_access:  read_only
        .address_space:  global
        .offset:         104
        .size:           8
        .value_kind:     global_buffer
      - .actual_access:  read_only
        .address_space:  global
        .offset:         112
        .size:           8
        .value_kind:     global_buffer
      - .offset:         120
        .size:           4
        .value_kind:     by_value
      - .address_space:  global
        .offset:         128
        .size:           8
        .value_kind:     global_buffer
      - .address_space:  global
        .offset:         136
        .size:           8
        .value_kind:     global_buffer
      - .offset:         144
        .size:           4
        .value_kind:     hidden_block_count_x
      - .offset:         148
        .size:           4
        .value_kind:     hidden_block_count_y
      - .offset:         152
        .size:           4
        .value_kind:     hidden_block_count_z
      - .offset:         156
        .size:           2
        .value_kind:     hidden_group_size_x
      - .offset:         158
        .size:           2
        .value_kind:     hidden_group_size_y
      - .offset:         160
        .size:           2
        .value_kind:     hidden_group_size_z
      - .offset:         162
        .size:           2
        .value_kind:     hidden_remainder_x
      - .offset:         164
        .size:           2
        .value_kind:     hidden_remainder_y
      - .offset:         166
        .size:           2
        .value_kind:     hidden_remainder_z
      - .offset:         184
        .size:           8
        .value_kind:     hidden_global_offset_x
      - .offset:         192
        .size:           8
        .value_kind:     hidden_global_offset_y
      - .offset:         200
        .size:           8
        .value_kind:     hidden_global_offset_z
      - .offset:         208
        .size:           2
        .value_kind:     hidden_grid_dims
      - .offset:         224
        .size:           8
        .value_kind:     hidden_hostcall_buffer
    .group_segment_fixed_size: 0
    .kernarg_segment_align: 8
    .kernarg_segment_size: 400
    .language:       OpenCL C
    .language_version:
      - 2
      - 0
    .max_flat_workgroup_size: 256
    .name:           _Z38paged_attention_ll4mi_QKV_mfma4_kernelI14__hip_bfloat16S0_LN4vllm18Fp8KVCacheDataTypeE0EhLi16ELi64ELi256ELb0ELi2EEvPKT_PKT0_S8_ifPKiSA_SA_iPKfiiiPfSD_PS3_PT2_iSC_SC_
    .private_segment_fixed_size: 64
    .sgpr_count:     36
    .sgpr_spill_count: 0
    .symbol:         _Z38paged_attention_ll4mi_QKV_mfma4_kernelI14__hip_bfloat16S0_LN4vllm18Fp8KVCacheDataTypeE0EhLi16ELi64ELi256ELb0ELi2EEvPKT_PKT0_S8_ifPKiSA_SA_iPKfiiiPfSD_PS3_PT2_iSC_SC_.kd
    .uniform_work_group_size: 1
    .uses_dynamic_stack: false
    .vgpr_count:     51
    .vgpr_spill_count: 0
    .wavefront_size: 32
  - .args:
      - .actual_access:  read_only
        .address_space:  global
        .offset:         0
        .size:           8
        .value_kind:     global_buffer
      - .actual_access:  read_only
        .address_space:  global
        .offset:         8
        .size:           8
        .value_kind:     global_buffer
      - .actual_access:  read_only
        .address_space:  global
        .offset:         16
        .size:           8
        .value_kind:     global_buffer
      - .offset:         24
        .size:           4
        .value_kind:     by_value
      - .offset:         28
        .size:           4
        .value_kind:     by_value
      - .actual_access:  read_only
        .address_space:  global
        .offset:         32
        .size:           8
        .value_kind:     global_buffer
      - .actual_access:  read_only
        .address_space:  global
        .offset:         40
        .size:           8
        .value_kind:     global_buffer
      - .actual_access:  read_only
        .address_space:  global
        .offset:         48
        .size:           8
        .value_kind:     global_buffer
      - .offset:         56
        .size:           4
        .value_kind:     by_value
      - .actual_access:  read_only
        .address_space:  global
        .offset:         64
        .size:           8
        .value_kind:     global_buffer
      - .offset:         72
        .size:           4
        .value_kind:     by_value
      - .offset:         76
        .size:           4
        .value_kind:     by_value
      - .offset:         80
        .size:           4
        .value_kind:     by_value
      - .actual_access:  read_only
        .address_space:  global
        .offset:         88
        .size:           8
        .value_kind:     global_buffer
      - .actual_access:  read_only
        .address_space:  global
        .offset:         96
        .size:           8
        .value_kind:     global_buffer
      - .actual_access:  read_only
        .address_space:  global
        .offset:         104
        .size:           8
        .value_kind:     global_buffer
      - .actual_access:  read_only
        .address_space:  global
        .offset:         112
        .size:           8
        .value_kind:     global_buffer
      - .offset:         120
        .size:           4
        .value_kind:     by_value
      - .address_space:  global
        .offset:         128
        .size:           8
        .value_kind:     global_buffer
      - .address_space:  global
        .offset:         136
        .size:           8
        .value_kind:     global_buffer
      - .offset:         144
        .size:           4
        .value_kind:     hidden_block_count_x
      - .offset:         148
        .size:           4
        .value_kind:     hidden_block_count_y
      - .offset:         152
        .size:           4
        .value_kind:     hidden_block_count_z
      - .offset:         156
        .size:           2
        .value_kind:     hidden_group_size_x
      - .offset:         158
        .size:           2
        .value_kind:     hidden_group_size_y
      - .offset:         160
        .size:           2
        .value_kind:     hidden_group_size_z
      - .offset:         162
        .size:           2
        .value_kind:     hidden_remainder_x
      - .offset:         164
        .size:           2
        .value_kind:     hidden_remainder_y
      - .offset:         166
        .size:           2
        .value_kind:     hidden_remainder_z
      - .offset:         184
        .size:           8
        .value_kind:     hidden_global_offset_x
      - .offset:         192
        .size:           8
        .value_kind:     hidden_global_offset_y
      - .offset:         200
        .size:           8
        .value_kind:     hidden_global_offset_z
      - .offset:         208
        .size:           2
        .value_kind:     hidden_grid_dims
      - .offset:         224
        .size:           8
        .value_kind:     hidden_hostcall_buffer
    .group_segment_fixed_size: 0
    .kernarg_segment_align: 8
    .kernarg_segment_size: 400
    .language:       OpenCL C
    .language_version:
      - 2
      - 0
    .max_flat_workgroup_size: 256
    .name:           _Z38paged_attention_ll4mi_QKV_mfma4_kernelI14__hip_bfloat16S0_LN4vllm18Fp8KVCacheDataTypeE0EhLi16ELi64ELi256ELb0ELi3EEvPKT_PKT0_S8_ifPKiSA_SA_iPKfiiiPfSD_PS3_PT2_iSC_SC_
    .private_segment_fixed_size: 64
    .sgpr_count:     36
    .sgpr_spill_count: 0
    .symbol:         _Z38paged_attention_ll4mi_QKV_mfma4_kernelI14__hip_bfloat16S0_LN4vllm18Fp8KVCacheDataTypeE0EhLi16ELi64ELi256ELb0ELi3EEvPKT_PKT0_S8_ifPKiSA_SA_iPKfiiiPfSD_PS3_PT2_iSC_SC_.kd
    .uniform_work_group_size: 1
    .uses_dynamic_stack: false
    .vgpr_count:     51
    .vgpr_spill_count: 0
    .wavefront_size: 32
  - .args:
      - .actual_access:  read_only
        .address_space:  global
        .offset:         0
        .size:           8
        .value_kind:     global_buffer
      - .actual_access:  read_only
        .address_space:  global
        .offset:         8
        .size:           8
        .value_kind:     global_buffer
      - .actual_access:  read_only
        .address_space:  global
        .offset:         16
        .size:           8
        .value_kind:     global_buffer
      - .offset:         24
        .size:           4
        .value_kind:     by_value
      - .offset:         28
        .size:           4
        .value_kind:     by_value
      - .actual_access:  read_only
        .address_space:  global
        .offset:         32
        .size:           8
        .value_kind:     global_buffer
      - .actual_access:  read_only
        .address_space:  global
        .offset:         40
        .size:           8
        .value_kind:     global_buffer
      - .actual_access:  read_only
        .address_space:  global
        .offset:         48
        .size:           8
        .value_kind:     global_buffer
      - .offset:         56
        .size:           4
        .value_kind:     by_value
      - .actual_access:  read_only
        .address_space:  global
        .offset:         64
        .size:           8
        .value_kind:     global_buffer
      - .offset:         72
        .size:           4
        .value_kind:     by_value
      - .offset:         76
        .size:           4
        .value_kind:     by_value
      - .offset:         80
        .size:           4
        .value_kind:     by_value
      - .actual_access:  read_only
        .address_space:  global
        .offset:         88
        .size:           8
        .value_kind:     global_buffer
      - .actual_access:  read_only
        .address_space:  global
        .offset:         96
        .size:           8
        .value_kind:     global_buffer
      - .actual_access:  read_only
        .address_space:  global
        .offset:         104
        .size:           8
        .value_kind:     global_buffer
      - .actual_access:  read_only
        .address_space:  global
        .offset:         112
        .size:           8
        .value_kind:     global_buffer
      - .offset:         120
        .size:           4
        .value_kind:     by_value
      - .address_space:  global
        .offset:         128
        .size:           8
        .value_kind:     global_buffer
      - .address_space:  global
        .offset:         136
        .size:           8
        .value_kind:     global_buffer
      - .offset:         144
        .size:           4
        .value_kind:     hidden_block_count_x
      - .offset:         148
        .size:           4
        .value_kind:     hidden_block_count_y
      - .offset:         152
        .size:           4
        .value_kind:     hidden_block_count_z
      - .offset:         156
        .size:           2
        .value_kind:     hidden_group_size_x
      - .offset:         158
        .size:           2
        .value_kind:     hidden_group_size_y
      - .offset:         160
        .size:           2
        .value_kind:     hidden_group_size_z
      - .offset:         162
        .size:           2
        .value_kind:     hidden_remainder_x
      - .offset:         164
        .size:           2
        .value_kind:     hidden_remainder_y
      - .offset:         166
        .size:           2
        .value_kind:     hidden_remainder_z
      - .offset:         184
        .size:           8
        .value_kind:     hidden_global_offset_x
      - .offset:         192
        .size:           8
        .value_kind:     hidden_global_offset_y
      - .offset:         200
        .size:           8
        .value_kind:     hidden_global_offset_z
      - .offset:         208
        .size:           2
        .value_kind:     hidden_grid_dims
      - .offset:         224
        .size:           8
        .value_kind:     hidden_hostcall_buffer
    .group_segment_fixed_size: 0
    .kernarg_segment_align: 8
    .kernarg_segment_size: 400
    .language:       OpenCL C
    .language_version:
      - 2
      - 0
    .max_flat_workgroup_size: 256
    .name:           _Z38paged_attention_ll4mi_QKV_mfma4_kernelI14__hip_bfloat16S0_LN4vllm18Fp8KVCacheDataTypeE0EhLi16ELi64ELi256ELb0ELi4EEvPKT_PKT0_S8_ifPKiSA_SA_iPKfiiiPfSD_PS3_PT2_iSC_SC_
    .private_segment_fixed_size: 64
    .sgpr_count:     36
    .sgpr_spill_count: 0
    .symbol:         _Z38paged_attention_ll4mi_QKV_mfma4_kernelI14__hip_bfloat16S0_LN4vllm18Fp8KVCacheDataTypeE0EhLi16ELi64ELi256ELb0ELi4EEvPKT_PKT0_S8_ifPKiSA_SA_iPKfiiiPfSD_PS3_PT2_iSC_SC_.kd
    .uniform_work_group_size: 1
    .uses_dynamic_stack: false
    .vgpr_count:     51
    .vgpr_spill_count: 0
    .wavefront_size: 32
  - .args:
      - .actual_access:  read_only
        .address_space:  global
        .offset:         0
        .size:           8
        .value_kind:     global_buffer
      - .actual_access:  read_only
        .address_space:  global
        .offset:         8
        .size:           8
        .value_kind:     global_buffer
      - .actual_access:  read_only
        .address_space:  global
        .offset:         16
        .size:           8
        .value_kind:     global_buffer
      - .offset:         24
        .size:           4
        .value_kind:     by_value
      - .offset:         28
        .size:           4
        .value_kind:     by_value
      - .actual_access:  read_only
        .address_space:  global
        .offset:         32
        .size:           8
        .value_kind:     global_buffer
      - .actual_access:  read_only
        .address_space:  global
        .offset:         40
        .size:           8
        .value_kind:     global_buffer
      - .actual_access:  read_only
        .address_space:  global
        .offset:         48
        .size:           8
        .value_kind:     global_buffer
      - .offset:         56
        .size:           4
        .value_kind:     by_value
      - .actual_access:  read_only
        .address_space:  global
        .offset:         64
        .size:           8
        .value_kind:     global_buffer
      - .offset:         72
        .size:           4
        .value_kind:     by_value
      - .offset:         76
        .size:           4
        .value_kind:     by_value
      - .offset:         80
        .size:           4
        .value_kind:     by_value
      - .actual_access:  read_only
        .address_space:  global
        .offset:         88
        .size:           8
        .value_kind:     global_buffer
      - .actual_access:  read_only
        .address_space:  global
        .offset:         96
        .size:           8
        .value_kind:     global_buffer
      - .actual_access:  read_only
        .address_space:  global
        .offset:         104
        .size:           8
        .value_kind:     global_buffer
      - .actual_access:  read_only
        .address_space:  global
        .offset:         112
        .size:           8
        .value_kind:     global_buffer
      - .offset:         120
        .size:           4
        .value_kind:     by_value
      - .address_space:  global
        .offset:         128
        .size:           8
        .value_kind:     global_buffer
      - .address_space:  global
        .offset:         136
        .size:           8
        .value_kind:     global_buffer
      - .offset:         144
        .size:           4
        .value_kind:     hidden_block_count_x
      - .offset:         148
        .size:           4
        .value_kind:     hidden_block_count_y
      - .offset:         152
        .size:           4
        .value_kind:     hidden_block_count_z
      - .offset:         156
        .size:           2
        .value_kind:     hidden_group_size_x
      - .offset:         158
        .size:           2
        .value_kind:     hidden_group_size_y
      - .offset:         160
        .size:           2
        .value_kind:     hidden_group_size_z
      - .offset:         162
        .size:           2
        .value_kind:     hidden_remainder_x
      - .offset:         164
        .size:           2
        .value_kind:     hidden_remainder_y
      - .offset:         166
        .size:           2
        .value_kind:     hidden_remainder_z
      - .offset:         184
        .size:           8
        .value_kind:     hidden_global_offset_x
      - .offset:         192
        .size:           8
        .value_kind:     hidden_global_offset_y
      - .offset:         200
        .size:           8
        .value_kind:     hidden_global_offset_z
      - .offset:         208
        .size:           2
        .value_kind:     hidden_grid_dims
      - .offset:         224
        .size:           8
        .value_kind:     hidden_hostcall_buffer
    .group_segment_fixed_size: 0
    .kernarg_segment_align: 8
    .kernarg_segment_size: 400
    .language:       OpenCL C
    .language_version:
      - 2
      - 0
    .max_flat_workgroup_size: 256
    .name:           _Z39paged_attention_ll4mi_QKV_mfma16_kernelI14__hip_bfloat16S0_LN4vllm18Fp8KVCacheDataTypeE0EhLi16ELi64ELi256ELb0ELi5EEvPKT_PKT0_S8_ifPKiSA_SA_iPKfiiiPfSD_PS3_PT2_iSC_SC_
    .private_segment_fixed_size: 64
    .sgpr_count:     36
    .sgpr_spill_count: 0
    .symbol:         _Z39paged_attention_ll4mi_QKV_mfma16_kernelI14__hip_bfloat16S0_LN4vllm18Fp8KVCacheDataTypeE0EhLi16ELi64ELi256ELb0ELi5EEvPKT_PKT0_S8_ifPKiSA_SA_iPKfiiiPfSD_PS3_PT2_iSC_SC_.kd
    .uniform_work_group_size: 1
    .uses_dynamic_stack: false
    .vgpr_count:     51
    .vgpr_spill_count: 0
    .wavefront_size: 32
  - .args:
      - .actual_access:  read_only
        .address_space:  global
        .offset:         0
        .size:           8
        .value_kind:     global_buffer
      - .actual_access:  read_only
        .address_space:  global
        .offset:         8
        .size:           8
        .value_kind:     global_buffer
      - .actual_access:  read_only
        .address_space:  global
        .offset:         16
        .size:           8
        .value_kind:     global_buffer
      - .offset:         24
        .size:           4
        .value_kind:     by_value
      - .offset:         28
        .size:           4
        .value_kind:     by_value
      - .actual_access:  read_only
        .address_space:  global
        .offset:         32
        .size:           8
        .value_kind:     global_buffer
      - .actual_access:  read_only
        .address_space:  global
        .offset:         40
        .size:           8
        .value_kind:     global_buffer
      - .actual_access:  read_only
        .address_space:  global
        .offset:         48
        .size:           8
        .value_kind:     global_buffer
      - .offset:         56
        .size:           4
        .value_kind:     by_value
      - .actual_access:  read_only
        .address_space:  global
        .offset:         64
        .size:           8
        .value_kind:     global_buffer
      - .offset:         72
        .size:           4
        .value_kind:     by_value
      - .offset:         76
        .size:           4
        .value_kind:     by_value
      - .offset:         80
        .size:           4
        .value_kind:     by_value
      - .actual_access:  read_only
        .address_space:  global
        .offset:         88
        .size:           8
        .value_kind:     global_buffer
      - .actual_access:  read_only
        .address_space:  global
        .offset:         96
        .size:           8
        .value_kind:     global_buffer
      - .actual_access:  read_only
        .address_space:  global
        .offset:         104
        .size:           8
        .value_kind:     global_buffer
      - .actual_access:  read_only
        .address_space:  global
        .offset:         112
        .size:           8
        .value_kind:     global_buffer
      - .offset:         120
        .size:           4
        .value_kind:     by_value
      - .address_space:  global
        .offset:         128
        .size:           8
        .value_kind:     global_buffer
      - .address_space:  global
        .offset:         136
        .size:           8
        .value_kind:     global_buffer
      - .offset:         144
        .size:           4
        .value_kind:     hidden_block_count_x
      - .offset:         148
        .size:           4
        .value_kind:     hidden_block_count_y
      - .offset:         152
        .size:           4
        .value_kind:     hidden_block_count_z
      - .offset:         156
        .size:           2
        .value_kind:     hidden_group_size_x
      - .offset:         158
        .size:           2
        .value_kind:     hidden_group_size_y
      - .offset:         160
        .size:           2
        .value_kind:     hidden_group_size_z
      - .offset:         162
        .size:           2
        .value_kind:     hidden_remainder_x
      - .offset:         164
        .size:           2
        .value_kind:     hidden_remainder_y
      - .offset:         166
        .size:           2
        .value_kind:     hidden_remainder_z
      - .offset:         184
        .size:           8
        .value_kind:     hidden_global_offset_x
      - .offset:         192
        .size:           8
        .value_kind:     hidden_global_offset_y
      - .offset:         200
        .size:           8
        .value_kind:     hidden_global_offset_z
      - .offset:         208
        .size:           2
        .value_kind:     hidden_grid_dims
      - .offset:         224
        .size:           8
        .value_kind:     hidden_hostcall_buffer
    .group_segment_fixed_size: 0
    .kernarg_segment_align: 8
    .kernarg_segment_size: 400
    .language:       OpenCL C
    .language_version:
      - 2
      - 0
    .max_flat_workgroup_size: 256
    .name:           _Z39paged_attention_ll4mi_QKV_mfma16_kernelI14__hip_bfloat16S0_LN4vllm18Fp8KVCacheDataTypeE0EhLi16ELi64ELi256ELb0ELi6EEvPKT_PKT0_S8_ifPKiSA_SA_iPKfiiiPfSD_PS3_PT2_iSC_SC_
    .private_segment_fixed_size: 64
    .sgpr_count:     36
    .sgpr_spill_count: 0
    .symbol:         _Z39paged_attention_ll4mi_QKV_mfma16_kernelI14__hip_bfloat16S0_LN4vllm18Fp8KVCacheDataTypeE0EhLi16ELi64ELi256ELb0ELi6EEvPKT_PKT0_S8_ifPKiSA_SA_iPKfiiiPfSD_PS3_PT2_iSC_SC_.kd
    .uniform_work_group_size: 1
    .uses_dynamic_stack: false
    .vgpr_count:     51
    .vgpr_spill_count: 0
    .wavefront_size: 32
  - .args:
      - .actual_access:  read_only
        .address_space:  global
        .offset:         0
        .size:           8
        .value_kind:     global_buffer
      - .actual_access:  read_only
        .address_space:  global
        .offset:         8
        .size:           8
        .value_kind:     global_buffer
      - .actual_access:  read_only
        .address_space:  global
        .offset:         16
        .size:           8
        .value_kind:     global_buffer
      - .offset:         24
        .size:           4
        .value_kind:     by_value
      - .offset:         28
        .size:           4
        .value_kind:     by_value
      - .actual_access:  read_only
        .address_space:  global
        .offset:         32
        .size:           8
        .value_kind:     global_buffer
      - .actual_access:  read_only
        .address_space:  global
        .offset:         40
        .size:           8
        .value_kind:     global_buffer
      - .actual_access:  read_only
        .address_space:  global
        .offset:         48
        .size:           8
        .value_kind:     global_buffer
      - .offset:         56
        .size:           4
        .value_kind:     by_value
      - .actual_access:  read_only
        .address_space:  global
        .offset:         64
        .size:           8
        .value_kind:     global_buffer
      - .offset:         72
        .size:           4
        .value_kind:     by_value
      - .offset:         76
        .size:           4
        .value_kind:     by_value
      - .offset:         80
        .size:           4
        .value_kind:     by_value
      - .actual_access:  read_only
        .address_space:  global
        .offset:         88
        .size:           8
        .value_kind:     global_buffer
      - .actual_access:  read_only
        .address_space:  global
        .offset:         96
        .size:           8
        .value_kind:     global_buffer
      - .actual_access:  read_only
        .address_space:  global
        .offset:         104
        .size:           8
        .value_kind:     global_buffer
      - .actual_access:  read_only
        .address_space:  global
        .offset:         112
        .size:           8
        .value_kind:     global_buffer
      - .offset:         120
        .size:           4
        .value_kind:     by_value
      - .address_space:  global
        .offset:         128
        .size:           8
        .value_kind:     global_buffer
      - .address_space:  global
        .offset:         136
        .size:           8
        .value_kind:     global_buffer
      - .offset:         144
        .size:           4
        .value_kind:     hidden_block_count_x
      - .offset:         148
        .size:           4
        .value_kind:     hidden_block_count_y
      - .offset:         152
        .size:           4
        .value_kind:     hidden_block_count_z
      - .offset:         156
        .size:           2
        .value_kind:     hidden_group_size_x
      - .offset:         158
        .size:           2
        .value_kind:     hidden_group_size_y
      - .offset:         160
        .size:           2
        .value_kind:     hidden_group_size_z
      - .offset:         162
        .size:           2
        .value_kind:     hidden_remainder_x
      - .offset:         164
        .size:           2
        .value_kind:     hidden_remainder_y
      - .offset:         166
        .size:           2
        .value_kind:     hidden_remainder_z
      - .offset:         184
        .size:           8
        .value_kind:     hidden_global_offset_x
      - .offset:         192
        .size:           8
        .value_kind:     hidden_global_offset_y
      - .offset:         200
        .size:           8
        .value_kind:     hidden_global_offset_z
      - .offset:         208
        .size:           2
        .value_kind:     hidden_grid_dims
      - .offset:         224
        .size:           8
        .value_kind:     hidden_hostcall_buffer
    .group_segment_fixed_size: 0
    .kernarg_segment_align: 8
    .kernarg_segment_size: 400
    .language:       OpenCL C
    .language_version:
      - 2
      - 0
    .max_flat_workgroup_size: 256
    .name:           _Z39paged_attention_ll4mi_QKV_mfma16_kernelI14__hip_bfloat16S0_LN4vllm18Fp8KVCacheDataTypeE0EhLi16ELi64ELi256ELb0ELi7EEvPKT_PKT0_S8_ifPKiSA_SA_iPKfiiiPfSD_PS3_PT2_iSC_SC_
    .private_segment_fixed_size: 64
    .sgpr_count:     36
    .sgpr_spill_count: 0
    .symbol:         _Z39paged_attention_ll4mi_QKV_mfma16_kernelI14__hip_bfloat16S0_LN4vllm18Fp8KVCacheDataTypeE0EhLi16ELi64ELi256ELb0ELi7EEvPKT_PKT0_S8_ifPKiSA_SA_iPKfiiiPfSD_PS3_PT2_iSC_SC_.kd
    .uniform_work_group_size: 1
    .uses_dynamic_stack: false
    .vgpr_count:     51
    .vgpr_spill_count: 0
    .wavefront_size: 32
  - .args:
      - .actual_access:  read_only
        .address_space:  global
        .offset:         0
        .size:           8
        .value_kind:     global_buffer
      - .actual_access:  read_only
        .address_space:  global
        .offset:         8
        .size:           8
        .value_kind:     global_buffer
      - .actual_access:  read_only
        .address_space:  global
        .offset:         16
        .size:           8
        .value_kind:     global_buffer
      - .offset:         24
        .size:           4
        .value_kind:     by_value
      - .offset:         28
        .size:           4
        .value_kind:     by_value
      - .actual_access:  read_only
        .address_space:  global
        .offset:         32
        .size:           8
        .value_kind:     global_buffer
      - .actual_access:  read_only
        .address_space:  global
        .offset:         40
        .size:           8
        .value_kind:     global_buffer
      - .actual_access:  read_only
        .address_space:  global
        .offset:         48
        .size:           8
        .value_kind:     global_buffer
      - .offset:         56
        .size:           4
        .value_kind:     by_value
      - .actual_access:  read_only
        .address_space:  global
        .offset:         64
        .size:           8
        .value_kind:     global_buffer
      - .offset:         72
        .size:           4
        .value_kind:     by_value
      - .offset:         76
        .size:           4
        .value_kind:     by_value
      - .offset:         80
        .size:           4
        .value_kind:     by_value
      - .actual_access:  read_only
        .address_space:  global
        .offset:         88
        .size:           8
        .value_kind:     global_buffer
      - .actual_access:  read_only
        .address_space:  global
        .offset:         96
        .size:           8
        .value_kind:     global_buffer
      - .actual_access:  read_only
        .address_space:  global
        .offset:         104
        .size:           8
        .value_kind:     global_buffer
      - .actual_access:  read_only
        .address_space:  global
        .offset:         112
        .size:           8
        .value_kind:     global_buffer
      - .offset:         120
        .size:           4
        .value_kind:     by_value
      - .address_space:  global
        .offset:         128
        .size:           8
        .value_kind:     global_buffer
      - .address_space:  global
        .offset:         136
        .size:           8
        .value_kind:     global_buffer
      - .offset:         144
        .size:           4
        .value_kind:     hidden_block_count_x
      - .offset:         148
        .size:           4
        .value_kind:     hidden_block_count_y
      - .offset:         152
        .size:           4
        .value_kind:     hidden_block_count_z
      - .offset:         156
        .size:           2
        .value_kind:     hidden_group_size_x
      - .offset:         158
        .size:           2
        .value_kind:     hidden_group_size_y
      - .offset:         160
        .size:           2
        .value_kind:     hidden_group_size_z
      - .offset:         162
        .size:           2
        .value_kind:     hidden_remainder_x
      - .offset:         164
        .size:           2
        .value_kind:     hidden_remainder_y
      - .offset:         166
        .size:           2
        .value_kind:     hidden_remainder_z
      - .offset:         184
        .size:           8
        .value_kind:     hidden_global_offset_x
      - .offset:         192
        .size:           8
        .value_kind:     hidden_global_offset_y
      - .offset:         200
        .size:           8
        .value_kind:     hidden_global_offset_z
      - .offset:         208
        .size:           2
        .value_kind:     hidden_grid_dims
      - .offset:         224
        .size:           8
        .value_kind:     hidden_hostcall_buffer
    .group_segment_fixed_size: 0
    .kernarg_segment_align: 8
    .kernarg_segment_size: 400
    .language:       OpenCL C
    .language_version:
      - 2
      - 0
    .max_flat_workgroup_size: 256
    .name:           _Z39paged_attention_ll4mi_QKV_mfma16_kernelI14__hip_bfloat16S0_LN4vllm18Fp8KVCacheDataTypeE0EhLi16ELi64ELi256ELb0ELi8EEvPKT_PKT0_S8_ifPKiSA_SA_iPKfiiiPfSD_PS3_PT2_iSC_SC_
    .private_segment_fixed_size: 64
    .sgpr_count:     36
    .sgpr_spill_count: 0
    .symbol:         _Z39paged_attention_ll4mi_QKV_mfma16_kernelI14__hip_bfloat16S0_LN4vllm18Fp8KVCacheDataTypeE0EhLi16ELi64ELi256ELb0ELi8EEvPKT_PKT0_S8_ifPKiSA_SA_iPKfiiiPfSD_PS3_PT2_iSC_SC_.kd
    .uniform_work_group_size: 1
    .uses_dynamic_stack: false
    .vgpr_count:     51
    .vgpr_spill_count: 0
    .wavefront_size: 32
  - .args:
      - .actual_access:  read_only
        .address_space:  global
        .offset:         0
        .size:           8
        .value_kind:     global_buffer
      - .actual_access:  read_only
        .address_space:  global
        .offset:         8
        .size:           8
        .value_kind:     global_buffer
      - .actual_access:  read_only
        .address_space:  global
        .offset:         16
        .size:           8
        .value_kind:     global_buffer
      - .offset:         24
        .size:           4
        .value_kind:     by_value
      - .offset:         28
        .size:           4
        .value_kind:     by_value
      - .actual_access:  read_only
        .address_space:  global
        .offset:         32
        .size:           8
        .value_kind:     global_buffer
      - .actual_access:  read_only
        .address_space:  global
        .offset:         40
        .size:           8
        .value_kind:     global_buffer
      - .actual_access:  read_only
        .address_space:  global
        .offset:         48
        .size:           8
        .value_kind:     global_buffer
      - .offset:         56
        .size:           4
        .value_kind:     by_value
      - .actual_access:  read_only
        .address_space:  global
        .offset:         64
        .size:           8
        .value_kind:     global_buffer
      - .offset:         72
        .size:           4
        .value_kind:     by_value
      - .offset:         76
        .size:           4
        .value_kind:     by_value
      - .offset:         80
        .size:           4
        .value_kind:     by_value
      - .actual_access:  read_only
        .address_space:  global
        .offset:         88
        .size:           8
        .value_kind:     global_buffer
      - .actual_access:  read_only
        .address_space:  global
        .offset:         96
        .size:           8
        .value_kind:     global_buffer
      - .actual_access:  read_only
        .address_space:  global
        .offset:         104
        .size:           8
        .value_kind:     global_buffer
      - .actual_access:  read_only
        .address_space:  global
        .offset:         112
        .size:           8
        .value_kind:     global_buffer
      - .offset:         120
        .size:           4
        .value_kind:     by_value
      - .address_space:  global
        .offset:         128
        .size:           8
        .value_kind:     global_buffer
      - .address_space:  global
        .offset:         136
        .size:           8
        .value_kind:     global_buffer
      - .offset:         144
        .size:           4
        .value_kind:     hidden_block_count_x
      - .offset:         148
        .size:           4
        .value_kind:     hidden_block_count_y
      - .offset:         152
        .size:           4
        .value_kind:     hidden_block_count_z
      - .offset:         156
        .size:           2
        .value_kind:     hidden_group_size_x
      - .offset:         158
        .size:           2
        .value_kind:     hidden_group_size_y
      - .offset:         160
        .size:           2
        .value_kind:     hidden_group_size_z
      - .offset:         162
        .size:           2
        .value_kind:     hidden_remainder_x
      - .offset:         164
        .size:           2
        .value_kind:     hidden_remainder_y
      - .offset:         166
        .size:           2
        .value_kind:     hidden_remainder_z
      - .offset:         184
        .size:           8
        .value_kind:     hidden_global_offset_x
      - .offset:         192
        .size:           8
        .value_kind:     hidden_global_offset_y
      - .offset:         200
        .size:           8
        .value_kind:     hidden_global_offset_z
      - .offset:         208
        .size:           2
        .value_kind:     hidden_grid_dims
      - .offset:         224
        .size:           8
        .value_kind:     hidden_hostcall_buffer
    .group_segment_fixed_size: 0
    .kernarg_segment_align: 8
    .kernarg_segment_size: 400
    .language:       OpenCL C
    .language_version:
      - 2
      - 0
    .max_flat_workgroup_size: 256
    .name:           _Z39paged_attention_ll4mi_QKV_mfma16_kernelI14__hip_bfloat16S0_LN4vllm18Fp8KVCacheDataTypeE0EhLi16ELi64ELi256ELb0ELi9EEvPKT_PKT0_S8_ifPKiSA_SA_iPKfiiiPfSD_PS3_PT2_iSC_SC_
    .private_segment_fixed_size: 64
    .sgpr_count:     36
    .sgpr_spill_count: 0
    .symbol:         _Z39paged_attention_ll4mi_QKV_mfma16_kernelI14__hip_bfloat16S0_LN4vllm18Fp8KVCacheDataTypeE0EhLi16ELi64ELi256ELb0ELi9EEvPKT_PKT0_S8_ifPKiSA_SA_iPKfiiiPfSD_PS3_PT2_iSC_SC_.kd
    .uniform_work_group_size: 1
    .uses_dynamic_stack: false
    .vgpr_count:     51
    .vgpr_spill_count: 0
    .wavefront_size: 32
  - .args:
      - .actual_access:  read_only
        .address_space:  global
        .offset:         0
        .size:           8
        .value_kind:     global_buffer
      - .actual_access:  read_only
        .address_space:  global
        .offset:         8
        .size:           8
        .value_kind:     global_buffer
      - .actual_access:  read_only
        .address_space:  global
        .offset:         16
        .size:           8
        .value_kind:     global_buffer
      - .offset:         24
        .size:           4
        .value_kind:     by_value
      - .offset:         28
        .size:           4
        .value_kind:     by_value
      - .actual_access:  read_only
        .address_space:  global
        .offset:         32
        .size:           8
        .value_kind:     global_buffer
      - .actual_access:  read_only
        .address_space:  global
        .offset:         40
        .size:           8
        .value_kind:     global_buffer
      - .actual_access:  read_only
        .address_space:  global
        .offset:         48
        .size:           8
        .value_kind:     global_buffer
      - .offset:         56
        .size:           4
        .value_kind:     by_value
      - .actual_access:  read_only
        .address_space:  global
        .offset:         64
        .size:           8
        .value_kind:     global_buffer
      - .offset:         72
        .size:           4
        .value_kind:     by_value
      - .offset:         76
        .size:           4
        .value_kind:     by_value
      - .offset:         80
        .size:           4
        .value_kind:     by_value
      - .actual_access:  read_only
        .address_space:  global
        .offset:         88
        .size:           8
        .value_kind:     global_buffer
      - .actual_access:  read_only
        .address_space:  global
        .offset:         96
        .size:           8
        .value_kind:     global_buffer
      - .actual_access:  read_only
        .address_space:  global
        .offset:         104
        .size:           8
        .value_kind:     global_buffer
      - .actual_access:  read_only
        .address_space:  global
        .offset:         112
        .size:           8
        .value_kind:     global_buffer
      - .offset:         120
        .size:           4
        .value_kind:     by_value
      - .address_space:  global
        .offset:         128
        .size:           8
        .value_kind:     global_buffer
      - .address_space:  global
        .offset:         136
        .size:           8
        .value_kind:     global_buffer
      - .offset:         144
        .size:           4
        .value_kind:     hidden_block_count_x
      - .offset:         148
        .size:           4
        .value_kind:     hidden_block_count_y
      - .offset:         152
        .size:           4
        .value_kind:     hidden_block_count_z
      - .offset:         156
        .size:           2
        .value_kind:     hidden_group_size_x
      - .offset:         158
        .size:           2
        .value_kind:     hidden_group_size_y
      - .offset:         160
        .size:           2
        .value_kind:     hidden_group_size_z
      - .offset:         162
        .size:           2
        .value_kind:     hidden_remainder_x
      - .offset:         164
        .size:           2
        .value_kind:     hidden_remainder_y
      - .offset:         166
        .size:           2
        .value_kind:     hidden_remainder_z
      - .offset:         184
        .size:           8
        .value_kind:     hidden_global_offset_x
      - .offset:         192
        .size:           8
        .value_kind:     hidden_global_offset_y
      - .offset:         200
        .size:           8
        .value_kind:     hidden_global_offset_z
      - .offset:         208
        .size:           2
        .value_kind:     hidden_grid_dims
      - .offset:         224
        .size:           8
        .value_kind:     hidden_hostcall_buffer
    .group_segment_fixed_size: 0
    .kernarg_segment_align: 8
    .kernarg_segment_size: 400
    .language:       OpenCL C
    .language_version:
      - 2
      - 0
    .max_flat_workgroup_size: 256
    .name:           _Z39paged_attention_ll4mi_QKV_mfma16_kernelI14__hip_bfloat16S0_LN4vllm18Fp8KVCacheDataTypeE0EhLi16ELi64ELi256ELb0ELi10EEvPKT_PKT0_S8_ifPKiSA_SA_iPKfiiiPfSD_PS3_PT2_iSC_SC_
    .private_segment_fixed_size: 64
    .sgpr_count:     36
    .sgpr_spill_count: 0
    .symbol:         _Z39paged_attention_ll4mi_QKV_mfma16_kernelI14__hip_bfloat16S0_LN4vllm18Fp8KVCacheDataTypeE0EhLi16ELi64ELi256ELb0ELi10EEvPKT_PKT0_S8_ifPKiSA_SA_iPKfiiiPfSD_PS3_PT2_iSC_SC_.kd
    .uniform_work_group_size: 1
    .uses_dynamic_stack: false
    .vgpr_count:     51
    .vgpr_spill_count: 0
    .wavefront_size: 32
  - .args:
      - .actual_access:  read_only
        .address_space:  global
        .offset:         0
        .size:           8
        .value_kind:     global_buffer
      - .actual_access:  read_only
        .address_space:  global
        .offset:         8
        .size:           8
        .value_kind:     global_buffer
      - .actual_access:  read_only
        .address_space:  global
        .offset:         16
        .size:           8
        .value_kind:     global_buffer
      - .offset:         24
        .size:           4
        .value_kind:     by_value
      - .offset:         28
        .size:           4
        .value_kind:     by_value
      - .actual_access:  read_only
        .address_space:  global
        .offset:         32
        .size:           8
        .value_kind:     global_buffer
      - .actual_access:  read_only
        .address_space:  global
        .offset:         40
        .size:           8
        .value_kind:     global_buffer
      - .actual_access:  read_only
        .address_space:  global
        .offset:         48
        .size:           8
        .value_kind:     global_buffer
      - .offset:         56
        .size:           4
        .value_kind:     by_value
      - .actual_access:  read_only
        .address_space:  global
        .offset:         64
        .size:           8
        .value_kind:     global_buffer
      - .offset:         72
        .size:           4
        .value_kind:     by_value
      - .offset:         76
        .size:           4
        .value_kind:     by_value
      - .offset:         80
        .size:           4
        .value_kind:     by_value
      - .actual_access:  read_only
        .address_space:  global
        .offset:         88
        .size:           8
        .value_kind:     global_buffer
      - .actual_access:  read_only
        .address_space:  global
        .offset:         96
        .size:           8
        .value_kind:     global_buffer
      - .actual_access:  read_only
        .address_space:  global
        .offset:         104
        .size:           8
        .value_kind:     global_buffer
      - .actual_access:  read_only
        .address_space:  global
        .offset:         112
        .size:           8
        .value_kind:     global_buffer
      - .offset:         120
        .size:           4
        .value_kind:     by_value
      - .address_space:  global
        .offset:         128
        .size:           8
        .value_kind:     global_buffer
      - .address_space:  global
        .offset:         136
        .size:           8
        .value_kind:     global_buffer
      - .offset:         144
        .size:           4
        .value_kind:     hidden_block_count_x
      - .offset:         148
        .size:           4
        .value_kind:     hidden_block_count_y
      - .offset:         152
        .size:           4
        .value_kind:     hidden_block_count_z
      - .offset:         156
        .size:           2
        .value_kind:     hidden_group_size_x
      - .offset:         158
        .size:           2
        .value_kind:     hidden_group_size_y
      - .offset:         160
        .size:           2
        .value_kind:     hidden_group_size_z
      - .offset:         162
        .size:           2
        .value_kind:     hidden_remainder_x
      - .offset:         164
        .size:           2
        .value_kind:     hidden_remainder_y
      - .offset:         166
        .size:           2
        .value_kind:     hidden_remainder_z
      - .offset:         184
        .size:           8
        .value_kind:     hidden_global_offset_x
      - .offset:         192
        .size:           8
        .value_kind:     hidden_global_offset_y
      - .offset:         200
        .size:           8
        .value_kind:     hidden_global_offset_z
      - .offset:         208
        .size:           2
        .value_kind:     hidden_grid_dims
      - .offset:         224
        .size:           8
        .value_kind:     hidden_hostcall_buffer
    .group_segment_fixed_size: 0
    .kernarg_segment_align: 8
    .kernarg_segment_size: 400
    .language:       OpenCL C
    .language_version:
      - 2
      - 0
    .max_flat_workgroup_size: 256
    .name:           _Z39paged_attention_ll4mi_QKV_mfma16_kernelI14__hip_bfloat16S0_LN4vllm18Fp8KVCacheDataTypeE0EhLi16ELi64ELi256ELb0ELi11EEvPKT_PKT0_S8_ifPKiSA_SA_iPKfiiiPfSD_PS3_PT2_iSC_SC_
    .private_segment_fixed_size: 64
    .sgpr_count:     36
    .sgpr_spill_count: 0
    .symbol:         _Z39paged_attention_ll4mi_QKV_mfma16_kernelI14__hip_bfloat16S0_LN4vllm18Fp8KVCacheDataTypeE0EhLi16ELi64ELi256ELb0ELi11EEvPKT_PKT0_S8_ifPKiSA_SA_iPKfiiiPfSD_PS3_PT2_iSC_SC_.kd
    .uniform_work_group_size: 1
    .uses_dynamic_stack: false
    .vgpr_count:     51
    .vgpr_spill_count: 0
    .wavefront_size: 32
  - .args:
      - .actual_access:  read_only
        .address_space:  global
        .offset:         0
        .size:           8
        .value_kind:     global_buffer
      - .actual_access:  read_only
        .address_space:  global
        .offset:         8
        .size:           8
        .value_kind:     global_buffer
      - .actual_access:  read_only
        .address_space:  global
        .offset:         16
        .size:           8
        .value_kind:     global_buffer
      - .offset:         24
        .size:           4
        .value_kind:     by_value
      - .offset:         28
        .size:           4
        .value_kind:     by_value
      - .actual_access:  read_only
        .address_space:  global
        .offset:         32
        .size:           8
        .value_kind:     global_buffer
      - .actual_access:  read_only
        .address_space:  global
        .offset:         40
        .size:           8
        .value_kind:     global_buffer
      - .actual_access:  read_only
        .address_space:  global
        .offset:         48
        .size:           8
        .value_kind:     global_buffer
      - .offset:         56
        .size:           4
        .value_kind:     by_value
      - .actual_access:  read_only
        .address_space:  global
        .offset:         64
        .size:           8
        .value_kind:     global_buffer
      - .offset:         72
        .size:           4
        .value_kind:     by_value
      - .offset:         76
        .size:           4
        .value_kind:     by_value
      - .offset:         80
        .size:           4
        .value_kind:     by_value
      - .actual_access:  read_only
        .address_space:  global
        .offset:         88
        .size:           8
        .value_kind:     global_buffer
      - .actual_access:  read_only
        .address_space:  global
        .offset:         96
        .size:           8
        .value_kind:     global_buffer
      - .actual_access:  read_only
        .address_space:  global
        .offset:         104
        .size:           8
        .value_kind:     global_buffer
      - .actual_access:  read_only
        .address_space:  global
        .offset:         112
        .size:           8
        .value_kind:     global_buffer
      - .offset:         120
        .size:           4
        .value_kind:     by_value
      - .address_space:  global
        .offset:         128
        .size:           8
        .value_kind:     global_buffer
      - .address_space:  global
        .offset:         136
        .size:           8
        .value_kind:     global_buffer
      - .offset:         144
        .size:           4
        .value_kind:     hidden_block_count_x
      - .offset:         148
        .size:           4
        .value_kind:     hidden_block_count_y
      - .offset:         152
        .size:           4
        .value_kind:     hidden_block_count_z
      - .offset:         156
        .size:           2
        .value_kind:     hidden_group_size_x
      - .offset:         158
        .size:           2
        .value_kind:     hidden_group_size_y
      - .offset:         160
        .size:           2
        .value_kind:     hidden_group_size_z
      - .offset:         162
        .size:           2
        .value_kind:     hidden_remainder_x
      - .offset:         164
        .size:           2
        .value_kind:     hidden_remainder_y
      - .offset:         166
        .size:           2
        .value_kind:     hidden_remainder_z
      - .offset:         184
        .size:           8
        .value_kind:     hidden_global_offset_x
      - .offset:         192
        .size:           8
        .value_kind:     hidden_global_offset_y
      - .offset:         200
        .size:           8
        .value_kind:     hidden_global_offset_z
      - .offset:         208
        .size:           2
        .value_kind:     hidden_grid_dims
      - .offset:         224
        .size:           8
        .value_kind:     hidden_hostcall_buffer
    .group_segment_fixed_size: 0
    .kernarg_segment_align: 8
    .kernarg_segment_size: 400
    .language:       OpenCL C
    .language_version:
      - 2
      - 0
    .max_flat_workgroup_size: 256
    .name:           _Z39paged_attention_ll4mi_QKV_mfma16_kernelI14__hip_bfloat16S0_LN4vllm18Fp8KVCacheDataTypeE0EhLi16ELi64ELi256ELb0ELi12EEvPKT_PKT0_S8_ifPKiSA_SA_iPKfiiiPfSD_PS3_PT2_iSC_SC_
    .private_segment_fixed_size: 64
    .sgpr_count:     36
    .sgpr_spill_count: 0
    .symbol:         _Z39paged_attention_ll4mi_QKV_mfma16_kernelI14__hip_bfloat16S0_LN4vllm18Fp8KVCacheDataTypeE0EhLi16ELi64ELi256ELb0ELi12EEvPKT_PKT0_S8_ifPKiSA_SA_iPKfiiiPfSD_PS3_PT2_iSC_SC_.kd
    .uniform_work_group_size: 1
    .uses_dynamic_stack: false
    .vgpr_count:     51
    .vgpr_spill_count: 0
    .wavefront_size: 32
  - .args:
      - .actual_access:  read_only
        .address_space:  global
        .offset:         0
        .size:           8
        .value_kind:     global_buffer
      - .actual_access:  read_only
        .address_space:  global
        .offset:         8
        .size:           8
        .value_kind:     global_buffer
      - .actual_access:  read_only
        .address_space:  global
        .offset:         16
        .size:           8
        .value_kind:     global_buffer
      - .offset:         24
        .size:           4
        .value_kind:     by_value
      - .offset:         28
        .size:           4
        .value_kind:     by_value
      - .actual_access:  read_only
        .address_space:  global
        .offset:         32
        .size:           8
        .value_kind:     global_buffer
      - .actual_access:  read_only
        .address_space:  global
        .offset:         40
        .size:           8
        .value_kind:     global_buffer
      - .actual_access:  read_only
        .address_space:  global
        .offset:         48
        .size:           8
        .value_kind:     global_buffer
      - .offset:         56
        .size:           4
        .value_kind:     by_value
      - .actual_access:  read_only
        .address_space:  global
        .offset:         64
        .size:           8
        .value_kind:     global_buffer
      - .offset:         72
        .size:           4
        .value_kind:     by_value
      - .offset:         76
        .size:           4
        .value_kind:     by_value
      - .offset:         80
        .size:           4
        .value_kind:     by_value
      - .actual_access:  read_only
        .address_space:  global
        .offset:         88
        .size:           8
        .value_kind:     global_buffer
      - .actual_access:  read_only
        .address_space:  global
        .offset:         96
        .size:           8
        .value_kind:     global_buffer
      - .actual_access:  read_only
        .address_space:  global
        .offset:         104
        .size:           8
        .value_kind:     global_buffer
      - .actual_access:  read_only
        .address_space:  global
        .offset:         112
        .size:           8
        .value_kind:     global_buffer
      - .offset:         120
        .size:           4
        .value_kind:     by_value
      - .address_space:  global
        .offset:         128
        .size:           8
        .value_kind:     global_buffer
      - .address_space:  global
        .offset:         136
        .size:           8
        .value_kind:     global_buffer
      - .offset:         144
        .size:           4
        .value_kind:     hidden_block_count_x
      - .offset:         148
        .size:           4
        .value_kind:     hidden_block_count_y
      - .offset:         152
        .size:           4
        .value_kind:     hidden_block_count_z
      - .offset:         156
        .size:           2
        .value_kind:     hidden_group_size_x
      - .offset:         158
        .size:           2
        .value_kind:     hidden_group_size_y
      - .offset:         160
        .size:           2
        .value_kind:     hidden_group_size_z
      - .offset:         162
        .size:           2
        .value_kind:     hidden_remainder_x
      - .offset:         164
        .size:           2
        .value_kind:     hidden_remainder_y
      - .offset:         166
        .size:           2
        .value_kind:     hidden_remainder_z
      - .offset:         184
        .size:           8
        .value_kind:     hidden_global_offset_x
      - .offset:         192
        .size:           8
        .value_kind:     hidden_global_offset_y
      - .offset:         200
        .size:           8
        .value_kind:     hidden_global_offset_z
      - .offset:         208
        .size:           2
        .value_kind:     hidden_grid_dims
      - .offset:         224
        .size:           8
        .value_kind:     hidden_hostcall_buffer
    .group_segment_fixed_size: 0
    .kernarg_segment_align: 8
    .kernarg_segment_size: 400
    .language:       OpenCL C
    .language_version:
      - 2
      - 0
    .max_flat_workgroup_size: 256
    .name:           _Z39paged_attention_ll4mi_QKV_mfma16_kernelI14__hip_bfloat16S0_LN4vllm18Fp8KVCacheDataTypeE0EhLi16ELi64ELi256ELb0ELi13EEvPKT_PKT0_S8_ifPKiSA_SA_iPKfiiiPfSD_PS3_PT2_iSC_SC_
    .private_segment_fixed_size: 64
    .sgpr_count:     36
    .sgpr_spill_count: 0
    .symbol:         _Z39paged_attention_ll4mi_QKV_mfma16_kernelI14__hip_bfloat16S0_LN4vllm18Fp8KVCacheDataTypeE0EhLi16ELi64ELi256ELb0ELi13EEvPKT_PKT0_S8_ifPKiSA_SA_iPKfiiiPfSD_PS3_PT2_iSC_SC_.kd
    .uniform_work_group_size: 1
    .uses_dynamic_stack: false
    .vgpr_count:     51
    .vgpr_spill_count: 0
    .wavefront_size: 32
  - .args:
      - .actual_access:  read_only
        .address_space:  global
        .offset:         0
        .size:           8
        .value_kind:     global_buffer
      - .actual_access:  read_only
        .address_space:  global
        .offset:         8
        .size:           8
        .value_kind:     global_buffer
      - .actual_access:  read_only
        .address_space:  global
        .offset:         16
        .size:           8
        .value_kind:     global_buffer
      - .offset:         24
        .size:           4
        .value_kind:     by_value
      - .offset:         28
        .size:           4
        .value_kind:     by_value
      - .actual_access:  read_only
        .address_space:  global
        .offset:         32
        .size:           8
        .value_kind:     global_buffer
      - .actual_access:  read_only
        .address_space:  global
        .offset:         40
        .size:           8
        .value_kind:     global_buffer
      - .actual_access:  read_only
        .address_space:  global
        .offset:         48
        .size:           8
        .value_kind:     global_buffer
      - .offset:         56
        .size:           4
        .value_kind:     by_value
      - .actual_access:  read_only
        .address_space:  global
        .offset:         64
        .size:           8
        .value_kind:     global_buffer
      - .offset:         72
        .size:           4
        .value_kind:     by_value
      - .offset:         76
        .size:           4
        .value_kind:     by_value
      - .offset:         80
        .size:           4
        .value_kind:     by_value
      - .actual_access:  read_only
        .address_space:  global
        .offset:         88
        .size:           8
        .value_kind:     global_buffer
      - .actual_access:  read_only
        .address_space:  global
        .offset:         96
        .size:           8
        .value_kind:     global_buffer
      - .actual_access:  read_only
        .address_space:  global
        .offset:         104
        .size:           8
        .value_kind:     global_buffer
      - .actual_access:  read_only
        .address_space:  global
        .offset:         112
        .size:           8
        .value_kind:     global_buffer
      - .offset:         120
        .size:           4
        .value_kind:     by_value
      - .address_space:  global
        .offset:         128
        .size:           8
        .value_kind:     global_buffer
      - .address_space:  global
        .offset:         136
        .size:           8
        .value_kind:     global_buffer
      - .offset:         144
        .size:           4
        .value_kind:     hidden_block_count_x
      - .offset:         148
        .size:           4
        .value_kind:     hidden_block_count_y
      - .offset:         152
        .size:           4
        .value_kind:     hidden_block_count_z
      - .offset:         156
        .size:           2
        .value_kind:     hidden_group_size_x
      - .offset:         158
        .size:           2
        .value_kind:     hidden_group_size_y
      - .offset:         160
        .size:           2
        .value_kind:     hidden_group_size_z
      - .offset:         162
        .size:           2
        .value_kind:     hidden_remainder_x
      - .offset:         164
        .size:           2
        .value_kind:     hidden_remainder_y
      - .offset:         166
        .size:           2
        .value_kind:     hidden_remainder_z
      - .offset:         184
        .size:           8
        .value_kind:     hidden_global_offset_x
      - .offset:         192
        .size:           8
        .value_kind:     hidden_global_offset_y
      - .offset:         200
        .size:           8
        .value_kind:     hidden_global_offset_z
      - .offset:         208
        .size:           2
        .value_kind:     hidden_grid_dims
      - .offset:         224
        .size:           8
        .value_kind:     hidden_hostcall_buffer
    .group_segment_fixed_size: 0
    .kernarg_segment_align: 8
    .kernarg_segment_size: 400
    .language:       OpenCL C
    .language_version:
      - 2
      - 0
    .max_flat_workgroup_size: 256
    .name:           _Z39paged_attention_ll4mi_QKV_mfma16_kernelI14__hip_bfloat16S0_LN4vllm18Fp8KVCacheDataTypeE0EhLi16ELi64ELi256ELb0ELi14EEvPKT_PKT0_S8_ifPKiSA_SA_iPKfiiiPfSD_PS3_PT2_iSC_SC_
    .private_segment_fixed_size: 64
    .sgpr_count:     36
    .sgpr_spill_count: 0
    .symbol:         _Z39paged_attention_ll4mi_QKV_mfma16_kernelI14__hip_bfloat16S0_LN4vllm18Fp8KVCacheDataTypeE0EhLi16ELi64ELi256ELb0ELi14EEvPKT_PKT0_S8_ifPKiSA_SA_iPKfiiiPfSD_PS3_PT2_iSC_SC_.kd
    .uniform_work_group_size: 1
    .uses_dynamic_stack: false
    .vgpr_count:     51
    .vgpr_spill_count: 0
    .wavefront_size: 32
  - .args:
      - .actual_access:  read_only
        .address_space:  global
        .offset:         0
        .size:           8
        .value_kind:     global_buffer
      - .actual_access:  read_only
        .address_space:  global
        .offset:         8
        .size:           8
        .value_kind:     global_buffer
      - .actual_access:  read_only
        .address_space:  global
        .offset:         16
        .size:           8
        .value_kind:     global_buffer
      - .offset:         24
        .size:           4
        .value_kind:     by_value
      - .offset:         28
        .size:           4
        .value_kind:     by_value
      - .actual_access:  read_only
        .address_space:  global
        .offset:         32
        .size:           8
        .value_kind:     global_buffer
      - .actual_access:  read_only
        .address_space:  global
        .offset:         40
        .size:           8
        .value_kind:     global_buffer
      - .actual_access:  read_only
        .address_space:  global
        .offset:         48
        .size:           8
        .value_kind:     global_buffer
      - .offset:         56
        .size:           4
        .value_kind:     by_value
      - .actual_access:  read_only
        .address_space:  global
        .offset:         64
        .size:           8
        .value_kind:     global_buffer
      - .offset:         72
        .size:           4
        .value_kind:     by_value
      - .offset:         76
        .size:           4
        .value_kind:     by_value
      - .offset:         80
        .size:           4
        .value_kind:     by_value
      - .actual_access:  read_only
        .address_space:  global
        .offset:         88
        .size:           8
        .value_kind:     global_buffer
      - .actual_access:  read_only
        .address_space:  global
        .offset:         96
        .size:           8
        .value_kind:     global_buffer
      - .actual_access:  read_only
        .address_space:  global
        .offset:         104
        .size:           8
        .value_kind:     global_buffer
      - .actual_access:  read_only
        .address_space:  global
        .offset:         112
        .size:           8
        .value_kind:     global_buffer
      - .offset:         120
        .size:           4
        .value_kind:     by_value
      - .address_space:  global
        .offset:         128
        .size:           8
        .value_kind:     global_buffer
      - .address_space:  global
        .offset:         136
        .size:           8
        .value_kind:     global_buffer
      - .offset:         144
        .size:           4
        .value_kind:     hidden_block_count_x
      - .offset:         148
        .size:           4
        .value_kind:     hidden_block_count_y
      - .offset:         152
        .size:           4
        .value_kind:     hidden_block_count_z
      - .offset:         156
        .size:           2
        .value_kind:     hidden_group_size_x
      - .offset:         158
        .size:           2
        .value_kind:     hidden_group_size_y
      - .offset:         160
        .size:           2
        .value_kind:     hidden_group_size_z
      - .offset:         162
        .size:           2
        .value_kind:     hidden_remainder_x
      - .offset:         164
        .size:           2
        .value_kind:     hidden_remainder_y
      - .offset:         166
        .size:           2
        .value_kind:     hidden_remainder_z
      - .offset:         184
        .size:           8
        .value_kind:     hidden_global_offset_x
      - .offset:         192
        .size:           8
        .value_kind:     hidden_global_offset_y
      - .offset:         200
        .size:           8
        .value_kind:     hidden_global_offset_z
      - .offset:         208
        .size:           2
        .value_kind:     hidden_grid_dims
      - .offset:         224
        .size:           8
        .value_kind:     hidden_hostcall_buffer
    .group_segment_fixed_size: 0
    .kernarg_segment_align: 8
    .kernarg_segment_size: 400
    .language:       OpenCL C
    .language_version:
      - 2
      - 0
    .max_flat_workgroup_size: 256
    .name:           _Z39paged_attention_ll4mi_QKV_mfma16_kernelI14__hip_bfloat16S0_LN4vllm18Fp8KVCacheDataTypeE0EhLi16ELi64ELi256ELb0ELi15EEvPKT_PKT0_S8_ifPKiSA_SA_iPKfiiiPfSD_PS3_PT2_iSC_SC_
    .private_segment_fixed_size: 64
    .sgpr_count:     36
    .sgpr_spill_count: 0
    .symbol:         _Z39paged_attention_ll4mi_QKV_mfma16_kernelI14__hip_bfloat16S0_LN4vllm18Fp8KVCacheDataTypeE0EhLi16ELi64ELi256ELb0ELi15EEvPKT_PKT0_S8_ifPKiSA_SA_iPKfiiiPfSD_PS3_PT2_iSC_SC_.kd
    .uniform_work_group_size: 1
    .uses_dynamic_stack: false
    .vgpr_count:     51
    .vgpr_spill_count: 0
    .wavefront_size: 32
  - .args:
      - .actual_access:  read_only
        .address_space:  global
        .offset:         0
        .size:           8
        .value_kind:     global_buffer
      - .actual_access:  read_only
        .address_space:  global
        .offset:         8
        .size:           8
        .value_kind:     global_buffer
      - .actual_access:  read_only
        .address_space:  global
        .offset:         16
        .size:           8
        .value_kind:     global_buffer
      - .offset:         24
        .size:           4
        .value_kind:     by_value
      - .offset:         28
        .size:           4
        .value_kind:     by_value
      - .actual_access:  read_only
        .address_space:  global
        .offset:         32
        .size:           8
        .value_kind:     global_buffer
      - .actual_access:  read_only
        .address_space:  global
        .offset:         40
        .size:           8
        .value_kind:     global_buffer
      - .actual_access:  read_only
        .address_space:  global
        .offset:         48
        .size:           8
        .value_kind:     global_buffer
      - .offset:         56
        .size:           4
        .value_kind:     by_value
      - .actual_access:  read_only
        .address_space:  global
        .offset:         64
        .size:           8
        .value_kind:     global_buffer
      - .offset:         72
        .size:           4
        .value_kind:     by_value
      - .offset:         76
        .size:           4
        .value_kind:     by_value
      - .offset:         80
        .size:           4
        .value_kind:     by_value
      - .actual_access:  read_only
        .address_space:  global
        .offset:         88
        .size:           8
        .value_kind:     global_buffer
      - .actual_access:  read_only
        .address_space:  global
        .offset:         96
        .size:           8
        .value_kind:     global_buffer
      - .actual_access:  read_only
        .address_space:  global
        .offset:         104
        .size:           8
        .value_kind:     global_buffer
      - .actual_access:  read_only
        .address_space:  global
        .offset:         112
        .size:           8
        .value_kind:     global_buffer
      - .offset:         120
        .size:           4
        .value_kind:     by_value
      - .address_space:  global
        .offset:         128
        .size:           8
        .value_kind:     global_buffer
      - .address_space:  global
        .offset:         136
        .size:           8
        .value_kind:     global_buffer
      - .offset:         144
        .size:           4
        .value_kind:     hidden_block_count_x
      - .offset:         148
        .size:           4
        .value_kind:     hidden_block_count_y
      - .offset:         152
        .size:           4
        .value_kind:     hidden_block_count_z
      - .offset:         156
        .size:           2
        .value_kind:     hidden_group_size_x
      - .offset:         158
        .size:           2
        .value_kind:     hidden_group_size_y
      - .offset:         160
        .size:           2
        .value_kind:     hidden_group_size_z
      - .offset:         162
        .size:           2
        .value_kind:     hidden_remainder_x
      - .offset:         164
        .size:           2
        .value_kind:     hidden_remainder_y
      - .offset:         166
        .size:           2
        .value_kind:     hidden_remainder_z
      - .offset:         184
        .size:           8
        .value_kind:     hidden_global_offset_x
      - .offset:         192
        .size:           8
        .value_kind:     hidden_global_offset_y
      - .offset:         200
        .size:           8
        .value_kind:     hidden_global_offset_z
      - .offset:         208
        .size:           2
        .value_kind:     hidden_grid_dims
      - .offset:         224
        .size:           8
        .value_kind:     hidden_hostcall_buffer
    .group_segment_fixed_size: 0
    .kernarg_segment_align: 8
    .kernarg_segment_size: 400
    .language:       OpenCL C
    .language_version:
      - 2
      - 0
    .max_flat_workgroup_size: 256
    .name:           _Z39paged_attention_ll4mi_QKV_mfma16_kernelI14__hip_bfloat16S0_LN4vllm18Fp8KVCacheDataTypeE0EhLi16ELi64ELi256ELb0ELi16EEvPKT_PKT0_S8_ifPKiSA_SA_iPKfiiiPfSD_PS3_PT2_iSC_SC_
    .private_segment_fixed_size: 64
    .sgpr_count:     36
    .sgpr_spill_count: 0
    .symbol:         _Z39paged_attention_ll4mi_QKV_mfma16_kernelI14__hip_bfloat16S0_LN4vllm18Fp8KVCacheDataTypeE0EhLi16ELi64ELi256ELb0ELi16EEvPKT_PKT0_S8_ifPKiSA_SA_iPKfiiiPfSD_PS3_PT2_iSC_SC_.kd
    .uniform_work_group_size: 1
    .uses_dynamic_stack: false
    .vgpr_count:     51
    .vgpr_spill_count: 0
    .wavefront_size: 32
  - .args:
      - .actual_access:  read_only
        .address_space:  global
        .offset:         0
        .size:           8
        .value_kind:     global_buffer
      - .actual_access:  read_only
        .address_space:  global
        .offset:         8
        .size:           8
        .value_kind:     global_buffer
      - .actual_access:  read_only
        .address_space:  global
        .offset:         16
        .size:           8
        .value_kind:     global_buffer
      - .offset:         24
        .size:           4
        .value_kind:     by_value
      - .offset:         28
        .size:           4
        .value_kind:     by_value
      - .actual_access:  read_only
        .address_space:  global
        .offset:         32
        .size:           8
        .value_kind:     global_buffer
      - .actual_access:  read_only
        .address_space:  global
        .offset:         40
        .size:           8
        .value_kind:     global_buffer
      - .actual_access:  read_only
        .address_space:  global
        .offset:         48
        .size:           8
        .value_kind:     global_buffer
      - .offset:         56
        .size:           4
        .value_kind:     by_value
      - .actual_access:  read_only
        .address_space:  global
        .offset:         64
        .size:           8
        .value_kind:     global_buffer
      - .offset:         72
        .size:           4
        .value_kind:     by_value
      - .offset:         76
        .size:           4
        .value_kind:     by_value
      - .offset:         80
        .size:           4
        .value_kind:     by_value
      - .actual_access:  read_only
        .address_space:  global
        .offset:         88
        .size:           8
        .value_kind:     global_buffer
      - .actual_access:  read_only
        .address_space:  global
        .offset:         96
        .size:           8
        .value_kind:     global_buffer
      - .actual_access:  read_only
        .address_space:  global
        .offset:         104
        .size:           8
        .value_kind:     global_buffer
      - .actual_access:  read_only
        .address_space:  global
        .offset:         112
        .size:           8
        .value_kind:     global_buffer
      - .offset:         120
        .size:           4
        .value_kind:     by_value
      - .address_space:  global
        .offset:         128
        .size:           8
        .value_kind:     global_buffer
      - .address_space:  global
        .offset:         136
        .size:           8
        .value_kind:     global_buffer
      - .offset:         144
        .size:           4
        .value_kind:     hidden_block_count_x
      - .offset:         148
        .size:           4
        .value_kind:     hidden_block_count_y
      - .offset:         152
        .size:           4
        .value_kind:     hidden_block_count_z
      - .offset:         156
        .size:           2
        .value_kind:     hidden_group_size_x
      - .offset:         158
        .size:           2
        .value_kind:     hidden_group_size_y
      - .offset:         160
        .size:           2
        .value_kind:     hidden_group_size_z
      - .offset:         162
        .size:           2
        .value_kind:     hidden_remainder_x
      - .offset:         164
        .size:           2
        .value_kind:     hidden_remainder_y
      - .offset:         166
        .size:           2
        .value_kind:     hidden_remainder_z
      - .offset:         184
        .size:           8
        .value_kind:     hidden_global_offset_x
      - .offset:         192
        .size:           8
        .value_kind:     hidden_global_offset_y
      - .offset:         200
        .size:           8
        .value_kind:     hidden_global_offset_z
      - .offset:         208
        .size:           2
        .value_kind:     hidden_grid_dims
      - .offset:         224
        .size:           8
        .value_kind:     hidden_hostcall_buffer
    .group_segment_fixed_size: 0
    .kernarg_segment_align: 8
    .kernarg_segment_size: 400
    .language:       OpenCL C
    .language_version:
      - 2
      - 0
    .max_flat_workgroup_size: 256
    .name:           _Z39paged_attention_ll4mi_QKV_mfma16_kernelI14__hip_bfloat16S0_LN4vllm18Fp8KVCacheDataTypeE0EhLi16ELi64ELi256ELb0ELi1EEvPKT_PKT0_S8_ifPKiSA_SA_iPKfiiiPfSD_PS3_PT2_iSC_SC_
    .private_segment_fixed_size: 64
    .sgpr_count:     36
    .sgpr_spill_count: 0
    .symbol:         _Z39paged_attention_ll4mi_QKV_mfma16_kernelI14__hip_bfloat16S0_LN4vllm18Fp8KVCacheDataTypeE0EhLi16ELi64ELi256ELb0ELi1EEvPKT_PKT0_S8_ifPKiSA_SA_iPKfiiiPfSD_PS3_PT2_iSC_SC_.kd
    .uniform_work_group_size: 1
    .uses_dynamic_stack: false
    .vgpr_count:     51
    .vgpr_spill_count: 0
    .wavefront_size: 32
  - .args:
      - .actual_access:  read_only
        .address_space:  global
        .offset:         0
        .size:           8
        .value_kind:     global_buffer
      - .actual_access:  read_only
        .address_space:  global
        .offset:         8
        .size:           8
        .value_kind:     global_buffer
      - .actual_access:  read_only
        .address_space:  global
        .offset:         16
        .size:           8
        .value_kind:     global_buffer
      - .offset:         24
        .size:           4
        .value_kind:     by_value
      - .offset:         28
        .size:           4
        .value_kind:     by_value
      - .actual_access:  read_only
        .address_space:  global
        .offset:         32
        .size:           8
        .value_kind:     global_buffer
      - .actual_access:  read_only
        .address_space:  global
        .offset:         40
        .size:           8
        .value_kind:     global_buffer
      - .actual_access:  read_only
        .address_space:  global
        .offset:         48
        .size:           8
        .value_kind:     global_buffer
      - .offset:         56
        .size:           4
        .value_kind:     by_value
      - .actual_access:  read_only
        .address_space:  global
        .offset:         64
        .size:           8
        .value_kind:     global_buffer
      - .offset:         72
        .size:           4
        .value_kind:     by_value
      - .offset:         76
        .size:           4
        .value_kind:     by_value
      - .offset:         80
        .size:           4
        .value_kind:     by_value
      - .actual_access:  read_only
        .address_space:  global
        .offset:         88
        .size:           8
        .value_kind:     global_buffer
      - .actual_access:  read_only
        .address_space:  global
        .offset:         96
        .size:           8
        .value_kind:     global_buffer
      - .actual_access:  read_only
        .address_space:  global
        .offset:         104
        .size:           8
        .value_kind:     global_buffer
      - .actual_access:  read_only
        .address_space:  global
        .offset:         112
        .size:           8
        .value_kind:     global_buffer
      - .offset:         120
        .size:           4
        .value_kind:     by_value
      - .address_space:  global
        .offset:         128
        .size:           8
        .value_kind:     global_buffer
      - .address_space:  global
        .offset:         136
        .size:           8
        .value_kind:     global_buffer
      - .offset:         144
        .size:           4
        .value_kind:     hidden_block_count_x
      - .offset:         148
        .size:           4
        .value_kind:     hidden_block_count_y
      - .offset:         152
        .size:           4
        .value_kind:     hidden_block_count_z
      - .offset:         156
        .size:           2
        .value_kind:     hidden_group_size_x
      - .offset:         158
        .size:           2
        .value_kind:     hidden_group_size_y
      - .offset:         160
        .size:           2
        .value_kind:     hidden_group_size_z
      - .offset:         162
        .size:           2
        .value_kind:     hidden_remainder_x
      - .offset:         164
        .size:           2
        .value_kind:     hidden_remainder_y
      - .offset:         166
        .size:           2
        .value_kind:     hidden_remainder_z
      - .offset:         184
        .size:           8
        .value_kind:     hidden_global_offset_x
      - .offset:         192
        .size:           8
        .value_kind:     hidden_global_offset_y
      - .offset:         200
        .size:           8
        .value_kind:     hidden_global_offset_z
      - .offset:         208
        .size:           2
        .value_kind:     hidden_grid_dims
      - .offset:         224
        .size:           8
        .value_kind:     hidden_hostcall_buffer
    .group_segment_fixed_size: 0
    .kernarg_segment_align: 8
    .kernarg_segment_size: 400
    .language:       OpenCL C
    .language_version:
      - 2
      - 0
    .max_flat_workgroup_size: 256
    .name:           _Z39paged_attention_ll4mi_QKV_mfma16_kernelI14__hip_bfloat16S0_LN4vllm18Fp8KVCacheDataTypeE0EhLi16ELi64ELi256ELb0ELi2EEvPKT_PKT0_S8_ifPKiSA_SA_iPKfiiiPfSD_PS3_PT2_iSC_SC_
    .private_segment_fixed_size: 64
    .sgpr_count:     36
    .sgpr_spill_count: 0
    .symbol:         _Z39paged_attention_ll4mi_QKV_mfma16_kernelI14__hip_bfloat16S0_LN4vllm18Fp8KVCacheDataTypeE0EhLi16ELi64ELi256ELb0ELi2EEvPKT_PKT0_S8_ifPKiSA_SA_iPKfiiiPfSD_PS3_PT2_iSC_SC_.kd
    .uniform_work_group_size: 1
    .uses_dynamic_stack: false
    .vgpr_count:     51
    .vgpr_spill_count: 0
    .wavefront_size: 32
  - .args:
      - .actual_access:  read_only
        .address_space:  global
        .offset:         0
        .size:           8
        .value_kind:     global_buffer
      - .actual_access:  read_only
        .address_space:  global
        .offset:         8
        .size:           8
        .value_kind:     global_buffer
      - .actual_access:  read_only
        .address_space:  global
        .offset:         16
        .size:           8
        .value_kind:     global_buffer
      - .offset:         24
        .size:           4
        .value_kind:     by_value
      - .offset:         28
        .size:           4
        .value_kind:     by_value
      - .actual_access:  read_only
        .address_space:  global
        .offset:         32
        .size:           8
        .value_kind:     global_buffer
      - .actual_access:  read_only
        .address_space:  global
        .offset:         40
        .size:           8
        .value_kind:     global_buffer
      - .actual_access:  read_only
        .address_space:  global
        .offset:         48
        .size:           8
        .value_kind:     global_buffer
      - .offset:         56
        .size:           4
        .value_kind:     by_value
      - .actual_access:  read_only
        .address_space:  global
        .offset:         64
        .size:           8
        .value_kind:     global_buffer
      - .offset:         72
        .size:           4
        .value_kind:     by_value
      - .offset:         76
        .size:           4
        .value_kind:     by_value
      - .offset:         80
        .size:           4
        .value_kind:     by_value
      - .actual_access:  read_only
        .address_space:  global
        .offset:         88
        .size:           8
        .value_kind:     global_buffer
      - .actual_access:  read_only
        .address_space:  global
        .offset:         96
        .size:           8
        .value_kind:     global_buffer
      - .actual_access:  read_only
        .address_space:  global
        .offset:         104
        .size:           8
        .value_kind:     global_buffer
      - .actual_access:  read_only
        .address_space:  global
        .offset:         112
        .size:           8
        .value_kind:     global_buffer
      - .offset:         120
        .size:           4
        .value_kind:     by_value
      - .address_space:  global
        .offset:         128
        .size:           8
        .value_kind:     global_buffer
      - .address_space:  global
        .offset:         136
        .size:           8
        .value_kind:     global_buffer
      - .offset:         144
        .size:           4
        .value_kind:     hidden_block_count_x
      - .offset:         148
        .size:           4
        .value_kind:     hidden_block_count_y
      - .offset:         152
        .size:           4
        .value_kind:     hidden_block_count_z
      - .offset:         156
        .size:           2
        .value_kind:     hidden_group_size_x
      - .offset:         158
        .size:           2
        .value_kind:     hidden_group_size_y
      - .offset:         160
        .size:           2
        .value_kind:     hidden_group_size_z
      - .offset:         162
        .size:           2
        .value_kind:     hidden_remainder_x
      - .offset:         164
        .size:           2
        .value_kind:     hidden_remainder_y
      - .offset:         166
        .size:           2
        .value_kind:     hidden_remainder_z
      - .offset:         184
        .size:           8
        .value_kind:     hidden_global_offset_x
      - .offset:         192
        .size:           8
        .value_kind:     hidden_global_offset_y
      - .offset:         200
        .size:           8
        .value_kind:     hidden_global_offset_z
      - .offset:         208
        .size:           2
        .value_kind:     hidden_grid_dims
      - .offset:         224
        .size:           8
        .value_kind:     hidden_hostcall_buffer
    .group_segment_fixed_size: 0
    .kernarg_segment_align: 8
    .kernarg_segment_size: 400
    .language:       OpenCL C
    .language_version:
      - 2
      - 0
    .max_flat_workgroup_size: 256
    .name:           _Z39paged_attention_ll4mi_QKV_mfma16_kernelI14__hip_bfloat16S0_LN4vllm18Fp8KVCacheDataTypeE0EhLi16ELi64ELi256ELb0ELi3EEvPKT_PKT0_S8_ifPKiSA_SA_iPKfiiiPfSD_PS3_PT2_iSC_SC_
    .private_segment_fixed_size: 64
    .sgpr_count:     36
    .sgpr_spill_count: 0
    .symbol:         _Z39paged_attention_ll4mi_QKV_mfma16_kernelI14__hip_bfloat16S0_LN4vllm18Fp8KVCacheDataTypeE0EhLi16ELi64ELi256ELb0ELi3EEvPKT_PKT0_S8_ifPKiSA_SA_iPKfiiiPfSD_PS3_PT2_iSC_SC_.kd
    .uniform_work_group_size: 1
    .uses_dynamic_stack: false
    .vgpr_count:     51
    .vgpr_spill_count: 0
    .wavefront_size: 32
  - .args:
      - .actual_access:  read_only
        .address_space:  global
        .offset:         0
        .size:           8
        .value_kind:     global_buffer
      - .actual_access:  read_only
        .address_space:  global
        .offset:         8
        .size:           8
        .value_kind:     global_buffer
      - .actual_access:  read_only
        .address_space:  global
        .offset:         16
        .size:           8
        .value_kind:     global_buffer
      - .offset:         24
        .size:           4
        .value_kind:     by_value
      - .offset:         28
        .size:           4
        .value_kind:     by_value
      - .actual_access:  read_only
        .address_space:  global
        .offset:         32
        .size:           8
        .value_kind:     global_buffer
      - .actual_access:  read_only
        .address_space:  global
        .offset:         40
        .size:           8
        .value_kind:     global_buffer
      - .actual_access:  read_only
        .address_space:  global
        .offset:         48
        .size:           8
        .value_kind:     global_buffer
      - .offset:         56
        .size:           4
        .value_kind:     by_value
      - .actual_access:  read_only
        .address_space:  global
        .offset:         64
        .size:           8
        .value_kind:     global_buffer
      - .offset:         72
        .size:           4
        .value_kind:     by_value
      - .offset:         76
        .size:           4
        .value_kind:     by_value
      - .offset:         80
        .size:           4
        .value_kind:     by_value
      - .actual_access:  read_only
        .address_space:  global
        .offset:         88
        .size:           8
        .value_kind:     global_buffer
      - .actual_access:  read_only
        .address_space:  global
        .offset:         96
        .size:           8
        .value_kind:     global_buffer
      - .actual_access:  read_only
        .address_space:  global
        .offset:         104
        .size:           8
        .value_kind:     global_buffer
      - .actual_access:  read_only
        .address_space:  global
        .offset:         112
        .size:           8
        .value_kind:     global_buffer
      - .offset:         120
        .size:           4
        .value_kind:     by_value
      - .address_space:  global
        .offset:         128
        .size:           8
        .value_kind:     global_buffer
      - .address_space:  global
        .offset:         136
        .size:           8
        .value_kind:     global_buffer
      - .offset:         144
        .size:           4
        .value_kind:     hidden_block_count_x
      - .offset:         148
        .size:           4
        .value_kind:     hidden_block_count_y
      - .offset:         152
        .size:           4
        .value_kind:     hidden_block_count_z
      - .offset:         156
        .size:           2
        .value_kind:     hidden_group_size_x
      - .offset:         158
        .size:           2
        .value_kind:     hidden_group_size_y
      - .offset:         160
        .size:           2
        .value_kind:     hidden_group_size_z
      - .offset:         162
        .size:           2
        .value_kind:     hidden_remainder_x
      - .offset:         164
        .size:           2
        .value_kind:     hidden_remainder_y
      - .offset:         166
        .size:           2
        .value_kind:     hidden_remainder_z
      - .offset:         184
        .size:           8
        .value_kind:     hidden_global_offset_x
      - .offset:         192
        .size:           8
        .value_kind:     hidden_global_offset_y
      - .offset:         200
        .size:           8
        .value_kind:     hidden_global_offset_z
      - .offset:         208
        .size:           2
        .value_kind:     hidden_grid_dims
      - .offset:         224
        .size:           8
        .value_kind:     hidden_hostcall_buffer
    .group_segment_fixed_size: 0
    .kernarg_segment_align: 8
    .kernarg_segment_size: 400
    .language:       OpenCL C
    .language_version:
      - 2
      - 0
    .max_flat_workgroup_size: 256
    .name:           _Z39paged_attention_ll4mi_QKV_mfma16_kernelI14__hip_bfloat16S0_LN4vllm18Fp8KVCacheDataTypeE0EhLi16ELi64ELi256ELb0ELi4EEvPKT_PKT0_S8_ifPKiSA_SA_iPKfiiiPfSD_PS3_PT2_iSC_SC_
    .private_segment_fixed_size: 64
    .sgpr_count:     36
    .sgpr_spill_count: 0
    .symbol:         _Z39paged_attention_ll4mi_QKV_mfma16_kernelI14__hip_bfloat16S0_LN4vllm18Fp8KVCacheDataTypeE0EhLi16ELi64ELi256ELb0ELi4EEvPKT_PKT0_S8_ifPKiSA_SA_iPKfiiiPfSD_PS3_PT2_iSC_SC_.kd
    .uniform_work_group_size: 1
    .uses_dynamic_stack: false
    .vgpr_count:     51
    .vgpr_spill_count: 0
    .wavefront_size: 32
  - .args:
      - .actual_access:  read_only
        .address_space:  global
        .offset:         0
        .size:           8
        .value_kind:     global_buffer
      - .actual_access:  read_only
        .address_space:  global
        .offset:         8
        .size:           8
        .value_kind:     global_buffer
      - .actual_access:  read_only
        .address_space:  global
        .offset:         16
        .size:           8
        .value_kind:     global_buffer
      - .offset:         24
        .size:           4
        .value_kind:     by_value
      - .offset:         28
        .size:           4
        .value_kind:     by_value
      - .actual_access:  read_only
        .address_space:  global
        .offset:         32
        .size:           8
        .value_kind:     global_buffer
      - .actual_access:  read_only
        .address_space:  global
        .offset:         40
        .size:           8
        .value_kind:     global_buffer
      - .actual_access:  read_only
        .address_space:  global
        .offset:         48
        .size:           8
        .value_kind:     global_buffer
      - .offset:         56
        .size:           4
        .value_kind:     by_value
      - .actual_access:  read_only
        .address_space:  global
        .offset:         64
        .size:           8
        .value_kind:     global_buffer
      - .offset:         72
        .size:           4
        .value_kind:     by_value
      - .offset:         76
        .size:           4
        .value_kind:     by_value
      - .offset:         80
        .size:           4
        .value_kind:     by_value
      - .actual_access:  read_only
        .address_space:  global
        .offset:         88
        .size:           8
        .value_kind:     global_buffer
      - .actual_access:  read_only
        .address_space:  global
        .offset:         96
        .size:           8
        .value_kind:     global_buffer
      - .actual_access:  read_only
        .address_space:  global
        .offset:         104
        .size:           8
        .value_kind:     global_buffer
      - .actual_access:  read_only
        .address_space:  global
        .offset:         112
        .size:           8
        .value_kind:     global_buffer
      - .offset:         120
        .size:           4
        .value_kind:     by_value
      - .address_space:  global
        .offset:         128
        .size:           8
        .value_kind:     global_buffer
      - .address_space:  global
        .offset:         136
        .size:           8
        .value_kind:     global_buffer
      - .offset:         144
        .size:           4
        .value_kind:     hidden_block_count_x
      - .offset:         148
        .size:           4
        .value_kind:     hidden_block_count_y
      - .offset:         152
        .size:           4
        .value_kind:     hidden_block_count_z
      - .offset:         156
        .size:           2
        .value_kind:     hidden_group_size_x
      - .offset:         158
        .size:           2
        .value_kind:     hidden_group_size_y
      - .offset:         160
        .size:           2
        .value_kind:     hidden_group_size_z
      - .offset:         162
        .size:           2
        .value_kind:     hidden_remainder_x
      - .offset:         164
        .size:           2
        .value_kind:     hidden_remainder_y
      - .offset:         166
        .size:           2
        .value_kind:     hidden_remainder_z
      - .offset:         184
        .size:           8
        .value_kind:     hidden_global_offset_x
      - .offset:         192
        .size:           8
        .value_kind:     hidden_global_offset_y
      - .offset:         200
        .size:           8
        .value_kind:     hidden_global_offset_z
      - .offset:         208
        .size:           2
        .value_kind:     hidden_grid_dims
      - .offset:         224
        .size:           8
        .value_kind:     hidden_hostcall_buffer
    .group_segment_fixed_size: 0
    .kernarg_segment_align: 8
    .kernarg_segment_size: 400
    .language:       OpenCL C
    .language_version:
      - 2
      - 0
    .max_flat_workgroup_size: 256
    .name:           _Z38paged_attention_ll4mi_QKV_mfma4_kernelI14__hip_bfloat16S0_LN4vllm18Fp8KVCacheDataTypeE0ES0_Li16ELi64ELi256ELb1ELi1EEvPKT_PKT0_S8_ifPKiSA_SA_iPKfiiiPfSD_PS3_PT2_iSC_SC_
    .private_segment_fixed_size: 64
    .sgpr_count:     36
    .sgpr_spill_count: 0
    .symbol:         _Z38paged_attention_ll4mi_QKV_mfma4_kernelI14__hip_bfloat16S0_LN4vllm18Fp8KVCacheDataTypeE0ES0_Li16ELi64ELi256ELb1ELi1EEvPKT_PKT0_S8_ifPKiSA_SA_iPKfiiiPfSD_PS3_PT2_iSC_SC_.kd
    .uniform_work_group_size: 1
    .uses_dynamic_stack: false
    .vgpr_count:     51
    .vgpr_spill_count: 0
    .wavefront_size: 32
  - .args:
      - .actual_access:  read_only
        .address_space:  global
        .offset:         0
        .size:           8
        .value_kind:     global_buffer
      - .actual_access:  read_only
        .address_space:  global
        .offset:         8
        .size:           8
        .value_kind:     global_buffer
      - .actual_access:  read_only
        .address_space:  global
        .offset:         16
        .size:           8
        .value_kind:     global_buffer
      - .offset:         24
        .size:           4
        .value_kind:     by_value
      - .offset:         28
        .size:           4
        .value_kind:     by_value
      - .actual_access:  read_only
        .address_space:  global
        .offset:         32
        .size:           8
        .value_kind:     global_buffer
      - .actual_access:  read_only
        .address_space:  global
        .offset:         40
        .size:           8
        .value_kind:     global_buffer
      - .actual_access:  read_only
        .address_space:  global
        .offset:         48
        .size:           8
        .value_kind:     global_buffer
      - .offset:         56
        .size:           4
        .value_kind:     by_value
      - .actual_access:  read_only
        .address_space:  global
        .offset:         64
        .size:           8
        .value_kind:     global_buffer
      - .offset:         72
        .size:           4
        .value_kind:     by_value
      - .offset:         76
        .size:           4
        .value_kind:     by_value
      - .offset:         80
        .size:           4
        .value_kind:     by_value
      - .actual_access:  read_only
        .address_space:  global
        .offset:         88
        .size:           8
        .value_kind:     global_buffer
      - .actual_access:  read_only
        .address_space:  global
        .offset:         96
        .size:           8
        .value_kind:     global_buffer
      - .actual_access:  read_only
        .address_space:  global
        .offset:         104
        .size:           8
        .value_kind:     global_buffer
      - .actual_access:  read_only
        .address_space:  global
        .offset:         112
        .size:           8
        .value_kind:     global_buffer
      - .offset:         120
        .size:           4
        .value_kind:     by_value
      - .address_space:  global
        .offset:         128
        .size:           8
        .value_kind:     global_buffer
      - .address_space:  global
        .offset:         136
        .size:           8
        .value_kind:     global_buffer
      - .offset:         144
        .size:           4
        .value_kind:     hidden_block_count_x
      - .offset:         148
        .size:           4
        .value_kind:     hidden_block_count_y
      - .offset:         152
        .size:           4
        .value_kind:     hidden_block_count_z
      - .offset:         156
        .size:           2
        .value_kind:     hidden_group_size_x
      - .offset:         158
        .size:           2
        .value_kind:     hidden_group_size_y
      - .offset:         160
        .size:           2
        .value_kind:     hidden_group_size_z
      - .offset:         162
        .size:           2
        .value_kind:     hidden_remainder_x
      - .offset:         164
        .size:           2
        .value_kind:     hidden_remainder_y
      - .offset:         166
        .size:           2
        .value_kind:     hidden_remainder_z
      - .offset:         184
        .size:           8
        .value_kind:     hidden_global_offset_x
      - .offset:         192
        .size:           8
        .value_kind:     hidden_global_offset_y
      - .offset:         200
        .size:           8
        .value_kind:     hidden_global_offset_z
      - .offset:         208
        .size:           2
        .value_kind:     hidden_grid_dims
      - .offset:         224
        .size:           8
        .value_kind:     hidden_hostcall_buffer
    .group_segment_fixed_size: 0
    .kernarg_segment_align: 8
    .kernarg_segment_size: 400
    .language:       OpenCL C
    .language_version:
      - 2
      - 0
    .max_flat_workgroup_size: 256
    .name:           _Z38paged_attention_ll4mi_QKV_mfma4_kernelI14__hip_bfloat16S0_LN4vllm18Fp8KVCacheDataTypeE0ES0_Li16ELi64ELi256ELb1ELi2EEvPKT_PKT0_S8_ifPKiSA_SA_iPKfiiiPfSD_PS3_PT2_iSC_SC_
    .private_segment_fixed_size: 64
    .sgpr_count:     36
    .sgpr_spill_count: 0
    .symbol:         _Z38paged_attention_ll4mi_QKV_mfma4_kernelI14__hip_bfloat16S0_LN4vllm18Fp8KVCacheDataTypeE0ES0_Li16ELi64ELi256ELb1ELi2EEvPKT_PKT0_S8_ifPKiSA_SA_iPKfiiiPfSD_PS3_PT2_iSC_SC_.kd
    .uniform_work_group_size: 1
    .uses_dynamic_stack: false
    .vgpr_count:     51
    .vgpr_spill_count: 0
    .wavefront_size: 32
  - .args:
      - .actual_access:  read_only
        .address_space:  global
        .offset:         0
        .size:           8
        .value_kind:     global_buffer
      - .actual_access:  read_only
        .address_space:  global
        .offset:         8
        .size:           8
        .value_kind:     global_buffer
      - .actual_access:  read_only
        .address_space:  global
        .offset:         16
        .size:           8
        .value_kind:     global_buffer
      - .offset:         24
        .size:           4
        .value_kind:     by_value
      - .offset:         28
        .size:           4
        .value_kind:     by_value
      - .actual_access:  read_only
        .address_space:  global
        .offset:         32
        .size:           8
        .value_kind:     global_buffer
      - .actual_access:  read_only
        .address_space:  global
        .offset:         40
        .size:           8
        .value_kind:     global_buffer
      - .actual_access:  read_only
        .address_space:  global
        .offset:         48
        .size:           8
        .value_kind:     global_buffer
      - .offset:         56
        .size:           4
        .value_kind:     by_value
      - .actual_access:  read_only
        .address_space:  global
        .offset:         64
        .size:           8
        .value_kind:     global_buffer
      - .offset:         72
        .size:           4
        .value_kind:     by_value
      - .offset:         76
        .size:           4
        .value_kind:     by_value
      - .offset:         80
        .size:           4
        .value_kind:     by_value
      - .actual_access:  read_only
        .address_space:  global
        .offset:         88
        .size:           8
        .value_kind:     global_buffer
      - .actual_access:  read_only
        .address_space:  global
        .offset:         96
        .size:           8
        .value_kind:     global_buffer
      - .actual_access:  read_only
        .address_space:  global
        .offset:         104
        .size:           8
        .value_kind:     global_buffer
      - .actual_access:  read_only
        .address_space:  global
        .offset:         112
        .size:           8
        .value_kind:     global_buffer
      - .offset:         120
        .size:           4
        .value_kind:     by_value
      - .address_space:  global
        .offset:         128
        .size:           8
        .value_kind:     global_buffer
      - .address_space:  global
        .offset:         136
        .size:           8
        .value_kind:     global_buffer
      - .offset:         144
        .size:           4
        .value_kind:     hidden_block_count_x
      - .offset:         148
        .size:           4
        .value_kind:     hidden_block_count_y
      - .offset:         152
        .size:           4
        .value_kind:     hidden_block_count_z
      - .offset:         156
        .size:           2
        .value_kind:     hidden_group_size_x
      - .offset:         158
        .size:           2
        .value_kind:     hidden_group_size_y
      - .offset:         160
        .size:           2
        .value_kind:     hidden_group_size_z
      - .offset:         162
        .size:           2
        .value_kind:     hidden_remainder_x
      - .offset:         164
        .size:           2
        .value_kind:     hidden_remainder_y
      - .offset:         166
        .size:           2
        .value_kind:     hidden_remainder_z
      - .offset:         184
        .size:           8
        .value_kind:     hidden_global_offset_x
      - .offset:         192
        .size:           8
        .value_kind:     hidden_global_offset_y
      - .offset:         200
        .size:           8
        .value_kind:     hidden_global_offset_z
      - .offset:         208
        .size:           2
        .value_kind:     hidden_grid_dims
      - .offset:         224
        .size:           8
        .value_kind:     hidden_hostcall_buffer
    .group_segment_fixed_size: 0
    .kernarg_segment_align: 8
    .kernarg_segment_size: 400
    .language:       OpenCL C
    .language_version:
      - 2
      - 0
    .max_flat_workgroup_size: 256
    .name:           _Z38paged_attention_ll4mi_QKV_mfma4_kernelI14__hip_bfloat16S0_LN4vllm18Fp8KVCacheDataTypeE0ES0_Li16ELi64ELi256ELb1ELi3EEvPKT_PKT0_S8_ifPKiSA_SA_iPKfiiiPfSD_PS3_PT2_iSC_SC_
    .private_segment_fixed_size: 64
    .sgpr_count:     36
    .sgpr_spill_count: 0
    .symbol:         _Z38paged_attention_ll4mi_QKV_mfma4_kernelI14__hip_bfloat16S0_LN4vllm18Fp8KVCacheDataTypeE0ES0_Li16ELi64ELi256ELb1ELi3EEvPKT_PKT0_S8_ifPKiSA_SA_iPKfiiiPfSD_PS3_PT2_iSC_SC_.kd
    .uniform_work_group_size: 1
    .uses_dynamic_stack: false
    .vgpr_count:     51
    .vgpr_spill_count: 0
    .wavefront_size: 32
  - .args:
      - .actual_access:  read_only
        .address_space:  global
        .offset:         0
        .size:           8
        .value_kind:     global_buffer
      - .actual_access:  read_only
        .address_space:  global
        .offset:         8
        .size:           8
        .value_kind:     global_buffer
      - .actual_access:  read_only
        .address_space:  global
        .offset:         16
        .size:           8
        .value_kind:     global_buffer
      - .offset:         24
        .size:           4
        .value_kind:     by_value
      - .offset:         28
        .size:           4
        .value_kind:     by_value
      - .actual_access:  read_only
        .address_space:  global
        .offset:         32
        .size:           8
        .value_kind:     global_buffer
      - .actual_access:  read_only
        .address_space:  global
        .offset:         40
        .size:           8
        .value_kind:     global_buffer
      - .actual_access:  read_only
        .address_space:  global
        .offset:         48
        .size:           8
        .value_kind:     global_buffer
      - .offset:         56
        .size:           4
        .value_kind:     by_value
      - .actual_access:  read_only
        .address_space:  global
        .offset:         64
        .size:           8
        .value_kind:     global_buffer
      - .offset:         72
        .size:           4
        .value_kind:     by_value
      - .offset:         76
        .size:           4
        .value_kind:     by_value
      - .offset:         80
        .size:           4
        .value_kind:     by_value
      - .actual_access:  read_only
        .address_space:  global
        .offset:         88
        .size:           8
        .value_kind:     global_buffer
      - .actual_access:  read_only
        .address_space:  global
        .offset:         96
        .size:           8
        .value_kind:     global_buffer
      - .actual_access:  read_only
        .address_space:  global
        .offset:         104
        .size:           8
        .value_kind:     global_buffer
      - .actual_access:  read_only
        .address_space:  global
        .offset:         112
        .size:           8
        .value_kind:     global_buffer
      - .offset:         120
        .size:           4
        .value_kind:     by_value
      - .address_space:  global
        .offset:         128
        .size:           8
        .value_kind:     global_buffer
      - .address_space:  global
        .offset:         136
        .size:           8
        .value_kind:     global_buffer
      - .offset:         144
        .size:           4
        .value_kind:     hidden_block_count_x
      - .offset:         148
        .size:           4
        .value_kind:     hidden_block_count_y
      - .offset:         152
        .size:           4
        .value_kind:     hidden_block_count_z
      - .offset:         156
        .size:           2
        .value_kind:     hidden_group_size_x
      - .offset:         158
        .size:           2
        .value_kind:     hidden_group_size_y
      - .offset:         160
        .size:           2
        .value_kind:     hidden_group_size_z
      - .offset:         162
        .size:           2
        .value_kind:     hidden_remainder_x
      - .offset:         164
        .size:           2
        .value_kind:     hidden_remainder_y
      - .offset:         166
        .size:           2
        .value_kind:     hidden_remainder_z
      - .offset:         184
        .size:           8
        .value_kind:     hidden_global_offset_x
      - .offset:         192
        .size:           8
        .value_kind:     hidden_global_offset_y
      - .offset:         200
        .size:           8
        .value_kind:     hidden_global_offset_z
      - .offset:         208
        .size:           2
        .value_kind:     hidden_grid_dims
      - .offset:         224
        .size:           8
        .value_kind:     hidden_hostcall_buffer
    .group_segment_fixed_size: 0
    .kernarg_segment_align: 8
    .kernarg_segment_size: 400
    .language:       OpenCL C
    .language_version:
      - 2
      - 0
    .max_flat_workgroup_size: 256
    .name:           _Z38paged_attention_ll4mi_QKV_mfma4_kernelI14__hip_bfloat16S0_LN4vllm18Fp8KVCacheDataTypeE0ES0_Li16ELi64ELi256ELb1ELi4EEvPKT_PKT0_S8_ifPKiSA_SA_iPKfiiiPfSD_PS3_PT2_iSC_SC_
    .private_segment_fixed_size: 64
    .sgpr_count:     36
    .sgpr_spill_count: 0
    .symbol:         _Z38paged_attention_ll4mi_QKV_mfma4_kernelI14__hip_bfloat16S0_LN4vllm18Fp8KVCacheDataTypeE0ES0_Li16ELi64ELi256ELb1ELi4EEvPKT_PKT0_S8_ifPKiSA_SA_iPKfiiiPfSD_PS3_PT2_iSC_SC_.kd
    .uniform_work_group_size: 1
    .uses_dynamic_stack: false
    .vgpr_count:     51
    .vgpr_spill_count: 0
    .wavefront_size: 32
  - .args:
      - .actual_access:  read_only
        .address_space:  global
        .offset:         0
        .size:           8
        .value_kind:     global_buffer
      - .actual_access:  read_only
        .address_space:  global
        .offset:         8
        .size:           8
        .value_kind:     global_buffer
      - .actual_access:  read_only
        .address_space:  global
        .offset:         16
        .size:           8
        .value_kind:     global_buffer
      - .offset:         24
        .size:           4
        .value_kind:     by_value
      - .offset:         28
        .size:           4
        .value_kind:     by_value
      - .actual_access:  read_only
        .address_space:  global
        .offset:         32
        .size:           8
        .value_kind:     global_buffer
      - .actual_access:  read_only
        .address_space:  global
        .offset:         40
        .size:           8
        .value_kind:     global_buffer
      - .actual_access:  read_only
        .address_space:  global
        .offset:         48
        .size:           8
        .value_kind:     global_buffer
      - .offset:         56
        .size:           4
        .value_kind:     by_value
      - .actual_access:  read_only
        .address_space:  global
        .offset:         64
        .size:           8
        .value_kind:     global_buffer
      - .offset:         72
        .size:           4
        .value_kind:     by_value
      - .offset:         76
        .size:           4
        .value_kind:     by_value
      - .offset:         80
        .size:           4
        .value_kind:     by_value
      - .actual_access:  read_only
        .address_space:  global
        .offset:         88
        .size:           8
        .value_kind:     global_buffer
      - .actual_access:  read_only
        .address_space:  global
        .offset:         96
        .size:           8
        .value_kind:     global_buffer
      - .actual_access:  read_only
        .address_space:  global
        .offset:         104
        .size:           8
        .value_kind:     global_buffer
      - .actual_access:  read_only
        .address_space:  global
        .offset:         112
        .size:           8
        .value_kind:     global_buffer
      - .offset:         120
        .size:           4
        .value_kind:     by_value
      - .address_space:  global
        .offset:         128
        .size:           8
        .value_kind:     global_buffer
      - .address_space:  global
        .offset:         136
        .size:           8
        .value_kind:     global_buffer
      - .offset:         144
        .size:           4
        .value_kind:     hidden_block_count_x
      - .offset:         148
        .size:           4
        .value_kind:     hidden_block_count_y
      - .offset:         152
        .size:           4
        .value_kind:     hidden_block_count_z
      - .offset:         156
        .size:           2
        .value_kind:     hidden_group_size_x
      - .offset:         158
        .size:           2
        .value_kind:     hidden_group_size_y
      - .offset:         160
        .size:           2
        .value_kind:     hidden_group_size_z
      - .offset:         162
        .size:           2
        .value_kind:     hidden_remainder_x
      - .offset:         164
        .size:           2
        .value_kind:     hidden_remainder_y
      - .offset:         166
        .size:           2
        .value_kind:     hidden_remainder_z
      - .offset:         184
        .size:           8
        .value_kind:     hidden_global_offset_x
      - .offset:         192
        .size:           8
        .value_kind:     hidden_global_offset_y
      - .offset:         200
        .size:           8
        .value_kind:     hidden_global_offset_z
      - .offset:         208
        .size:           2
        .value_kind:     hidden_grid_dims
      - .offset:         224
        .size:           8
        .value_kind:     hidden_hostcall_buffer
    .group_segment_fixed_size: 0
    .kernarg_segment_align: 8
    .kernarg_segment_size: 400
    .language:       OpenCL C
    .language_version:
      - 2
      - 0
    .max_flat_workgroup_size: 256
    .name:           _Z39paged_attention_ll4mi_QKV_mfma16_kernelI14__hip_bfloat16S0_LN4vllm18Fp8KVCacheDataTypeE0ES0_Li16ELi64ELi256ELb1ELi5EEvPKT_PKT0_S8_ifPKiSA_SA_iPKfiiiPfSD_PS3_PT2_iSC_SC_
    .private_segment_fixed_size: 64
    .sgpr_count:     36
    .sgpr_spill_count: 0
    .symbol:         _Z39paged_attention_ll4mi_QKV_mfma16_kernelI14__hip_bfloat16S0_LN4vllm18Fp8KVCacheDataTypeE0ES0_Li16ELi64ELi256ELb1ELi5EEvPKT_PKT0_S8_ifPKiSA_SA_iPKfiiiPfSD_PS3_PT2_iSC_SC_.kd
    .uniform_work_group_size: 1
    .uses_dynamic_stack: false
    .vgpr_count:     51
    .vgpr_spill_count: 0
    .wavefront_size: 32
  - .args:
      - .actual_access:  read_only
        .address_space:  global
        .offset:         0
        .size:           8
        .value_kind:     global_buffer
      - .actual_access:  read_only
        .address_space:  global
        .offset:         8
        .size:           8
        .value_kind:     global_buffer
      - .actual_access:  read_only
        .address_space:  global
        .offset:         16
        .size:           8
        .value_kind:     global_buffer
      - .offset:         24
        .size:           4
        .value_kind:     by_value
      - .offset:         28
        .size:           4
        .value_kind:     by_value
      - .actual_access:  read_only
        .address_space:  global
        .offset:         32
        .size:           8
        .value_kind:     global_buffer
      - .actual_access:  read_only
        .address_space:  global
        .offset:         40
        .size:           8
        .value_kind:     global_buffer
      - .actual_access:  read_only
        .address_space:  global
        .offset:         48
        .size:           8
        .value_kind:     global_buffer
      - .offset:         56
        .size:           4
        .value_kind:     by_value
      - .actual_access:  read_only
        .address_space:  global
        .offset:         64
        .size:           8
        .value_kind:     global_buffer
      - .offset:         72
        .size:           4
        .value_kind:     by_value
      - .offset:         76
        .size:           4
        .value_kind:     by_value
      - .offset:         80
        .size:           4
        .value_kind:     by_value
      - .actual_access:  read_only
        .address_space:  global
        .offset:         88
        .size:           8
        .value_kind:     global_buffer
      - .actual_access:  read_only
        .address_space:  global
        .offset:         96
        .size:           8
        .value_kind:     global_buffer
      - .actual_access:  read_only
        .address_space:  global
        .offset:         104
        .size:           8
        .value_kind:     global_buffer
      - .actual_access:  read_only
        .address_space:  global
        .offset:         112
        .size:           8
        .value_kind:     global_buffer
      - .offset:         120
        .size:           4
        .value_kind:     by_value
      - .address_space:  global
        .offset:         128
        .size:           8
        .value_kind:     global_buffer
      - .address_space:  global
        .offset:         136
        .size:           8
        .value_kind:     global_buffer
      - .offset:         144
        .size:           4
        .value_kind:     hidden_block_count_x
      - .offset:         148
        .size:           4
        .value_kind:     hidden_block_count_y
      - .offset:         152
        .size:           4
        .value_kind:     hidden_block_count_z
      - .offset:         156
        .size:           2
        .value_kind:     hidden_group_size_x
      - .offset:         158
        .size:           2
        .value_kind:     hidden_group_size_y
      - .offset:         160
        .size:           2
        .value_kind:     hidden_group_size_z
      - .offset:         162
        .size:           2
        .value_kind:     hidden_remainder_x
      - .offset:         164
        .size:           2
        .value_kind:     hidden_remainder_y
      - .offset:         166
        .size:           2
        .value_kind:     hidden_remainder_z
      - .offset:         184
        .size:           8
        .value_kind:     hidden_global_offset_x
      - .offset:         192
        .size:           8
        .value_kind:     hidden_global_offset_y
      - .offset:         200
        .size:           8
        .value_kind:     hidden_global_offset_z
      - .offset:         208
        .size:           2
        .value_kind:     hidden_grid_dims
      - .offset:         224
        .size:           8
        .value_kind:     hidden_hostcall_buffer
    .group_segment_fixed_size: 0
    .kernarg_segment_align: 8
    .kernarg_segment_size: 400
    .language:       OpenCL C
    .language_version:
      - 2
      - 0
    .max_flat_workgroup_size: 256
    .name:           _Z39paged_attention_ll4mi_QKV_mfma16_kernelI14__hip_bfloat16S0_LN4vllm18Fp8KVCacheDataTypeE0ES0_Li16ELi64ELi256ELb1ELi6EEvPKT_PKT0_S8_ifPKiSA_SA_iPKfiiiPfSD_PS3_PT2_iSC_SC_
    .private_segment_fixed_size: 64
    .sgpr_count:     36
    .sgpr_spill_count: 0
    .symbol:         _Z39paged_attention_ll4mi_QKV_mfma16_kernelI14__hip_bfloat16S0_LN4vllm18Fp8KVCacheDataTypeE0ES0_Li16ELi64ELi256ELb1ELi6EEvPKT_PKT0_S8_ifPKiSA_SA_iPKfiiiPfSD_PS3_PT2_iSC_SC_.kd
    .uniform_work_group_size: 1
    .uses_dynamic_stack: false
    .vgpr_count:     51
    .vgpr_spill_count: 0
    .wavefront_size: 32
  - .args:
      - .actual_access:  read_only
        .address_space:  global
        .offset:         0
        .size:           8
        .value_kind:     global_buffer
      - .actual_access:  read_only
        .address_space:  global
        .offset:         8
        .size:           8
        .value_kind:     global_buffer
      - .actual_access:  read_only
        .address_space:  global
        .offset:         16
        .size:           8
        .value_kind:     global_buffer
      - .offset:         24
        .size:           4
        .value_kind:     by_value
      - .offset:         28
        .size:           4
        .value_kind:     by_value
      - .actual_access:  read_only
        .address_space:  global
        .offset:         32
        .size:           8
        .value_kind:     global_buffer
      - .actual_access:  read_only
        .address_space:  global
        .offset:         40
        .size:           8
        .value_kind:     global_buffer
      - .actual_access:  read_only
        .address_space:  global
        .offset:         48
        .size:           8
        .value_kind:     global_buffer
      - .offset:         56
        .size:           4
        .value_kind:     by_value
      - .actual_access:  read_only
        .address_space:  global
        .offset:         64
        .size:           8
        .value_kind:     global_buffer
      - .offset:         72
        .size:           4
        .value_kind:     by_value
      - .offset:         76
        .size:           4
        .value_kind:     by_value
      - .offset:         80
        .size:           4
        .value_kind:     by_value
      - .actual_access:  read_only
        .address_space:  global
        .offset:         88
        .size:           8
        .value_kind:     global_buffer
      - .actual_access:  read_only
        .address_space:  global
        .offset:         96
        .size:           8
        .value_kind:     global_buffer
      - .actual_access:  read_only
        .address_space:  global
        .offset:         104
        .size:           8
        .value_kind:     global_buffer
      - .actual_access:  read_only
        .address_space:  global
        .offset:         112
        .size:           8
        .value_kind:     global_buffer
      - .offset:         120
        .size:           4
        .value_kind:     by_value
      - .address_space:  global
        .offset:         128
        .size:           8
        .value_kind:     global_buffer
      - .address_space:  global
        .offset:         136
        .size:           8
        .value_kind:     global_buffer
      - .offset:         144
        .size:           4
        .value_kind:     hidden_block_count_x
      - .offset:         148
        .size:           4
        .value_kind:     hidden_block_count_y
      - .offset:         152
        .size:           4
        .value_kind:     hidden_block_count_z
      - .offset:         156
        .size:           2
        .value_kind:     hidden_group_size_x
      - .offset:         158
        .size:           2
        .value_kind:     hidden_group_size_y
      - .offset:         160
        .size:           2
        .value_kind:     hidden_group_size_z
      - .offset:         162
        .size:           2
        .value_kind:     hidden_remainder_x
      - .offset:         164
        .size:           2
        .value_kind:     hidden_remainder_y
      - .offset:         166
        .size:           2
        .value_kind:     hidden_remainder_z
      - .offset:         184
        .size:           8
        .value_kind:     hidden_global_offset_x
      - .offset:         192
        .size:           8
        .value_kind:     hidden_global_offset_y
      - .offset:         200
        .size:           8
        .value_kind:     hidden_global_offset_z
      - .offset:         208
        .size:           2
        .value_kind:     hidden_grid_dims
      - .offset:         224
        .size:           8
        .value_kind:     hidden_hostcall_buffer
    .group_segment_fixed_size: 0
    .kernarg_segment_align: 8
    .kernarg_segment_size: 400
    .language:       OpenCL C
    .language_version:
      - 2
      - 0
    .max_flat_workgroup_size: 256
    .name:           _Z39paged_attention_ll4mi_QKV_mfma16_kernelI14__hip_bfloat16S0_LN4vllm18Fp8KVCacheDataTypeE0ES0_Li16ELi64ELi256ELb1ELi7EEvPKT_PKT0_S8_ifPKiSA_SA_iPKfiiiPfSD_PS3_PT2_iSC_SC_
    .private_segment_fixed_size: 64
    .sgpr_count:     36
    .sgpr_spill_count: 0
    .symbol:         _Z39paged_attention_ll4mi_QKV_mfma16_kernelI14__hip_bfloat16S0_LN4vllm18Fp8KVCacheDataTypeE0ES0_Li16ELi64ELi256ELb1ELi7EEvPKT_PKT0_S8_ifPKiSA_SA_iPKfiiiPfSD_PS3_PT2_iSC_SC_.kd
    .uniform_work_group_size: 1
    .uses_dynamic_stack: false
    .vgpr_count:     51
    .vgpr_spill_count: 0
    .wavefront_size: 32
  - .args:
      - .actual_access:  read_only
        .address_space:  global
        .offset:         0
        .size:           8
        .value_kind:     global_buffer
      - .actual_access:  read_only
        .address_space:  global
        .offset:         8
        .size:           8
        .value_kind:     global_buffer
      - .actual_access:  read_only
        .address_space:  global
        .offset:         16
        .size:           8
        .value_kind:     global_buffer
      - .offset:         24
        .size:           4
        .value_kind:     by_value
      - .offset:         28
        .size:           4
        .value_kind:     by_value
      - .actual_access:  read_only
        .address_space:  global
        .offset:         32
        .size:           8
        .value_kind:     global_buffer
      - .actual_access:  read_only
        .address_space:  global
        .offset:         40
        .size:           8
        .value_kind:     global_buffer
      - .actual_access:  read_only
        .address_space:  global
        .offset:         48
        .size:           8
        .value_kind:     global_buffer
      - .offset:         56
        .size:           4
        .value_kind:     by_value
      - .actual_access:  read_only
        .address_space:  global
        .offset:         64
        .size:           8
        .value_kind:     global_buffer
      - .offset:         72
        .size:           4
        .value_kind:     by_value
      - .offset:         76
        .size:           4
        .value_kind:     by_value
      - .offset:         80
        .size:           4
        .value_kind:     by_value
      - .actual_access:  read_only
        .address_space:  global
        .offset:         88
        .size:           8
        .value_kind:     global_buffer
      - .actual_access:  read_only
        .address_space:  global
        .offset:         96
        .size:           8
        .value_kind:     global_buffer
      - .actual_access:  read_only
        .address_space:  global
        .offset:         104
        .size:           8
        .value_kind:     global_buffer
      - .actual_access:  read_only
        .address_space:  global
        .offset:         112
        .size:           8
        .value_kind:     global_buffer
      - .offset:         120
        .size:           4
        .value_kind:     by_value
      - .address_space:  global
        .offset:         128
        .size:           8
        .value_kind:     global_buffer
      - .address_space:  global
        .offset:         136
        .size:           8
        .value_kind:     global_buffer
      - .offset:         144
        .size:           4
        .value_kind:     hidden_block_count_x
      - .offset:         148
        .size:           4
        .value_kind:     hidden_block_count_y
      - .offset:         152
        .size:           4
        .value_kind:     hidden_block_count_z
      - .offset:         156
        .size:           2
        .value_kind:     hidden_group_size_x
      - .offset:         158
        .size:           2
        .value_kind:     hidden_group_size_y
      - .offset:         160
        .size:           2
        .value_kind:     hidden_group_size_z
      - .offset:         162
        .size:           2
        .value_kind:     hidden_remainder_x
      - .offset:         164
        .size:           2
        .value_kind:     hidden_remainder_y
      - .offset:         166
        .size:           2
        .value_kind:     hidden_remainder_z
      - .offset:         184
        .size:           8
        .value_kind:     hidden_global_offset_x
      - .offset:         192
        .size:           8
        .value_kind:     hidden_global_offset_y
      - .offset:         200
        .size:           8
        .value_kind:     hidden_global_offset_z
      - .offset:         208
        .size:           2
        .value_kind:     hidden_grid_dims
      - .offset:         224
        .size:           8
        .value_kind:     hidden_hostcall_buffer
    .group_segment_fixed_size: 0
    .kernarg_segment_align: 8
    .kernarg_segment_size: 400
    .language:       OpenCL C
    .language_version:
      - 2
      - 0
    .max_flat_workgroup_size: 256
    .name:           _Z39paged_attention_ll4mi_QKV_mfma16_kernelI14__hip_bfloat16S0_LN4vllm18Fp8KVCacheDataTypeE0ES0_Li16ELi64ELi256ELb1ELi8EEvPKT_PKT0_S8_ifPKiSA_SA_iPKfiiiPfSD_PS3_PT2_iSC_SC_
    .private_segment_fixed_size: 64
    .sgpr_count:     36
    .sgpr_spill_count: 0
    .symbol:         _Z39paged_attention_ll4mi_QKV_mfma16_kernelI14__hip_bfloat16S0_LN4vllm18Fp8KVCacheDataTypeE0ES0_Li16ELi64ELi256ELb1ELi8EEvPKT_PKT0_S8_ifPKiSA_SA_iPKfiiiPfSD_PS3_PT2_iSC_SC_.kd
    .uniform_work_group_size: 1
    .uses_dynamic_stack: false
    .vgpr_count:     51
    .vgpr_spill_count: 0
    .wavefront_size: 32
  - .args:
      - .actual_access:  read_only
        .address_space:  global
        .offset:         0
        .size:           8
        .value_kind:     global_buffer
      - .actual_access:  read_only
        .address_space:  global
        .offset:         8
        .size:           8
        .value_kind:     global_buffer
      - .actual_access:  read_only
        .address_space:  global
        .offset:         16
        .size:           8
        .value_kind:     global_buffer
      - .offset:         24
        .size:           4
        .value_kind:     by_value
      - .offset:         28
        .size:           4
        .value_kind:     by_value
      - .actual_access:  read_only
        .address_space:  global
        .offset:         32
        .size:           8
        .value_kind:     global_buffer
      - .actual_access:  read_only
        .address_space:  global
        .offset:         40
        .size:           8
        .value_kind:     global_buffer
      - .actual_access:  read_only
        .address_space:  global
        .offset:         48
        .size:           8
        .value_kind:     global_buffer
      - .offset:         56
        .size:           4
        .value_kind:     by_value
      - .actual_access:  read_only
        .address_space:  global
        .offset:         64
        .size:           8
        .value_kind:     global_buffer
      - .offset:         72
        .size:           4
        .value_kind:     by_value
      - .offset:         76
        .size:           4
        .value_kind:     by_value
      - .offset:         80
        .size:           4
        .value_kind:     by_value
      - .actual_access:  read_only
        .address_space:  global
        .offset:         88
        .size:           8
        .value_kind:     global_buffer
      - .actual_access:  read_only
        .address_space:  global
        .offset:         96
        .size:           8
        .value_kind:     global_buffer
      - .actual_access:  read_only
        .address_space:  global
        .offset:         104
        .size:           8
        .value_kind:     global_buffer
      - .actual_access:  read_only
        .address_space:  global
        .offset:         112
        .size:           8
        .value_kind:     global_buffer
      - .offset:         120
        .size:           4
        .value_kind:     by_value
      - .address_space:  global
        .offset:         128
        .size:           8
        .value_kind:     global_buffer
      - .address_space:  global
        .offset:         136
        .size:           8
        .value_kind:     global_buffer
      - .offset:         144
        .size:           4
        .value_kind:     hidden_block_count_x
      - .offset:         148
        .size:           4
        .value_kind:     hidden_block_count_y
      - .offset:         152
        .size:           4
        .value_kind:     hidden_block_count_z
      - .offset:         156
        .size:           2
        .value_kind:     hidden_group_size_x
      - .offset:         158
        .size:           2
        .value_kind:     hidden_group_size_y
      - .offset:         160
        .size:           2
        .value_kind:     hidden_group_size_z
      - .offset:         162
        .size:           2
        .value_kind:     hidden_remainder_x
      - .offset:         164
        .size:           2
        .value_kind:     hidden_remainder_y
      - .offset:         166
        .size:           2
        .value_kind:     hidden_remainder_z
      - .offset:         184
        .size:           8
        .value_kind:     hidden_global_offset_x
      - .offset:         192
        .size:           8
        .value_kind:     hidden_global_offset_y
      - .offset:         200
        .size:           8
        .value_kind:     hidden_global_offset_z
      - .offset:         208
        .size:           2
        .value_kind:     hidden_grid_dims
      - .offset:         224
        .size:           8
        .value_kind:     hidden_hostcall_buffer
    .group_segment_fixed_size: 0
    .kernarg_segment_align: 8
    .kernarg_segment_size: 400
    .language:       OpenCL C
    .language_version:
      - 2
      - 0
    .max_flat_workgroup_size: 256
    .name:           _Z39paged_attention_ll4mi_QKV_mfma16_kernelI14__hip_bfloat16S0_LN4vllm18Fp8KVCacheDataTypeE0ES0_Li16ELi64ELi256ELb1ELi9EEvPKT_PKT0_S8_ifPKiSA_SA_iPKfiiiPfSD_PS3_PT2_iSC_SC_
    .private_segment_fixed_size: 64
    .sgpr_count:     36
    .sgpr_spill_count: 0
    .symbol:         _Z39paged_attention_ll4mi_QKV_mfma16_kernelI14__hip_bfloat16S0_LN4vllm18Fp8KVCacheDataTypeE0ES0_Li16ELi64ELi256ELb1ELi9EEvPKT_PKT0_S8_ifPKiSA_SA_iPKfiiiPfSD_PS3_PT2_iSC_SC_.kd
    .uniform_work_group_size: 1
    .uses_dynamic_stack: false
    .vgpr_count:     51
    .vgpr_spill_count: 0
    .wavefront_size: 32
  - .args:
      - .actual_access:  read_only
        .address_space:  global
        .offset:         0
        .size:           8
        .value_kind:     global_buffer
      - .actual_access:  read_only
        .address_space:  global
        .offset:         8
        .size:           8
        .value_kind:     global_buffer
      - .actual_access:  read_only
        .address_space:  global
        .offset:         16
        .size:           8
        .value_kind:     global_buffer
      - .offset:         24
        .size:           4
        .value_kind:     by_value
      - .offset:         28
        .size:           4
        .value_kind:     by_value
      - .actual_access:  read_only
        .address_space:  global
        .offset:         32
        .size:           8
        .value_kind:     global_buffer
      - .actual_access:  read_only
        .address_space:  global
        .offset:         40
        .size:           8
        .value_kind:     global_buffer
      - .actual_access:  read_only
        .address_space:  global
        .offset:         48
        .size:           8
        .value_kind:     global_buffer
      - .offset:         56
        .size:           4
        .value_kind:     by_value
      - .actual_access:  read_only
        .address_space:  global
        .offset:         64
        .size:           8
        .value_kind:     global_buffer
      - .offset:         72
        .size:           4
        .value_kind:     by_value
      - .offset:         76
        .size:           4
        .value_kind:     by_value
      - .offset:         80
        .size:           4
        .value_kind:     by_value
      - .actual_access:  read_only
        .address_space:  global
        .offset:         88
        .size:           8
        .value_kind:     global_buffer
      - .actual_access:  read_only
        .address_space:  global
        .offset:         96
        .size:           8
        .value_kind:     global_buffer
      - .actual_access:  read_only
        .address_space:  global
        .offset:         104
        .size:           8
        .value_kind:     global_buffer
      - .actual_access:  read_only
        .address_space:  global
        .offset:         112
        .size:           8
        .value_kind:     global_buffer
      - .offset:         120
        .size:           4
        .value_kind:     by_value
      - .address_space:  global
        .offset:         128
        .size:           8
        .value_kind:     global_buffer
      - .address_space:  global
        .offset:         136
        .size:           8
        .value_kind:     global_buffer
      - .offset:         144
        .size:           4
        .value_kind:     hidden_block_count_x
      - .offset:         148
        .size:           4
        .value_kind:     hidden_block_count_y
      - .offset:         152
        .size:           4
        .value_kind:     hidden_block_count_z
      - .offset:         156
        .size:           2
        .value_kind:     hidden_group_size_x
      - .offset:         158
        .size:           2
        .value_kind:     hidden_group_size_y
      - .offset:         160
        .size:           2
        .value_kind:     hidden_group_size_z
      - .offset:         162
        .size:           2
        .value_kind:     hidden_remainder_x
      - .offset:         164
        .size:           2
        .value_kind:     hidden_remainder_y
      - .offset:         166
        .size:           2
        .value_kind:     hidden_remainder_z
      - .offset:         184
        .size:           8
        .value_kind:     hidden_global_offset_x
      - .offset:         192
        .size:           8
        .value_kind:     hidden_global_offset_y
      - .offset:         200
        .size:           8
        .value_kind:     hidden_global_offset_z
      - .offset:         208
        .size:           2
        .value_kind:     hidden_grid_dims
      - .offset:         224
        .size:           8
        .value_kind:     hidden_hostcall_buffer
    .group_segment_fixed_size: 0
    .kernarg_segment_align: 8
    .kernarg_segment_size: 400
    .language:       OpenCL C
    .language_version:
      - 2
      - 0
    .max_flat_workgroup_size: 256
    .name:           _Z39paged_attention_ll4mi_QKV_mfma16_kernelI14__hip_bfloat16S0_LN4vllm18Fp8KVCacheDataTypeE0ES0_Li16ELi64ELi256ELb1ELi10EEvPKT_PKT0_S8_ifPKiSA_SA_iPKfiiiPfSD_PS3_PT2_iSC_SC_
    .private_segment_fixed_size: 64
    .sgpr_count:     36
    .sgpr_spill_count: 0
    .symbol:         _Z39paged_attention_ll4mi_QKV_mfma16_kernelI14__hip_bfloat16S0_LN4vllm18Fp8KVCacheDataTypeE0ES0_Li16ELi64ELi256ELb1ELi10EEvPKT_PKT0_S8_ifPKiSA_SA_iPKfiiiPfSD_PS3_PT2_iSC_SC_.kd
    .uniform_work_group_size: 1
    .uses_dynamic_stack: false
    .vgpr_count:     51
    .vgpr_spill_count: 0
    .wavefront_size: 32
  - .args:
      - .actual_access:  read_only
        .address_space:  global
        .offset:         0
        .size:           8
        .value_kind:     global_buffer
      - .actual_access:  read_only
        .address_space:  global
        .offset:         8
        .size:           8
        .value_kind:     global_buffer
      - .actual_access:  read_only
        .address_space:  global
        .offset:         16
        .size:           8
        .value_kind:     global_buffer
      - .offset:         24
        .size:           4
        .value_kind:     by_value
      - .offset:         28
        .size:           4
        .value_kind:     by_value
      - .actual_access:  read_only
        .address_space:  global
        .offset:         32
        .size:           8
        .value_kind:     global_buffer
      - .actual_access:  read_only
        .address_space:  global
        .offset:         40
        .size:           8
        .value_kind:     global_buffer
      - .actual_access:  read_only
        .address_space:  global
        .offset:         48
        .size:           8
        .value_kind:     global_buffer
      - .offset:         56
        .size:           4
        .value_kind:     by_value
      - .actual_access:  read_only
        .address_space:  global
        .offset:         64
        .size:           8
        .value_kind:     global_buffer
      - .offset:         72
        .size:           4
        .value_kind:     by_value
      - .offset:         76
        .size:           4
        .value_kind:     by_value
      - .offset:         80
        .size:           4
        .value_kind:     by_value
      - .actual_access:  read_only
        .address_space:  global
        .offset:         88
        .size:           8
        .value_kind:     global_buffer
      - .actual_access:  read_only
        .address_space:  global
        .offset:         96
        .size:           8
        .value_kind:     global_buffer
      - .actual_access:  read_only
        .address_space:  global
        .offset:         104
        .size:           8
        .value_kind:     global_buffer
      - .actual_access:  read_only
        .address_space:  global
        .offset:         112
        .size:           8
        .value_kind:     global_buffer
      - .offset:         120
        .size:           4
        .value_kind:     by_value
      - .address_space:  global
        .offset:         128
        .size:           8
        .value_kind:     global_buffer
      - .address_space:  global
        .offset:         136
        .size:           8
        .value_kind:     global_buffer
      - .offset:         144
        .size:           4
        .value_kind:     hidden_block_count_x
      - .offset:         148
        .size:           4
        .value_kind:     hidden_block_count_y
      - .offset:         152
        .size:           4
        .value_kind:     hidden_block_count_z
      - .offset:         156
        .size:           2
        .value_kind:     hidden_group_size_x
      - .offset:         158
        .size:           2
        .value_kind:     hidden_group_size_y
      - .offset:         160
        .size:           2
        .value_kind:     hidden_group_size_z
      - .offset:         162
        .size:           2
        .value_kind:     hidden_remainder_x
      - .offset:         164
        .size:           2
        .value_kind:     hidden_remainder_y
      - .offset:         166
        .size:           2
        .value_kind:     hidden_remainder_z
      - .offset:         184
        .size:           8
        .value_kind:     hidden_global_offset_x
      - .offset:         192
        .size:           8
        .value_kind:     hidden_global_offset_y
      - .offset:         200
        .size:           8
        .value_kind:     hidden_global_offset_z
      - .offset:         208
        .size:           2
        .value_kind:     hidden_grid_dims
      - .offset:         224
        .size:           8
        .value_kind:     hidden_hostcall_buffer
    .group_segment_fixed_size: 0
    .kernarg_segment_align: 8
    .kernarg_segment_size: 400
    .language:       OpenCL C
    .language_version:
      - 2
      - 0
    .max_flat_workgroup_size: 256
    .name:           _Z39paged_attention_ll4mi_QKV_mfma16_kernelI14__hip_bfloat16S0_LN4vllm18Fp8KVCacheDataTypeE0ES0_Li16ELi64ELi256ELb1ELi11EEvPKT_PKT0_S8_ifPKiSA_SA_iPKfiiiPfSD_PS3_PT2_iSC_SC_
    .private_segment_fixed_size: 64
    .sgpr_count:     36
    .sgpr_spill_count: 0
    .symbol:         _Z39paged_attention_ll4mi_QKV_mfma16_kernelI14__hip_bfloat16S0_LN4vllm18Fp8KVCacheDataTypeE0ES0_Li16ELi64ELi256ELb1ELi11EEvPKT_PKT0_S8_ifPKiSA_SA_iPKfiiiPfSD_PS3_PT2_iSC_SC_.kd
    .uniform_work_group_size: 1
    .uses_dynamic_stack: false
    .vgpr_count:     51
    .vgpr_spill_count: 0
    .wavefront_size: 32
  - .args:
      - .actual_access:  read_only
        .address_space:  global
        .offset:         0
        .size:           8
        .value_kind:     global_buffer
      - .actual_access:  read_only
        .address_space:  global
        .offset:         8
        .size:           8
        .value_kind:     global_buffer
      - .actual_access:  read_only
        .address_space:  global
        .offset:         16
        .size:           8
        .value_kind:     global_buffer
      - .offset:         24
        .size:           4
        .value_kind:     by_value
      - .offset:         28
        .size:           4
        .value_kind:     by_value
      - .actual_access:  read_only
        .address_space:  global
        .offset:         32
        .size:           8
        .value_kind:     global_buffer
      - .actual_access:  read_only
        .address_space:  global
        .offset:         40
        .size:           8
        .value_kind:     global_buffer
      - .actual_access:  read_only
        .address_space:  global
        .offset:         48
        .size:           8
        .value_kind:     global_buffer
      - .offset:         56
        .size:           4
        .value_kind:     by_value
      - .actual_access:  read_only
        .address_space:  global
        .offset:         64
        .size:           8
        .value_kind:     global_buffer
      - .offset:         72
        .size:           4
        .value_kind:     by_value
      - .offset:         76
        .size:           4
        .value_kind:     by_value
      - .offset:         80
        .size:           4
        .value_kind:     by_value
      - .actual_access:  read_only
        .address_space:  global
        .offset:         88
        .size:           8
        .value_kind:     global_buffer
      - .actual_access:  read_only
        .address_space:  global
        .offset:         96
        .size:           8
        .value_kind:     global_buffer
      - .actual_access:  read_only
        .address_space:  global
        .offset:         104
        .size:           8
        .value_kind:     global_buffer
      - .actual_access:  read_only
        .address_space:  global
        .offset:         112
        .size:           8
        .value_kind:     global_buffer
      - .offset:         120
        .size:           4
        .value_kind:     by_value
      - .address_space:  global
        .offset:         128
        .size:           8
        .value_kind:     global_buffer
      - .address_space:  global
        .offset:         136
        .size:           8
        .value_kind:     global_buffer
      - .offset:         144
        .size:           4
        .value_kind:     hidden_block_count_x
      - .offset:         148
        .size:           4
        .value_kind:     hidden_block_count_y
      - .offset:         152
        .size:           4
        .value_kind:     hidden_block_count_z
      - .offset:         156
        .size:           2
        .value_kind:     hidden_group_size_x
      - .offset:         158
        .size:           2
        .value_kind:     hidden_group_size_y
      - .offset:         160
        .size:           2
        .value_kind:     hidden_group_size_z
      - .offset:         162
        .size:           2
        .value_kind:     hidden_remainder_x
      - .offset:         164
        .size:           2
        .value_kind:     hidden_remainder_y
      - .offset:         166
        .size:           2
        .value_kind:     hidden_remainder_z
      - .offset:         184
        .size:           8
        .value_kind:     hidden_global_offset_x
      - .offset:         192
        .size:           8
        .value_kind:     hidden_global_offset_y
      - .offset:         200
        .size:           8
        .value_kind:     hidden_global_offset_z
      - .offset:         208
        .size:           2
        .value_kind:     hidden_grid_dims
      - .offset:         224
        .size:           8
        .value_kind:     hidden_hostcall_buffer
    .group_segment_fixed_size: 0
    .kernarg_segment_align: 8
    .kernarg_segment_size: 400
    .language:       OpenCL C
    .language_version:
      - 2
      - 0
    .max_flat_workgroup_size: 256
    .name:           _Z39paged_attention_ll4mi_QKV_mfma16_kernelI14__hip_bfloat16S0_LN4vllm18Fp8KVCacheDataTypeE0ES0_Li16ELi64ELi256ELb1ELi12EEvPKT_PKT0_S8_ifPKiSA_SA_iPKfiiiPfSD_PS3_PT2_iSC_SC_
    .private_segment_fixed_size: 64
    .sgpr_count:     36
    .sgpr_spill_count: 0
    .symbol:         _Z39paged_attention_ll4mi_QKV_mfma16_kernelI14__hip_bfloat16S0_LN4vllm18Fp8KVCacheDataTypeE0ES0_Li16ELi64ELi256ELb1ELi12EEvPKT_PKT0_S8_ifPKiSA_SA_iPKfiiiPfSD_PS3_PT2_iSC_SC_.kd
    .uniform_work_group_size: 1
    .uses_dynamic_stack: false
    .vgpr_count:     51
    .vgpr_spill_count: 0
    .wavefront_size: 32
  - .args:
      - .actual_access:  read_only
        .address_space:  global
        .offset:         0
        .size:           8
        .value_kind:     global_buffer
      - .actual_access:  read_only
        .address_space:  global
        .offset:         8
        .size:           8
        .value_kind:     global_buffer
      - .actual_access:  read_only
        .address_space:  global
        .offset:         16
        .size:           8
        .value_kind:     global_buffer
      - .offset:         24
        .size:           4
        .value_kind:     by_value
      - .offset:         28
        .size:           4
        .value_kind:     by_value
      - .actual_access:  read_only
        .address_space:  global
        .offset:         32
        .size:           8
        .value_kind:     global_buffer
      - .actual_access:  read_only
        .address_space:  global
        .offset:         40
        .size:           8
        .value_kind:     global_buffer
      - .actual_access:  read_only
        .address_space:  global
        .offset:         48
        .size:           8
        .value_kind:     global_buffer
      - .offset:         56
        .size:           4
        .value_kind:     by_value
      - .actual_access:  read_only
        .address_space:  global
        .offset:         64
        .size:           8
        .value_kind:     global_buffer
      - .offset:         72
        .size:           4
        .value_kind:     by_value
      - .offset:         76
        .size:           4
        .value_kind:     by_value
      - .offset:         80
        .size:           4
        .value_kind:     by_value
      - .actual_access:  read_only
        .address_space:  global
        .offset:         88
        .size:           8
        .value_kind:     global_buffer
      - .actual_access:  read_only
        .address_space:  global
        .offset:         96
        .size:           8
        .value_kind:     global_buffer
      - .actual_access:  read_only
        .address_space:  global
        .offset:         104
        .size:           8
        .value_kind:     global_buffer
      - .actual_access:  read_only
        .address_space:  global
        .offset:         112
        .size:           8
        .value_kind:     global_buffer
      - .offset:         120
        .size:           4
        .value_kind:     by_value
      - .address_space:  global
        .offset:         128
        .size:           8
        .value_kind:     global_buffer
      - .address_space:  global
        .offset:         136
        .size:           8
        .value_kind:     global_buffer
      - .offset:         144
        .size:           4
        .value_kind:     hidden_block_count_x
      - .offset:         148
        .size:           4
        .value_kind:     hidden_block_count_y
      - .offset:         152
        .size:           4
        .value_kind:     hidden_block_count_z
      - .offset:         156
        .size:           2
        .value_kind:     hidden_group_size_x
      - .offset:         158
        .size:           2
        .value_kind:     hidden_group_size_y
      - .offset:         160
        .size:           2
        .value_kind:     hidden_group_size_z
      - .offset:         162
        .size:           2
        .value_kind:     hidden_remainder_x
      - .offset:         164
        .size:           2
        .value_kind:     hidden_remainder_y
      - .offset:         166
        .size:           2
        .value_kind:     hidden_remainder_z
      - .offset:         184
        .size:           8
        .value_kind:     hidden_global_offset_x
      - .offset:         192
        .size:           8
        .value_kind:     hidden_global_offset_y
      - .offset:         200
        .size:           8
        .value_kind:     hidden_global_offset_z
      - .offset:         208
        .size:           2
        .value_kind:     hidden_grid_dims
      - .offset:         224
        .size:           8
        .value_kind:     hidden_hostcall_buffer
    .group_segment_fixed_size: 0
    .kernarg_segment_align: 8
    .kernarg_segment_size: 400
    .language:       OpenCL C
    .language_version:
      - 2
      - 0
    .max_flat_workgroup_size: 256
    .name:           _Z39paged_attention_ll4mi_QKV_mfma16_kernelI14__hip_bfloat16S0_LN4vllm18Fp8KVCacheDataTypeE0ES0_Li16ELi64ELi256ELb1ELi13EEvPKT_PKT0_S8_ifPKiSA_SA_iPKfiiiPfSD_PS3_PT2_iSC_SC_
    .private_segment_fixed_size: 64
    .sgpr_count:     36
    .sgpr_spill_count: 0
    .symbol:         _Z39paged_attention_ll4mi_QKV_mfma16_kernelI14__hip_bfloat16S0_LN4vllm18Fp8KVCacheDataTypeE0ES0_Li16ELi64ELi256ELb1ELi13EEvPKT_PKT0_S8_ifPKiSA_SA_iPKfiiiPfSD_PS3_PT2_iSC_SC_.kd
    .uniform_work_group_size: 1
    .uses_dynamic_stack: false
    .vgpr_count:     51
    .vgpr_spill_count: 0
    .wavefront_size: 32
  - .args:
      - .actual_access:  read_only
        .address_space:  global
        .offset:         0
        .size:           8
        .value_kind:     global_buffer
      - .actual_access:  read_only
        .address_space:  global
        .offset:         8
        .size:           8
        .value_kind:     global_buffer
      - .actual_access:  read_only
        .address_space:  global
        .offset:         16
        .size:           8
        .value_kind:     global_buffer
      - .offset:         24
        .size:           4
        .value_kind:     by_value
      - .offset:         28
        .size:           4
        .value_kind:     by_value
      - .actual_access:  read_only
        .address_space:  global
        .offset:         32
        .size:           8
        .value_kind:     global_buffer
      - .actual_access:  read_only
        .address_space:  global
        .offset:         40
        .size:           8
        .value_kind:     global_buffer
      - .actual_access:  read_only
        .address_space:  global
        .offset:         48
        .size:           8
        .value_kind:     global_buffer
      - .offset:         56
        .size:           4
        .value_kind:     by_value
      - .actual_access:  read_only
        .address_space:  global
        .offset:         64
        .size:           8
        .value_kind:     global_buffer
      - .offset:         72
        .size:           4
        .value_kind:     by_value
      - .offset:         76
        .size:           4
        .value_kind:     by_value
      - .offset:         80
        .size:           4
        .value_kind:     by_value
      - .actual_access:  read_only
        .address_space:  global
        .offset:         88
        .size:           8
        .value_kind:     global_buffer
      - .actual_access:  read_only
        .address_space:  global
        .offset:         96
        .size:           8
        .value_kind:     global_buffer
      - .actual_access:  read_only
        .address_space:  global
        .offset:         104
        .size:           8
        .value_kind:     global_buffer
      - .actual_access:  read_only
        .address_space:  global
        .offset:         112
        .size:           8
        .value_kind:     global_buffer
      - .offset:         120
        .size:           4
        .value_kind:     by_value
      - .address_space:  global
        .offset:         128
        .size:           8
        .value_kind:     global_buffer
      - .address_space:  global
        .offset:         136
        .size:           8
        .value_kind:     global_buffer
      - .offset:         144
        .size:           4
        .value_kind:     hidden_block_count_x
      - .offset:         148
        .size:           4
        .value_kind:     hidden_block_count_y
      - .offset:         152
        .size:           4
        .value_kind:     hidden_block_count_z
      - .offset:         156
        .size:           2
        .value_kind:     hidden_group_size_x
      - .offset:         158
        .size:           2
        .value_kind:     hidden_group_size_y
      - .offset:         160
        .size:           2
        .value_kind:     hidden_group_size_z
      - .offset:         162
        .size:           2
        .value_kind:     hidden_remainder_x
      - .offset:         164
        .size:           2
        .value_kind:     hidden_remainder_y
      - .offset:         166
        .size:           2
        .value_kind:     hidden_remainder_z
      - .offset:         184
        .size:           8
        .value_kind:     hidden_global_offset_x
      - .offset:         192
        .size:           8
        .value_kind:     hidden_global_offset_y
      - .offset:         200
        .size:           8
        .value_kind:     hidden_global_offset_z
      - .offset:         208
        .size:           2
        .value_kind:     hidden_grid_dims
      - .offset:         224
        .size:           8
        .value_kind:     hidden_hostcall_buffer
    .group_segment_fixed_size: 0
    .kernarg_segment_align: 8
    .kernarg_segment_size: 400
    .language:       OpenCL C
    .language_version:
      - 2
      - 0
    .max_flat_workgroup_size: 256
    .name:           _Z39paged_attention_ll4mi_QKV_mfma16_kernelI14__hip_bfloat16S0_LN4vllm18Fp8KVCacheDataTypeE0ES0_Li16ELi64ELi256ELb1ELi14EEvPKT_PKT0_S8_ifPKiSA_SA_iPKfiiiPfSD_PS3_PT2_iSC_SC_
    .private_segment_fixed_size: 64
    .sgpr_count:     36
    .sgpr_spill_count: 0
    .symbol:         _Z39paged_attention_ll4mi_QKV_mfma16_kernelI14__hip_bfloat16S0_LN4vllm18Fp8KVCacheDataTypeE0ES0_Li16ELi64ELi256ELb1ELi14EEvPKT_PKT0_S8_ifPKiSA_SA_iPKfiiiPfSD_PS3_PT2_iSC_SC_.kd
    .uniform_work_group_size: 1
    .uses_dynamic_stack: false
    .vgpr_count:     51
    .vgpr_spill_count: 0
    .wavefront_size: 32
  - .args:
      - .actual_access:  read_only
        .address_space:  global
        .offset:         0
        .size:           8
        .value_kind:     global_buffer
      - .actual_access:  read_only
        .address_space:  global
        .offset:         8
        .size:           8
        .value_kind:     global_buffer
      - .actual_access:  read_only
        .address_space:  global
        .offset:         16
        .size:           8
        .value_kind:     global_buffer
      - .offset:         24
        .size:           4
        .value_kind:     by_value
      - .offset:         28
        .size:           4
        .value_kind:     by_value
      - .actual_access:  read_only
        .address_space:  global
        .offset:         32
        .size:           8
        .value_kind:     global_buffer
      - .actual_access:  read_only
        .address_space:  global
        .offset:         40
        .size:           8
        .value_kind:     global_buffer
      - .actual_access:  read_only
        .address_space:  global
        .offset:         48
        .size:           8
        .value_kind:     global_buffer
      - .offset:         56
        .size:           4
        .value_kind:     by_value
      - .actual_access:  read_only
        .address_space:  global
        .offset:         64
        .size:           8
        .value_kind:     global_buffer
      - .offset:         72
        .size:           4
        .value_kind:     by_value
      - .offset:         76
        .size:           4
        .value_kind:     by_value
      - .offset:         80
        .size:           4
        .value_kind:     by_value
      - .actual_access:  read_only
        .address_space:  global
        .offset:         88
        .size:           8
        .value_kind:     global_buffer
      - .actual_access:  read_only
        .address_space:  global
        .offset:         96
        .size:           8
        .value_kind:     global_buffer
      - .actual_access:  read_only
        .address_space:  global
        .offset:         104
        .size:           8
        .value_kind:     global_buffer
      - .actual_access:  read_only
        .address_space:  global
        .offset:         112
        .size:           8
        .value_kind:     global_buffer
      - .offset:         120
        .size:           4
        .value_kind:     by_value
      - .address_space:  global
        .offset:         128
        .size:           8
        .value_kind:     global_buffer
      - .address_space:  global
        .offset:         136
        .size:           8
        .value_kind:     global_buffer
      - .offset:         144
        .size:           4
        .value_kind:     hidden_block_count_x
      - .offset:         148
        .size:           4
        .value_kind:     hidden_block_count_y
      - .offset:         152
        .size:           4
        .value_kind:     hidden_block_count_z
      - .offset:         156
        .size:           2
        .value_kind:     hidden_group_size_x
      - .offset:         158
        .size:           2
        .value_kind:     hidden_group_size_y
      - .offset:         160
        .size:           2
        .value_kind:     hidden_group_size_z
      - .offset:         162
        .size:           2
        .value_kind:     hidden_remainder_x
      - .offset:         164
        .size:           2
        .value_kind:     hidden_remainder_y
      - .offset:         166
        .size:           2
        .value_kind:     hidden_remainder_z
      - .offset:         184
        .size:           8
        .value_kind:     hidden_global_offset_x
      - .offset:         192
        .size:           8
        .value_kind:     hidden_global_offset_y
      - .offset:         200
        .size:           8
        .value_kind:     hidden_global_offset_z
      - .offset:         208
        .size:           2
        .value_kind:     hidden_grid_dims
      - .offset:         224
        .size:           8
        .value_kind:     hidden_hostcall_buffer
    .group_segment_fixed_size: 0
    .kernarg_segment_align: 8
    .kernarg_segment_size: 400
    .language:       OpenCL C
    .language_version:
      - 2
      - 0
    .max_flat_workgroup_size: 256
    .name:           _Z39paged_attention_ll4mi_QKV_mfma16_kernelI14__hip_bfloat16S0_LN4vllm18Fp8KVCacheDataTypeE0ES0_Li16ELi64ELi256ELb1ELi15EEvPKT_PKT0_S8_ifPKiSA_SA_iPKfiiiPfSD_PS3_PT2_iSC_SC_
    .private_segment_fixed_size: 64
    .sgpr_count:     36
    .sgpr_spill_count: 0
    .symbol:         _Z39paged_attention_ll4mi_QKV_mfma16_kernelI14__hip_bfloat16S0_LN4vllm18Fp8KVCacheDataTypeE0ES0_Li16ELi64ELi256ELb1ELi15EEvPKT_PKT0_S8_ifPKiSA_SA_iPKfiiiPfSD_PS3_PT2_iSC_SC_.kd
    .uniform_work_group_size: 1
    .uses_dynamic_stack: false
    .vgpr_count:     51
    .vgpr_spill_count: 0
    .wavefront_size: 32
  - .args:
      - .actual_access:  read_only
        .address_space:  global
        .offset:         0
        .size:           8
        .value_kind:     global_buffer
      - .actual_access:  read_only
        .address_space:  global
        .offset:         8
        .size:           8
        .value_kind:     global_buffer
      - .actual_access:  read_only
        .address_space:  global
        .offset:         16
        .size:           8
        .value_kind:     global_buffer
      - .offset:         24
        .size:           4
        .value_kind:     by_value
      - .offset:         28
        .size:           4
        .value_kind:     by_value
      - .actual_access:  read_only
        .address_space:  global
        .offset:         32
        .size:           8
        .value_kind:     global_buffer
      - .actual_access:  read_only
        .address_space:  global
        .offset:         40
        .size:           8
        .value_kind:     global_buffer
      - .actual_access:  read_only
        .address_space:  global
        .offset:         48
        .size:           8
        .value_kind:     global_buffer
      - .offset:         56
        .size:           4
        .value_kind:     by_value
      - .actual_access:  read_only
        .address_space:  global
        .offset:         64
        .size:           8
        .value_kind:     global_buffer
      - .offset:         72
        .size:           4
        .value_kind:     by_value
      - .offset:         76
        .size:           4
        .value_kind:     by_value
      - .offset:         80
        .size:           4
        .value_kind:     by_value
      - .actual_access:  read_only
        .address_space:  global
        .offset:         88
        .size:           8
        .value_kind:     global_buffer
      - .actual_access:  read_only
        .address_space:  global
        .offset:         96
        .size:           8
        .value_kind:     global_buffer
      - .actual_access:  read_only
        .address_space:  global
        .offset:         104
        .size:           8
        .value_kind:     global_buffer
      - .actual_access:  read_only
        .address_space:  global
        .offset:         112
        .size:           8
        .value_kind:     global_buffer
      - .offset:         120
        .size:           4
        .value_kind:     by_value
      - .address_space:  global
        .offset:         128
        .size:           8
        .value_kind:     global_buffer
      - .address_space:  global
        .offset:         136
        .size:           8
        .value_kind:     global_buffer
      - .offset:         144
        .size:           4
        .value_kind:     hidden_block_count_x
      - .offset:         148
        .size:           4
        .value_kind:     hidden_block_count_y
      - .offset:         152
        .size:           4
        .value_kind:     hidden_block_count_z
      - .offset:         156
        .size:           2
        .value_kind:     hidden_group_size_x
      - .offset:         158
        .size:           2
        .value_kind:     hidden_group_size_y
      - .offset:         160
        .size:           2
        .value_kind:     hidden_group_size_z
      - .offset:         162
        .size:           2
        .value_kind:     hidden_remainder_x
      - .offset:         164
        .size:           2
        .value_kind:     hidden_remainder_y
      - .offset:         166
        .size:           2
        .value_kind:     hidden_remainder_z
      - .offset:         184
        .size:           8
        .value_kind:     hidden_global_offset_x
      - .offset:         192
        .size:           8
        .value_kind:     hidden_global_offset_y
      - .offset:         200
        .size:           8
        .value_kind:     hidden_global_offset_z
      - .offset:         208
        .size:           2
        .value_kind:     hidden_grid_dims
      - .offset:         224
        .size:           8
        .value_kind:     hidden_hostcall_buffer
    .group_segment_fixed_size: 0
    .kernarg_segment_align: 8
    .kernarg_segment_size: 400
    .language:       OpenCL C
    .language_version:
      - 2
      - 0
    .max_flat_workgroup_size: 256
    .name:           _Z39paged_attention_ll4mi_QKV_mfma16_kernelI14__hip_bfloat16S0_LN4vllm18Fp8KVCacheDataTypeE0ES0_Li16ELi64ELi256ELb1ELi16EEvPKT_PKT0_S8_ifPKiSA_SA_iPKfiiiPfSD_PS3_PT2_iSC_SC_
    .private_segment_fixed_size: 64
    .sgpr_count:     36
    .sgpr_spill_count: 0
    .symbol:         _Z39paged_attention_ll4mi_QKV_mfma16_kernelI14__hip_bfloat16S0_LN4vllm18Fp8KVCacheDataTypeE0ES0_Li16ELi64ELi256ELb1ELi16EEvPKT_PKT0_S8_ifPKiSA_SA_iPKfiiiPfSD_PS3_PT2_iSC_SC_.kd
    .uniform_work_group_size: 1
    .uses_dynamic_stack: false
    .vgpr_count:     51
    .vgpr_spill_count: 0
    .wavefront_size: 32
  - .args:
      - .actual_access:  read_only
        .address_space:  global
        .offset:         0
        .size:           8
        .value_kind:     global_buffer
      - .actual_access:  read_only
        .address_space:  global
        .offset:         8
        .size:           8
        .value_kind:     global_buffer
      - .actual_access:  read_only
        .address_space:  global
        .offset:         16
        .size:           8
        .value_kind:     global_buffer
      - .actual_access:  read_only
        .address_space:  global
        .offset:         24
        .size:           8
        .value_kind:     global_buffer
      - .actual_access:  read_only
        .address_space:  global
        .offset:         32
        .size:           8
        .value_kind:     global_buffer
      - .actual_access:  read_only
        .address_space:  global
        .offset:         40
        .size:           8
        .value_kind:     global_buffer
      - .offset:         48
        .size:           4
        .value_kind:     by_value
      - .actual_access:  read_only
        .address_space:  global
        .offset:         56
        .size:           8
        .value_kind:     global_buffer
      - .offset:         64
        .size:           4
        .value_kind:     hidden_block_count_x
      - .offset:         68
        .size:           4
        .value_kind:     hidden_block_count_y
      - .offset:         72
        .size:           4
        .value_kind:     hidden_block_count_z
      - .offset:         76
        .size:           2
        .value_kind:     hidden_group_size_x
      - .offset:         78
        .size:           2
        .value_kind:     hidden_group_size_y
      - .offset:         80
        .size:           2
        .value_kind:     hidden_group_size_z
      - .offset:         82
        .size:           2
        .value_kind:     hidden_remainder_x
      - .offset:         84
        .size:           2
        .value_kind:     hidden_remainder_y
      - .offset:         86
        .size:           2
        .value_kind:     hidden_remainder_z
      - .offset:         104
        .size:           8
        .value_kind:     hidden_global_offset_x
      - .offset:         112
        .size:           8
        .value_kind:     hidden_global_offset_y
      - .offset:         120
        .size:           8
        .value_kind:     hidden_global_offset_z
      - .offset:         128
        .size:           2
        .value_kind:     hidden_grid_dims
      - .offset:         144
        .size:           8
        .value_kind:     hidden_hostcall_buffer
    .group_segment_fixed_size: 0
    .kernarg_segment_align: 8
    .kernarg_segment_size: 320
    .language:       OpenCL C
    .language_version:
      - 2
      - 0
    .max_flat_workgroup_size: 64
    .name:           _Z35paged_attention_ll4mi_reduce_kernelI14__hip_bfloat16S0_Li64ELi64ELi256ELi1EEvPT0_PKfS4_PKT_PKiS9_iS4_
    .private_segment_fixed_size: 64
    .sgpr_count:     36
    .sgpr_spill_count: 0
    .symbol:         _Z35paged_attention_ll4mi_reduce_kernelI14__hip_bfloat16S0_Li64ELi64ELi256ELi1EEvPT0_PKfS4_PKT_PKiS9_iS4_.kd
    .uniform_work_group_size: 1
    .uses_dynamic_stack: false
    .vgpr_count:     51
    .vgpr_spill_count: 0
    .wavefront_size: 32
  - .args:
      - .actual_access:  read_only
        .address_space:  global
        .offset:         0
        .size:           8
        .value_kind:     global_buffer
      - .actual_access:  read_only
        .address_space:  global
        .offset:         8
        .size:           8
        .value_kind:     global_buffer
      - .actual_access:  read_only
        .address_space:  global
        .offset:         16
        .size:           8
        .value_kind:     global_buffer
      - .actual_access:  read_only
        .address_space:  global
        .offset:         24
        .size:           8
        .value_kind:     global_buffer
      - .actual_access:  read_only
        .address_space:  global
        .offset:         32
        .size:           8
        .value_kind:     global_buffer
      - .actual_access:  read_only
        .address_space:  global
        .offset:         40
        .size:           8
        .value_kind:     global_buffer
      - .offset:         48
        .size:           4
        .value_kind:     by_value
      - .actual_access:  read_only
        .address_space:  global
        .offset:         56
        .size:           8
        .value_kind:     global_buffer
      - .offset:         64
        .size:           4
        .value_kind:     hidden_block_count_x
      - .offset:         68
        .size:           4
        .value_kind:     hidden_block_count_y
      - .offset:         72
        .size:           4
        .value_kind:     hidden_block_count_z
      - .offset:         76
        .size:           2
        .value_kind:     hidden_group_size_x
      - .offset:         78
        .size:           2
        .value_kind:     hidden_group_size_y
      - .offset:         80
        .size:           2
        .value_kind:     hidden_group_size_z
      - .offset:         82
        .size:           2
        .value_kind:     hidden_remainder_x
      - .offset:         84
        .size:           2
        .value_kind:     hidden_remainder_y
      - .offset:         86
        .size:           2
        .value_kind:     hidden_remainder_z
      - .offset:         104
        .size:           8
        .value_kind:     hidden_global_offset_x
      - .offset:         112
        .size:           8
        .value_kind:     hidden_global_offset_y
      - .offset:         120
        .size:           8
        .value_kind:     hidden_global_offset_z
      - .offset:         128
        .size:           2
        .value_kind:     hidden_grid_dims
      - .offset:         144
        .size:           8
        .value_kind:     hidden_hostcall_buffer
    .group_segment_fixed_size: 0
    .kernarg_segment_align: 8
    .kernarg_segment_size: 320
    .language:       OpenCL C
    .language_version:
      - 2
      - 0
    .max_flat_workgroup_size: 64
    .name:           _Z35paged_attention_ll4mi_reduce_kernelI14__hip_bfloat16S0_Li64ELi64ELi256ELi2EEvPT0_PKfS4_PKT_PKiS9_iS4_
    .private_segment_fixed_size: 64
    .sgpr_count:     36
    .sgpr_spill_count: 0
    .symbol:         _Z35paged_attention_ll4mi_reduce_kernelI14__hip_bfloat16S0_Li64ELi64ELi256ELi2EEvPT0_PKfS4_PKT_PKiS9_iS4_.kd
    .uniform_work_group_size: 1
    .uses_dynamic_stack: false
    .vgpr_count:     51
    .vgpr_spill_count: 0
    .wavefront_size: 32
  - .args:
      - .actual_access:  read_only
        .address_space:  global
        .offset:         0
        .size:           8
        .value_kind:     global_buffer
      - .actual_access:  read_only
        .address_space:  global
        .offset:         8
        .size:           8
        .value_kind:     global_buffer
      - .actual_access:  read_only
        .address_space:  global
        .offset:         16
        .size:           8
        .value_kind:     global_buffer
      - .actual_access:  read_only
        .address_space:  global
        .offset:         24
        .size:           8
        .value_kind:     global_buffer
      - .actual_access:  read_only
        .address_space:  global
        .offset:         32
        .size:           8
        .value_kind:     global_buffer
      - .actual_access:  read_only
        .address_space:  global
        .offset:         40
        .size:           8
        .value_kind:     global_buffer
      - .offset:         48
        .size:           4
        .value_kind:     by_value
      - .actual_access:  read_only
        .address_space:  global
        .offset:         56
        .size:           8
        .value_kind:     global_buffer
      - .offset:         64
        .size:           4
        .value_kind:     hidden_block_count_x
      - .offset:         68
        .size:           4
        .value_kind:     hidden_block_count_y
      - .offset:         72
        .size:           4
        .value_kind:     hidden_block_count_z
      - .offset:         76
        .size:           2
        .value_kind:     hidden_group_size_x
      - .offset:         78
        .size:           2
        .value_kind:     hidden_group_size_y
      - .offset:         80
        .size:           2
        .value_kind:     hidden_group_size_z
      - .offset:         82
        .size:           2
        .value_kind:     hidden_remainder_x
      - .offset:         84
        .size:           2
        .value_kind:     hidden_remainder_y
      - .offset:         86
        .size:           2
        .value_kind:     hidden_remainder_z
      - .offset:         104
        .size:           8
        .value_kind:     hidden_global_offset_x
      - .offset:         112
        .size:           8
        .value_kind:     hidden_global_offset_y
      - .offset:         120
        .size:           8
        .value_kind:     hidden_global_offset_z
      - .offset:         128
        .size:           2
        .value_kind:     hidden_grid_dims
      - .offset:         144
        .size:           8
        .value_kind:     hidden_hostcall_buffer
    .group_segment_fixed_size: 0
    .kernarg_segment_align: 8
    .kernarg_segment_size: 320
    .language:       OpenCL C
    .language_version:
      - 2
      - 0
    .max_flat_workgroup_size: 64
    .name:           _Z35paged_attention_ll4mi_reduce_kernelI14__hip_bfloat16S0_Li64ELi64ELi256ELi3EEvPT0_PKfS4_PKT_PKiS9_iS4_
    .private_segment_fixed_size: 64
    .sgpr_count:     36
    .sgpr_spill_count: 0
    .symbol:         _Z35paged_attention_ll4mi_reduce_kernelI14__hip_bfloat16S0_Li64ELi64ELi256ELi3EEvPT0_PKfS4_PKT_PKiS9_iS4_.kd
    .uniform_work_group_size: 1
    .uses_dynamic_stack: false
    .vgpr_count:     51
    .vgpr_spill_count: 0
    .wavefront_size: 32
  - .args:
      - .actual_access:  read_only
        .address_space:  global
        .offset:         0
        .size:           8
        .value_kind:     global_buffer
      - .actual_access:  read_only
        .address_space:  global
        .offset:         8
        .size:           8
        .value_kind:     global_buffer
      - .actual_access:  read_only
        .address_space:  global
        .offset:         16
        .size:           8
        .value_kind:     global_buffer
      - .actual_access:  read_only
        .address_space:  global
        .offset:         24
        .size:           8
        .value_kind:     global_buffer
      - .actual_access:  read_only
        .address_space:  global
        .offset:         32
        .size:           8
        .value_kind:     global_buffer
      - .actual_access:  read_only
        .address_space:  global
        .offset:         40
        .size:           8
        .value_kind:     global_buffer
      - .offset:         48
        .size:           4
        .value_kind:     by_value
      - .actual_access:  read_only
        .address_space:  global
        .offset:         56
        .size:           8
        .value_kind:     global_buffer
      - .offset:         64
        .size:           4
        .value_kind:     hidden_block_count_x
      - .offset:         68
        .size:           4
        .value_kind:     hidden_block_count_y
      - .offset:         72
        .size:           4
        .value_kind:     hidden_block_count_z
      - .offset:         76
        .size:           2
        .value_kind:     hidden_group_size_x
      - .offset:         78
        .size:           2
        .value_kind:     hidden_group_size_y
      - .offset:         80
        .size:           2
        .value_kind:     hidden_group_size_z
      - .offset:         82
        .size:           2
        .value_kind:     hidden_remainder_x
      - .offset:         84
        .size:           2
        .value_kind:     hidden_remainder_y
      - .offset:         86
        .size:           2
        .value_kind:     hidden_remainder_z
      - .offset:         104
        .size:           8
        .value_kind:     hidden_global_offset_x
      - .offset:         112
        .size:           8
        .value_kind:     hidden_global_offset_y
      - .offset:         120
        .size:           8
        .value_kind:     hidden_global_offset_z
      - .offset:         128
        .size:           2
        .value_kind:     hidden_grid_dims
      - .offset:         144
        .size:           8
        .value_kind:     hidden_hostcall_buffer
    .group_segment_fixed_size: 0
    .kernarg_segment_align: 8
    .kernarg_segment_size: 320
    .language:       OpenCL C
    .language_version:
      - 2
      - 0
    .max_flat_workgroup_size: 64
    .name:           _Z35paged_attention_ll4mi_reduce_kernelI14__hip_bfloat16S0_Li64ELi64ELi256ELi4EEvPT0_PKfS4_PKT_PKiS9_iS4_
    .private_segment_fixed_size: 64
    .sgpr_count:     36
    .sgpr_spill_count: 0
    .symbol:         _Z35paged_attention_ll4mi_reduce_kernelI14__hip_bfloat16S0_Li64ELi64ELi256ELi4EEvPT0_PKfS4_PKT_PKiS9_iS4_.kd
    .uniform_work_group_size: 1
    .uses_dynamic_stack: false
    .vgpr_count:     51
    .vgpr_spill_count: 0
    .wavefront_size: 32
  - .args:
      - .actual_access:  read_only
        .address_space:  global
        .offset:         0
        .size:           8
        .value_kind:     global_buffer
      - .actual_access:  read_only
        .address_space:  global
        .offset:         8
        .size:           8
        .value_kind:     global_buffer
      - .actual_access:  read_only
        .address_space:  global
        .offset:         16
        .size:           8
        .value_kind:     global_buffer
      - .actual_access:  read_only
        .address_space:  global
        .offset:         24
        .size:           8
        .value_kind:     global_buffer
      - .actual_access:  read_only
        .address_space:  global
        .offset:         32
        .size:           8
        .value_kind:     global_buffer
      - .actual_access:  read_only
        .address_space:  global
        .offset:         40
        .size:           8
        .value_kind:     global_buffer
      - .offset:         48
        .size:           4
        .value_kind:     by_value
      - .actual_access:  read_only
        .address_space:  global
        .offset:         56
        .size:           8
        .value_kind:     global_buffer
      - .offset:         64
        .size:           4
        .value_kind:     hidden_block_count_x
      - .offset:         68
        .size:           4
        .value_kind:     hidden_block_count_y
      - .offset:         72
        .size:           4
        .value_kind:     hidden_block_count_z
      - .offset:         76
        .size:           2
        .value_kind:     hidden_group_size_x
      - .offset:         78
        .size:           2
        .value_kind:     hidden_group_size_y
      - .offset:         80
        .size:           2
        .value_kind:     hidden_group_size_z
      - .offset:         82
        .size:           2
        .value_kind:     hidden_remainder_x
      - .offset:         84
        .size:           2
        .value_kind:     hidden_remainder_y
      - .offset:         86
        .size:           2
        .value_kind:     hidden_remainder_z
      - .offset:         104
        .size:           8
        .value_kind:     hidden_global_offset_x
      - .offset:         112
        .size:           8
        .value_kind:     hidden_global_offset_y
      - .offset:         120
        .size:           8
        .value_kind:     hidden_global_offset_z
      - .offset:         128
        .size:           2
        .value_kind:     hidden_grid_dims
      - .offset:         144
        .size:           8
        .value_kind:     hidden_hostcall_buffer
    .group_segment_fixed_size: 0
    .kernarg_segment_align: 8
    .kernarg_segment_size: 320
    .language:       OpenCL C
    .language_version:
      - 2
      - 0
    .max_flat_workgroup_size: 64
    .name:           _Z35paged_attention_ll4mi_reduce_kernelI14__hip_bfloat16S0_Li64ELi64ELi256ELi5EEvPT0_PKfS4_PKT_PKiS9_iS4_
    .private_segment_fixed_size: 64
    .sgpr_count:     36
    .sgpr_spill_count: 0
    .symbol:         _Z35paged_attention_ll4mi_reduce_kernelI14__hip_bfloat16S0_Li64ELi64ELi256ELi5EEvPT0_PKfS4_PKT_PKiS9_iS4_.kd
    .uniform_work_group_size: 1
    .uses_dynamic_stack: false
    .vgpr_count:     51
    .vgpr_spill_count: 0
    .wavefront_size: 32
  - .args:
      - .actual_access:  read_only
        .address_space:  global
        .offset:         0
        .size:           8
        .value_kind:     global_buffer
      - .actual_access:  read_only
        .address_space:  global
        .offset:         8
        .size:           8
        .value_kind:     global_buffer
      - .actual_access:  read_only
        .address_space:  global
        .offset:         16
        .size:           8
        .value_kind:     global_buffer
      - .actual_access:  read_only
        .address_space:  global
        .offset:         24
        .size:           8
        .value_kind:     global_buffer
      - .actual_access:  read_only
        .address_space:  global
        .offset:         32
        .size:           8
        .value_kind:     global_buffer
      - .actual_access:  read_only
        .address_space:  global
        .offset:         40
        .size:           8
        .value_kind:     global_buffer
      - .offset:         48
        .size:           4
        .value_kind:     by_value
      - .actual_access:  read_only
        .address_space:  global
        .offset:         56
        .size:           8
        .value_kind:     global_buffer
      - .offset:         64
        .size:           4
        .value_kind:     hidden_block_count_x
      - .offset:         68
        .size:           4
        .value_kind:     hidden_block_count_y
      - .offset:         72
        .size:           4
        .value_kind:     hidden_block_count_z
      - .offset:         76
        .size:           2
        .value_kind:     hidden_group_size_x
      - .offset:         78
        .size:           2
        .value_kind:     hidden_group_size_y
      - .offset:         80
        .size:           2
        .value_kind:     hidden_group_size_z
      - .offset:         82
        .size:           2
        .value_kind:     hidden_remainder_x
      - .offset:         84
        .size:           2
        .value_kind:     hidden_remainder_y
      - .offset:         86
        .size:           2
        .value_kind:     hidden_remainder_z
      - .offset:         104
        .size:           8
        .value_kind:     hidden_global_offset_x
      - .offset:         112
        .size:           8
        .value_kind:     hidden_global_offset_y
      - .offset:         120
        .size:           8
        .value_kind:     hidden_global_offset_z
      - .offset:         128
        .size:           2
        .value_kind:     hidden_grid_dims
      - .offset:         144
        .size:           8
        .value_kind:     hidden_hostcall_buffer
    .group_segment_fixed_size: 0
    .kernarg_segment_align: 8
    .kernarg_segment_size: 320
    .language:       OpenCL C
    .language_version:
      - 2
      - 0
    .max_flat_workgroup_size: 64
    .name:           _Z35paged_attention_ll4mi_reduce_kernelI14__hip_bfloat16S0_Li64ELi64ELi256ELi6EEvPT0_PKfS4_PKT_PKiS9_iS4_
    .private_segment_fixed_size: 64
    .sgpr_count:     36
    .sgpr_spill_count: 0
    .symbol:         _Z35paged_attention_ll4mi_reduce_kernelI14__hip_bfloat16S0_Li64ELi64ELi256ELi6EEvPT0_PKfS4_PKT_PKiS9_iS4_.kd
    .uniform_work_group_size: 1
    .uses_dynamic_stack: false
    .vgpr_count:     51
    .vgpr_spill_count: 0
    .wavefront_size: 32
  - .args:
      - .actual_access:  read_only
        .address_space:  global
        .offset:         0
        .size:           8
        .value_kind:     global_buffer
      - .actual_access:  read_only
        .address_space:  global
        .offset:         8
        .size:           8
        .value_kind:     global_buffer
      - .actual_access:  read_only
        .address_space:  global
        .offset:         16
        .size:           8
        .value_kind:     global_buffer
      - .actual_access:  read_only
        .address_space:  global
        .offset:         24
        .size:           8
        .value_kind:     global_buffer
      - .actual_access:  read_only
        .address_space:  global
        .offset:         32
        .size:           8
        .value_kind:     global_buffer
      - .actual_access:  read_only
        .address_space:  global
        .offset:         40
        .size:           8
        .value_kind:     global_buffer
      - .offset:         48
        .size:           4
        .value_kind:     by_value
      - .actual_access:  read_only
        .address_space:  global
        .offset:         56
        .size:           8
        .value_kind:     global_buffer
      - .offset:         64
        .size:           4
        .value_kind:     hidden_block_count_x
      - .offset:         68
        .size:           4
        .value_kind:     hidden_block_count_y
      - .offset:         72
        .size:           4
        .value_kind:     hidden_block_count_z
      - .offset:         76
        .size:           2
        .value_kind:     hidden_group_size_x
      - .offset:         78
        .size:           2
        .value_kind:     hidden_group_size_y
      - .offset:         80
        .size:           2
        .value_kind:     hidden_group_size_z
      - .offset:         82
        .size:           2
        .value_kind:     hidden_remainder_x
      - .offset:         84
        .size:           2
        .value_kind:     hidden_remainder_y
      - .offset:         86
        .size:           2
        .value_kind:     hidden_remainder_z
      - .offset:         104
        .size:           8
        .value_kind:     hidden_global_offset_x
      - .offset:         112
        .size:           8
        .value_kind:     hidden_global_offset_y
      - .offset:         120
        .size:           8
        .value_kind:     hidden_global_offset_z
      - .offset:         128
        .size:           2
        .value_kind:     hidden_grid_dims
      - .offset:         144
        .size:           8
        .value_kind:     hidden_hostcall_buffer
    .group_segment_fixed_size: 0
    .kernarg_segment_align: 8
    .kernarg_segment_size: 320
    .language:       OpenCL C
    .language_version:
      - 2
      - 0
    .max_flat_workgroup_size: 64
    .name:           _Z35paged_attention_ll4mi_reduce_kernelI14__hip_bfloat16S0_Li64ELi64ELi256ELi7EEvPT0_PKfS4_PKT_PKiS9_iS4_
    .private_segment_fixed_size: 64
    .sgpr_count:     36
    .sgpr_spill_count: 0
    .symbol:         _Z35paged_attention_ll4mi_reduce_kernelI14__hip_bfloat16S0_Li64ELi64ELi256ELi7EEvPT0_PKfS4_PKT_PKiS9_iS4_.kd
    .uniform_work_group_size: 1
    .uses_dynamic_stack: false
    .vgpr_count:     51
    .vgpr_spill_count: 0
    .wavefront_size: 32
  - .args:
      - .actual_access:  read_only
        .address_space:  global
        .offset:         0
        .size:           8
        .value_kind:     global_buffer
      - .actual_access:  read_only
        .address_space:  global
        .offset:         8
        .size:           8
        .value_kind:     global_buffer
      - .actual_access:  read_only
        .address_space:  global
        .offset:         16
        .size:           8
        .value_kind:     global_buffer
      - .actual_access:  read_only
        .address_space:  global
        .offset:         24
        .size:           8
        .value_kind:     global_buffer
      - .actual_access:  read_only
        .address_space:  global
        .offset:         32
        .size:           8
        .value_kind:     global_buffer
      - .actual_access:  read_only
        .address_space:  global
        .offset:         40
        .size:           8
        .value_kind:     global_buffer
      - .offset:         48
        .size:           4
        .value_kind:     by_value
      - .actual_access:  read_only
        .address_space:  global
        .offset:         56
        .size:           8
        .value_kind:     global_buffer
      - .offset:         64
        .size:           4
        .value_kind:     hidden_block_count_x
      - .offset:         68
        .size:           4
        .value_kind:     hidden_block_count_y
      - .offset:         72
        .size:           4
        .value_kind:     hidden_block_count_z
      - .offset:         76
        .size:           2
        .value_kind:     hidden_group_size_x
      - .offset:         78
        .size:           2
        .value_kind:     hidden_group_size_y
      - .offset:         80
        .size:           2
        .value_kind:     hidden_group_size_z
      - .offset:         82
        .size:           2
        .value_kind:     hidden_remainder_x
      - .offset:         84
        .size:           2
        .value_kind:     hidden_remainder_y
      - .offset:         86
        .size:           2
        .value_kind:     hidden_remainder_z
      - .offset:         104
        .size:           8
        .value_kind:     hidden_global_offset_x
      - .offset:         112
        .size:           8
        .value_kind:     hidden_global_offset_y
      - .offset:         120
        .size:           8
        .value_kind:     hidden_global_offset_z
      - .offset:         128
        .size:           2
        .value_kind:     hidden_grid_dims
      - .offset:         144
        .size:           8
        .value_kind:     hidden_hostcall_buffer
    .group_segment_fixed_size: 0
    .kernarg_segment_align: 8
    .kernarg_segment_size: 320
    .language:       OpenCL C
    .language_version:
      - 2
      - 0
    .max_flat_workgroup_size: 64
    .name:           _Z35paged_attention_ll4mi_reduce_kernelI14__hip_bfloat16S0_Li64ELi64ELi256ELi8EEvPT0_PKfS4_PKT_PKiS9_iS4_
    .private_segment_fixed_size: 64
    .sgpr_count:     36
    .sgpr_spill_count: 0
    .symbol:         _Z35paged_attention_ll4mi_reduce_kernelI14__hip_bfloat16S0_Li64ELi64ELi256ELi8EEvPT0_PKfS4_PKT_PKiS9_iS4_.kd
    .uniform_work_group_size: 1
    .uses_dynamic_stack: false
    .vgpr_count:     51
    .vgpr_spill_count: 0
    .wavefront_size: 32
  - .args:
      - .actual_access:  read_only
        .address_space:  global
        .offset:         0
        .size:           8
        .value_kind:     global_buffer
      - .actual_access:  read_only
        .address_space:  global
        .offset:         8
        .size:           8
        .value_kind:     global_buffer
      - .actual_access:  read_only
        .address_space:  global
        .offset:         16
        .size:           8
        .value_kind:     global_buffer
      - .offset:         24
        .size:           4
        .value_kind:     by_value
      - .offset:         28
        .size:           4
        .value_kind:     by_value
      - .actual_access:  read_only
        .address_space:  global
        .offset:         32
        .size:           8
        .value_kind:     global_buffer
      - .actual_access:  read_only
        .address_space:  global
        .offset:         40
        .size:           8
        .value_kind:     global_buffer
      - .actual_access:  read_only
        .address_space:  global
        .offset:         48
        .size:           8
        .value_kind:     global_buffer
      - .offset:         56
        .size:           4
        .value_kind:     by_value
      - .actual_access:  read_only
        .address_space:  global
        .offset:         64
        .size:           8
        .value_kind:     global_buffer
      - .offset:         72
        .size:           4
        .value_kind:     by_value
      - .offset:         76
        .size:           4
        .value_kind:     by_value
      - .offset:         80
        .size:           4
        .value_kind:     by_value
      - .actual_access:  read_only
        .address_space:  global
        .offset:         88
        .size:           8
        .value_kind:     global_buffer
      - .actual_access:  read_only
        .address_space:  global
        .offset:         96
        .size:           8
        .value_kind:     global_buffer
      - .actual_access:  read_only
        .address_space:  global
        .offset:         104
        .size:           8
        .value_kind:     global_buffer
      - .actual_access:  read_only
        .address_space:  global
        .offset:         112
        .size:           8
        .value_kind:     global_buffer
      - .offset:         120
        .size:           4
        .value_kind:     by_value
      - .address_space:  global
        .offset:         128
        .size:           8
        .value_kind:     global_buffer
      - .address_space:  global
        .offset:         136
        .size:           8
        .value_kind:     global_buffer
      - .offset:         144
        .size:           4
        .value_kind:     hidden_block_count_x
      - .offset:         148
        .size:           4
        .value_kind:     hidden_block_count_y
      - .offset:         152
        .size:           4
        .value_kind:     hidden_block_count_z
      - .offset:         156
        .size:           2
        .value_kind:     hidden_group_size_x
      - .offset:         158
        .size:           2
        .value_kind:     hidden_group_size_y
      - .offset:         160
        .size:           2
        .value_kind:     hidden_group_size_z
      - .offset:         162
        .size:           2
        .value_kind:     hidden_remainder_x
      - .offset:         164
        .size:           2
        .value_kind:     hidden_remainder_y
      - .offset:         166
        .size:           2
        .value_kind:     hidden_remainder_z
      - .offset:         184
        .size:           8
        .value_kind:     hidden_global_offset_x
      - .offset:         192
        .size:           8
        .value_kind:     hidden_global_offset_y
      - .offset:         200
        .size:           8
        .value_kind:     hidden_global_offset_z
      - .offset:         208
        .size:           2
        .value_kind:     hidden_grid_dims
      - .offset:         224
        .size:           8
        .value_kind:     hidden_hostcall_buffer
    .group_segment_fixed_size: 0
    .kernarg_segment_align: 8
    .kernarg_segment_size: 400
    .language:       OpenCL C
    .language_version:
      - 2
      - 0
    .max_flat_workgroup_size: 256
    .name:           _Z39paged_attention_ll4mi_QKV_mfma16_kernelI14__hip_bfloat16S0_LN4vllm18Fp8KVCacheDataTypeE0ES0_Li16ELi64ELi256ELb1ELi1EEvPKT_PKT0_S8_ifPKiSA_SA_iPKfiiiPfSD_PS3_PT2_iSC_SC_
    .private_segment_fixed_size: 64
    .sgpr_count:     36
    .sgpr_spill_count: 0
    .symbol:         _Z39paged_attention_ll4mi_QKV_mfma16_kernelI14__hip_bfloat16S0_LN4vllm18Fp8KVCacheDataTypeE0ES0_Li16ELi64ELi256ELb1ELi1EEvPKT_PKT0_S8_ifPKiSA_SA_iPKfiiiPfSD_PS3_PT2_iSC_SC_.kd
    .uniform_work_group_size: 1
    .uses_dynamic_stack: false
    .vgpr_count:     51
    .vgpr_spill_count: 0
    .wavefront_size: 32
  - .args:
      - .actual_access:  read_only
        .address_space:  global
        .offset:         0
        .size:           8
        .value_kind:     global_buffer
      - .actual_access:  read_only
        .address_space:  global
        .offset:         8
        .size:           8
        .value_kind:     global_buffer
      - .actual_access:  read_only
        .address_space:  global
        .offset:         16
        .size:           8
        .value_kind:     global_buffer
      - .offset:         24
        .size:           4
        .value_kind:     by_value
      - .offset:         28
        .size:           4
        .value_kind:     by_value
      - .actual_access:  read_only
        .address_space:  global
        .offset:         32
        .size:           8
        .value_kind:     global_buffer
      - .actual_access:  read_only
        .address_space:  global
        .offset:         40
        .size:           8
        .value_kind:     global_buffer
      - .actual_access:  read_only
        .address_space:  global
        .offset:         48
        .size:           8
        .value_kind:     global_buffer
      - .offset:         56
        .size:           4
        .value_kind:     by_value
      - .actual_access:  read_only
        .address_space:  global
        .offset:         64
        .size:           8
        .value_kind:     global_buffer
      - .offset:         72
        .size:           4
        .value_kind:     by_value
      - .offset:         76
        .size:           4
        .value_kind:     by_value
      - .offset:         80
        .size:           4
        .value_kind:     by_value
      - .actual_access:  read_only
        .address_space:  global
        .offset:         88
        .size:           8
        .value_kind:     global_buffer
      - .actual_access:  read_only
        .address_space:  global
        .offset:         96
        .size:           8
        .value_kind:     global_buffer
      - .actual_access:  read_only
        .address_space:  global
        .offset:         104
        .size:           8
        .value_kind:     global_buffer
      - .actual_access:  read_only
        .address_space:  global
        .offset:         112
        .size:           8
        .value_kind:     global_buffer
      - .offset:         120
        .size:           4
        .value_kind:     by_value
      - .address_space:  global
        .offset:         128
        .size:           8
        .value_kind:     global_buffer
      - .address_space:  global
        .offset:         136
        .size:           8
        .value_kind:     global_buffer
      - .offset:         144
        .size:           4
        .value_kind:     hidden_block_count_x
      - .offset:         148
        .size:           4
        .value_kind:     hidden_block_count_y
      - .offset:         152
        .size:           4
        .value_kind:     hidden_block_count_z
      - .offset:         156
        .size:           2
        .value_kind:     hidden_group_size_x
      - .offset:         158
        .size:           2
        .value_kind:     hidden_group_size_y
      - .offset:         160
        .size:           2
        .value_kind:     hidden_group_size_z
      - .offset:         162
        .size:           2
        .value_kind:     hidden_remainder_x
      - .offset:         164
        .size:           2
        .value_kind:     hidden_remainder_y
      - .offset:         166
        .size:           2
        .value_kind:     hidden_remainder_z
      - .offset:         184
        .size:           8
        .value_kind:     hidden_global_offset_x
      - .offset:         192
        .size:           8
        .value_kind:     hidden_global_offset_y
      - .offset:         200
        .size:           8
        .value_kind:     hidden_global_offset_z
      - .offset:         208
        .size:           2
        .value_kind:     hidden_grid_dims
      - .offset:         224
        .size:           8
        .value_kind:     hidden_hostcall_buffer
    .group_segment_fixed_size: 0
    .kernarg_segment_align: 8
    .kernarg_segment_size: 400
    .language:       OpenCL C
    .language_version:
      - 2
      - 0
    .max_flat_workgroup_size: 256
    .name:           _Z39paged_attention_ll4mi_QKV_mfma16_kernelI14__hip_bfloat16S0_LN4vllm18Fp8KVCacheDataTypeE0ES0_Li16ELi64ELi256ELb1ELi2EEvPKT_PKT0_S8_ifPKiSA_SA_iPKfiiiPfSD_PS3_PT2_iSC_SC_
    .private_segment_fixed_size: 64
    .sgpr_count:     36
    .sgpr_spill_count: 0
    .symbol:         _Z39paged_attention_ll4mi_QKV_mfma16_kernelI14__hip_bfloat16S0_LN4vllm18Fp8KVCacheDataTypeE0ES0_Li16ELi64ELi256ELb1ELi2EEvPKT_PKT0_S8_ifPKiSA_SA_iPKfiiiPfSD_PS3_PT2_iSC_SC_.kd
    .uniform_work_group_size: 1
    .uses_dynamic_stack: false
    .vgpr_count:     51
    .vgpr_spill_count: 0
    .wavefront_size: 32
  - .args:
      - .actual_access:  read_only
        .address_space:  global
        .offset:         0
        .size:           8
        .value_kind:     global_buffer
      - .actual_access:  read_only
        .address_space:  global
        .offset:         8
        .size:           8
        .value_kind:     global_buffer
      - .actual_access:  read_only
        .address_space:  global
        .offset:         16
        .size:           8
        .value_kind:     global_buffer
      - .offset:         24
        .size:           4
        .value_kind:     by_value
      - .offset:         28
        .size:           4
        .value_kind:     by_value
      - .actual_access:  read_only
        .address_space:  global
        .offset:         32
        .size:           8
        .value_kind:     global_buffer
      - .actual_access:  read_only
        .address_space:  global
        .offset:         40
        .size:           8
        .value_kind:     global_buffer
      - .actual_access:  read_only
        .address_space:  global
        .offset:         48
        .size:           8
        .value_kind:     global_buffer
      - .offset:         56
        .size:           4
        .value_kind:     by_value
      - .actual_access:  read_only
        .address_space:  global
        .offset:         64
        .size:           8
        .value_kind:     global_buffer
      - .offset:         72
        .size:           4
        .value_kind:     by_value
      - .offset:         76
        .size:           4
        .value_kind:     by_value
      - .offset:         80
        .size:           4
        .value_kind:     by_value
      - .actual_access:  read_only
        .address_space:  global
        .offset:         88
        .size:           8
        .value_kind:     global_buffer
      - .actual_access:  read_only
        .address_space:  global
        .offset:         96
        .size:           8
        .value_kind:     global_buffer
      - .actual_access:  read_only
        .address_space:  global
        .offset:         104
        .size:           8
        .value_kind:     global_buffer
      - .actual_access:  read_only
        .address_space:  global
        .offset:         112
        .size:           8
        .value_kind:     global_buffer
      - .offset:         120
        .size:           4
        .value_kind:     by_value
      - .address_space:  global
        .offset:         128
        .size:           8
        .value_kind:     global_buffer
      - .address_space:  global
        .offset:         136
        .size:           8
        .value_kind:     global_buffer
      - .offset:         144
        .size:           4
        .value_kind:     hidden_block_count_x
      - .offset:         148
        .size:           4
        .value_kind:     hidden_block_count_y
      - .offset:         152
        .size:           4
        .value_kind:     hidden_block_count_z
      - .offset:         156
        .size:           2
        .value_kind:     hidden_group_size_x
      - .offset:         158
        .size:           2
        .value_kind:     hidden_group_size_y
      - .offset:         160
        .size:           2
        .value_kind:     hidden_group_size_z
      - .offset:         162
        .size:           2
        .value_kind:     hidden_remainder_x
      - .offset:         164
        .size:           2
        .value_kind:     hidden_remainder_y
      - .offset:         166
        .size:           2
        .value_kind:     hidden_remainder_z
      - .offset:         184
        .size:           8
        .value_kind:     hidden_global_offset_x
      - .offset:         192
        .size:           8
        .value_kind:     hidden_global_offset_y
      - .offset:         200
        .size:           8
        .value_kind:     hidden_global_offset_z
      - .offset:         208
        .size:           2
        .value_kind:     hidden_grid_dims
      - .offset:         224
        .size:           8
        .value_kind:     hidden_hostcall_buffer
    .group_segment_fixed_size: 0
    .kernarg_segment_align: 8
    .kernarg_segment_size: 400
    .language:       OpenCL C
    .language_version:
      - 2
      - 0
    .max_flat_workgroup_size: 256
    .name:           _Z39paged_attention_ll4mi_QKV_mfma16_kernelI14__hip_bfloat16S0_LN4vllm18Fp8KVCacheDataTypeE0ES0_Li16ELi64ELi256ELb1ELi3EEvPKT_PKT0_S8_ifPKiSA_SA_iPKfiiiPfSD_PS3_PT2_iSC_SC_
    .private_segment_fixed_size: 64
    .sgpr_count:     36
    .sgpr_spill_count: 0
    .symbol:         _Z39paged_attention_ll4mi_QKV_mfma16_kernelI14__hip_bfloat16S0_LN4vllm18Fp8KVCacheDataTypeE0ES0_Li16ELi64ELi256ELb1ELi3EEvPKT_PKT0_S8_ifPKiSA_SA_iPKfiiiPfSD_PS3_PT2_iSC_SC_.kd
    .uniform_work_group_size: 1
    .uses_dynamic_stack: false
    .vgpr_count:     51
    .vgpr_spill_count: 0
    .wavefront_size: 32
  - .args:
      - .actual_access:  read_only
        .address_space:  global
        .offset:         0
        .size:           8
        .value_kind:     global_buffer
      - .actual_access:  read_only
        .address_space:  global
        .offset:         8
        .size:           8
        .value_kind:     global_buffer
      - .actual_access:  read_only
        .address_space:  global
        .offset:         16
        .size:           8
        .value_kind:     global_buffer
      - .offset:         24
        .size:           4
        .value_kind:     by_value
      - .offset:         28
        .size:           4
        .value_kind:     by_value
      - .actual_access:  read_only
        .address_space:  global
        .offset:         32
        .size:           8
        .value_kind:     global_buffer
      - .actual_access:  read_only
        .address_space:  global
        .offset:         40
        .size:           8
        .value_kind:     global_buffer
      - .actual_access:  read_only
        .address_space:  global
        .offset:         48
        .size:           8
        .value_kind:     global_buffer
      - .offset:         56
        .size:           4
        .value_kind:     by_value
      - .actual_access:  read_only
        .address_space:  global
        .offset:         64
        .size:           8
        .value_kind:     global_buffer
      - .offset:         72
        .size:           4
        .value_kind:     by_value
      - .offset:         76
        .size:           4
        .value_kind:     by_value
      - .offset:         80
        .size:           4
        .value_kind:     by_value
      - .actual_access:  read_only
        .address_space:  global
        .offset:         88
        .size:           8
        .value_kind:     global_buffer
      - .actual_access:  read_only
        .address_space:  global
        .offset:         96
        .size:           8
        .value_kind:     global_buffer
      - .actual_access:  read_only
        .address_space:  global
        .offset:         104
        .size:           8
        .value_kind:     global_buffer
      - .actual_access:  read_only
        .address_space:  global
        .offset:         112
        .size:           8
        .value_kind:     global_buffer
      - .offset:         120
        .size:           4
        .value_kind:     by_value
      - .address_space:  global
        .offset:         128
        .size:           8
        .value_kind:     global_buffer
      - .address_space:  global
        .offset:         136
        .size:           8
        .value_kind:     global_buffer
      - .offset:         144
        .size:           4
        .value_kind:     hidden_block_count_x
      - .offset:         148
        .size:           4
        .value_kind:     hidden_block_count_y
      - .offset:         152
        .size:           4
        .value_kind:     hidden_block_count_z
      - .offset:         156
        .size:           2
        .value_kind:     hidden_group_size_x
      - .offset:         158
        .size:           2
        .value_kind:     hidden_group_size_y
      - .offset:         160
        .size:           2
        .value_kind:     hidden_group_size_z
      - .offset:         162
        .size:           2
        .value_kind:     hidden_remainder_x
      - .offset:         164
        .size:           2
        .value_kind:     hidden_remainder_y
      - .offset:         166
        .size:           2
        .value_kind:     hidden_remainder_z
      - .offset:         184
        .size:           8
        .value_kind:     hidden_global_offset_x
      - .offset:         192
        .size:           8
        .value_kind:     hidden_global_offset_y
      - .offset:         200
        .size:           8
        .value_kind:     hidden_global_offset_z
      - .offset:         208
        .size:           2
        .value_kind:     hidden_grid_dims
      - .offset:         224
        .size:           8
        .value_kind:     hidden_hostcall_buffer
    .group_segment_fixed_size: 0
    .kernarg_segment_align: 8
    .kernarg_segment_size: 400
    .language:       OpenCL C
    .language_version:
      - 2
      - 0
    .max_flat_workgroup_size: 256
    .name:           _Z39paged_attention_ll4mi_QKV_mfma16_kernelI14__hip_bfloat16S0_LN4vllm18Fp8KVCacheDataTypeE0ES0_Li16ELi64ELi256ELb1ELi4EEvPKT_PKT0_S8_ifPKiSA_SA_iPKfiiiPfSD_PS3_PT2_iSC_SC_
    .private_segment_fixed_size: 64
    .sgpr_count:     36
    .sgpr_spill_count: 0
    .symbol:         _Z39paged_attention_ll4mi_QKV_mfma16_kernelI14__hip_bfloat16S0_LN4vllm18Fp8KVCacheDataTypeE0ES0_Li16ELi64ELi256ELb1ELi4EEvPKT_PKT0_S8_ifPKiSA_SA_iPKfiiiPfSD_PS3_PT2_iSC_SC_.kd
    .uniform_work_group_size: 1
    .uses_dynamic_stack: false
    .vgpr_count:     51
    .vgpr_spill_count: 0
    .wavefront_size: 32
  - .args:
      - .actual_access:  read_only
        .address_space:  global
        .offset:         0
        .size:           8
        .value_kind:     global_buffer
      - .actual_access:  read_only
        .address_space:  global
        .offset:         8
        .size:           8
        .value_kind:     global_buffer
      - .actual_access:  read_only
        .address_space:  global
        .offset:         16
        .size:           8
        .value_kind:     global_buffer
      - .actual_access:  read_only
        .address_space:  global
        .offset:         24
        .size:           8
        .value_kind:     global_buffer
      - .actual_access:  read_only
        .address_space:  global
        .offset:         32
        .size:           8
        .value_kind:     global_buffer
      - .actual_access:  read_only
        .address_space:  global
        .offset:         40
        .size:           8
        .value_kind:     global_buffer
      - .offset:         48
        .size:           4
        .value_kind:     by_value
      - .actual_access:  read_only
        .address_space:  global
        .offset:         56
        .size:           8
        .value_kind:     global_buffer
      - .offset:         64
        .size:           4
        .value_kind:     hidden_block_count_x
      - .offset:         68
        .size:           4
        .value_kind:     hidden_block_count_y
      - .offset:         72
        .size:           4
        .value_kind:     hidden_block_count_z
      - .offset:         76
        .size:           2
        .value_kind:     hidden_group_size_x
      - .offset:         78
        .size:           2
        .value_kind:     hidden_group_size_y
      - .offset:         80
        .size:           2
        .value_kind:     hidden_group_size_z
      - .offset:         82
        .size:           2
        .value_kind:     hidden_remainder_x
      - .offset:         84
        .size:           2
        .value_kind:     hidden_remainder_y
      - .offset:         86
        .size:           2
        .value_kind:     hidden_remainder_z
      - .offset:         104
        .size:           8
        .value_kind:     hidden_global_offset_x
      - .offset:         112
        .size:           8
        .value_kind:     hidden_global_offset_y
      - .offset:         120
        .size:           8
        .value_kind:     hidden_global_offset_z
      - .offset:         128
        .size:           2
        .value_kind:     hidden_grid_dims
      - .offset:         144
        .size:           8
        .value_kind:     hidden_hostcall_buffer
    .group_segment_fixed_size: 0
    .kernarg_segment_align: 8
    .kernarg_segment_size: 320
    .language:       OpenCL C
    .language_version:
      - 2
      - 0
    .max_flat_workgroup_size: 64
    .name:           _Z35paged_attention_ll4mi_reduce_kernelI14__hip_bfloat16S0_Li64ELi64ELi256ELi9EEvPT0_PKfS4_PKT_PKiS9_iS4_
    .private_segment_fixed_size: 64
    .sgpr_count:     36
    .sgpr_spill_count: 0
    .symbol:         _Z35paged_attention_ll4mi_reduce_kernelI14__hip_bfloat16S0_Li64ELi64ELi256ELi9EEvPT0_PKfS4_PKT_PKiS9_iS4_.kd
    .uniform_work_group_size: 1
    .uses_dynamic_stack: false
    .vgpr_count:     51
    .vgpr_spill_count: 0
    .wavefront_size: 32
  - .args:
      - .actual_access:  read_only
        .address_space:  global
        .offset:         0
        .size:           8
        .value_kind:     global_buffer
      - .actual_access:  read_only
        .address_space:  global
        .offset:         8
        .size:           8
        .value_kind:     global_buffer
      - .actual_access:  read_only
        .address_space:  global
        .offset:         16
        .size:           8
        .value_kind:     global_buffer
      - .actual_access:  read_only
        .address_space:  global
        .offset:         24
        .size:           8
        .value_kind:     global_buffer
      - .actual_access:  read_only
        .address_space:  global
        .offset:         32
        .size:           8
        .value_kind:     global_buffer
      - .actual_access:  read_only
        .address_space:  global
        .offset:         40
        .size:           8
        .value_kind:     global_buffer
      - .offset:         48
        .size:           4
        .value_kind:     by_value
      - .actual_access:  read_only
        .address_space:  global
        .offset:         56
        .size:           8
        .value_kind:     global_buffer
      - .offset:         64
        .size:           4
        .value_kind:     hidden_block_count_x
      - .offset:         68
        .size:           4
        .value_kind:     hidden_block_count_y
      - .offset:         72
        .size:           4
        .value_kind:     hidden_block_count_z
      - .offset:         76
        .size:           2
        .value_kind:     hidden_group_size_x
      - .offset:         78
        .size:           2
        .value_kind:     hidden_group_size_y
      - .offset:         80
        .size:           2
        .value_kind:     hidden_group_size_z
      - .offset:         82
        .size:           2
        .value_kind:     hidden_remainder_x
      - .offset:         84
        .size:           2
        .value_kind:     hidden_remainder_y
      - .offset:         86
        .size:           2
        .value_kind:     hidden_remainder_z
      - .offset:         104
        .size:           8
        .value_kind:     hidden_global_offset_x
      - .offset:         112
        .size:           8
        .value_kind:     hidden_global_offset_y
      - .offset:         120
        .size:           8
        .value_kind:     hidden_global_offset_z
      - .offset:         128
        .size:           2
        .value_kind:     hidden_grid_dims
      - .offset:         144
        .size:           8
        .value_kind:     hidden_hostcall_buffer
    .group_segment_fixed_size: 0
    .kernarg_segment_align: 8
    .kernarg_segment_size: 320
    .language:       OpenCL C
    .language_version:
      - 2
      - 0
    .max_flat_workgroup_size: 64
    .name:           _Z35paged_attention_ll4mi_reduce_kernelI14__hip_bfloat16S0_Li64ELi64ELi256ELi10EEvPT0_PKfS4_PKT_PKiS9_iS4_
    .private_segment_fixed_size: 64
    .sgpr_count:     36
    .sgpr_spill_count: 0
    .symbol:         _Z35paged_attention_ll4mi_reduce_kernelI14__hip_bfloat16S0_Li64ELi64ELi256ELi10EEvPT0_PKfS4_PKT_PKiS9_iS4_.kd
    .uniform_work_group_size: 1
    .uses_dynamic_stack: false
    .vgpr_count:     51
    .vgpr_spill_count: 0
    .wavefront_size: 32
  - .args:
      - .actual_access:  read_only
        .address_space:  global
        .offset:         0
        .size:           8
        .value_kind:     global_buffer
      - .actual_access:  read_only
        .address_space:  global
        .offset:         8
        .size:           8
        .value_kind:     global_buffer
      - .actual_access:  read_only
        .address_space:  global
        .offset:         16
        .size:           8
        .value_kind:     global_buffer
      - .actual_access:  read_only
        .address_space:  global
        .offset:         24
        .size:           8
        .value_kind:     global_buffer
      - .actual_access:  read_only
        .address_space:  global
        .offset:         32
        .size:           8
        .value_kind:     global_buffer
      - .actual_access:  read_only
        .address_space:  global
        .offset:         40
        .size:           8
        .value_kind:     global_buffer
      - .offset:         48
        .size:           4
        .value_kind:     by_value
      - .actual_access:  read_only
        .address_space:  global
        .offset:         56
        .size:           8
        .value_kind:     global_buffer
      - .offset:         64
        .size:           4
        .value_kind:     hidden_block_count_x
      - .offset:         68
        .size:           4
        .value_kind:     hidden_block_count_y
      - .offset:         72
        .size:           4
        .value_kind:     hidden_block_count_z
      - .offset:         76
        .size:           2
        .value_kind:     hidden_group_size_x
      - .offset:         78
        .size:           2
        .value_kind:     hidden_group_size_y
      - .offset:         80
        .size:           2
        .value_kind:     hidden_group_size_z
      - .offset:         82
        .size:           2
        .value_kind:     hidden_remainder_x
      - .offset:         84
        .size:           2
        .value_kind:     hidden_remainder_y
      - .offset:         86
        .size:           2
        .value_kind:     hidden_remainder_z
      - .offset:         104
        .size:           8
        .value_kind:     hidden_global_offset_x
      - .offset:         112
        .size:           8
        .value_kind:     hidden_global_offset_y
      - .offset:         120
        .size:           8
        .value_kind:     hidden_global_offset_z
      - .offset:         128
        .size:           2
        .value_kind:     hidden_grid_dims
      - .offset:         144
        .size:           8
        .value_kind:     hidden_hostcall_buffer
    .group_segment_fixed_size: 0
    .kernarg_segment_align: 8
    .kernarg_segment_size: 320
    .language:       OpenCL C
    .language_version:
      - 2
      - 0
    .max_flat_workgroup_size: 64
    .name:           _Z35paged_attention_ll4mi_reduce_kernelI14__hip_bfloat16S0_Li64ELi64ELi256ELi11EEvPT0_PKfS4_PKT_PKiS9_iS4_
    .private_segment_fixed_size: 64
    .sgpr_count:     36
    .sgpr_spill_count: 0
    .symbol:         _Z35paged_attention_ll4mi_reduce_kernelI14__hip_bfloat16S0_Li64ELi64ELi256ELi11EEvPT0_PKfS4_PKT_PKiS9_iS4_.kd
    .uniform_work_group_size: 1
    .uses_dynamic_stack: false
    .vgpr_count:     51
    .vgpr_spill_count: 0
    .wavefront_size: 32
  - .args:
      - .actual_access:  read_only
        .address_space:  global
        .offset:         0
        .size:           8
        .value_kind:     global_buffer
      - .actual_access:  read_only
        .address_space:  global
        .offset:         8
        .size:           8
        .value_kind:     global_buffer
      - .actual_access:  read_only
        .address_space:  global
        .offset:         16
        .size:           8
        .value_kind:     global_buffer
      - .actual_access:  read_only
        .address_space:  global
        .offset:         24
        .size:           8
        .value_kind:     global_buffer
      - .actual_access:  read_only
        .address_space:  global
        .offset:         32
        .size:           8
        .value_kind:     global_buffer
      - .actual_access:  read_only
        .address_space:  global
        .offset:         40
        .size:           8
        .value_kind:     global_buffer
      - .offset:         48
        .size:           4
        .value_kind:     by_value
      - .actual_access:  read_only
        .address_space:  global
        .offset:         56
        .size:           8
        .value_kind:     global_buffer
      - .offset:         64
        .size:           4
        .value_kind:     hidden_block_count_x
      - .offset:         68
        .size:           4
        .value_kind:     hidden_block_count_y
      - .offset:         72
        .size:           4
        .value_kind:     hidden_block_count_z
      - .offset:         76
        .size:           2
        .value_kind:     hidden_group_size_x
      - .offset:         78
        .size:           2
        .value_kind:     hidden_group_size_y
      - .offset:         80
        .size:           2
        .value_kind:     hidden_group_size_z
      - .offset:         82
        .size:           2
        .value_kind:     hidden_remainder_x
      - .offset:         84
        .size:           2
        .value_kind:     hidden_remainder_y
      - .offset:         86
        .size:           2
        .value_kind:     hidden_remainder_z
      - .offset:         104
        .size:           8
        .value_kind:     hidden_global_offset_x
      - .offset:         112
        .size:           8
        .value_kind:     hidden_global_offset_y
      - .offset:         120
        .size:           8
        .value_kind:     hidden_global_offset_z
      - .offset:         128
        .size:           2
        .value_kind:     hidden_grid_dims
      - .offset:         144
        .size:           8
        .value_kind:     hidden_hostcall_buffer
    .group_segment_fixed_size: 0
    .kernarg_segment_align: 8
    .kernarg_segment_size: 320
    .language:       OpenCL C
    .language_version:
      - 2
      - 0
    .max_flat_workgroup_size: 64
    .name:           _Z35paged_attention_ll4mi_reduce_kernelI14__hip_bfloat16S0_Li64ELi64ELi256ELi12EEvPT0_PKfS4_PKT_PKiS9_iS4_
    .private_segment_fixed_size: 64
    .sgpr_count:     36
    .sgpr_spill_count: 0
    .symbol:         _Z35paged_attention_ll4mi_reduce_kernelI14__hip_bfloat16S0_Li64ELi64ELi256ELi12EEvPT0_PKfS4_PKT_PKiS9_iS4_.kd
    .uniform_work_group_size: 1
    .uses_dynamic_stack: false
    .vgpr_count:     51
    .vgpr_spill_count: 0
    .wavefront_size: 32
  - .args:
      - .actual_access:  read_only
        .address_space:  global
        .offset:         0
        .size:           8
        .value_kind:     global_buffer
      - .actual_access:  read_only
        .address_space:  global
        .offset:         8
        .size:           8
        .value_kind:     global_buffer
      - .actual_access:  read_only
        .address_space:  global
        .offset:         16
        .size:           8
        .value_kind:     global_buffer
      - .actual_access:  read_only
        .address_space:  global
        .offset:         24
        .size:           8
        .value_kind:     global_buffer
      - .actual_access:  read_only
        .address_space:  global
        .offset:         32
        .size:           8
        .value_kind:     global_buffer
      - .actual_access:  read_only
        .address_space:  global
        .offset:         40
        .size:           8
        .value_kind:     global_buffer
      - .offset:         48
        .size:           4
        .value_kind:     by_value
      - .actual_access:  read_only
        .address_space:  global
        .offset:         56
        .size:           8
        .value_kind:     global_buffer
      - .offset:         64
        .size:           4
        .value_kind:     hidden_block_count_x
      - .offset:         68
        .size:           4
        .value_kind:     hidden_block_count_y
      - .offset:         72
        .size:           4
        .value_kind:     hidden_block_count_z
      - .offset:         76
        .size:           2
        .value_kind:     hidden_group_size_x
      - .offset:         78
        .size:           2
        .value_kind:     hidden_group_size_y
      - .offset:         80
        .size:           2
        .value_kind:     hidden_group_size_z
      - .offset:         82
        .size:           2
        .value_kind:     hidden_remainder_x
      - .offset:         84
        .size:           2
        .value_kind:     hidden_remainder_y
      - .offset:         86
        .size:           2
        .value_kind:     hidden_remainder_z
      - .offset:         104
        .size:           8
        .value_kind:     hidden_global_offset_x
      - .offset:         112
        .size:           8
        .value_kind:     hidden_global_offset_y
      - .offset:         120
        .size:           8
        .value_kind:     hidden_global_offset_z
      - .offset:         128
        .size:           2
        .value_kind:     hidden_grid_dims
      - .offset:         144
        .size:           8
        .value_kind:     hidden_hostcall_buffer
    .group_segment_fixed_size: 0
    .kernarg_segment_align: 8
    .kernarg_segment_size: 320
    .language:       OpenCL C
    .language_version:
      - 2
      - 0
    .max_flat_workgroup_size: 64
    .name:           _Z35paged_attention_ll4mi_reduce_kernelI14__hip_bfloat16S0_Li64ELi64ELi256ELi13EEvPT0_PKfS4_PKT_PKiS9_iS4_
    .private_segment_fixed_size: 64
    .sgpr_count:     36
    .sgpr_spill_count: 0
    .symbol:         _Z35paged_attention_ll4mi_reduce_kernelI14__hip_bfloat16S0_Li64ELi64ELi256ELi13EEvPT0_PKfS4_PKT_PKiS9_iS4_.kd
    .uniform_work_group_size: 1
    .uses_dynamic_stack: false
    .vgpr_count:     51
    .vgpr_spill_count: 0
    .wavefront_size: 32
  - .args:
      - .actual_access:  read_only
        .address_space:  global
        .offset:         0
        .size:           8
        .value_kind:     global_buffer
      - .actual_access:  read_only
        .address_space:  global
        .offset:         8
        .size:           8
        .value_kind:     global_buffer
      - .actual_access:  read_only
        .address_space:  global
        .offset:         16
        .size:           8
        .value_kind:     global_buffer
      - .actual_access:  read_only
        .address_space:  global
        .offset:         24
        .size:           8
        .value_kind:     global_buffer
      - .actual_access:  read_only
        .address_space:  global
        .offset:         32
        .size:           8
        .value_kind:     global_buffer
      - .actual_access:  read_only
        .address_space:  global
        .offset:         40
        .size:           8
        .value_kind:     global_buffer
      - .offset:         48
        .size:           4
        .value_kind:     by_value
      - .actual_access:  read_only
        .address_space:  global
        .offset:         56
        .size:           8
        .value_kind:     global_buffer
      - .offset:         64
        .size:           4
        .value_kind:     hidden_block_count_x
      - .offset:         68
        .size:           4
        .value_kind:     hidden_block_count_y
      - .offset:         72
        .size:           4
        .value_kind:     hidden_block_count_z
      - .offset:         76
        .size:           2
        .value_kind:     hidden_group_size_x
      - .offset:         78
        .size:           2
        .value_kind:     hidden_group_size_y
      - .offset:         80
        .size:           2
        .value_kind:     hidden_group_size_z
      - .offset:         82
        .size:           2
        .value_kind:     hidden_remainder_x
      - .offset:         84
        .size:           2
        .value_kind:     hidden_remainder_y
      - .offset:         86
        .size:           2
        .value_kind:     hidden_remainder_z
      - .offset:         104
        .size:           8
        .value_kind:     hidden_global_offset_x
      - .offset:         112
        .size:           8
        .value_kind:     hidden_global_offset_y
      - .offset:         120
        .size:           8
        .value_kind:     hidden_global_offset_z
      - .offset:         128
        .size:           2
        .value_kind:     hidden_grid_dims
      - .offset:         144
        .size:           8
        .value_kind:     hidden_hostcall_buffer
    .group_segment_fixed_size: 0
    .kernarg_segment_align: 8
    .kernarg_segment_size: 320
    .language:       OpenCL C
    .language_version:
      - 2
      - 0
    .max_flat_workgroup_size: 64
    .name:           _Z35paged_attention_ll4mi_reduce_kernelI14__hip_bfloat16S0_Li64ELi64ELi256ELi14EEvPT0_PKfS4_PKT_PKiS9_iS4_
    .private_segment_fixed_size: 64
    .sgpr_count:     36
    .sgpr_spill_count: 0
    .symbol:         _Z35paged_attention_ll4mi_reduce_kernelI14__hip_bfloat16S0_Li64ELi64ELi256ELi14EEvPT0_PKfS4_PKT_PKiS9_iS4_.kd
    .uniform_work_group_size: 1
    .uses_dynamic_stack: false
    .vgpr_count:     51
    .vgpr_spill_count: 0
    .wavefront_size: 32
  - .args:
      - .actual_access:  read_only
        .address_space:  global
        .offset:         0
        .size:           8
        .value_kind:     global_buffer
      - .actual_access:  read_only
        .address_space:  global
        .offset:         8
        .size:           8
        .value_kind:     global_buffer
      - .actual_access:  read_only
        .address_space:  global
        .offset:         16
        .size:           8
        .value_kind:     global_buffer
      - .actual_access:  read_only
        .address_space:  global
        .offset:         24
        .size:           8
        .value_kind:     global_buffer
      - .actual_access:  read_only
        .address_space:  global
        .offset:         32
        .size:           8
        .value_kind:     global_buffer
      - .actual_access:  read_only
        .address_space:  global
        .offset:         40
        .size:           8
        .value_kind:     global_buffer
      - .offset:         48
        .size:           4
        .value_kind:     by_value
      - .actual_access:  read_only
        .address_space:  global
        .offset:         56
        .size:           8
        .value_kind:     global_buffer
      - .offset:         64
        .size:           4
        .value_kind:     hidden_block_count_x
      - .offset:         68
        .size:           4
        .value_kind:     hidden_block_count_y
      - .offset:         72
        .size:           4
        .value_kind:     hidden_block_count_z
      - .offset:         76
        .size:           2
        .value_kind:     hidden_group_size_x
      - .offset:         78
        .size:           2
        .value_kind:     hidden_group_size_y
      - .offset:         80
        .size:           2
        .value_kind:     hidden_group_size_z
      - .offset:         82
        .size:           2
        .value_kind:     hidden_remainder_x
      - .offset:         84
        .size:           2
        .value_kind:     hidden_remainder_y
      - .offset:         86
        .size:           2
        .value_kind:     hidden_remainder_z
      - .offset:         104
        .size:           8
        .value_kind:     hidden_global_offset_x
      - .offset:         112
        .size:           8
        .value_kind:     hidden_global_offset_y
      - .offset:         120
        .size:           8
        .value_kind:     hidden_global_offset_z
      - .offset:         128
        .size:           2
        .value_kind:     hidden_grid_dims
      - .offset:         144
        .size:           8
        .value_kind:     hidden_hostcall_buffer
    .group_segment_fixed_size: 0
    .kernarg_segment_align: 8
    .kernarg_segment_size: 320
    .language:       OpenCL C
    .language_version:
      - 2
      - 0
    .max_flat_workgroup_size: 64
    .name:           _Z35paged_attention_ll4mi_reduce_kernelI14__hip_bfloat16S0_Li64ELi64ELi256ELi15EEvPT0_PKfS4_PKT_PKiS9_iS4_
    .private_segment_fixed_size: 64
    .sgpr_count:     36
    .sgpr_spill_count: 0
    .symbol:         _Z35paged_attention_ll4mi_reduce_kernelI14__hip_bfloat16S0_Li64ELi64ELi256ELi15EEvPT0_PKfS4_PKT_PKiS9_iS4_.kd
    .uniform_work_group_size: 1
    .uses_dynamic_stack: false
    .vgpr_count:     51
    .vgpr_spill_count: 0
    .wavefront_size: 32
  - .args:
      - .actual_access:  read_only
        .address_space:  global
        .offset:         0
        .size:           8
        .value_kind:     global_buffer
      - .actual_access:  read_only
        .address_space:  global
        .offset:         8
        .size:           8
        .value_kind:     global_buffer
      - .actual_access:  read_only
        .address_space:  global
        .offset:         16
        .size:           8
        .value_kind:     global_buffer
      - .actual_access:  read_only
        .address_space:  global
        .offset:         24
        .size:           8
        .value_kind:     global_buffer
      - .actual_access:  read_only
        .address_space:  global
        .offset:         32
        .size:           8
        .value_kind:     global_buffer
      - .actual_access:  read_only
        .address_space:  global
        .offset:         40
        .size:           8
        .value_kind:     global_buffer
      - .offset:         48
        .size:           4
        .value_kind:     by_value
      - .actual_access:  read_only
        .address_space:  global
        .offset:         56
        .size:           8
        .value_kind:     global_buffer
      - .offset:         64
        .size:           4
        .value_kind:     hidden_block_count_x
      - .offset:         68
        .size:           4
        .value_kind:     hidden_block_count_y
      - .offset:         72
        .size:           4
        .value_kind:     hidden_block_count_z
      - .offset:         76
        .size:           2
        .value_kind:     hidden_group_size_x
      - .offset:         78
        .size:           2
        .value_kind:     hidden_group_size_y
      - .offset:         80
        .size:           2
        .value_kind:     hidden_group_size_z
      - .offset:         82
        .size:           2
        .value_kind:     hidden_remainder_x
      - .offset:         84
        .size:           2
        .value_kind:     hidden_remainder_y
      - .offset:         86
        .size:           2
        .value_kind:     hidden_remainder_z
      - .offset:         104
        .size:           8
        .value_kind:     hidden_global_offset_x
      - .offset:         112
        .size:           8
        .value_kind:     hidden_global_offset_y
      - .offset:         120
        .size:           8
        .value_kind:     hidden_global_offset_z
      - .offset:         128
        .size:           2
        .value_kind:     hidden_grid_dims
      - .offset:         144
        .size:           8
        .value_kind:     hidden_hostcall_buffer
    .group_segment_fixed_size: 0
    .kernarg_segment_align: 8
    .kernarg_segment_size: 320
    .language:       OpenCL C
    .language_version:
      - 2
      - 0
    .max_flat_workgroup_size: 64
    .name:           _Z35paged_attention_ll4mi_reduce_kernelI14__hip_bfloat16S0_Li64ELi64ELi256ELi16EEvPT0_PKfS4_PKT_PKiS9_iS4_
    .private_segment_fixed_size: 64
    .sgpr_count:     36
    .sgpr_spill_count: 0
    .symbol:         _Z35paged_attention_ll4mi_reduce_kernelI14__hip_bfloat16S0_Li64ELi64ELi256ELi16EEvPT0_PKfS4_PKT_PKiS9_iS4_.kd
    .uniform_work_group_size: 1
    .uses_dynamic_stack: false
    .vgpr_count:     51
    .vgpr_spill_count: 0
    .wavefront_size: 32
  - .args:
      - .actual_access:  read_only
        .address_space:  global
        .offset:         0
        .size:           8
        .value_kind:     global_buffer
      - .actual_access:  read_only
        .address_space:  global
        .offset:         8
        .size:           8
        .value_kind:     global_buffer
      - .actual_access:  read_only
        .address_space:  global
        .offset:         16
        .size:           8
        .value_kind:     global_buffer
      - .offset:         24
        .size:           4
        .value_kind:     by_value
      - .offset:         28
        .size:           4
        .value_kind:     by_value
      - .actual_access:  read_only
        .address_space:  global
        .offset:         32
        .size:           8
        .value_kind:     global_buffer
      - .actual_access:  read_only
        .address_space:  global
        .offset:         40
        .size:           8
        .value_kind:     global_buffer
      - .actual_access:  read_only
        .address_space:  global
        .offset:         48
        .size:           8
        .value_kind:     global_buffer
      - .offset:         56
        .size:           4
        .value_kind:     by_value
      - .actual_access:  read_only
        .address_space:  global
        .offset:         64
        .size:           8
        .value_kind:     global_buffer
      - .offset:         72
        .size:           4
        .value_kind:     by_value
      - .offset:         76
        .size:           4
        .value_kind:     by_value
      - .offset:         80
        .size:           4
        .value_kind:     by_value
      - .actual_access:  read_only
        .address_space:  global
        .offset:         88
        .size:           8
        .value_kind:     global_buffer
      - .actual_access:  read_only
        .address_space:  global
        .offset:         96
        .size:           8
        .value_kind:     global_buffer
      - .actual_access:  read_only
        .address_space:  global
        .offset:         104
        .size:           8
        .value_kind:     global_buffer
      - .actual_access:  read_only
        .address_space:  global
        .offset:         112
        .size:           8
        .value_kind:     global_buffer
      - .offset:         120
        .size:           4
        .value_kind:     by_value
      - .address_space:  global
        .offset:         128
        .size:           8
        .value_kind:     global_buffer
      - .address_space:  global
        .offset:         136
        .size:           8
        .value_kind:     global_buffer
      - .offset:         144
        .size:           4
        .value_kind:     hidden_block_count_x
      - .offset:         148
        .size:           4
        .value_kind:     hidden_block_count_y
      - .offset:         152
        .size:           4
        .value_kind:     hidden_block_count_z
      - .offset:         156
        .size:           2
        .value_kind:     hidden_group_size_x
      - .offset:         158
        .size:           2
        .value_kind:     hidden_group_size_y
      - .offset:         160
        .size:           2
        .value_kind:     hidden_group_size_z
      - .offset:         162
        .size:           2
        .value_kind:     hidden_remainder_x
      - .offset:         164
        .size:           2
        .value_kind:     hidden_remainder_y
      - .offset:         166
        .size:           2
        .value_kind:     hidden_remainder_z
      - .offset:         184
        .size:           8
        .value_kind:     hidden_global_offset_x
      - .offset:         192
        .size:           8
        .value_kind:     hidden_global_offset_y
      - .offset:         200
        .size:           8
        .value_kind:     hidden_global_offset_z
      - .offset:         208
        .size:           2
        .value_kind:     hidden_grid_dims
      - .offset:         224
        .size:           8
        .value_kind:     hidden_hostcall_buffer
    .group_segment_fixed_size: 0
    .kernarg_segment_align: 8
    .kernarg_segment_size: 400
    .language:       OpenCL C
    .language_version:
      - 2
      - 0
    .max_flat_workgroup_size: 256
    .name:           _Z38paged_attention_ll4mi_QKV_mfma4_kernelI14__hip_bfloat16S0_LN4vllm18Fp8KVCacheDataTypeE0ES0_Li16ELi64ELi256ELb0ELi1EEvPKT_PKT0_S8_ifPKiSA_SA_iPKfiiiPfSD_PS3_PT2_iSC_SC_
    .private_segment_fixed_size: 64
    .sgpr_count:     36
    .sgpr_spill_count: 0
    .symbol:         _Z38paged_attention_ll4mi_QKV_mfma4_kernelI14__hip_bfloat16S0_LN4vllm18Fp8KVCacheDataTypeE0ES0_Li16ELi64ELi256ELb0ELi1EEvPKT_PKT0_S8_ifPKiSA_SA_iPKfiiiPfSD_PS3_PT2_iSC_SC_.kd
    .uniform_work_group_size: 1
    .uses_dynamic_stack: false
    .vgpr_count:     51
    .vgpr_spill_count: 0
    .wavefront_size: 32
  - .args:
      - .actual_access:  read_only
        .address_space:  global
        .offset:         0
        .size:           8
        .value_kind:     global_buffer
      - .actual_access:  read_only
        .address_space:  global
        .offset:         8
        .size:           8
        .value_kind:     global_buffer
      - .actual_access:  read_only
        .address_space:  global
        .offset:         16
        .size:           8
        .value_kind:     global_buffer
      - .offset:         24
        .size:           4
        .value_kind:     by_value
      - .offset:         28
        .size:           4
        .value_kind:     by_value
      - .actual_access:  read_only
        .address_space:  global
        .offset:         32
        .size:           8
        .value_kind:     global_buffer
      - .actual_access:  read_only
        .address_space:  global
        .offset:         40
        .size:           8
        .value_kind:     global_buffer
      - .actual_access:  read_only
        .address_space:  global
        .offset:         48
        .size:           8
        .value_kind:     global_buffer
      - .offset:         56
        .size:           4
        .value_kind:     by_value
      - .actual_access:  read_only
        .address_space:  global
        .offset:         64
        .size:           8
        .value_kind:     global_buffer
      - .offset:         72
        .size:           4
        .value_kind:     by_value
      - .offset:         76
        .size:           4
        .value_kind:     by_value
      - .offset:         80
        .size:           4
        .value_kind:     by_value
      - .actual_access:  read_only
        .address_space:  global
        .offset:         88
        .size:           8
        .value_kind:     global_buffer
      - .actual_access:  read_only
        .address_space:  global
        .offset:         96
        .size:           8
        .value_kind:     global_buffer
      - .actual_access:  read_only
        .address_space:  global
        .offset:         104
        .size:           8
        .value_kind:     global_buffer
      - .actual_access:  read_only
        .address_space:  global
        .offset:         112
        .size:           8
        .value_kind:     global_buffer
      - .offset:         120
        .size:           4
        .value_kind:     by_value
      - .address_space:  global
        .offset:         128
        .size:           8
        .value_kind:     global_buffer
      - .address_space:  global
        .offset:         136
        .size:           8
        .value_kind:     global_buffer
      - .offset:         144
        .size:           4
        .value_kind:     hidden_block_count_x
      - .offset:         148
        .size:           4
        .value_kind:     hidden_block_count_y
      - .offset:         152
        .size:           4
        .value_kind:     hidden_block_count_z
      - .offset:         156
        .size:           2
        .value_kind:     hidden_group_size_x
      - .offset:         158
        .size:           2
        .value_kind:     hidden_group_size_y
      - .offset:         160
        .size:           2
        .value_kind:     hidden_group_size_z
      - .offset:         162
        .size:           2
        .value_kind:     hidden_remainder_x
      - .offset:         164
        .size:           2
        .value_kind:     hidden_remainder_y
      - .offset:         166
        .size:           2
        .value_kind:     hidden_remainder_z
      - .offset:         184
        .size:           8
        .value_kind:     hidden_global_offset_x
      - .offset:         192
        .size:           8
        .value_kind:     hidden_global_offset_y
      - .offset:         200
        .size:           8
        .value_kind:     hidden_global_offset_z
      - .offset:         208
        .size:           2
        .value_kind:     hidden_grid_dims
      - .offset:         224
        .size:           8
        .value_kind:     hidden_hostcall_buffer
    .group_segment_fixed_size: 0
    .kernarg_segment_align: 8
    .kernarg_segment_size: 400
    .language:       OpenCL C
    .language_version:
      - 2
      - 0
    .max_flat_workgroup_size: 256
    .name:           _Z38paged_attention_ll4mi_QKV_mfma4_kernelI14__hip_bfloat16S0_LN4vllm18Fp8KVCacheDataTypeE0ES0_Li16ELi64ELi256ELb0ELi2EEvPKT_PKT0_S8_ifPKiSA_SA_iPKfiiiPfSD_PS3_PT2_iSC_SC_
    .private_segment_fixed_size: 64
    .sgpr_count:     36
    .sgpr_spill_count: 0
    .symbol:         _Z38paged_attention_ll4mi_QKV_mfma4_kernelI14__hip_bfloat16S0_LN4vllm18Fp8KVCacheDataTypeE0ES0_Li16ELi64ELi256ELb0ELi2EEvPKT_PKT0_S8_ifPKiSA_SA_iPKfiiiPfSD_PS3_PT2_iSC_SC_.kd
    .uniform_work_group_size: 1
    .uses_dynamic_stack: false
    .vgpr_count:     51
    .vgpr_spill_count: 0
    .wavefront_size: 32
  - .args:
      - .actual_access:  read_only
        .address_space:  global
        .offset:         0
        .size:           8
        .value_kind:     global_buffer
      - .actual_access:  read_only
        .address_space:  global
        .offset:         8
        .size:           8
        .value_kind:     global_buffer
      - .actual_access:  read_only
        .address_space:  global
        .offset:         16
        .size:           8
        .value_kind:     global_buffer
      - .offset:         24
        .size:           4
        .value_kind:     by_value
      - .offset:         28
        .size:           4
        .value_kind:     by_value
      - .actual_access:  read_only
        .address_space:  global
        .offset:         32
        .size:           8
        .value_kind:     global_buffer
      - .actual_access:  read_only
        .address_space:  global
        .offset:         40
        .size:           8
        .value_kind:     global_buffer
      - .actual_access:  read_only
        .address_space:  global
        .offset:         48
        .size:           8
        .value_kind:     global_buffer
      - .offset:         56
        .size:           4
        .value_kind:     by_value
      - .actual_access:  read_only
        .address_space:  global
        .offset:         64
        .size:           8
        .value_kind:     global_buffer
      - .offset:         72
        .size:           4
        .value_kind:     by_value
      - .offset:         76
        .size:           4
        .value_kind:     by_value
      - .offset:         80
        .size:           4
        .value_kind:     by_value
      - .actual_access:  read_only
        .address_space:  global
        .offset:         88
        .size:           8
        .value_kind:     global_buffer
      - .actual_access:  read_only
        .address_space:  global
        .offset:         96
        .size:           8
        .value_kind:     global_buffer
      - .actual_access:  read_only
        .address_space:  global
        .offset:         104
        .size:           8
        .value_kind:     global_buffer
      - .actual_access:  read_only
        .address_space:  global
        .offset:         112
        .size:           8
        .value_kind:     global_buffer
      - .offset:         120
        .size:           4
        .value_kind:     by_value
      - .address_space:  global
        .offset:         128
        .size:           8
        .value_kind:     global_buffer
      - .address_space:  global
        .offset:         136
        .size:           8
        .value_kind:     global_buffer
      - .offset:         144
        .size:           4
        .value_kind:     hidden_block_count_x
      - .offset:         148
        .size:           4
        .value_kind:     hidden_block_count_y
      - .offset:         152
        .size:           4
        .value_kind:     hidden_block_count_z
      - .offset:         156
        .size:           2
        .value_kind:     hidden_group_size_x
      - .offset:         158
        .size:           2
        .value_kind:     hidden_group_size_y
      - .offset:         160
        .size:           2
        .value_kind:     hidden_group_size_z
      - .offset:         162
        .size:           2
        .value_kind:     hidden_remainder_x
      - .offset:         164
        .size:           2
        .value_kind:     hidden_remainder_y
      - .offset:         166
        .size:           2
        .value_kind:     hidden_remainder_z
      - .offset:         184
        .size:           8
        .value_kind:     hidden_global_offset_x
      - .offset:         192
        .size:           8
        .value_kind:     hidden_global_offset_y
      - .offset:         200
        .size:           8
        .value_kind:     hidden_global_offset_z
      - .offset:         208
        .size:           2
        .value_kind:     hidden_grid_dims
      - .offset:         224
        .size:           8
        .value_kind:     hidden_hostcall_buffer
    .group_segment_fixed_size: 0
    .kernarg_segment_align: 8
    .kernarg_segment_size: 400
    .language:       OpenCL C
    .language_version:
      - 2
      - 0
    .max_flat_workgroup_size: 256
    .name:           _Z38paged_attention_ll4mi_QKV_mfma4_kernelI14__hip_bfloat16S0_LN4vllm18Fp8KVCacheDataTypeE0ES0_Li16ELi64ELi256ELb0ELi3EEvPKT_PKT0_S8_ifPKiSA_SA_iPKfiiiPfSD_PS3_PT2_iSC_SC_
    .private_segment_fixed_size: 64
    .sgpr_count:     36
    .sgpr_spill_count: 0
    .symbol:         _Z38paged_attention_ll4mi_QKV_mfma4_kernelI14__hip_bfloat16S0_LN4vllm18Fp8KVCacheDataTypeE0ES0_Li16ELi64ELi256ELb0ELi3EEvPKT_PKT0_S8_ifPKiSA_SA_iPKfiiiPfSD_PS3_PT2_iSC_SC_.kd
    .uniform_work_group_size: 1
    .uses_dynamic_stack: false
    .vgpr_count:     51
    .vgpr_spill_count: 0
    .wavefront_size: 32
  - .args:
      - .actual_access:  read_only
        .address_space:  global
        .offset:         0
        .size:           8
        .value_kind:     global_buffer
      - .actual_access:  read_only
        .address_space:  global
        .offset:         8
        .size:           8
        .value_kind:     global_buffer
      - .actual_access:  read_only
        .address_space:  global
        .offset:         16
        .size:           8
        .value_kind:     global_buffer
      - .offset:         24
        .size:           4
        .value_kind:     by_value
      - .offset:         28
        .size:           4
        .value_kind:     by_value
      - .actual_access:  read_only
        .address_space:  global
        .offset:         32
        .size:           8
        .value_kind:     global_buffer
      - .actual_access:  read_only
        .address_space:  global
        .offset:         40
        .size:           8
        .value_kind:     global_buffer
      - .actual_access:  read_only
        .address_space:  global
        .offset:         48
        .size:           8
        .value_kind:     global_buffer
      - .offset:         56
        .size:           4
        .value_kind:     by_value
      - .actual_access:  read_only
        .address_space:  global
        .offset:         64
        .size:           8
        .value_kind:     global_buffer
      - .offset:         72
        .size:           4
        .value_kind:     by_value
      - .offset:         76
        .size:           4
        .value_kind:     by_value
      - .offset:         80
        .size:           4
        .value_kind:     by_value
      - .actual_access:  read_only
        .address_space:  global
        .offset:         88
        .size:           8
        .value_kind:     global_buffer
      - .actual_access:  read_only
        .address_space:  global
        .offset:         96
        .size:           8
        .value_kind:     global_buffer
      - .actual_access:  read_only
        .address_space:  global
        .offset:         104
        .size:           8
        .value_kind:     global_buffer
      - .actual_access:  read_only
        .address_space:  global
        .offset:         112
        .size:           8
        .value_kind:     global_buffer
      - .offset:         120
        .size:           4
        .value_kind:     by_value
      - .address_space:  global
        .offset:         128
        .size:           8
        .value_kind:     global_buffer
      - .address_space:  global
        .offset:         136
        .size:           8
        .value_kind:     global_buffer
      - .offset:         144
        .size:           4
        .value_kind:     hidden_block_count_x
      - .offset:         148
        .size:           4
        .value_kind:     hidden_block_count_y
      - .offset:         152
        .size:           4
        .value_kind:     hidden_block_count_z
      - .offset:         156
        .size:           2
        .value_kind:     hidden_group_size_x
      - .offset:         158
        .size:           2
        .value_kind:     hidden_group_size_y
      - .offset:         160
        .size:           2
        .value_kind:     hidden_group_size_z
      - .offset:         162
        .size:           2
        .value_kind:     hidden_remainder_x
      - .offset:         164
        .size:           2
        .value_kind:     hidden_remainder_y
      - .offset:         166
        .size:           2
        .value_kind:     hidden_remainder_z
      - .offset:         184
        .size:           8
        .value_kind:     hidden_global_offset_x
      - .offset:         192
        .size:           8
        .value_kind:     hidden_global_offset_y
      - .offset:         200
        .size:           8
        .value_kind:     hidden_global_offset_z
      - .offset:         208
        .size:           2
        .value_kind:     hidden_grid_dims
      - .offset:         224
        .size:           8
        .value_kind:     hidden_hostcall_buffer
    .group_segment_fixed_size: 0
    .kernarg_segment_align: 8
    .kernarg_segment_size: 400
    .language:       OpenCL C
    .language_version:
      - 2
      - 0
    .max_flat_workgroup_size: 256
    .name:           _Z38paged_attention_ll4mi_QKV_mfma4_kernelI14__hip_bfloat16S0_LN4vllm18Fp8KVCacheDataTypeE0ES0_Li16ELi64ELi256ELb0ELi4EEvPKT_PKT0_S8_ifPKiSA_SA_iPKfiiiPfSD_PS3_PT2_iSC_SC_
    .private_segment_fixed_size: 64
    .sgpr_count:     36
    .sgpr_spill_count: 0
    .symbol:         _Z38paged_attention_ll4mi_QKV_mfma4_kernelI14__hip_bfloat16S0_LN4vllm18Fp8KVCacheDataTypeE0ES0_Li16ELi64ELi256ELb0ELi4EEvPKT_PKT0_S8_ifPKiSA_SA_iPKfiiiPfSD_PS3_PT2_iSC_SC_.kd
    .uniform_work_group_size: 1
    .uses_dynamic_stack: false
    .vgpr_count:     51
    .vgpr_spill_count: 0
    .wavefront_size: 32
  - .args:
      - .actual_access:  read_only
        .address_space:  global
        .offset:         0
        .size:           8
        .value_kind:     global_buffer
      - .actual_access:  read_only
        .address_space:  global
        .offset:         8
        .size:           8
        .value_kind:     global_buffer
      - .actual_access:  read_only
        .address_space:  global
        .offset:         16
        .size:           8
        .value_kind:     global_buffer
      - .offset:         24
        .size:           4
        .value_kind:     by_value
      - .offset:         28
        .size:           4
        .value_kind:     by_value
      - .actual_access:  read_only
        .address_space:  global
        .offset:         32
        .size:           8
        .value_kind:     global_buffer
      - .actual_access:  read_only
        .address_space:  global
        .offset:         40
        .size:           8
        .value_kind:     global_buffer
      - .actual_access:  read_only
        .address_space:  global
        .offset:         48
        .size:           8
        .value_kind:     global_buffer
      - .offset:         56
        .size:           4
        .value_kind:     by_value
      - .actual_access:  read_only
        .address_space:  global
        .offset:         64
        .size:           8
        .value_kind:     global_buffer
      - .offset:         72
        .size:           4
        .value_kind:     by_value
      - .offset:         76
        .size:           4
        .value_kind:     by_value
      - .offset:         80
        .size:           4
        .value_kind:     by_value
      - .actual_access:  read_only
        .address_space:  global
        .offset:         88
        .size:           8
        .value_kind:     global_buffer
      - .actual_access:  read_only
        .address_space:  global
        .offset:         96
        .size:           8
        .value_kind:     global_buffer
      - .actual_access:  read_only
        .address_space:  global
        .offset:         104
        .size:           8
        .value_kind:     global_buffer
      - .actual_access:  read_only
        .address_space:  global
        .offset:         112
        .size:           8
        .value_kind:     global_buffer
      - .offset:         120
        .size:           4
        .value_kind:     by_value
      - .address_space:  global
        .offset:         128
        .size:           8
        .value_kind:     global_buffer
      - .address_space:  global
        .offset:         136
        .size:           8
        .value_kind:     global_buffer
      - .offset:         144
        .size:           4
        .value_kind:     hidden_block_count_x
      - .offset:         148
        .size:           4
        .value_kind:     hidden_block_count_y
      - .offset:         152
        .size:           4
        .value_kind:     hidden_block_count_z
      - .offset:         156
        .size:           2
        .value_kind:     hidden_group_size_x
      - .offset:         158
        .size:           2
        .value_kind:     hidden_group_size_y
      - .offset:         160
        .size:           2
        .value_kind:     hidden_group_size_z
      - .offset:         162
        .size:           2
        .value_kind:     hidden_remainder_x
      - .offset:         164
        .size:           2
        .value_kind:     hidden_remainder_y
      - .offset:         166
        .size:           2
        .value_kind:     hidden_remainder_z
      - .offset:         184
        .size:           8
        .value_kind:     hidden_global_offset_x
      - .offset:         192
        .size:           8
        .value_kind:     hidden_global_offset_y
      - .offset:         200
        .size:           8
        .value_kind:     hidden_global_offset_z
      - .offset:         208
        .size:           2
        .value_kind:     hidden_grid_dims
      - .offset:         224
        .size:           8
        .value_kind:     hidden_hostcall_buffer
    .group_segment_fixed_size: 0
    .kernarg_segment_align: 8
    .kernarg_segment_size: 400
    .language:       OpenCL C
    .language_version:
      - 2
      - 0
    .max_flat_workgroup_size: 256
    .name:           _Z39paged_attention_ll4mi_QKV_mfma16_kernelI14__hip_bfloat16S0_LN4vllm18Fp8KVCacheDataTypeE0ES0_Li16ELi64ELi256ELb0ELi5EEvPKT_PKT0_S8_ifPKiSA_SA_iPKfiiiPfSD_PS3_PT2_iSC_SC_
    .private_segment_fixed_size: 64
    .sgpr_count:     36
    .sgpr_spill_count: 0
    .symbol:         _Z39paged_attention_ll4mi_QKV_mfma16_kernelI14__hip_bfloat16S0_LN4vllm18Fp8KVCacheDataTypeE0ES0_Li16ELi64ELi256ELb0ELi5EEvPKT_PKT0_S8_ifPKiSA_SA_iPKfiiiPfSD_PS3_PT2_iSC_SC_.kd
    .uniform_work_group_size: 1
    .uses_dynamic_stack: false
    .vgpr_count:     51
    .vgpr_spill_count: 0
    .wavefront_size: 32
  - .args:
      - .actual_access:  read_only
        .address_space:  global
        .offset:         0
        .size:           8
        .value_kind:     global_buffer
      - .actual_access:  read_only
        .address_space:  global
        .offset:         8
        .size:           8
        .value_kind:     global_buffer
      - .actual_access:  read_only
        .address_space:  global
        .offset:         16
        .size:           8
        .value_kind:     global_buffer
      - .offset:         24
        .size:           4
        .value_kind:     by_value
      - .offset:         28
        .size:           4
        .value_kind:     by_value
      - .actual_access:  read_only
        .address_space:  global
        .offset:         32
        .size:           8
        .value_kind:     global_buffer
      - .actual_access:  read_only
        .address_space:  global
        .offset:         40
        .size:           8
        .value_kind:     global_buffer
      - .actual_access:  read_only
        .address_space:  global
        .offset:         48
        .size:           8
        .value_kind:     global_buffer
      - .offset:         56
        .size:           4
        .value_kind:     by_value
      - .actual_access:  read_only
        .address_space:  global
        .offset:         64
        .size:           8
        .value_kind:     global_buffer
      - .offset:         72
        .size:           4
        .value_kind:     by_value
      - .offset:         76
        .size:           4
        .value_kind:     by_value
      - .offset:         80
        .size:           4
        .value_kind:     by_value
      - .actual_access:  read_only
        .address_space:  global
        .offset:         88
        .size:           8
        .value_kind:     global_buffer
      - .actual_access:  read_only
        .address_space:  global
        .offset:         96
        .size:           8
        .value_kind:     global_buffer
      - .actual_access:  read_only
        .address_space:  global
        .offset:         104
        .size:           8
        .value_kind:     global_buffer
      - .actual_access:  read_only
        .address_space:  global
        .offset:         112
        .size:           8
        .value_kind:     global_buffer
      - .offset:         120
        .size:           4
        .value_kind:     by_value
      - .address_space:  global
        .offset:         128
        .size:           8
        .value_kind:     global_buffer
      - .address_space:  global
        .offset:         136
        .size:           8
        .value_kind:     global_buffer
      - .offset:         144
        .size:           4
        .value_kind:     hidden_block_count_x
      - .offset:         148
        .size:           4
        .value_kind:     hidden_block_count_y
      - .offset:         152
        .size:           4
        .value_kind:     hidden_block_count_z
      - .offset:         156
        .size:           2
        .value_kind:     hidden_group_size_x
      - .offset:         158
        .size:           2
        .value_kind:     hidden_group_size_y
      - .offset:         160
        .size:           2
        .value_kind:     hidden_group_size_z
      - .offset:         162
        .size:           2
        .value_kind:     hidden_remainder_x
      - .offset:         164
        .size:           2
        .value_kind:     hidden_remainder_y
      - .offset:         166
        .size:           2
        .value_kind:     hidden_remainder_z
      - .offset:         184
        .size:           8
        .value_kind:     hidden_global_offset_x
      - .offset:         192
        .size:           8
        .value_kind:     hidden_global_offset_y
      - .offset:         200
        .size:           8
        .value_kind:     hidden_global_offset_z
      - .offset:         208
        .size:           2
        .value_kind:     hidden_grid_dims
      - .offset:         224
        .size:           8
        .value_kind:     hidden_hostcall_buffer
    .group_segment_fixed_size: 0
    .kernarg_segment_align: 8
    .kernarg_segment_size: 400
    .language:       OpenCL C
    .language_version:
      - 2
      - 0
    .max_flat_workgroup_size: 256
    .name:           _Z39paged_attention_ll4mi_QKV_mfma16_kernelI14__hip_bfloat16S0_LN4vllm18Fp8KVCacheDataTypeE0ES0_Li16ELi64ELi256ELb0ELi6EEvPKT_PKT0_S8_ifPKiSA_SA_iPKfiiiPfSD_PS3_PT2_iSC_SC_
    .private_segment_fixed_size: 64
    .sgpr_count:     36
    .sgpr_spill_count: 0
    .symbol:         _Z39paged_attention_ll4mi_QKV_mfma16_kernelI14__hip_bfloat16S0_LN4vllm18Fp8KVCacheDataTypeE0ES0_Li16ELi64ELi256ELb0ELi6EEvPKT_PKT0_S8_ifPKiSA_SA_iPKfiiiPfSD_PS3_PT2_iSC_SC_.kd
    .uniform_work_group_size: 1
    .uses_dynamic_stack: false
    .vgpr_count:     51
    .vgpr_spill_count: 0
    .wavefront_size: 32
  - .args:
      - .actual_access:  read_only
        .address_space:  global
        .offset:         0
        .size:           8
        .value_kind:     global_buffer
      - .actual_access:  read_only
        .address_space:  global
        .offset:         8
        .size:           8
        .value_kind:     global_buffer
      - .actual_access:  read_only
        .address_space:  global
        .offset:         16
        .size:           8
        .value_kind:     global_buffer
      - .offset:         24
        .size:           4
        .value_kind:     by_value
      - .offset:         28
        .size:           4
        .value_kind:     by_value
      - .actual_access:  read_only
        .address_space:  global
        .offset:         32
        .size:           8
        .value_kind:     global_buffer
      - .actual_access:  read_only
        .address_space:  global
        .offset:         40
        .size:           8
        .value_kind:     global_buffer
      - .actual_access:  read_only
        .address_space:  global
        .offset:         48
        .size:           8
        .value_kind:     global_buffer
      - .offset:         56
        .size:           4
        .value_kind:     by_value
      - .actual_access:  read_only
        .address_space:  global
        .offset:         64
        .size:           8
        .value_kind:     global_buffer
      - .offset:         72
        .size:           4
        .value_kind:     by_value
      - .offset:         76
        .size:           4
        .value_kind:     by_value
      - .offset:         80
        .size:           4
        .value_kind:     by_value
      - .actual_access:  read_only
        .address_space:  global
        .offset:         88
        .size:           8
        .value_kind:     global_buffer
      - .actual_access:  read_only
        .address_space:  global
        .offset:         96
        .size:           8
        .value_kind:     global_buffer
      - .actual_access:  read_only
        .address_space:  global
        .offset:         104
        .size:           8
        .value_kind:     global_buffer
      - .actual_access:  read_only
        .address_space:  global
        .offset:         112
        .size:           8
        .value_kind:     global_buffer
      - .offset:         120
        .size:           4
        .value_kind:     by_value
      - .address_space:  global
        .offset:         128
        .size:           8
        .value_kind:     global_buffer
      - .address_space:  global
        .offset:         136
        .size:           8
        .value_kind:     global_buffer
      - .offset:         144
        .size:           4
        .value_kind:     hidden_block_count_x
      - .offset:         148
        .size:           4
        .value_kind:     hidden_block_count_y
      - .offset:         152
        .size:           4
        .value_kind:     hidden_block_count_z
      - .offset:         156
        .size:           2
        .value_kind:     hidden_group_size_x
      - .offset:         158
        .size:           2
        .value_kind:     hidden_group_size_y
      - .offset:         160
        .size:           2
        .value_kind:     hidden_group_size_z
      - .offset:         162
        .size:           2
        .value_kind:     hidden_remainder_x
      - .offset:         164
        .size:           2
        .value_kind:     hidden_remainder_y
      - .offset:         166
        .size:           2
        .value_kind:     hidden_remainder_z
      - .offset:         184
        .size:           8
        .value_kind:     hidden_global_offset_x
      - .offset:         192
        .size:           8
        .value_kind:     hidden_global_offset_y
      - .offset:         200
        .size:           8
        .value_kind:     hidden_global_offset_z
      - .offset:         208
        .size:           2
        .value_kind:     hidden_grid_dims
      - .offset:         224
        .size:           8
        .value_kind:     hidden_hostcall_buffer
    .group_segment_fixed_size: 0
    .kernarg_segment_align: 8
    .kernarg_segment_size: 400
    .language:       OpenCL C
    .language_version:
      - 2
      - 0
    .max_flat_workgroup_size: 256
    .name:           _Z39paged_attention_ll4mi_QKV_mfma16_kernelI14__hip_bfloat16S0_LN4vllm18Fp8KVCacheDataTypeE0ES0_Li16ELi64ELi256ELb0ELi7EEvPKT_PKT0_S8_ifPKiSA_SA_iPKfiiiPfSD_PS3_PT2_iSC_SC_
    .private_segment_fixed_size: 64
    .sgpr_count:     36
    .sgpr_spill_count: 0
    .symbol:         _Z39paged_attention_ll4mi_QKV_mfma16_kernelI14__hip_bfloat16S0_LN4vllm18Fp8KVCacheDataTypeE0ES0_Li16ELi64ELi256ELb0ELi7EEvPKT_PKT0_S8_ifPKiSA_SA_iPKfiiiPfSD_PS3_PT2_iSC_SC_.kd
    .uniform_work_group_size: 1
    .uses_dynamic_stack: false
    .vgpr_count:     51
    .vgpr_spill_count: 0
    .wavefront_size: 32
  - .args:
      - .actual_access:  read_only
        .address_space:  global
        .offset:         0
        .size:           8
        .value_kind:     global_buffer
      - .actual_access:  read_only
        .address_space:  global
        .offset:         8
        .size:           8
        .value_kind:     global_buffer
      - .actual_access:  read_only
        .address_space:  global
        .offset:         16
        .size:           8
        .value_kind:     global_buffer
      - .offset:         24
        .size:           4
        .value_kind:     by_value
      - .offset:         28
        .size:           4
        .value_kind:     by_value
      - .actual_access:  read_only
        .address_space:  global
        .offset:         32
        .size:           8
        .value_kind:     global_buffer
      - .actual_access:  read_only
        .address_space:  global
        .offset:         40
        .size:           8
        .value_kind:     global_buffer
      - .actual_access:  read_only
        .address_space:  global
        .offset:         48
        .size:           8
        .value_kind:     global_buffer
      - .offset:         56
        .size:           4
        .value_kind:     by_value
      - .actual_access:  read_only
        .address_space:  global
        .offset:         64
        .size:           8
        .value_kind:     global_buffer
      - .offset:         72
        .size:           4
        .value_kind:     by_value
      - .offset:         76
        .size:           4
        .value_kind:     by_value
      - .offset:         80
        .size:           4
        .value_kind:     by_value
      - .actual_access:  read_only
        .address_space:  global
        .offset:         88
        .size:           8
        .value_kind:     global_buffer
      - .actual_access:  read_only
        .address_space:  global
        .offset:         96
        .size:           8
        .value_kind:     global_buffer
      - .actual_access:  read_only
        .address_space:  global
        .offset:         104
        .size:           8
        .value_kind:     global_buffer
      - .actual_access:  read_only
        .address_space:  global
        .offset:         112
        .size:           8
        .value_kind:     global_buffer
      - .offset:         120
        .size:           4
        .value_kind:     by_value
      - .address_space:  global
        .offset:         128
        .size:           8
        .value_kind:     global_buffer
      - .address_space:  global
        .offset:         136
        .size:           8
        .value_kind:     global_buffer
      - .offset:         144
        .size:           4
        .value_kind:     hidden_block_count_x
      - .offset:         148
        .size:           4
        .value_kind:     hidden_block_count_y
      - .offset:         152
        .size:           4
        .value_kind:     hidden_block_count_z
      - .offset:         156
        .size:           2
        .value_kind:     hidden_group_size_x
      - .offset:         158
        .size:           2
        .value_kind:     hidden_group_size_y
      - .offset:         160
        .size:           2
        .value_kind:     hidden_group_size_z
      - .offset:         162
        .size:           2
        .value_kind:     hidden_remainder_x
      - .offset:         164
        .size:           2
        .value_kind:     hidden_remainder_y
      - .offset:         166
        .size:           2
        .value_kind:     hidden_remainder_z
      - .offset:         184
        .size:           8
        .value_kind:     hidden_global_offset_x
      - .offset:         192
        .size:           8
        .value_kind:     hidden_global_offset_y
      - .offset:         200
        .size:           8
        .value_kind:     hidden_global_offset_z
      - .offset:         208
        .size:           2
        .value_kind:     hidden_grid_dims
      - .offset:         224
        .size:           8
        .value_kind:     hidden_hostcall_buffer
    .group_segment_fixed_size: 0
    .kernarg_segment_align: 8
    .kernarg_segment_size: 400
    .language:       OpenCL C
    .language_version:
      - 2
      - 0
    .max_flat_workgroup_size: 256
    .name:           _Z39paged_attention_ll4mi_QKV_mfma16_kernelI14__hip_bfloat16S0_LN4vllm18Fp8KVCacheDataTypeE0ES0_Li16ELi64ELi256ELb0ELi8EEvPKT_PKT0_S8_ifPKiSA_SA_iPKfiiiPfSD_PS3_PT2_iSC_SC_
    .private_segment_fixed_size: 64
    .sgpr_count:     36
    .sgpr_spill_count: 0
    .symbol:         _Z39paged_attention_ll4mi_QKV_mfma16_kernelI14__hip_bfloat16S0_LN4vllm18Fp8KVCacheDataTypeE0ES0_Li16ELi64ELi256ELb0ELi8EEvPKT_PKT0_S8_ifPKiSA_SA_iPKfiiiPfSD_PS3_PT2_iSC_SC_.kd
    .uniform_work_group_size: 1
    .uses_dynamic_stack: false
    .vgpr_count:     51
    .vgpr_spill_count: 0
    .wavefront_size: 32
  - .args:
      - .actual_access:  read_only
        .address_space:  global
        .offset:         0
        .size:           8
        .value_kind:     global_buffer
      - .actual_access:  read_only
        .address_space:  global
        .offset:         8
        .size:           8
        .value_kind:     global_buffer
      - .actual_access:  read_only
        .address_space:  global
        .offset:         16
        .size:           8
        .value_kind:     global_buffer
      - .offset:         24
        .size:           4
        .value_kind:     by_value
      - .offset:         28
        .size:           4
        .value_kind:     by_value
      - .actual_access:  read_only
        .address_space:  global
        .offset:         32
        .size:           8
        .value_kind:     global_buffer
      - .actual_access:  read_only
        .address_space:  global
        .offset:         40
        .size:           8
        .value_kind:     global_buffer
      - .actual_access:  read_only
        .address_space:  global
        .offset:         48
        .size:           8
        .value_kind:     global_buffer
      - .offset:         56
        .size:           4
        .value_kind:     by_value
      - .actual_access:  read_only
        .address_space:  global
        .offset:         64
        .size:           8
        .value_kind:     global_buffer
      - .offset:         72
        .size:           4
        .value_kind:     by_value
      - .offset:         76
        .size:           4
        .value_kind:     by_value
      - .offset:         80
        .size:           4
        .value_kind:     by_value
      - .actual_access:  read_only
        .address_space:  global
        .offset:         88
        .size:           8
        .value_kind:     global_buffer
      - .actual_access:  read_only
        .address_space:  global
        .offset:         96
        .size:           8
        .value_kind:     global_buffer
      - .actual_access:  read_only
        .address_space:  global
        .offset:         104
        .size:           8
        .value_kind:     global_buffer
      - .actual_access:  read_only
        .address_space:  global
        .offset:         112
        .size:           8
        .value_kind:     global_buffer
      - .offset:         120
        .size:           4
        .value_kind:     by_value
      - .address_space:  global
        .offset:         128
        .size:           8
        .value_kind:     global_buffer
      - .address_space:  global
        .offset:         136
        .size:           8
        .value_kind:     global_buffer
      - .offset:         144
        .size:           4
        .value_kind:     hidden_block_count_x
      - .offset:         148
        .size:           4
        .value_kind:     hidden_block_count_y
      - .offset:         152
        .size:           4
        .value_kind:     hidden_block_count_z
      - .offset:         156
        .size:           2
        .value_kind:     hidden_group_size_x
      - .offset:         158
        .size:           2
        .value_kind:     hidden_group_size_y
      - .offset:         160
        .size:           2
        .value_kind:     hidden_group_size_z
      - .offset:         162
        .size:           2
        .value_kind:     hidden_remainder_x
      - .offset:         164
        .size:           2
        .value_kind:     hidden_remainder_y
      - .offset:         166
        .size:           2
        .value_kind:     hidden_remainder_z
      - .offset:         184
        .size:           8
        .value_kind:     hidden_global_offset_x
      - .offset:         192
        .size:           8
        .value_kind:     hidden_global_offset_y
      - .offset:         200
        .size:           8
        .value_kind:     hidden_global_offset_z
      - .offset:         208
        .size:           2
        .value_kind:     hidden_grid_dims
      - .offset:         224
        .size:           8
        .value_kind:     hidden_hostcall_buffer
    .group_segment_fixed_size: 0
    .kernarg_segment_align: 8
    .kernarg_segment_size: 400
    .language:       OpenCL C
    .language_version:
      - 2
      - 0
    .max_flat_workgroup_size: 256
    .name:           _Z39paged_attention_ll4mi_QKV_mfma16_kernelI14__hip_bfloat16S0_LN4vllm18Fp8KVCacheDataTypeE0ES0_Li16ELi64ELi256ELb0ELi9EEvPKT_PKT0_S8_ifPKiSA_SA_iPKfiiiPfSD_PS3_PT2_iSC_SC_
    .private_segment_fixed_size: 64
    .sgpr_count:     36
    .sgpr_spill_count: 0
    .symbol:         _Z39paged_attention_ll4mi_QKV_mfma16_kernelI14__hip_bfloat16S0_LN4vllm18Fp8KVCacheDataTypeE0ES0_Li16ELi64ELi256ELb0ELi9EEvPKT_PKT0_S8_ifPKiSA_SA_iPKfiiiPfSD_PS3_PT2_iSC_SC_.kd
    .uniform_work_group_size: 1
    .uses_dynamic_stack: false
    .vgpr_count:     51
    .vgpr_spill_count: 0
    .wavefront_size: 32
  - .args:
      - .actual_access:  read_only
        .address_space:  global
        .offset:         0
        .size:           8
        .value_kind:     global_buffer
      - .actual_access:  read_only
        .address_space:  global
        .offset:         8
        .size:           8
        .value_kind:     global_buffer
      - .actual_access:  read_only
        .address_space:  global
        .offset:         16
        .size:           8
        .value_kind:     global_buffer
      - .offset:         24
        .size:           4
        .value_kind:     by_value
      - .offset:         28
        .size:           4
        .value_kind:     by_value
      - .actual_access:  read_only
        .address_space:  global
        .offset:         32
        .size:           8
        .value_kind:     global_buffer
      - .actual_access:  read_only
        .address_space:  global
        .offset:         40
        .size:           8
        .value_kind:     global_buffer
      - .actual_access:  read_only
        .address_space:  global
        .offset:         48
        .size:           8
        .value_kind:     global_buffer
      - .offset:         56
        .size:           4
        .value_kind:     by_value
      - .actual_access:  read_only
        .address_space:  global
        .offset:         64
        .size:           8
        .value_kind:     global_buffer
      - .offset:         72
        .size:           4
        .value_kind:     by_value
      - .offset:         76
        .size:           4
        .value_kind:     by_value
      - .offset:         80
        .size:           4
        .value_kind:     by_value
      - .actual_access:  read_only
        .address_space:  global
        .offset:         88
        .size:           8
        .value_kind:     global_buffer
      - .actual_access:  read_only
        .address_space:  global
        .offset:         96
        .size:           8
        .value_kind:     global_buffer
      - .actual_access:  read_only
        .address_space:  global
        .offset:         104
        .size:           8
        .value_kind:     global_buffer
      - .actual_access:  read_only
        .address_space:  global
        .offset:         112
        .size:           8
        .value_kind:     global_buffer
      - .offset:         120
        .size:           4
        .value_kind:     by_value
      - .address_space:  global
        .offset:         128
        .size:           8
        .value_kind:     global_buffer
      - .address_space:  global
        .offset:         136
        .size:           8
        .value_kind:     global_buffer
      - .offset:         144
        .size:           4
        .value_kind:     hidden_block_count_x
      - .offset:         148
        .size:           4
        .value_kind:     hidden_block_count_y
      - .offset:         152
        .size:           4
        .value_kind:     hidden_block_count_z
      - .offset:         156
        .size:           2
        .value_kind:     hidden_group_size_x
      - .offset:         158
        .size:           2
        .value_kind:     hidden_group_size_y
      - .offset:         160
        .size:           2
        .value_kind:     hidden_group_size_z
      - .offset:         162
        .size:           2
        .value_kind:     hidden_remainder_x
      - .offset:         164
        .size:           2
        .value_kind:     hidden_remainder_y
      - .offset:         166
        .size:           2
        .value_kind:     hidden_remainder_z
      - .offset:         184
        .size:           8
        .value_kind:     hidden_global_offset_x
      - .offset:         192
        .size:           8
        .value_kind:     hidden_global_offset_y
      - .offset:         200
        .size:           8
        .value_kind:     hidden_global_offset_z
      - .offset:         208
        .size:           2
        .value_kind:     hidden_grid_dims
      - .offset:         224
        .size:           8
        .value_kind:     hidden_hostcall_buffer
    .group_segment_fixed_size: 0
    .kernarg_segment_align: 8
    .kernarg_segment_size: 400
    .language:       OpenCL C
    .language_version:
      - 2
      - 0
    .max_flat_workgroup_size: 256
    .name:           _Z39paged_attention_ll4mi_QKV_mfma16_kernelI14__hip_bfloat16S0_LN4vllm18Fp8KVCacheDataTypeE0ES0_Li16ELi64ELi256ELb0ELi10EEvPKT_PKT0_S8_ifPKiSA_SA_iPKfiiiPfSD_PS3_PT2_iSC_SC_
    .private_segment_fixed_size: 64
    .sgpr_count:     36
    .sgpr_spill_count: 0
    .symbol:         _Z39paged_attention_ll4mi_QKV_mfma16_kernelI14__hip_bfloat16S0_LN4vllm18Fp8KVCacheDataTypeE0ES0_Li16ELi64ELi256ELb0ELi10EEvPKT_PKT0_S8_ifPKiSA_SA_iPKfiiiPfSD_PS3_PT2_iSC_SC_.kd
    .uniform_work_group_size: 1
    .uses_dynamic_stack: false
    .vgpr_count:     51
    .vgpr_spill_count: 0
    .wavefront_size: 32
  - .args:
      - .actual_access:  read_only
        .address_space:  global
        .offset:         0
        .size:           8
        .value_kind:     global_buffer
      - .actual_access:  read_only
        .address_space:  global
        .offset:         8
        .size:           8
        .value_kind:     global_buffer
      - .actual_access:  read_only
        .address_space:  global
        .offset:         16
        .size:           8
        .value_kind:     global_buffer
      - .offset:         24
        .size:           4
        .value_kind:     by_value
      - .offset:         28
        .size:           4
        .value_kind:     by_value
      - .actual_access:  read_only
        .address_space:  global
        .offset:         32
        .size:           8
        .value_kind:     global_buffer
      - .actual_access:  read_only
        .address_space:  global
        .offset:         40
        .size:           8
        .value_kind:     global_buffer
      - .actual_access:  read_only
        .address_space:  global
        .offset:         48
        .size:           8
        .value_kind:     global_buffer
      - .offset:         56
        .size:           4
        .value_kind:     by_value
      - .actual_access:  read_only
        .address_space:  global
        .offset:         64
        .size:           8
        .value_kind:     global_buffer
      - .offset:         72
        .size:           4
        .value_kind:     by_value
      - .offset:         76
        .size:           4
        .value_kind:     by_value
      - .offset:         80
        .size:           4
        .value_kind:     by_value
      - .actual_access:  read_only
        .address_space:  global
        .offset:         88
        .size:           8
        .value_kind:     global_buffer
      - .actual_access:  read_only
        .address_space:  global
        .offset:         96
        .size:           8
        .value_kind:     global_buffer
      - .actual_access:  read_only
        .address_space:  global
        .offset:         104
        .size:           8
        .value_kind:     global_buffer
      - .actual_access:  read_only
        .address_space:  global
        .offset:         112
        .size:           8
        .value_kind:     global_buffer
      - .offset:         120
        .size:           4
        .value_kind:     by_value
      - .address_space:  global
        .offset:         128
        .size:           8
        .value_kind:     global_buffer
      - .address_space:  global
        .offset:         136
        .size:           8
        .value_kind:     global_buffer
      - .offset:         144
        .size:           4
        .value_kind:     hidden_block_count_x
      - .offset:         148
        .size:           4
        .value_kind:     hidden_block_count_y
      - .offset:         152
        .size:           4
        .value_kind:     hidden_block_count_z
      - .offset:         156
        .size:           2
        .value_kind:     hidden_group_size_x
      - .offset:         158
        .size:           2
        .value_kind:     hidden_group_size_y
      - .offset:         160
        .size:           2
        .value_kind:     hidden_group_size_z
      - .offset:         162
        .size:           2
        .value_kind:     hidden_remainder_x
      - .offset:         164
        .size:           2
        .value_kind:     hidden_remainder_y
      - .offset:         166
        .size:           2
        .value_kind:     hidden_remainder_z
      - .offset:         184
        .size:           8
        .value_kind:     hidden_global_offset_x
      - .offset:         192
        .size:           8
        .value_kind:     hidden_global_offset_y
      - .offset:         200
        .size:           8
        .value_kind:     hidden_global_offset_z
      - .offset:         208
        .size:           2
        .value_kind:     hidden_grid_dims
      - .offset:         224
        .size:           8
        .value_kind:     hidden_hostcall_buffer
    .group_segment_fixed_size: 0
    .kernarg_segment_align: 8
    .kernarg_segment_size: 400
    .language:       OpenCL C
    .language_version:
      - 2
      - 0
    .max_flat_workgroup_size: 256
    .name:           _Z39paged_attention_ll4mi_QKV_mfma16_kernelI14__hip_bfloat16S0_LN4vllm18Fp8KVCacheDataTypeE0ES0_Li16ELi64ELi256ELb0ELi11EEvPKT_PKT0_S8_ifPKiSA_SA_iPKfiiiPfSD_PS3_PT2_iSC_SC_
    .private_segment_fixed_size: 64
    .sgpr_count:     36
    .sgpr_spill_count: 0
    .symbol:         _Z39paged_attention_ll4mi_QKV_mfma16_kernelI14__hip_bfloat16S0_LN4vllm18Fp8KVCacheDataTypeE0ES0_Li16ELi64ELi256ELb0ELi11EEvPKT_PKT0_S8_ifPKiSA_SA_iPKfiiiPfSD_PS3_PT2_iSC_SC_.kd
    .uniform_work_group_size: 1
    .uses_dynamic_stack: false
    .vgpr_count:     51
    .vgpr_spill_count: 0
    .wavefront_size: 32
  - .args:
      - .actual_access:  read_only
        .address_space:  global
        .offset:         0
        .size:           8
        .value_kind:     global_buffer
      - .actual_access:  read_only
        .address_space:  global
        .offset:         8
        .size:           8
        .value_kind:     global_buffer
      - .actual_access:  read_only
        .address_space:  global
        .offset:         16
        .size:           8
        .value_kind:     global_buffer
      - .offset:         24
        .size:           4
        .value_kind:     by_value
      - .offset:         28
        .size:           4
        .value_kind:     by_value
      - .actual_access:  read_only
        .address_space:  global
        .offset:         32
        .size:           8
        .value_kind:     global_buffer
      - .actual_access:  read_only
        .address_space:  global
        .offset:         40
        .size:           8
        .value_kind:     global_buffer
      - .actual_access:  read_only
        .address_space:  global
        .offset:         48
        .size:           8
        .value_kind:     global_buffer
      - .offset:         56
        .size:           4
        .value_kind:     by_value
      - .actual_access:  read_only
        .address_space:  global
        .offset:         64
        .size:           8
        .value_kind:     global_buffer
      - .offset:         72
        .size:           4
        .value_kind:     by_value
      - .offset:         76
        .size:           4
        .value_kind:     by_value
      - .offset:         80
        .size:           4
        .value_kind:     by_value
      - .actual_access:  read_only
        .address_space:  global
        .offset:         88
        .size:           8
        .value_kind:     global_buffer
      - .actual_access:  read_only
        .address_space:  global
        .offset:         96
        .size:           8
        .value_kind:     global_buffer
      - .actual_access:  read_only
        .address_space:  global
        .offset:         104
        .size:           8
        .value_kind:     global_buffer
      - .actual_access:  read_only
        .address_space:  global
        .offset:         112
        .size:           8
        .value_kind:     global_buffer
      - .offset:         120
        .size:           4
        .value_kind:     by_value
      - .address_space:  global
        .offset:         128
        .size:           8
        .value_kind:     global_buffer
      - .address_space:  global
        .offset:         136
        .size:           8
        .value_kind:     global_buffer
      - .offset:         144
        .size:           4
        .value_kind:     hidden_block_count_x
      - .offset:         148
        .size:           4
        .value_kind:     hidden_block_count_y
      - .offset:         152
        .size:           4
        .value_kind:     hidden_block_count_z
      - .offset:         156
        .size:           2
        .value_kind:     hidden_group_size_x
      - .offset:         158
        .size:           2
        .value_kind:     hidden_group_size_y
      - .offset:         160
        .size:           2
        .value_kind:     hidden_group_size_z
      - .offset:         162
        .size:           2
        .value_kind:     hidden_remainder_x
      - .offset:         164
        .size:           2
        .value_kind:     hidden_remainder_y
      - .offset:         166
        .size:           2
        .value_kind:     hidden_remainder_z
      - .offset:         184
        .size:           8
        .value_kind:     hidden_global_offset_x
      - .offset:         192
        .size:           8
        .value_kind:     hidden_global_offset_y
      - .offset:         200
        .size:           8
        .value_kind:     hidden_global_offset_z
      - .offset:         208
        .size:           2
        .value_kind:     hidden_grid_dims
      - .offset:         224
        .size:           8
        .value_kind:     hidden_hostcall_buffer
    .group_segment_fixed_size: 0
    .kernarg_segment_align: 8
    .kernarg_segment_size: 400
    .language:       OpenCL C
    .language_version:
      - 2
      - 0
    .max_flat_workgroup_size: 256
    .name:           _Z39paged_attention_ll4mi_QKV_mfma16_kernelI14__hip_bfloat16S0_LN4vllm18Fp8KVCacheDataTypeE0ES0_Li16ELi64ELi256ELb0ELi12EEvPKT_PKT0_S8_ifPKiSA_SA_iPKfiiiPfSD_PS3_PT2_iSC_SC_
    .private_segment_fixed_size: 64
    .sgpr_count:     36
    .sgpr_spill_count: 0
    .symbol:         _Z39paged_attention_ll4mi_QKV_mfma16_kernelI14__hip_bfloat16S0_LN4vllm18Fp8KVCacheDataTypeE0ES0_Li16ELi64ELi256ELb0ELi12EEvPKT_PKT0_S8_ifPKiSA_SA_iPKfiiiPfSD_PS3_PT2_iSC_SC_.kd
    .uniform_work_group_size: 1
    .uses_dynamic_stack: false
    .vgpr_count:     51
    .vgpr_spill_count: 0
    .wavefront_size: 32
  - .args:
      - .actual_access:  read_only
        .address_space:  global
        .offset:         0
        .size:           8
        .value_kind:     global_buffer
      - .actual_access:  read_only
        .address_space:  global
        .offset:         8
        .size:           8
        .value_kind:     global_buffer
      - .actual_access:  read_only
        .address_space:  global
        .offset:         16
        .size:           8
        .value_kind:     global_buffer
      - .offset:         24
        .size:           4
        .value_kind:     by_value
      - .offset:         28
        .size:           4
        .value_kind:     by_value
      - .actual_access:  read_only
        .address_space:  global
        .offset:         32
        .size:           8
        .value_kind:     global_buffer
      - .actual_access:  read_only
        .address_space:  global
        .offset:         40
        .size:           8
        .value_kind:     global_buffer
      - .actual_access:  read_only
        .address_space:  global
        .offset:         48
        .size:           8
        .value_kind:     global_buffer
      - .offset:         56
        .size:           4
        .value_kind:     by_value
      - .actual_access:  read_only
        .address_space:  global
        .offset:         64
        .size:           8
        .value_kind:     global_buffer
      - .offset:         72
        .size:           4
        .value_kind:     by_value
      - .offset:         76
        .size:           4
        .value_kind:     by_value
      - .offset:         80
        .size:           4
        .value_kind:     by_value
      - .actual_access:  read_only
        .address_space:  global
        .offset:         88
        .size:           8
        .value_kind:     global_buffer
      - .actual_access:  read_only
        .address_space:  global
        .offset:         96
        .size:           8
        .value_kind:     global_buffer
      - .actual_access:  read_only
        .address_space:  global
        .offset:         104
        .size:           8
        .value_kind:     global_buffer
      - .actual_access:  read_only
        .address_space:  global
        .offset:         112
        .size:           8
        .value_kind:     global_buffer
      - .offset:         120
        .size:           4
        .value_kind:     by_value
      - .address_space:  global
        .offset:         128
        .size:           8
        .value_kind:     global_buffer
      - .address_space:  global
        .offset:         136
        .size:           8
        .value_kind:     global_buffer
      - .offset:         144
        .size:           4
        .value_kind:     hidden_block_count_x
      - .offset:         148
        .size:           4
        .value_kind:     hidden_block_count_y
      - .offset:         152
        .size:           4
        .value_kind:     hidden_block_count_z
      - .offset:         156
        .size:           2
        .value_kind:     hidden_group_size_x
      - .offset:         158
        .size:           2
        .value_kind:     hidden_group_size_y
      - .offset:         160
        .size:           2
        .value_kind:     hidden_group_size_z
      - .offset:         162
        .size:           2
        .value_kind:     hidden_remainder_x
      - .offset:         164
        .size:           2
        .value_kind:     hidden_remainder_y
      - .offset:         166
        .size:           2
        .value_kind:     hidden_remainder_z
      - .offset:         184
        .size:           8
        .value_kind:     hidden_global_offset_x
      - .offset:         192
        .size:           8
        .value_kind:     hidden_global_offset_y
      - .offset:         200
        .size:           8
        .value_kind:     hidden_global_offset_z
      - .offset:         208
        .size:           2
        .value_kind:     hidden_grid_dims
      - .offset:         224
        .size:           8
        .value_kind:     hidden_hostcall_buffer
    .group_segment_fixed_size: 0
    .kernarg_segment_align: 8
    .kernarg_segment_size: 400
    .language:       OpenCL C
    .language_version:
      - 2
      - 0
    .max_flat_workgroup_size: 256
    .name:           _Z39paged_attention_ll4mi_QKV_mfma16_kernelI14__hip_bfloat16S0_LN4vllm18Fp8KVCacheDataTypeE0ES0_Li16ELi64ELi256ELb0ELi13EEvPKT_PKT0_S8_ifPKiSA_SA_iPKfiiiPfSD_PS3_PT2_iSC_SC_
    .private_segment_fixed_size: 64
    .sgpr_count:     36
    .sgpr_spill_count: 0
    .symbol:         _Z39paged_attention_ll4mi_QKV_mfma16_kernelI14__hip_bfloat16S0_LN4vllm18Fp8KVCacheDataTypeE0ES0_Li16ELi64ELi256ELb0ELi13EEvPKT_PKT0_S8_ifPKiSA_SA_iPKfiiiPfSD_PS3_PT2_iSC_SC_.kd
    .uniform_work_group_size: 1
    .uses_dynamic_stack: false
    .vgpr_count:     51
    .vgpr_spill_count: 0
    .wavefront_size: 32
  - .args:
      - .actual_access:  read_only
        .address_space:  global
        .offset:         0
        .size:           8
        .value_kind:     global_buffer
      - .actual_access:  read_only
        .address_space:  global
        .offset:         8
        .size:           8
        .value_kind:     global_buffer
      - .actual_access:  read_only
        .address_space:  global
        .offset:         16
        .size:           8
        .value_kind:     global_buffer
      - .offset:         24
        .size:           4
        .value_kind:     by_value
      - .offset:         28
        .size:           4
        .value_kind:     by_value
      - .actual_access:  read_only
        .address_space:  global
        .offset:         32
        .size:           8
        .value_kind:     global_buffer
      - .actual_access:  read_only
        .address_space:  global
        .offset:         40
        .size:           8
        .value_kind:     global_buffer
      - .actual_access:  read_only
        .address_space:  global
        .offset:         48
        .size:           8
        .value_kind:     global_buffer
      - .offset:         56
        .size:           4
        .value_kind:     by_value
      - .actual_access:  read_only
        .address_space:  global
        .offset:         64
        .size:           8
        .value_kind:     global_buffer
      - .offset:         72
        .size:           4
        .value_kind:     by_value
      - .offset:         76
        .size:           4
        .value_kind:     by_value
      - .offset:         80
        .size:           4
        .value_kind:     by_value
      - .actual_access:  read_only
        .address_space:  global
        .offset:         88
        .size:           8
        .value_kind:     global_buffer
      - .actual_access:  read_only
        .address_space:  global
        .offset:         96
        .size:           8
        .value_kind:     global_buffer
      - .actual_access:  read_only
        .address_space:  global
        .offset:         104
        .size:           8
        .value_kind:     global_buffer
      - .actual_access:  read_only
        .address_space:  global
        .offset:         112
        .size:           8
        .value_kind:     global_buffer
      - .offset:         120
        .size:           4
        .value_kind:     by_value
      - .address_space:  global
        .offset:         128
        .size:           8
        .value_kind:     global_buffer
      - .address_space:  global
        .offset:         136
        .size:           8
        .value_kind:     global_buffer
      - .offset:         144
        .size:           4
        .value_kind:     hidden_block_count_x
      - .offset:         148
        .size:           4
        .value_kind:     hidden_block_count_y
      - .offset:         152
        .size:           4
        .value_kind:     hidden_block_count_z
      - .offset:         156
        .size:           2
        .value_kind:     hidden_group_size_x
      - .offset:         158
        .size:           2
        .value_kind:     hidden_group_size_y
      - .offset:         160
        .size:           2
        .value_kind:     hidden_group_size_z
      - .offset:         162
        .size:           2
        .value_kind:     hidden_remainder_x
      - .offset:         164
        .size:           2
        .value_kind:     hidden_remainder_y
      - .offset:         166
        .size:           2
        .value_kind:     hidden_remainder_z
      - .offset:         184
        .size:           8
        .value_kind:     hidden_global_offset_x
      - .offset:         192
        .size:           8
        .value_kind:     hidden_global_offset_y
      - .offset:         200
        .size:           8
        .value_kind:     hidden_global_offset_z
      - .offset:         208
        .size:           2
        .value_kind:     hidden_grid_dims
      - .offset:         224
        .size:           8
        .value_kind:     hidden_hostcall_buffer
    .group_segment_fixed_size: 0
    .kernarg_segment_align: 8
    .kernarg_segment_size: 400
    .language:       OpenCL C
    .language_version:
      - 2
      - 0
    .max_flat_workgroup_size: 256
    .name:           _Z39paged_attention_ll4mi_QKV_mfma16_kernelI14__hip_bfloat16S0_LN4vllm18Fp8KVCacheDataTypeE0ES0_Li16ELi64ELi256ELb0ELi14EEvPKT_PKT0_S8_ifPKiSA_SA_iPKfiiiPfSD_PS3_PT2_iSC_SC_
    .private_segment_fixed_size: 64
    .sgpr_count:     36
    .sgpr_spill_count: 0
    .symbol:         _Z39paged_attention_ll4mi_QKV_mfma16_kernelI14__hip_bfloat16S0_LN4vllm18Fp8KVCacheDataTypeE0ES0_Li16ELi64ELi256ELb0ELi14EEvPKT_PKT0_S8_ifPKiSA_SA_iPKfiiiPfSD_PS3_PT2_iSC_SC_.kd
    .uniform_work_group_size: 1
    .uses_dynamic_stack: false
    .vgpr_count:     51
    .vgpr_spill_count: 0
    .wavefront_size: 32
  - .args:
      - .actual_access:  read_only
        .address_space:  global
        .offset:         0
        .size:           8
        .value_kind:     global_buffer
      - .actual_access:  read_only
        .address_space:  global
        .offset:         8
        .size:           8
        .value_kind:     global_buffer
      - .actual_access:  read_only
        .address_space:  global
        .offset:         16
        .size:           8
        .value_kind:     global_buffer
      - .offset:         24
        .size:           4
        .value_kind:     by_value
      - .offset:         28
        .size:           4
        .value_kind:     by_value
      - .actual_access:  read_only
        .address_space:  global
        .offset:         32
        .size:           8
        .value_kind:     global_buffer
      - .actual_access:  read_only
        .address_space:  global
        .offset:         40
        .size:           8
        .value_kind:     global_buffer
      - .actual_access:  read_only
        .address_space:  global
        .offset:         48
        .size:           8
        .value_kind:     global_buffer
      - .offset:         56
        .size:           4
        .value_kind:     by_value
      - .actual_access:  read_only
        .address_space:  global
        .offset:         64
        .size:           8
        .value_kind:     global_buffer
      - .offset:         72
        .size:           4
        .value_kind:     by_value
      - .offset:         76
        .size:           4
        .value_kind:     by_value
      - .offset:         80
        .size:           4
        .value_kind:     by_value
      - .actual_access:  read_only
        .address_space:  global
        .offset:         88
        .size:           8
        .value_kind:     global_buffer
      - .actual_access:  read_only
        .address_space:  global
        .offset:         96
        .size:           8
        .value_kind:     global_buffer
      - .actual_access:  read_only
        .address_space:  global
        .offset:         104
        .size:           8
        .value_kind:     global_buffer
      - .actual_access:  read_only
        .address_space:  global
        .offset:         112
        .size:           8
        .value_kind:     global_buffer
      - .offset:         120
        .size:           4
        .value_kind:     by_value
      - .address_space:  global
        .offset:         128
        .size:           8
        .value_kind:     global_buffer
      - .address_space:  global
        .offset:         136
        .size:           8
        .value_kind:     global_buffer
      - .offset:         144
        .size:           4
        .value_kind:     hidden_block_count_x
      - .offset:         148
        .size:           4
        .value_kind:     hidden_block_count_y
      - .offset:         152
        .size:           4
        .value_kind:     hidden_block_count_z
      - .offset:         156
        .size:           2
        .value_kind:     hidden_group_size_x
      - .offset:         158
        .size:           2
        .value_kind:     hidden_group_size_y
      - .offset:         160
        .size:           2
        .value_kind:     hidden_group_size_z
      - .offset:         162
        .size:           2
        .value_kind:     hidden_remainder_x
      - .offset:         164
        .size:           2
        .value_kind:     hidden_remainder_y
      - .offset:         166
        .size:           2
        .value_kind:     hidden_remainder_z
      - .offset:         184
        .size:           8
        .value_kind:     hidden_global_offset_x
      - .offset:         192
        .size:           8
        .value_kind:     hidden_global_offset_y
      - .offset:         200
        .size:           8
        .value_kind:     hidden_global_offset_z
      - .offset:         208
        .size:           2
        .value_kind:     hidden_grid_dims
      - .offset:         224
        .size:           8
        .value_kind:     hidden_hostcall_buffer
    .group_segment_fixed_size: 0
    .kernarg_segment_align: 8
    .kernarg_segment_size: 400
    .language:       OpenCL C
    .language_version:
      - 2
      - 0
    .max_flat_workgroup_size: 256
    .name:           _Z39paged_attention_ll4mi_QKV_mfma16_kernelI14__hip_bfloat16S0_LN4vllm18Fp8KVCacheDataTypeE0ES0_Li16ELi64ELi256ELb0ELi15EEvPKT_PKT0_S8_ifPKiSA_SA_iPKfiiiPfSD_PS3_PT2_iSC_SC_
    .private_segment_fixed_size: 64
    .sgpr_count:     36
    .sgpr_spill_count: 0
    .symbol:         _Z39paged_attention_ll4mi_QKV_mfma16_kernelI14__hip_bfloat16S0_LN4vllm18Fp8KVCacheDataTypeE0ES0_Li16ELi64ELi256ELb0ELi15EEvPKT_PKT0_S8_ifPKiSA_SA_iPKfiiiPfSD_PS3_PT2_iSC_SC_.kd
    .uniform_work_group_size: 1
    .uses_dynamic_stack: false
    .vgpr_count:     51
    .vgpr_spill_count: 0
    .wavefront_size: 32
  - .args:
      - .actual_access:  read_only
        .address_space:  global
        .offset:         0
        .size:           8
        .value_kind:     global_buffer
      - .actual_access:  read_only
        .address_space:  global
        .offset:         8
        .size:           8
        .value_kind:     global_buffer
      - .actual_access:  read_only
        .address_space:  global
        .offset:         16
        .size:           8
        .value_kind:     global_buffer
      - .offset:         24
        .size:           4
        .value_kind:     by_value
      - .offset:         28
        .size:           4
        .value_kind:     by_value
      - .actual_access:  read_only
        .address_space:  global
        .offset:         32
        .size:           8
        .value_kind:     global_buffer
      - .actual_access:  read_only
        .address_space:  global
        .offset:         40
        .size:           8
        .value_kind:     global_buffer
      - .actual_access:  read_only
        .address_space:  global
        .offset:         48
        .size:           8
        .value_kind:     global_buffer
      - .offset:         56
        .size:           4
        .value_kind:     by_value
      - .actual_access:  read_only
        .address_space:  global
        .offset:         64
        .size:           8
        .value_kind:     global_buffer
      - .offset:         72
        .size:           4
        .value_kind:     by_value
      - .offset:         76
        .size:           4
        .value_kind:     by_value
      - .offset:         80
        .size:           4
        .value_kind:     by_value
      - .actual_access:  read_only
        .address_space:  global
        .offset:         88
        .size:           8
        .value_kind:     global_buffer
      - .actual_access:  read_only
        .address_space:  global
        .offset:         96
        .size:           8
        .value_kind:     global_buffer
      - .actual_access:  read_only
        .address_space:  global
        .offset:         104
        .size:           8
        .value_kind:     global_buffer
      - .actual_access:  read_only
        .address_space:  global
        .offset:         112
        .size:           8
        .value_kind:     global_buffer
      - .offset:         120
        .size:           4
        .value_kind:     by_value
      - .address_space:  global
        .offset:         128
        .size:           8
        .value_kind:     global_buffer
      - .address_space:  global
        .offset:         136
        .size:           8
        .value_kind:     global_buffer
      - .offset:         144
        .size:           4
        .value_kind:     hidden_block_count_x
      - .offset:         148
        .size:           4
        .value_kind:     hidden_block_count_y
      - .offset:         152
        .size:           4
        .value_kind:     hidden_block_count_z
      - .offset:         156
        .size:           2
        .value_kind:     hidden_group_size_x
      - .offset:         158
        .size:           2
        .value_kind:     hidden_group_size_y
      - .offset:         160
        .size:           2
        .value_kind:     hidden_group_size_z
      - .offset:         162
        .size:           2
        .value_kind:     hidden_remainder_x
      - .offset:         164
        .size:           2
        .value_kind:     hidden_remainder_y
      - .offset:         166
        .size:           2
        .value_kind:     hidden_remainder_z
      - .offset:         184
        .size:           8
        .value_kind:     hidden_global_offset_x
      - .offset:         192
        .size:           8
        .value_kind:     hidden_global_offset_y
      - .offset:         200
        .size:           8
        .value_kind:     hidden_global_offset_z
      - .offset:         208
        .size:           2
        .value_kind:     hidden_grid_dims
      - .offset:         224
        .size:           8
        .value_kind:     hidden_hostcall_buffer
    .group_segment_fixed_size: 0
    .kernarg_segment_align: 8
    .kernarg_segment_size: 400
    .language:       OpenCL C
    .language_version:
      - 2
      - 0
    .max_flat_workgroup_size: 256
    .name:           _Z39paged_attention_ll4mi_QKV_mfma16_kernelI14__hip_bfloat16S0_LN4vllm18Fp8KVCacheDataTypeE0ES0_Li16ELi64ELi256ELb0ELi16EEvPKT_PKT0_S8_ifPKiSA_SA_iPKfiiiPfSD_PS3_PT2_iSC_SC_
    .private_segment_fixed_size: 64
    .sgpr_count:     36
    .sgpr_spill_count: 0
    .symbol:         _Z39paged_attention_ll4mi_QKV_mfma16_kernelI14__hip_bfloat16S0_LN4vllm18Fp8KVCacheDataTypeE0ES0_Li16ELi64ELi256ELb0ELi16EEvPKT_PKT0_S8_ifPKiSA_SA_iPKfiiiPfSD_PS3_PT2_iSC_SC_.kd
    .uniform_work_group_size: 1
    .uses_dynamic_stack: false
    .vgpr_count:     51
    .vgpr_spill_count: 0
    .wavefront_size: 32
  - .args:
      - .actual_access:  read_only
        .address_space:  global
        .offset:         0
        .size:           8
        .value_kind:     global_buffer
      - .actual_access:  read_only
        .address_space:  global
        .offset:         8
        .size:           8
        .value_kind:     global_buffer
      - .actual_access:  read_only
        .address_space:  global
        .offset:         16
        .size:           8
        .value_kind:     global_buffer
      - .offset:         24
        .size:           4
        .value_kind:     by_value
      - .offset:         28
        .size:           4
        .value_kind:     by_value
      - .actual_access:  read_only
        .address_space:  global
        .offset:         32
        .size:           8
        .value_kind:     global_buffer
      - .actual_access:  read_only
        .address_space:  global
        .offset:         40
        .size:           8
        .value_kind:     global_buffer
      - .actual_access:  read_only
        .address_space:  global
        .offset:         48
        .size:           8
        .value_kind:     global_buffer
      - .offset:         56
        .size:           4
        .value_kind:     by_value
      - .actual_access:  read_only
        .address_space:  global
        .offset:         64
        .size:           8
        .value_kind:     global_buffer
      - .offset:         72
        .size:           4
        .value_kind:     by_value
      - .offset:         76
        .size:           4
        .value_kind:     by_value
      - .offset:         80
        .size:           4
        .value_kind:     by_value
      - .actual_access:  read_only
        .address_space:  global
        .offset:         88
        .size:           8
        .value_kind:     global_buffer
      - .actual_access:  read_only
        .address_space:  global
        .offset:         96
        .size:           8
        .value_kind:     global_buffer
      - .actual_access:  read_only
        .address_space:  global
        .offset:         104
        .size:           8
        .value_kind:     global_buffer
      - .actual_access:  read_only
        .address_space:  global
        .offset:         112
        .size:           8
        .value_kind:     global_buffer
      - .offset:         120
        .size:           4
        .value_kind:     by_value
      - .address_space:  global
        .offset:         128
        .size:           8
        .value_kind:     global_buffer
      - .address_space:  global
        .offset:         136
        .size:           8
        .value_kind:     global_buffer
      - .offset:         144
        .size:           4
        .value_kind:     hidden_block_count_x
      - .offset:         148
        .size:           4
        .value_kind:     hidden_block_count_y
      - .offset:         152
        .size:           4
        .value_kind:     hidden_block_count_z
      - .offset:         156
        .size:           2
        .value_kind:     hidden_group_size_x
      - .offset:         158
        .size:           2
        .value_kind:     hidden_group_size_y
      - .offset:         160
        .size:           2
        .value_kind:     hidden_group_size_z
      - .offset:         162
        .size:           2
        .value_kind:     hidden_remainder_x
      - .offset:         164
        .size:           2
        .value_kind:     hidden_remainder_y
      - .offset:         166
        .size:           2
        .value_kind:     hidden_remainder_z
      - .offset:         184
        .size:           8
        .value_kind:     hidden_global_offset_x
      - .offset:         192
        .size:           8
        .value_kind:     hidden_global_offset_y
      - .offset:         200
        .size:           8
        .value_kind:     hidden_global_offset_z
      - .offset:         208
        .size:           2
        .value_kind:     hidden_grid_dims
      - .offset:         224
        .size:           8
        .value_kind:     hidden_hostcall_buffer
    .group_segment_fixed_size: 0
    .kernarg_segment_align: 8
    .kernarg_segment_size: 400
    .language:       OpenCL C
    .language_version:
      - 2
      - 0
    .max_flat_workgroup_size: 256
    .name:           _Z39paged_attention_ll4mi_QKV_mfma16_kernelI14__hip_bfloat16S0_LN4vllm18Fp8KVCacheDataTypeE0ES0_Li16ELi64ELi256ELb0ELi1EEvPKT_PKT0_S8_ifPKiSA_SA_iPKfiiiPfSD_PS3_PT2_iSC_SC_
    .private_segment_fixed_size: 64
    .sgpr_count:     36
    .sgpr_spill_count: 0
    .symbol:         _Z39paged_attention_ll4mi_QKV_mfma16_kernelI14__hip_bfloat16S0_LN4vllm18Fp8KVCacheDataTypeE0ES0_Li16ELi64ELi256ELb0ELi1EEvPKT_PKT0_S8_ifPKiSA_SA_iPKfiiiPfSD_PS3_PT2_iSC_SC_.kd
    .uniform_work_group_size: 1
    .uses_dynamic_stack: false
    .vgpr_count:     51
    .vgpr_spill_count: 0
    .wavefront_size: 32
  - .args:
      - .actual_access:  read_only
        .address_space:  global
        .offset:         0
        .size:           8
        .value_kind:     global_buffer
      - .actual_access:  read_only
        .address_space:  global
        .offset:         8
        .size:           8
        .value_kind:     global_buffer
      - .actual_access:  read_only
        .address_space:  global
        .offset:         16
        .size:           8
        .value_kind:     global_buffer
      - .offset:         24
        .size:           4
        .value_kind:     by_value
      - .offset:         28
        .size:           4
        .value_kind:     by_value
      - .actual_access:  read_only
        .address_space:  global
        .offset:         32
        .size:           8
        .value_kind:     global_buffer
      - .actual_access:  read_only
        .address_space:  global
        .offset:         40
        .size:           8
        .value_kind:     global_buffer
      - .actual_access:  read_only
        .address_space:  global
        .offset:         48
        .size:           8
        .value_kind:     global_buffer
      - .offset:         56
        .size:           4
        .value_kind:     by_value
      - .actual_access:  read_only
        .address_space:  global
        .offset:         64
        .size:           8
        .value_kind:     global_buffer
      - .offset:         72
        .size:           4
        .value_kind:     by_value
      - .offset:         76
        .size:           4
        .value_kind:     by_value
      - .offset:         80
        .size:           4
        .value_kind:     by_value
      - .actual_access:  read_only
        .address_space:  global
        .offset:         88
        .size:           8
        .value_kind:     global_buffer
      - .actual_access:  read_only
        .address_space:  global
        .offset:         96
        .size:           8
        .value_kind:     global_buffer
      - .actual_access:  read_only
        .address_space:  global
        .offset:         104
        .size:           8
        .value_kind:     global_buffer
      - .actual_access:  read_only
        .address_space:  global
        .offset:         112
        .size:           8
        .value_kind:     global_buffer
      - .offset:         120
        .size:           4
        .value_kind:     by_value
      - .address_space:  global
        .offset:         128
        .size:           8
        .value_kind:     global_buffer
      - .address_space:  global
        .offset:         136
        .size:           8
        .value_kind:     global_buffer
      - .offset:         144
        .size:           4
        .value_kind:     hidden_block_count_x
      - .offset:         148
        .size:           4
        .value_kind:     hidden_block_count_y
      - .offset:         152
        .size:           4
        .value_kind:     hidden_block_count_z
      - .offset:         156
        .size:           2
        .value_kind:     hidden_group_size_x
      - .offset:         158
        .size:           2
        .value_kind:     hidden_group_size_y
      - .offset:         160
        .size:           2
        .value_kind:     hidden_group_size_z
      - .offset:         162
        .size:           2
        .value_kind:     hidden_remainder_x
      - .offset:         164
        .size:           2
        .value_kind:     hidden_remainder_y
      - .offset:         166
        .size:           2
        .value_kind:     hidden_remainder_z
      - .offset:         184
        .size:           8
        .value_kind:     hidden_global_offset_x
      - .offset:         192
        .size:           8
        .value_kind:     hidden_global_offset_y
      - .offset:         200
        .size:           8
        .value_kind:     hidden_global_offset_z
      - .offset:         208
        .size:           2
        .value_kind:     hidden_grid_dims
      - .offset:         224
        .size:           8
        .value_kind:     hidden_hostcall_buffer
    .group_segment_fixed_size: 0
    .kernarg_segment_align: 8
    .kernarg_segment_size: 400
    .language:       OpenCL C
    .language_version:
      - 2
      - 0
    .max_flat_workgroup_size: 256
    .name:           _Z39paged_attention_ll4mi_QKV_mfma16_kernelI14__hip_bfloat16S0_LN4vllm18Fp8KVCacheDataTypeE0ES0_Li16ELi64ELi256ELb0ELi2EEvPKT_PKT0_S8_ifPKiSA_SA_iPKfiiiPfSD_PS3_PT2_iSC_SC_
    .private_segment_fixed_size: 64
    .sgpr_count:     36
    .sgpr_spill_count: 0
    .symbol:         _Z39paged_attention_ll4mi_QKV_mfma16_kernelI14__hip_bfloat16S0_LN4vllm18Fp8KVCacheDataTypeE0ES0_Li16ELi64ELi256ELb0ELi2EEvPKT_PKT0_S8_ifPKiSA_SA_iPKfiiiPfSD_PS3_PT2_iSC_SC_.kd
    .uniform_work_group_size: 1
    .uses_dynamic_stack: false
    .vgpr_count:     51
    .vgpr_spill_count: 0
    .wavefront_size: 32
  - .args:
      - .actual_access:  read_only
        .address_space:  global
        .offset:         0
        .size:           8
        .value_kind:     global_buffer
      - .actual_access:  read_only
        .address_space:  global
        .offset:         8
        .size:           8
        .value_kind:     global_buffer
      - .actual_access:  read_only
        .address_space:  global
        .offset:         16
        .size:           8
        .value_kind:     global_buffer
      - .offset:         24
        .size:           4
        .value_kind:     by_value
      - .offset:         28
        .size:           4
        .value_kind:     by_value
      - .actual_access:  read_only
        .address_space:  global
        .offset:         32
        .size:           8
        .value_kind:     global_buffer
      - .actual_access:  read_only
        .address_space:  global
        .offset:         40
        .size:           8
        .value_kind:     global_buffer
      - .actual_access:  read_only
        .address_space:  global
        .offset:         48
        .size:           8
        .value_kind:     global_buffer
      - .offset:         56
        .size:           4
        .value_kind:     by_value
      - .actual_access:  read_only
        .address_space:  global
        .offset:         64
        .size:           8
        .value_kind:     global_buffer
      - .offset:         72
        .size:           4
        .value_kind:     by_value
      - .offset:         76
        .size:           4
        .value_kind:     by_value
      - .offset:         80
        .size:           4
        .value_kind:     by_value
      - .actual_access:  read_only
        .address_space:  global
        .offset:         88
        .size:           8
        .value_kind:     global_buffer
      - .actual_access:  read_only
        .address_space:  global
        .offset:         96
        .size:           8
        .value_kind:     global_buffer
      - .actual_access:  read_only
        .address_space:  global
        .offset:         104
        .size:           8
        .value_kind:     global_buffer
      - .actual_access:  read_only
        .address_space:  global
        .offset:         112
        .size:           8
        .value_kind:     global_buffer
      - .offset:         120
        .size:           4
        .value_kind:     by_value
      - .address_space:  global
        .offset:         128
        .size:           8
        .value_kind:     global_buffer
      - .address_space:  global
        .offset:         136
        .size:           8
        .value_kind:     global_buffer
      - .offset:         144
        .size:           4
        .value_kind:     hidden_block_count_x
      - .offset:         148
        .size:           4
        .value_kind:     hidden_block_count_y
      - .offset:         152
        .size:           4
        .value_kind:     hidden_block_count_z
      - .offset:         156
        .size:           2
        .value_kind:     hidden_group_size_x
      - .offset:         158
        .size:           2
        .value_kind:     hidden_group_size_y
      - .offset:         160
        .size:           2
        .value_kind:     hidden_group_size_z
      - .offset:         162
        .size:           2
        .value_kind:     hidden_remainder_x
      - .offset:         164
        .size:           2
        .value_kind:     hidden_remainder_y
      - .offset:         166
        .size:           2
        .value_kind:     hidden_remainder_z
      - .offset:         184
        .size:           8
        .value_kind:     hidden_global_offset_x
      - .offset:         192
        .size:           8
        .value_kind:     hidden_global_offset_y
      - .offset:         200
        .size:           8
        .value_kind:     hidden_global_offset_z
      - .offset:         208
        .size:           2
        .value_kind:     hidden_grid_dims
      - .offset:         224
        .size:           8
        .value_kind:     hidden_hostcall_buffer
    .group_segment_fixed_size: 0
    .kernarg_segment_align: 8
    .kernarg_segment_size: 400
    .language:       OpenCL C
    .language_version:
      - 2
      - 0
    .max_flat_workgroup_size: 256
    .name:           _Z39paged_attention_ll4mi_QKV_mfma16_kernelI14__hip_bfloat16S0_LN4vllm18Fp8KVCacheDataTypeE0ES0_Li16ELi64ELi256ELb0ELi3EEvPKT_PKT0_S8_ifPKiSA_SA_iPKfiiiPfSD_PS3_PT2_iSC_SC_
    .private_segment_fixed_size: 64
    .sgpr_count:     36
    .sgpr_spill_count: 0
    .symbol:         _Z39paged_attention_ll4mi_QKV_mfma16_kernelI14__hip_bfloat16S0_LN4vllm18Fp8KVCacheDataTypeE0ES0_Li16ELi64ELi256ELb0ELi3EEvPKT_PKT0_S8_ifPKiSA_SA_iPKfiiiPfSD_PS3_PT2_iSC_SC_.kd
    .uniform_work_group_size: 1
    .uses_dynamic_stack: false
    .vgpr_count:     51
    .vgpr_spill_count: 0
    .wavefront_size: 32
  - .args:
      - .actual_access:  read_only
        .address_space:  global
        .offset:         0
        .size:           8
        .value_kind:     global_buffer
      - .actual_access:  read_only
        .address_space:  global
        .offset:         8
        .size:           8
        .value_kind:     global_buffer
      - .actual_access:  read_only
        .address_space:  global
        .offset:         16
        .size:           8
        .value_kind:     global_buffer
      - .offset:         24
        .size:           4
        .value_kind:     by_value
      - .offset:         28
        .size:           4
        .value_kind:     by_value
      - .actual_access:  read_only
        .address_space:  global
        .offset:         32
        .size:           8
        .value_kind:     global_buffer
      - .actual_access:  read_only
        .address_space:  global
        .offset:         40
        .size:           8
        .value_kind:     global_buffer
      - .actual_access:  read_only
        .address_space:  global
        .offset:         48
        .size:           8
        .value_kind:     global_buffer
      - .offset:         56
        .size:           4
        .value_kind:     by_value
      - .actual_access:  read_only
        .address_space:  global
        .offset:         64
        .size:           8
        .value_kind:     global_buffer
      - .offset:         72
        .size:           4
        .value_kind:     by_value
      - .offset:         76
        .size:           4
        .value_kind:     by_value
      - .offset:         80
        .size:           4
        .value_kind:     by_value
      - .actual_access:  read_only
        .address_space:  global
        .offset:         88
        .size:           8
        .value_kind:     global_buffer
      - .actual_access:  read_only
        .address_space:  global
        .offset:         96
        .size:           8
        .value_kind:     global_buffer
      - .actual_access:  read_only
        .address_space:  global
        .offset:         104
        .size:           8
        .value_kind:     global_buffer
      - .actual_access:  read_only
        .address_space:  global
        .offset:         112
        .size:           8
        .value_kind:     global_buffer
      - .offset:         120
        .size:           4
        .value_kind:     by_value
      - .address_space:  global
        .offset:         128
        .size:           8
        .value_kind:     global_buffer
      - .address_space:  global
        .offset:         136
        .size:           8
        .value_kind:     global_buffer
      - .offset:         144
        .size:           4
        .value_kind:     hidden_block_count_x
      - .offset:         148
        .size:           4
        .value_kind:     hidden_block_count_y
      - .offset:         152
        .size:           4
        .value_kind:     hidden_block_count_z
      - .offset:         156
        .size:           2
        .value_kind:     hidden_group_size_x
      - .offset:         158
        .size:           2
        .value_kind:     hidden_group_size_y
      - .offset:         160
        .size:           2
        .value_kind:     hidden_group_size_z
      - .offset:         162
        .size:           2
        .value_kind:     hidden_remainder_x
      - .offset:         164
        .size:           2
        .value_kind:     hidden_remainder_y
      - .offset:         166
        .size:           2
        .value_kind:     hidden_remainder_z
      - .offset:         184
        .size:           8
        .value_kind:     hidden_global_offset_x
      - .offset:         192
        .size:           8
        .value_kind:     hidden_global_offset_y
      - .offset:         200
        .size:           8
        .value_kind:     hidden_global_offset_z
      - .offset:         208
        .size:           2
        .value_kind:     hidden_grid_dims
      - .offset:         224
        .size:           8
        .value_kind:     hidden_hostcall_buffer
    .group_segment_fixed_size: 0
    .kernarg_segment_align: 8
    .kernarg_segment_size: 400
    .language:       OpenCL C
    .language_version:
      - 2
      - 0
    .max_flat_workgroup_size: 256
    .name:           _Z39paged_attention_ll4mi_QKV_mfma16_kernelI14__hip_bfloat16S0_LN4vllm18Fp8KVCacheDataTypeE0ES0_Li16ELi64ELi256ELb0ELi4EEvPKT_PKT0_S8_ifPKiSA_SA_iPKfiiiPfSD_PS3_PT2_iSC_SC_
    .private_segment_fixed_size: 64
    .sgpr_count:     36
    .sgpr_spill_count: 0
    .symbol:         _Z39paged_attention_ll4mi_QKV_mfma16_kernelI14__hip_bfloat16S0_LN4vllm18Fp8KVCacheDataTypeE0ES0_Li16ELi64ELi256ELb0ELi4EEvPKT_PKT0_S8_ifPKiSA_SA_iPKfiiiPfSD_PS3_PT2_iSC_SC_.kd
    .uniform_work_group_size: 1
    .uses_dynamic_stack: false
    .vgpr_count:     51
    .vgpr_spill_count: 0
    .wavefront_size: 32
  - .args:
      - .actual_access:  read_only
        .address_space:  global
        .offset:         0
        .size:           8
        .value_kind:     global_buffer
      - .actual_access:  read_only
        .address_space:  global
        .offset:         8
        .size:           8
        .value_kind:     global_buffer
      - .actual_access:  read_only
        .address_space:  global
        .offset:         16
        .size:           8
        .value_kind:     global_buffer
      - .offset:         24
        .size:           4
        .value_kind:     by_value
      - .offset:         28
        .size:           4
        .value_kind:     by_value
      - .actual_access:  read_only
        .address_space:  global
        .offset:         32
        .size:           8
        .value_kind:     global_buffer
      - .actual_access:  read_only
        .address_space:  global
        .offset:         40
        .size:           8
        .value_kind:     global_buffer
      - .actual_access:  read_only
        .address_space:  global
        .offset:         48
        .size:           8
        .value_kind:     global_buffer
      - .offset:         56
        .size:           4
        .value_kind:     by_value
      - .actual_access:  read_only
        .address_space:  global
        .offset:         64
        .size:           8
        .value_kind:     global_buffer
      - .offset:         72
        .size:           4
        .value_kind:     by_value
      - .offset:         76
        .size:           4
        .value_kind:     by_value
      - .offset:         80
        .size:           4
        .value_kind:     by_value
      - .actual_access:  read_only
        .address_space:  global
        .offset:         88
        .size:           8
        .value_kind:     global_buffer
      - .actual_access:  read_only
        .address_space:  global
        .offset:         96
        .size:           8
        .value_kind:     global_buffer
      - .actual_access:  read_only
        .address_space:  global
        .offset:         104
        .size:           8
        .value_kind:     global_buffer
      - .actual_access:  read_only
        .address_space:  global
        .offset:         112
        .size:           8
        .value_kind:     global_buffer
      - .offset:         120
        .size:           4
        .value_kind:     by_value
      - .address_space:  global
        .offset:         128
        .size:           8
        .value_kind:     global_buffer
      - .address_space:  global
        .offset:         136
        .size:           8
        .value_kind:     global_buffer
      - .offset:         144
        .size:           4
        .value_kind:     hidden_block_count_x
      - .offset:         148
        .size:           4
        .value_kind:     hidden_block_count_y
      - .offset:         152
        .size:           4
        .value_kind:     hidden_block_count_z
      - .offset:         156
        .size:           2
        .value_kind:     hidden_group_size_x
      - .offset:         158
        .size:           2
        .value_kind:     hidden_group_size_y
      - .offset:         160
        .size:           2
        .value_kind:     hidden_group_size_z
      - .offset:         162
        .size:           2
        .value_kind:     hidden_remainder_x
      - .offset:         164
        .size:           2
        .value_kind:     hidden_remainder_y
      - .offset:         166
        .size:           2
        .value_kind:     hidden_remainder_z
      - .offset:         184
        .size:           8
        .value_kind:     hidden_global_offset_x
      - .offset:         192
        .size:           8
        .value_kind:     hidden_global_offset_y
      - .offset:         200
        .size:           8
        .value_kind:     hidden_global_offset_z
      - .offset:         208
        .size:           2
        .value_kind:     hidden_grid_dims
      - .offset:         224
        .size:           8
        .value_kind:     hidden_hostcall_buffer
    .group_segment_fixed_size: 0
    .kernarg_segment_align: 8
    .kernarg_segment_size: 400
    .language:       OpenCL C
    .language_version:
      - 2
      - 0
    .max_flat_workgroup_size: 256
    .name:           _Z38paged_attention_ll4mi_QKV_mfma4_kernelI14__hip_bfloat16S0_LN4vllm18Fp8KVCacheDataTypeE0EhLi32ELi64ELi256ELb1ELi1EEvPKT_PKT0_S8_ifPKiSA_SA_iPKfiiiPfSD_PS3_PT2_iSC_SC_
    .private_segment_fixed_size: 64
    .sgpr_count:     36
    .sgpr_spill_count: 0
    .symbol:         _Z38paged_attention_ll4mi_QKV_mfma4_kernelI14__hip_bfloat16S0_LN4vllm18Fp8KVCacheDataTypeE0EhLi32ELi64ELi256ELb1ELi1EEvPKT_PKT0_S8_ifPKiSA_SA_iPKfiiiPfSD_PS3_PT2_iSC_SC_.kd
    .uniform_work_group_size: 1
    .uses_dynamic_stack: false
    .vgpr_count:     51
    .vgpr_spill_count: 0
    .wavefront_size: 32
  - .args:
      - .actual_access:  read_only
        .address_space:  global
        .offset:         0
        .size:           8
        .value_kind:     global_buffer
      - .actual_access:  read_only
        .address_space:  global
        .offset:         8
        .size:           8
        .value_kind:     global_buffer
      - .actual_access:  read_only
        .address_space:  global
        .offset:         16
        .size:           8
        .value_kind:     global_buffer
      - .offset:         24
        .size:           4
        .value_kind:     by_value
      - .offset:         28
        .size:           4
        .value_kind:     by_value
      - .actual_access:  read_only
        .address_space:  global
        .offset:         32
        .size:           8
        .value_kind:     global_buffer
      - .actual_access:  read_only
        .address_space:  global
        .offset:         40
        .size:           8
        .value_kind:     global_buffer
      - .actual_access:  read_only
        .address_space:  global
        .offset:         48
        .size:           8
        .value_kind:     global_buffer
      - .offset:         56
        .size:           4
        .value_kind:     by_value
      - .actual_access:  read_only
        .address_space:  global
        .offset:         64
        .size:           8
        .value_kind:     global_buffer
      - .offset:         72
        .size:           4
        .value_kind:     by_value
      - .offset:         76
        .size:           4
        .value_kind:     by_value
      - .offset:         80
        .size:           4
        .value_kind:     by_value
      - .actual_access:  read_only
        .address_space:  global
        .offset:         88
        .size:           8
        .value_kind:     global_buffer
      - .actual_access:  read_only
        .address_space:  global
        .offset:         96
        .size:           8
        .value_kind:     global_buffer
      - .actual_access:  read_only
        .address_space:  global
        .offset:         104
        .size:           8
        .value_kind:     global_buffer
      - .actual_access:  read_only
        .address_space:  global
        .offset:         112
        .size:           8
        .value_kind:     global_buffer
      - .offset:         120
        .size:           4
        .value_kind:     by_value
      - .address_space:  global
        .offset:         128
        .size:           8
        .value_kind:     global_buffer
      - .address_space:  global
        .offset:         136
        .size:           8
        .value_kind:     global_buffer
      - .offset:         144
        .size:           4
        .value_kind:     hidden_block_count_x
      - .offset:         148
        .size:           4
        .value_kind:     hidden_block_count_y
      - .offset:         152
        .size:           4
        .value_kind:     hidden_block_count_z
      - .offset:         156
        .size:           2
        .value_kind:     hidden_group_size_x
      - .offset:         158
        .size:           2
        .value_kind:     hidden_group_size_y
      - .offset:         160
        .size:           2
        .value_kind:     hidden_group_size_z
      - .offset:         162
        .size:           2
        .value_kind:     hidden_remainder_x
      - .offset:         164
        .size:           2
        .value_kind:     hidden_remainder_y
      - .offset:         166
        .size:           2
        .value_kind:     hidden_remainder_z
      - .offset:         184
        .size:           8
        .value_kind:     hidden_global_offset_x
      - .offset:         192
        .size:           8
        .value_kind:     hidden_global_offset_y
      - .offset:         200
        .size:           8
        .value_kind:     hidden_global_offset_z
      - .offset:         208
        .size:           2
        .value_kind:     hidden_grid_dims
      - .offset:         224
        .size:           8
        .value_kind:     hidden_hostcall_buffer
    .group_segment_fixed_size: 0
    .kernarg_segment_align: 8
    .kernarg_segment_size: 400
    .language:       OpenCL C
    .language_version:
      - 2
      - 0
    .max_flat_workgroup_size: 256
    .name:           _Z38paged_attention_ll4mi_QKV_mfma4_kernelI14__hip_bfloat16S0_LN4vllm18Fp8KVCacheDataTypeE0EhLi32ELi64ELi256ELb1ELi2EEvPKT_PKT0_S8_ifPKiSA_SA_iPKfiiiPfSD_PS3_PT2_iSC_SC_
    .private_segment_fixed_size: 64
    .sgpr_count:     36
    .sgpr_spill_count: 0
    .symbol:         _Z38paged_attention_ll4mi_QKV_mfma4_kernelI14__hip_bfloat16S0_LN4vllm18Fp8KVCacheDataTypeE0EhLi32ELi64ELi256ELb1ELi2EEvPKT_PKT0_S8_ifPKiSA_SA_iPKfiiiPfSD_PS3_PT2_iSC_SC_.kd
    .uniform_work_group_size: 1
    .uses_dynamic_stack: false
    .vgpr_count:     51
    .vgpr_spill_count: 0
    .wavefront_size: 32
  - .args:
      - .actual_access:  read_only
        .address_space:  global
        .offset:         0
        .size:           8
        .value_kind:     global_buffer
      - .actual_access:  read_only
        .address_space:  global
        .offset:         8
        .size:           8
        .value_kind:     global_buffer
      - .actual_access:  read_only
        .address_space:  global
        .offset:         16
        .size:           8
        .value_kind:     global_buffer
      - .offset:         24
        .size:           4
        .value_kind:     by_value
      - .offset:         28
        .size:           4
        .value_kind:     by_value
      - .actual_access:  read_only
        .address_space:  global
        .offset:         32
        .size:           8
        .value_kind:     global_buffer
      - .actual_access:  read_only
        .address_space:  global
        .offset:         40
        .size:           8
        .value_kind:     global_buffer
      - .actual_access:  read_only
        .address_space:  global
        .offset:         48
        .size:           8
        .value_kind:     global_buffer
      - .offset:         56
        .size:           4
        .value_kind:     by_value
      - .actual_access:  read_only
        .address_space:  global
        .offset:         64
        .size:           8
        .value_kind:     global_buffer
      - .offset:         72
        .size:           4
        .value_kind:     by_value
      - .offset:         76
        .size:           4
        .value_kind:     by_value
      - .offset:         80
        .size:           4
        .value_kind:     by_value
      - .actual_access:  read_only
        .address_space:  global
        .offset:         88
        .size:           8
        .value_kind:     global_buffer
      - .actual_access:  read_only
        .address_space:  global
        .offset:         96
        .size:           8
        .value_kind:     global_buffer
      - .actual_access:  read_only
        .address_space:  global
        .offset:         104
        .size:           8
        .value_kind:     global_buffer
      - .actual_access:  read_only
        .address_space:  global
        .offset:         112
        .size:           8
        .value_kind:     global_buffer
      - .offset:         120
        .size:           4
        .value_kind:     by_value
      - .address_space:  global
        .offset:         128
        .size:           8
        .value_kind:     global_buffer
      - .address_space:  global
        .offset:         136
        .size:           8
        .value_kind:     global_buffer
      - .offset:         144
        .size:           4
        .value_kind:     hidden_block_count_x
      - .offset:         148
        .size:           4
        .value_kind:     hidden_block_count_y
      - .offset:         152
        .size:           4
        .value_kind:     hidden_block_count_z
      - .offset:         156
        .size:           2
        .value_kind:     hidden_group_size_x
      - .offset:         158
        .size:           2
        .value_kind:     hidden_group_size_y
      - .offset:         160
        .size:           2
        .value_kind:     hidden_group_size_z
      - .offset:         162
        .size:           2
        .value_kind:     hidden_remainder_x
      - .offset:         164
        .size:           2
        .value_kind:     hidden_remainder_y
      - .offset:         166
        .size:           2
        .value_kind:     hidden_remainder_z
      - .offset:         184
        .size:           8
        .value_kind:     hidden_global_offset_x
      - .offset:         192
        .size:           8
        .value_kind:     hidden_global_offset_y
      - .offset:         200
        .size:           8
        .value_kind:     hidden_global_offset_z
      - .offset:         208
        .size:           2
        .value_kind:     hidden_grid_dims
      - .offset:         224
        .size:           8
        .value_kind:     hidden_hostcall_buffer
    .group_segment_fixed_size: 0
    .kernarg_segment_align: 8
    .kernarg_segment_size: 400
    .language:       OpenCL C
    .language_version:
      - 2
      - 0
    .max_flat_workgroup_size: 256
    .name:           _Z38paged_attention_ll4mi_QKV_mfma4_kernelI14__hip_bfloat16S0_LN4vllm18Fp8KVCacheDataTypeE0EhLi32ELi64ELi256ELb1ELi3EEvPKT_PKT0_S8_ifPKiSA_SA_iPKfiiiPfSD_PS3_PT2_iSC_SC_
    .private_segment_fixed_size: 64
    .sgpr_count:     36
    .sgpr_spill_count: 0
    .symbol:         _Z38paged_attention_ll4mi_QKV_mfma4_kernelI14__hip_bfloat16S0_LN4vllm18Fp8KVCacheDataTypeE0EhLi32ELi64ELi256ELb1ELi3EEvPKT_PKT0_S8_ifPKiSA_SA_iPKfiiiPfSD_PS3_PT2_iSC_SC_.kd
    .uniform_work_group_size: 1
    .uses_dynamic_stack: false
    .vgpr_count:     51
    .vgpr_spill_count: 0
    .wavefront_size: 32
  - .args:
      - .actual_access:  read_only
        .address_space:  global
        .offset:         0
        .size:           8
        .value_kind:     global_buffer
      - .actual_access:  read_only
        .address_space:  global
        .offset:         8
        .size:           8
        .value_kind:     global_buffer
      - .actual_access:  read_only
        .address_space:  global
        .offset:         16
        .size:           8
        .value_kind:     global_buffer
      - .offset:         24
        .size:           4
        .value_kind:     by_value
      - .offset:         28
        .size:           4
        .value_kind:     by_value
      - .actual_access:  read_only
        .address_space:  global
        .offset:         32
        .size:           8
        .value_kind:     global_buffer
      - .actual_access:  read_only
        .address_space:  global
        .offset:         40
        .size:           8
        .value_kind:     global_buffer
      - .actual_access:  read_only
        .address_space:  global
        .offset:         48
        .size:           8
        .value_kind:     global_buffer
      - .offset:         56
        .size:           4
        .value_kind:     by_value
      - .actual_access:  read_only
        .address_space:  global
        .offset:         64
        .size:           8
        .value_kind:     global_buffer
      - .offset:         72
        .size:           4
        .value_kind:     by_value
      - .offset:         76
        .size:           4
        .value_kind:     by_value
      - .offset:         80
        .size:           4
        .value_kind:     by_value
      - .actual_access:  read_only
        .address_space:  global
        .offset:         88
        .size:           8
        .value_kind:     global_buffer
      - .actual_access:  read_only
        .address_space:  global
        .offset:         96
        .size:           8
        .value_kind:     global_buffer
      - .actual_access:  read_only
        .address_space:  global
        .offset:         104
        .size:           8
        .value_kind:     global_buffer
      - .actual_access:  read_only
        .address_space:  global
        .offset:         112
        .size:           8
        .value_kind:     global_buffer
      - .offset:         120
        .size:           4
        .value_kind:     by_value
      - .address_space:  global
        .offset:         128
        .size:           8
        .value_kind:     global_buffer
      - .address_space:  global
        .offset:         136
        .size:           8
        .value_kind:     global_buffer
      - .offset:         144
        .size:           4
        .value_kind:     hidden_block_count_x
      - .offset:         148
        .size:           4
        .value_kind:     hidden_block_count_y
      - .offset:         152
        .size:           4
        .value_kind:     hidden_block_count_z
      - .offset:         156
        .size:           2
        .value_kind:     hidden_group_size_x
      - .offset:         158
        .size:           2
        .value_kind:     hidden_group_size_y
      - .offset:         160
        .size:           2
        .value_kind:     hidden_group_size_z
      - .offset:         162
        .size:           2
        .value_kind:     hidden_remainder_x
      - .offset:         164
        .size:           2
        .value_kind:     hidden_remainder_y
      - .offset:         166
        .size:           2
        .value_kind:     hidden_remainder_z
      - .offset:         184
        .size:           8
        .value_kind:     hidden_global_offset_x
      - .offset:         192
        .size:           8
        .value_kind:     hidden_global_offset_y
      - .offset:         200
        .size:           8
        .value_kind:     hidden_global_offset_z
      - .offset:         208
        .size:           2
        .value_kind:     hidden_grid_dims
      - .offset:         224
        .size:           8
        .value_kind:     hidden_hostcall_buffer
    .group_segment_fixed_size: 0
    .kernarg_segment_align: 8
    .kernarg_segment_size: 400
    .language:       OpenCL C
    .language_version:
      - 2
      - 0
    .max_flat_workgroup_size: 256
    .name:           _Z38paged_attention_ll4mi_QKV_mfma4_kernelI14__hip_bfloat16S0_LN4vllm18Fp8KVCacheDataTypeE0EhLi32ELi64ELi256ELb1ELi4EEvPKT_PKT0_S8_ifPKiSA_SA_iPKfiiiPfSD_PS3_PT2_iSC_SC_
    .private_segment_fixed_size: 64
    .sgpr_count:     36
    .sgpr_spill_count: 0
    .symbol:         _Z38paged_attention_ll4mi_QKV_mfma4_kernelI14__hip_bfloat16S0_LN4vllm18Fp8KVCacheDataTypeE0EhLi32ELi64ELi256ELb1ELi4EEvPKT_PKT0_S8_ifPKiSA_SA_iPKfiiiPfSD_PS3_PT2_iSC_SC_.kd
    .uniform_work_group_size: 1
    .uses_dynamic_stack: false
    .vgpr_count:     51
    .vgpr_spill_count: 0
    .wavefront_size: 32
  - .args:
      - .actual_access:  read_only
        .address_space:  global
        .offset:         0
        .size:           8
        .value_kind:     global_buffer
      - .actual_access:  read_only
        .address_space:  global
        .offset:         8
        .size:           8
        .value_kind:     global_buffer
      - .actual_access:  read_only
        .address_space:  global
        .offset:         16
        .size:           8
        .value_kind:     global_buffer
      - .offset:         24
        .size:           4
        .value_kind:     by_value
      - .offset:         28
        .size:           4
        .value_kind:     by_value
      - .actual_access:  read_only
        .address_space:  global
        .offset:         32
        .size:           8
        .value_kind:     global_buffer
      - .actual_access:  read_only
        .address_space:  global
        .offset:         40
        .size:           8
        .value_kind:     global_buffer
      - .actual_access:  read_only
        .address_space:  global
        .offset:         48
        .size:           8
        .value_kind:     global_buffer
      - .offset:         56
        .size:           4
        .value_kind:     by_value
      - .actual_access:  read_only
        .address_space:  global
        .offset:         64
        .size:           8
        .value_kind:     global_buffer
      - .offset:         72
        .size:           4
        .value_kind:     by_value
      - .offset:         76
        .size:           4
        .value_kind:     by_value
      - .offset:         80
        .size:           4
        .value_kind:     by_value
      - .actual_access:  read_only
        .address_space:  global
        .offset:         88
        .size:           8
        .value_kind:     global_buffer
      - .actual_access:  read_only
        .address_space:  global
        .offset:         96
        .size:           8
        .value_kind:     global_buffer
      - .actual_access:  read_only
        .address_space:  global
        .offset:         104
        .size:           8
        .value_kind:     global_buffer
      - .actual_access:  read_only
        .address_space:  global
        .offset:         112
        .size:           8
        .value_kind:     global_buffer
      - .offset:         120
        .size:           4
        .value_kind:     by_value
      - .address_space:  global
        .offset:         128
        .size:           8
        .value_kind:     global_buffer
      - .address_space:  global
        .offset:         136
        .size:           8
        .value_kind:     global_buffer
      - .offset:         144
        .size:           4
        .value_kind:     hidden_block_count_x
      - .offset:         148
        .size:           4
        .value_kind:     hidden_block_count_y
      - .offset:         152
        .size:           4
        .value_kind:     hidden_block_count_z
      - .offset:         156
        .size:           2
        .value_kind:     hidden_group_size_x
      - .offset:         158
        .size:           2
        .value_kind:     hidden_group_size_y
      - .offset:         160
        .size:           2
        .value_kind:     hidden_group_size_z
      - .offset:         162
        .size:           2
        .value_kind:     hidden_remainder_x
      - .offset:         164
        .size:           2
        .value_kind:     hidden_remainder_y
      - .offset:         166
        .size:           2
        .value_kind:     hidden_remainder_z
      - .offset:         184
        .size:           8
        .value_kind:     hidden_global_offset_x
      - .offset:         192
        .size:           8
        .value_kind:     hidden_global_offset_y
      - .offset:         200
        .size:           8
        .value_kind:     hidden_global_offset_z
      - .offset:         208
        .size:           2
        .value_kind:     hidden_grid_dims
      - .offset:         224
        .size:           8
        .value_kind:     hidden_hostcall_buffer
    .group_segment_fixed_size: 0
    .kernarg_segment_align: 8
    .kernarg_segment_size: 400
    .language:       OpenCL C
    .language_version:
      - 2
      - 0
    .max_flat_workgroup_size: 256
    .name:           _Z39paged_attention_ll4mi_QKV_mfma16_kernelI14__hip_bfloat16S0_LN4vllm18Fp8KVCacheDataTypeE0EhLi32ELi64ELi256ELb1ELi5EEvPKT_PKT0_S8_ifPKiSA_SA_iPKfiiiPfSD_PS3_PT2_iSC_SC_
    .private_segment_fixed_size: 64
    .sgpr_count:     36
    .sgpr_spill_count: 0
    .symbol:         _Z39paged_attention_ll4mi_QKV_mfma16_kernelI14__hip_bfloat16S0_LN4vllm18Fp8KVCacheDataTypeE0EhLi32ELi64ELi256ELb1ELi5EEvPKT_PKT0_S8_ifPKiSA_SA_iPKfiiiPfSD_PS3_PT2_iSC_SC_.kd
    .uniform_work_group_size: 1
    .uses_dynamic_stack: false
    .vgpr_count:     51
    .vgpr_spill_count: 0
    .wavefront_size: 32
  - .args:
      - .actual_access:  read_only
        .address_space:  global
        .offset:         0
        .size:           8
        .value_kind:     global_buffer
      - .actual_access:  read_only
        .address_space:  global
        .offset:         8
        .size:           8
        .value_kind:     global_buffer
      - .actual_access:  read_only
        .address_space:  global
        .offset:         16
        .size:           8
        .value_kind:     global_buffer
      - .offset:         24
        .size:           4
        .value_kind:     by_value
      - .offset:         28
        .size:           4
        .value_kind:     by_value
      - .actual_access:  read_only
        .address_space:  global
        .offset:         32
        .size:           8
        .value_kind:     global_buffer
      - .actual_access:  read_only
        .address_space:  global
        .offset:         40
        .size:           8
        .value_kind:     global_buffer
      - .actual_access:  read_only
        .address_space:  global
        .offset:         48
        .size:           8
        .value_kind:     global_buffer
      - .offset:         56
        .size:           4
        .value_kind:     by_value
      - .actual_access:  read_only
        .address_space:  global
        .offset:         64
        .size:           8
        .value_kind:     global_buffer
      - .offset:         72
        .size:           4
        .value_kind:     by_value
      - .offset:         76
        .size:           4
        .value_kind:     by_value
      - .offset:         80
        .size:           4
        .value_kind:     by_value
      - .actual_access:  read_only
        .address_space:  global
        .offset:         88
        .size:           8
        .value_kind:     global_buffer
      - .actual_access:  read_only
        .address_space:  global
        .offset:         96
        .size:           8
        .value_kind:     global_buffer
      - .actual_access:  read_only
        .address_space:  global
        .offset:         104
        .size:           8
        .value_kind:     global_buffer
      - .actual_access:  read_only
        .address_space:  global
        .offset:         112
        .size:           8
        .value_kind:     global_buffer
      - .offset:         120
        .size:           4
        .value_kind:     by_value
      - .address_space:  global
        .offset:         128
        .size:           8
        .value_kind:     global_buffer
      - .address_space:  global
        .offset:         136
        .size:           8
        .value_kind:     global_buffer
      - .offset:         144
        .size:           4
        .value_kind:     hidden_block_count_x
      - .offset:         148
        .size:           4
        .value_kind:     hidden_block_count_y
      - .offset:         152
        .size:           4
        .value_kind:     hidden_block_count_z
      - .offset:         156
        .size:           2
        .value_kind:     hidden_group_size_x
      - .offset:         158
        .size:           2
        .value_kind:     hidden_group_size_y
      - .offset:         160
        .size:           2
        .value_kind:     hidden_group_size_z
      - .offset:         162
        .size:           2
        .value_kind:     hidden_remainder_x
      - .offset:         164
        .size:           2
        .value_kind:     hidden_remainder_y
      - .offset:         166
        .size:           2
        .value_kind:     hidden_remainder_z
      - .offset:         184
        .size:           8
        .value_kind:     hidden_global_offset_x
      - .offset:         192
        .size:           8
        .value_kind:     hidden_global_offset_y
      - .offset:         200
        .size:           8
        .value_kind:     hidden_global_offset_z
      - .offset:         208
        .size:           2
        .value_kind:     hidden_grid_dims
      - .offset:         224
        .size:           8
        .value_kind:     hidden_hostcall_buffer
    .group_segment_fixed_size: 0
    .kernarg_segment_align: 8
    .kernarg_segment_size: 400
    .language:       OpenCL C
    .language_version:
      - 2
      - 0
    .max_flat_workgroup_size: 256
    .name:           _Z39paged_attention_ll4mi_QKV_mfma16_kernelI14__hip_bfloat16S0_LN4vllm18Fp8KVCacheDataTypeE0EhLi32ELi64ELi256ELb1ELi6EEvPKT_PKT0_S8_ifPKiSA_SA_iPKfiiiPfSD_PS3_PT2_iSC_SC_
    .private_segment_fixed_size: 64
    .sgpr_count:     36
    .sgpr_spill_count: 0
    .symbol:         _Z39paged_attention_ll4mi_QKV_mfma16_kernelI14__hip_bfloat16S0_LN4vllm18Fp8KVCacheDataTypeE0EhLi32ELi64ELi256ELb1ELi6EEvPKT_PKT0_S8_ifPKiSA_SA_iPKfiiiPfSD_PS3_PT2_iSC_SC_.kd
    .uniform_work_group_size: 1
    .uses_dynamic_stack: false
    .vgpr_count:     51
    .vgpr_spill_count: 0
    .wavefront_size: 32
  - .args:
      - .actual_access:  read_only
        .address_space:  global
        .offset:         0
        .size:           8
        .value_kind:     global_buffer
      - .actual_access:  read_only
        .address_space:  global
        .offset:         8
        .size:           8
        .value_kind:     global_buffer
      - .actual_access:  read_only
        .address_space:  global
        .offset:         16
        .size:           8
        .value_kind:     global_buffer
      - .offset:         24
        .size:           4
        .value_kind:     by_value
      - .offset:         28
        .size:           4
        .value_kind:     by_value
      - .actual_access:  read_only
        .address_space:  global
        .offset:         32
        .size:           8
        .value_kind:     global_buffer
      - .actual_access:  read_only
        .address_space:  global
        .offset:         40
        .size:           8
        .value_kind:     global_buffer
      - .actual_access:  read_only
        .address_space:  global
        .offset:         48
        .size:           8
        .value_kind:     global_buffer
      - .offset:         56
        .size:           4
        .value_kind:     by_value
      - .actual_access:  read_only
        .address_space:  global
        .offset:         64
        .size:           8
        .value_kind:     global_buffer
      - .offset:         72
        .size:           4
        .value_kind:     by_value
      - .offset:         76
        .size:           4
        .value_kind:     by_value
      - .offset:         80
        .size:           4
        .value_kind:     by_value
      - .actual_access:  read_only
        .address_space:  global
        .offset:         88
        .size:           8
        .value_kind:     global_buffer
      - .actual_access:  read_only
        .address_space:  global
        .offset:         96
        .size:           8
        .value_kind:     global_buffer
      - .actual_access:  read_only
        .address_space:  global
        .offset:         104
        .size:           8
        .value_kind:     global_buffer
      - .actual_access:  read_only
        .address_space:  global
        .offset:         112
        .size:           8
        .value_kind:     global_buffer
      - .offset:         120
        .size:           4
        .value_kind:     by_value
      - .address_space:  global
        .offset:         128
        .size:           8
        .value_kind:     global_buffer
      - .address_space:  global
        .offset:         136
        .size:           8
        .value_kind:     global_buffer
      - .offset:         144
        .size:           4
        .value_kind:     hidden_block_count_x
      - .offset:         148
        .size:           4
        .value_kind:     hidden_block_count_y
      - .offset:         152
        .size:           4
        .value_kind:     hidden_block_count_z
      - .offset:         156
        .size:           2
        .value_kind:     hidden_group_size_x
      - .offset:         158
        .size:           2
        .value_kind:     hidden_group_size_y
      - .offset:         160
        .size:           2
        .value_kind:     hidden_group_size_z
      - .offset:         162
        .size:           2
        .value_kind:     hidden_remainder_x
      - .offset:         164
        .size:           2
        .value_kind:     hidden_remainder_y
      - .offset:         166
        .size:           2
        .value_kind:     hidden_remainder_z
      - .offset:         184
        .size:           8
        .value_kind:     hidden_global_offset_x
      - .offset:         192
        .size:           8
        .value_kind:     hidden_global_offset_y
      - .offset:         200
        .size:           8
        .value_kind:     hidden_global_offset_z
      - .offset:         208
        .size:           2
        .value_kind:     hidden_grid_dims
      - .offset:         224
        .size:           8
        .value_kind:     hidden_hostcall_buffer
    .group_segment_fixed_size: 0
    .kernarg_segment_align: 8
    .kernarg_segment_size: 400
    .language:       OpenCL C
    .language_version:
      - 2
      - 0
    .max_flat_workgroup_size: 256
    .name:           _Z39paged_attention_ll4mi_QKV_mfma16_kernelI14__hip_bfloat16S0_LN4vllm18Fp8KVCacheDataTypeE0EhLi32ELi64ELi256ELb1ELi7EEvPKT_PKT0_S8_ifPKiSA_SA_iPKfiiiPfSD_PS3_PT2_iSC_SC_
    .private_segment_fixed_size: 64
    .sgpr_count:     36
    .sgpr_spill_count: 0
    .symbol:         _Z39paged_attention_ll4mi_QKV_mfma16_kernelI14__hip_bfloat16S0_LN4vllm18Fp8KVCacheDataTypeE0EhLi32ELi64ELi256ELb1ELi7EEvPKT_PKT0_S8_ifPKiSA_SA_iPKfiiiPfSD_PS3_PT2_iSC_SC_.kd
    .uniform_work_group_size: 1
    .uses_dynamic_stack: false
    .vgpr_count:     51
    .vgpr_spill_count: 0
    .wavefront_size: 32
  - .args:
      - .actual_access:  read_only
        .address_space:  global
        .offset:         0
        .size:           8
        .value_kind:     global_buffer
      - .actual_access:  read_only
        .address_space:  global
        .offset:         8
        .size:           8
        .value_kind:     global_buffer
      - .actual_access:  read_only
        .address_space:  global
        .offset:         16
        .size:           8
        .value_kind:     global_buffer
      - .offset:         24
        .size:           4
        .value_kind:     by_value
      - .offset:         28
        .size:           4
        .value_kind:     by_value
      - .actual_access:  read_only
        .address_space:  global
        .offset:         32
        .size:           8
        .value_kind:     global_buffer
      - .actual_access:  read_only
        .address_space:  global
        .offset:         40
        .size:           8
        .value_kind:     global_buffer
      - .actual_access:  read_only
        .address_space:  global
        .offset:         48
        .size:           8
        .value_kind:     global_buffer
      - .offset:         56
        .size:           4
        .value_kind:     by_value
      - .actual_access:  read_only
        .address_space:  global
        .offset:         64
        .size:           8
        .value_kind:     global_buffer
      - .offset:         72
        .size:           4
        .value_kind:     by_value
      - .offset:         76
        .size:           4
        .value_kind:     by_value
      - .offset:         80
        .size:           4
        .value_kind:     by_value
      - .actual_access:  read_only
        .address_space:  global
        .offset:         88
        .size:           8
        .value_kind:     global_buffer
      - .actual_access:  read_only
        .address_space:  global
        .offset:         96
        .size:           8
        .value_kind:     global_buffer
      - .actual_access:  read_only
        .address_space:  global
        .offset:         104
        .size:           8
        .value_kind:     global_buffer
      - .actual_access:  read_only
        .address_space:  global
        .offset:         112
        .size:           8
        .value_kind:     global_buffer
      - .offset:         120
        .size:           4
        .value_kind:     by_value
      - .address_space:  global
        .offset:         128
        .size:           8
        .value_kind:     global_buffer
      - .address_space:  global
        .offset:         136
        .size:           8
        .value_kind:     global_buffer
      - .offset:         144
        .size:           4
        .value_kind:     hidden_block_count_x
      - .offset:         148
        .size:           4
        .value_kind:     hidden_block_count_y
      - .offset:         152
        .size:           4
        .value_kind:     hidden_block_count_z
      - .offset:         156
        .size:           2
        .value_kind:     hidden_group_size_x
      - .offset:         158
        .size:           2
        .value_kind:     hidden_group_size_y
      - .offset:         160
        .size:           2
        .value_kind:     hidden_group_size_z
      - .offset:         162
        .size:           2
        .value_kind:     hidden_remainder_x
      - .offset:         164
        .size:           2
        .value_kind:     hidden_remainder_y
      - .offset:         166
        .size:           2
        .value_kind:     hidden_remainder_z
      - .offset:         184
        .size:           8
        .value_kind:     hidden_global_offset_x
      - .offset:         192
        .size:           8
        .value_kind:     hidden_global_offset_y
      - .offset:         200
        .size:           8
        .value_kind:     hidden_global_offset_z
      - .offset:         208
        .size:           2
        .value_kind:     hidden_grid_dims
      - .offset:         224
        .size:           8
        .value_kind:     hidden_hostcall_buffer
    .group_segment_fixed_size: 0
    .kernarg_segment_align: 8
    .kernarg_segment_size: 400
    .language:       OpenCL C
    .language_version:
      - 2
      - 0
    .max_flat_workgroup_size: 256
    .name:           _Z39paged_attention_ll4mi_QKV_mfma16_kernelI14__hip_bfloat16S0_LN4vllm18Fp8KVCacheDataTypeE0EhLi32ELi64ELi256ELb1ELi8EEvPKT_PKT0_S8_ifPKiSA_SA_iPKfiiiPfSD_PS3_PT2_iSC_SC_
    .private_segment_fixed_size: 64
    .sgpr_count:     36
    .sgpr_spill_count: 0
    .symbol:         _Z39paged_attention_ll4mi_QKV_mfma16_kernelI14__hip_bfloat16S0_LN4vllm18Fp8KVCacheDataTypeE0EhLi32ELi64ELi256ELb1ELi8EEvPKT_PKT0_S8_ifPKiSA_SA_iPKfiiiPfSD_PS3_PT2_iSC_SC_.kd
    .uniform_work_group_size: 1
    .uses_dynamic_stack: false
    .vgpr_count:     51
    .vgpr_spill_count: 0
    .wavefront_size: 32
  - .args:
      - .actual_access:  read_only
        .address_space:  global
        .offset:         0
        .size:           8
        .value_kind:     global_buffer
      - .actual_access:  read_only
        .address_space:  global
        .offset:         8
        .size:           8
        .value_kind:     global_buffer
      - .actual_access:  read_only
        .address_space:  global
        .offset:         16
        .size:           8
        .value_kind:     global_buffer
      - .offset:         24
        .size:           4
        .value_kind:     by_value
      - .offset:         28
        .size:           4
        .value_kind:     by_value
      - .actual_access:  read_only
        .address_space:  global
        .offset:         32
        .size:           8
        .value_kind:     global_buffer
      - .actual_access:  read_only
        .address_space:  global
        .offset:         40
        .size:           8
        .value_kind:     global_buffer
      - .actual_access:  read_only
        .address_space:  global
        .offset:         48
        .size:           8
        .value_kind:     global_buffer
      - .offset:         56
        .size:           4
        .value_kind:     by_value
      - .actual_access:  read_only
        .address_space:  global
        .offset:         64
        .size:           8
        .value_kind:     global_buffer
      - .offset:         72
        .size:           4
        .value_kind:     by_value
      - .offset:         76
        .size:           4
        .value_kind:     by_value
      - .offset:         80
        .size:           4
        .value_kind:     by_value
      - .actual_access:  read_only
        .address_space:  global
        .offset:         88
        .size:           8
        .value_kind:     global_buffer
      - .actual_access:  read_only
        .address_space:  global
        .offset:         96
        .size:           8
        .value_kind:     global_buffer
      - .actual_access:  read_only
        .address_space:  global
        .offset:         104
        .size:           8
        .value_kind:     global_buffer
      - .actual_access:  read_only
        .address_space:  global
        .offset:         112
        .size:           8
        .value_kind:     global_buffer
      - .offset:         120
        .size:           4
        .value_kind:     by_value
      - .address_space:  global
        .offset:         128
        .size:           8
        .value_kind:     global_buffer
      - .address_space:  global
        .offset:         136
        .size:           8
        .value_kind:     global_buffer
      - .offset:         144
        .size:           4
        .value_kind:     hidden_block_count_x
      - .offset:         148
        .size:           4
        .value_kind:     hidden_block_count_y
      - .offset:         152
        .size:           4
        .value_kind:     hidden_block_count_z
      - .offset:         156
        .size:           2
        .value_kind:     hidden_group_size_x
      - .offset:         158
        .size:           2
        .value_kind:     hidden_group_size_y
      - .offset:         160
        .size:           2
        .value_kind:     hidden_group_size_z
      - .offset:         162
        .size:           2
        .value_kind:     hidden_remainder_x
      - .offset:         164
        .size:           2
        .value_kind:     hidden_remainder_y
      - .offset:         166
        .size:           2
        .value_kind:     hidden_remainder_z
      - .offset:         184
        .size:           8
        .value_kind:     hidden_global_offset_x
      - .offset:         192
        .size:           8
        .value_kind:     hidden_global_offset_y
      - .offset:         200
        .size:           8
        .value_kind:     hidden_global_offset_z
      - .offset:         208
        .size:           2
        .value_kind:     hidden_grid_dims
      - .offset:         224
        .size:           8
        .value_kind:     hidden_hostcall_buffer
    .group_segment_fixed_size: 0
    .kernarg_segment_align: 8
    .kernarg_segment_size: 400
    .language:       OpenCL C
    .language_version:
      - 2
      - 0
    .max_flat_workgroup_size: 256
    .name:           _Z39paged_attention_ll4mi_QKV_mfma16_kernelI14__hip_bfloat16S0_LN4vllm18Fp8KVCacheDataTypeE0EhLi32ELi64ELi256ELb1ELi9EEvPKT_PKT0_S8_ifPKiSA_SA_iPKfiiiPfSD_PS3_PT2_iSC_SC_
    .private_segment_fixed_size: 64
    .sgpr_count:     36
    .sgpr_spill_count: 0
    .symbol:         _Z39paged_attention_ll4mi_QKV_mfma16_kernelI14__hip_bfloat16S0_LN4vllm18Fp8KVCacheDataTypeE0EhLi32ELi64ELi256ELb1ELi9EEvPKT_PKT0_S8_ifPKiSA_SA_iPKfiiiPfSD_PS3_PT2_iSC_SC_.kd
    .uniform_work_group_size: 1
    .uses_dynamic_stack: false
    .vgpr_count:     51
    .vgpr_spill_count: 0
    .wavefront_size: 32
  - .args:
      - .actual_access:  read_only
        .address_space:  global
        .offset:         0
        .size:           8
        .value_kind:     global_buffer
      - .actual_access:  read_only
        .address_space:  global
        .offset:         8
        .size:           8
        .value_kind:     global_buffer
      - .actual_access:  read_only
        .address_space:  global
        .offset:         16
        .size:           8
        .value_kind:     global_buffer
      - .offset:         24
        .size:           4
        .value_kind:     by_value
      - .offset:         28
        .size:           4
        .value_kind:     by_value
      - .actual_access:  read_only
        .address_space:  global
        .offset:         32
        .size:           8
        .value_kind:     global_buffer
      - .actual_access:  read_only
        .address_space:  global
        .offset:         40
        .size:           8
        .value_kind:     global_buffer
      - .actual_access:  read_only
        .address_space:  global
        .offset:         48
        .size:           8
        .value_kind:     global_buffer
      - .offset:         56
        .size:           4
        .value_kind:     by_value
      - .actual_access:  read_only
        .address_space:  global
        .offset:         64
        .size:           8
        .value_kind:     global_buffer
      - .offset:         72
        .size:           4
        .value_kind:     by_value
      - .offset:         76
        .size:           4
        .value_kind:     by_value
      - .offset:         80
        .size:           4
        .value_kind:     by_value
      - .actual_access:  read_only
        .address_space:  global
        .offset:         88
        .size:           8
        .value_kind:     global_buffer
      - .actual_access:  read_only
        .address_space:  global
        .offset:         96
        .size:           8
        .value_kind:     global_buffer
      - .actual_access:  read_only
        .address_space:  global
        .offset:         104
        .size:           8
        .value_kind:     global_buffer
      - .actual_access:  read_only
        .address_space:  global
        .offset:         112
        .size:           8
        .value_kind:     global_buffer
      - .offset:         120
        .size:           4
        .value_kind:     by_value
      - .address_space:  global
        .offset:         128
        .size:           8
        .value_kind:     global_buffer
      - .address_space:  global
        .offset:         136
        .size:           8
        .value_kind:     global_buffer
      - .offset:         144
        .size:           4
        .value_kind:     hidden_block_count_x
      - .offset:         148
        .size:           4
        .value_kind:     hidden_block_count_y
      - .offset:         152
        .size:           4
        .value_kind:     hidden_block_count_z
      - .offset:         156
        .size:           2
        .value_kind:     hidden_group_size_x
      - .offset:         158
        .size:           2
        .value_kind:     hidden_group_size_y
      - .offset:         160
        .size:           2
        .value_kind:     hidden_group_size_z
      - .offset:         162
        .size:           2
        .value_kind:     hidden_remainder_x
      - .offset:         164
        .size:           2
        .value_kind:     hidden_remainder_y
      - .offset:         166
        .size:           2
        .value_kind:     hidden_remainder_z
      - .offset:         184
        .size:           8
        .value_kind:     hidden_global_offset_x
      - .offset:         192
        .size:           8
        .value_kind:     hidden_global_offset_y
      - .offset:         200
        .size:           8
        .value_kind:     hidden_global_offset_z
      - .offset:         208
        .size:           2
        .value_kind:     hidden_grid_dims
      - .offset:         224
        .size:           8
        .value_kind:     hidden_hostcall_buffer
    .group_segment_fixed_size: 0
    .kernarg_segment_align: 8
    .kernarg_segment_size: 400
    .language:       OpenCL C
    .language_version:
      - 2
      - 0
    .max_flat_workgroup_size: 256
    .name:           _Z39paged_attention_ll4mi_QKV_mfma16_kernelI14__hip_bfloat16S0_LN4vllm18Fp8KVCacheDataTypeE0EhLi32ELi64ELi256ELb1ELi10EEvPKT_PKT0_S8_ifPKiSA_SA_iPKfiiiPfSD_PS3_PT2_iSC_SC_
    .private_segment_fixed_size: 64
    .sgpr_count:     36
    .sgpr_spill_count: 0
    .symbol:         _Z39paged_attention_ll4mi_QKV_mfma16_kernelI14__hip_bfloat16S0_LN4vllm18Fp8KVCacheDataTypeE0EhLi32ELi64ELi256ELb1ELi10EEvPKT_PKT0_S8_ifPKiSA_SA_iPKfiiiPfSD_PS3_PT2_iSC_SC_.kd
    .uniform_work_group_size: 1
    .uses_dynamic_stack: false
    .vgpr_count:     51
    .vgpr_spill_count: 0
    .wavefront_size: 32
  - .args:
      - .actual_access:  read_only
        .address_space:  global
        .offset:         0
        .size:           8
        .value_kind:     global_buffer
      - .actual_access:  read_only
        .address_space:  global
        .offset:         8
        .size:           8
        .value_kind:     global_buffer
      - .actual_access:  read_only
        .address_space:  global
        .offset:         16
        .size:           8
        .value_kind:     global_buffer
      - .offset:         24
        .size:           4
        .value_kind:     by_value
      - .offset:         28
        .size:           4
        .value_kind:     by_value
      - .actual_access:  read_only
        .address_space:  global
        .offset:         32
        .size:           8
        .value_kind:     global_buffer
      - .actual_access:  read_only
        .address_space:  global
        .offset:         40
        .size:           8
        .value_kind:     global_buffer
      - .actual_access:  read_only
        .address_space:  global
        .offset:         48
        .size:           8
        .value_kind:     global_buffer
      - .offset:         56
        .size:           4
        .value_kind:     by_value
      - .actual_access:  read_only
        .address_space:  global
        .offset:         64
        .size:           8
        .value_kind:     global_buffer
      - .offset:         72
        .size:           4
        .value_kind:     by_value
      - .offset:         76
        .size:           4
        .value_kind:     by_value
      - .offset:         80
        .size:           4
        .value_kind:     by_value
      - .actual_access:  read_only
        .address_space:  global
        .offset:         88
        .size:           8
        .value_kind:     global_buffer
      - .actual_access:  read_only
        .address_space:  global
        .offset:         96
        .size:           8
        .value_kind:     global_buffer
      - .actual_access:  read_only
        .address_space:  global
        .offset:         104
        .size:           8
        .value_kind:     global_buffer
      - .actual_access:  read_only
        .address_space:  global
        .offset:         112
        .size:           8
        .value_kind:     global_buffer
      - .offset:         120
        .size:           4
        .value_kind:     by_value
      - .address_space:  global
        .offset:         128
        .size:           8
        .value_kind:     global_buffer
      - .address_space:  global
        .offset:         136
        .size:           8
        .value_kind:     global_buffer
      - .offset:         144
        .size:           4
        .value_kind:     hidden_block_count_x
      - .offset:         148
        .size:           4
        .value_kind:     hidden_block_count_y
      - .offset:         152
        .size:           4
        .value_kind:     hidden_block_count_z
      - .offset:         156
        .size:           2
        .value_kind:     hidden_group_size_x
      - .offset:         158
        .size:           2
        .value_kind:     hidden_group_size_y
      - .offset:         160
        .size:           2
        .value_kind:     hidden_group_size_z
      - .offset:         162
        .size:           2
        .value_kind:     hidden_remainder_x
      - .offset:         164
        .size:           2
        .value_kind:     hidden_remainder_y
      - .offset:         166
        .size:           2
        .value_kind:     hidden_remainder_z
      - .offset:         184
        .size:           8
        .value_kind:     hidden_global_offset_x
      - .offset:         192
        .size:           8
        .value_kind:     hidden_global_offset_y
      - .offset:         200
        .size:           8
        .value_kind:     hidden_global_offset_z
      - .offset:         208
        .size:           2
        .value_kind:     hidden_grid_dims
      - .offset:         224
        .size:           8
        .value_kind:     hidden_hostcall_buffer
    .group_segment_fixed_size: 0
    .kernarg_segment_align: 8
    .kernarg_segment_size: 400
    .language:       OpenCL C
    .language_version:
      - 2
      - 0
    .max_flat_workgroup_size: 256
    .name:           _Z39paged_attention_ll4mi_QKV_mfma16_kernelI14__hip_bfloat16S0_LN4vllm18Fp8KVCacheDataTypeE0EhLi32ELi64ELi256ELb1ELi11EEvPKT_PKT0_S8_ifPKiSA_SA_iPKfiiiPfSD_PS3_PT2_iSC_SC_
    .private_segment_fixed_size: 64
    .sgpr_count:     36
    .sgpr_spill_count: 0
    .symbol:         _Z39paged_attention_ll4mi_QKV_mfma16_kernelI14__hip_bfloat16S0_LN4vllm18Fp8KVCacheDataTypeE0EhLi32ELi64ELi256ELb1ELi11EEvPKT_PKT0_S8_ifPKiSA_SA_iPKfiiiPfSD_PS3_PT2_iSC_SC_.kd
    .uniform_work_group_size: 1
    .uses_dynamic_stack: false
    .vgpr_count:     51
    .vgpr_spill_count: 0
    .wavefront_size: 32
  - .args:
      - .actual_access:  read_only
        .address_space:  global
        .offset:         0
        .size:           8
        .value_kind:     global_buffer
      - .actual_access:  read_only
        .address_space:  global
        .offset:         8
        .size:           8
        .value_kind:     global_buffer
      - .actual_access:  read_only
        .address_space:  global
        .offset:         16
        .size:           8
        .value_kind:     global_buffer
      - .offset:         24
        .size:           4
        .value_kind:     by_value
      - .offset:         28
        .size:           4
        .value_kind:     by_value
      - .actual_access:  read_only
        .address_space:  global
        .offset:         32
        .size:           8
        .value_kind:     global_buffer
      - .actual_access:  read_only
        .address_space:  global
        .offset:         40
        .size:           8
        .value_kind:     global_buffer
      - .actual_access:  read_only
        .address_space:  global
        .offset:         48
        .size:           8
        .value_kind:     global_buffer
      - .offset:         56
        .size:           4
        .value_kind:     by_value
      - .actual_access:  read_only
        .address_space:  global
        .offset:         64
        .size:           8
        .value_kind:     global_buffer
      - .offset:         72
        .size:           4
        .value_kind:     by_value
      - .offset:         76
        .size:           4
        .value_kind:     by_value
      - .offset:         80
        .size:           4
        .value_kind:     by_value
      - .actual_access:  read_only
        .address_space:  global
        .offset:         88
        .size:           8
        .value_kind:     global_buffer
      - .actual_access:  read_only
        .address_space:  global
        .offset:         96
        .size:           8
        .value_kind:     global_buffer
      - .actual_access:  read_only
        .address_space:  global
        .offset:         104
        .size:           8
        .value_kind:     global_buffer
      - .actual_access:  read_only
        .address_space:  global
        .offset:         112
        .size:           8
        .value_kind:     global_buffer
      - .offset:         120
        .size:           4
        .value_kind:     by_value
      - .address_space:  global
        .offset:         128
        .size:           8
        .value_kind:     global_buffer
      - .address_space:  global
        .offset:         136
        .size:           8
        .value_kind:     global_buffer
      - .offset:         144
        .size:           4
        .value_kind:     hidden_block_count_x
      - .offset:         148
        .size:           4
        .value_kind:     hidden_block_count_y
      - .offset:         152
        .size:           4
        .value_kind:     hidden_block_count_z
      - .offset:         156
        .size:           2
        .value_kind:     hidden_group_size_x
      - .offset:         158
        .size:           2
        .value_kind:     hidden_group_size_y
      - .offset:         160
        .size:           2
        .value_kind:     hidden_group_size_z
      - .offset:         162
        .size:           2
        .value_kind:     hidden_remainder_x
      - .offset:         164
        .size:           2
        .value_kind:     hidden_remainder_y
      - .offset:         166
        .size:           2
        .value_kind:     hidden_remainder_z
      - .offset:         184
        .size:           8
        .value_kind:     hidden_global_offset_x
      - .offset:         192
        .size:           8
        .value_kind:     hidden_global_offset_y
      - .offset:         200
        .size:           8
        .value_kind:     hidden_global_offset_z
      - .offset:         208
        .size:           2
        .value_kind:     hidden_grid_dims
      - .offset:         224
        .size:           8
        .value_kind:     hidden_hostcall_buffer
    .group_segment_fixed_size: 0
    .kernarg_segment_align: 8
    .kernarg_segment_size: 400
    .language:       OpenCL C
    .language_version:
      - 2
      - 0
    .max_flat_workgroup_size: 256
    .name:           _Z39paged_attention_ll4mi_QKV_mfma16_kernelI14__hip_bfloat16S0_LN4vllm18Fp8KVCacheDataTypeE0EhLi32ELi64ELi256ELb1ELi12EEvPKT_PKT0_S8_ifPKiSA_SA_iPKfiiiPfSD_PS3_PT2_iSC_SC_
    .private_segment_fixed_size: 64
    .sgpr_count:     36
    .sgpr_spill_count: 0
    .symbol:         _Z39paged_attention_ll4mi_QKV_mfma16_kernelI14__hip_bfloat16S0_LN4vllm18Fp8KVCacheDataTypeE0EhLi32ELi64ELi256ELb1ELi12EEvPKT_PKT0_S8_ifPKiSA_SA_iPKfiiiPfSD_PS3_PT2_iSC_SC_.kd
    .uniform_work_group_size: 1
    .uses_dynamic_stack: false
    .vgpr_count:     51
    .vgpr_spill_count: 0
    .wavefront_size: 32
  - .args:
      - .actual_access:  read_only
        .address_space:  global
        .offset:         0
        .size:           8
        .value_kind:     global_buffer
      - .actual_access:  read_only
        .address_space:  global
        .offset:         8
        .size:           8
        .value_kind:     global_buffer
      - .actual_access:  read_only
        .address_space:  global
        .offset:         16
        .size:           8
        .value_kind:     global_buffer
      - .offset:         24
        .size:           4
        .value_kind:     by_value
      - .offset:         28
        .size:           4
        .value_kind:     by_value
      - .actual_access:  read_only
        .address_space:  global
        .offset:         32
        .size:           8
        .value_kind:     global_buffer
      - .actual_access:  read_only
        .address_space:  global
        .offset:         40
        .size:           8
        .value_kind:     global_buffer
      - .actual_access:  read_only
        .address_space:  global
        .offset:         48
        .size:           8
        .value_kind:     global_buffer
      - .offset:         56
        .size:           4
        .value_kind:     by_value
      - .actual_access:  read_only
        .address_space:  global
        .offset:         64
        .size:           8
        .value_kind:     global_buffer
      - .offset:         72
        .size:           4
        .value_kind:     by_value
      - .offset:         76
        .size:           4
        .value_kind:     by_value
      - .offset:         80
        .size:           4
        .value_kind:     by_value
      - .actual_access:  read_only
        .address_space:  global
        .offset:         88
        .size:           8
        .value_kind:     global_buffer
      - .actual_access:  read_only
        .address_space:  global
        .offset:         96
        .size:           8
        .value_kind:     global_buffer
      - .actual_access:  read_only
        .address_space:  global
        .offset:         104
        .size:           8
        .value_kind:     global_buffer
      - .actual_access:  read_only
        .address_space:  global
        .offset:         112
        .size:           8
        .value_kind:     global_buffer
      - .offset:         120
        .size:           4
        .value_kind:     by_value
      - .address_space:  global
        .offset:         128
        .size:           8
        .value_kind:     global_buffer
      - .address_space:  global
        .offset:         136
        .size:           8
        .value_kind:     global_buffer
      - .offset:         144
        .size:           4
        .value_kind:     hidden_block_count_x
      - .offset:         148
        .size:           4
        .value_kind:     hidden_block_count_y
      - .offset:         152
        .size:           4
        .value_kind:     hidden_block_count_z
      - .offset:         156
        .size:           2
        .value_kind:     hidden_group_size_x
      - .offset:         158
        .size:           2
        .value_kind:     hidden_group_size_y
      - .offset:         160
        .size:           2
        .value_kind:     hidden_group_size_z
      - .offset:         162
        .size:           2
        .value_kind:     hidden_remainder_x
      - .offset:         164
        .size:           2
        .value_kind:     hidden_remainder_y
      - .offset:         166
        .size:           2
        .value_kind:     hidden_remainder_z
      - .offset:         184
        .size:           8
        .value_kind:     hidden_global_offset_x
      - .offset:         192
        .size:           8
        .value_kind:     hidden_global_offset_y
      - .offset:         200
        .size:           8
        .value_kind:     hidden_global_offset_z
      - .offset:         208
        .size:           2
        .value_kind:     hidden_grid_dims
      - .offset:         224
        .size:           8
        .value_kind:     hidden_hostcall_buffer
    .group_segment_fixed_size: 0
    .kernarg_segment_align: 8
    .kernarg_segment_size: 400
    .language:       OpenCL C
    .language_version:
      - 2
      - 0
    .max_flat_workgroup_size: 256
    .name:           _Z39paged_attention_ll4mi_QKV_mfma16_kernelI14__hip_bfloat16S0_LN4vllm18Fp8KVCacheDataTypeE0EhLi32ELi64ELi256ELb1ELi13EEvPKT_PKT0_S8_ifPKiSA_SA_iPKfiiiPfSD_PS3_PT2_iSC_SC_
    .private_segment_fixed_size: 64
    .sgpr_count:     36
    .sgpr_spill_count: 0
    .symbol:         _Z39paged_attention_ll4mi_QKV_mfma16_kernelI14__hip_bfloat16S0_LN4vllm18Fp8KVCacheDataTypeE0EhLi32ELi64ELi256ELb1ELi13EEvPKT_PKT0_S8_ifPKiSA_SA_iPKfiiiPfSD_PS3_PT2_iSC_SC_.kd
    .uniform_work_group_size: 1
    .uses_dynamic_stack: false
    .vgpr_count:     51
    .vgpr_spill_count: 0
    .wavefront_size: 32
  - .args:
      - .actual_access:  read_only
        .address_space:  global
        .offset:         0
        .size:           8
        .value_kind:     global_buffer
      - .actual_access:  read_only
        .address_space:  global
        .offset:         8
        .size:           8
        .value_kind:     global_buffer
      - .actual_access:  read_only
        .address_space:  global
        .offset:         16
        .size:           8
        .value_kind:     global_buffer
      - .offset:         24
        .size:           4
        .value_kind:     by_value
      - .offset:         28
        .size:           4
        .value_kind:     by_value
      - .actual_access:  read_only
        .address_space:  global
        .offset:         32
        .size:           8
        .value_kind:     global_buffer
      - .actual_access:  read_only
        .address_space:  global
        .offset:         40
        .size:           8
        .value_kind:     global_buffer
      - .actual_access:  read_only
        .address_space:  global
        .offset:         48
        .size:           8
        .value_kind:     global_buffer
      - .offset:         56
        .size:           4
        .value_kind:     by_value
      - .actual_access:  read_only
        .address_space:  global
        .offset:         64
        .size:           8
        .value_kind:     global_buffer
      - .offset:         72
        .size:           4
        .value_kind:     by_value
      - .offset:         76
        .size:           4
        .value_kind:     by_value
      - .offset:         80
        .size:           4
        .value_kind:     by_value
      - .actual_access:  read_only
        .address_space:  global
        .offset:         88
        .size:           8
        .value_kind:     global_buffer
      - .actual_access:  read_only
        .address_space:  global
        .offset:         96
        .size:           8
        .value_kind:     global_buffer
      - .actual_access:  read_only
        .address_space:  global
        .offset:         104
        .size:           8
        .value_kind:     global_buffer
      - .actual_access:  read_only
        .address_space:  global
        .offset:         112
        .size:           8
        .value_kind:     global_buffer
      - .offset:         120
        .size:           4
        .value_kind:     by_value
      - .address_space:  global
        .offset:         128
        .size:           8
        .value_kind:     global_buffer
      - .address_space:  global
        .offset:         136
        .size:           8
        .value_kind:     global_buffer
      - .offset:         144
        .size:           4
        .value_kind:     hidden_block_count_x
      - .offset:         148
        .size:           4
        .value_kind:     hidden_block_count_y
      - .offset:         152
        .size:           4
        .value_kind:     hidden_block_count_z
      - .offset:         156
        .size:           2
        .value_kind:     hidden_group_size_x
      - .offset:         158
        .size:           2
        .value_kind:     hidden_group_size_y
      - .offset:         160
        .size:           2
        .value_kind:     hidden_group_size_z
      - .offset:         162
        .size:           2
        .value_kind:     hidden_remainder_x
      - .offset:         164
        .size:           2
        .value_kind:     hidden_remainder_y
      - .offset:         166
        .size:           2
        .value_kind:     hidden_remainder_z
      - .offset:         184
        .size:           8
        .value_kind:     hidden_global_offset_x
      - .offset:         192
        .size:           8
        .value_kind:     hidden_global_offset_y
      - .offset:         200
        .size:           8
        .value_kind:     hidden_global_offset_z
      - .offset:         208
        .size:           2
        .value_kind:     hidden_grid_dims
      - .offset:         224
        .size:           8
        .value_kind:     hidden_hostcall_buffer
    .group_segment_fixed_size: 0
    .kernarg_segment_align: 8
    .kernarg_segment_size: 400
    .language:       OpenCL C
    .language_version:
      - 2
      - 0
    .max_flat_workgroup_size: 256
    .name:           _Z39paged_attention_ll4mi_QKV_mfma16_kernelI14__hip_bfloat16S0_LN4vllm18Fp8KVCacheDataTypeE0EhLi32ELi64ELi256ELb1ELi14EEvPKT_PKT0_S8_ifPKiSA_SA_iPKfiiiPfSD_PS3_PT2_iSC_SC_
    .private_segment_fixed_size: 64
    .sgpr_count:     36
    .sgpr_spill_count: 0
    .symbol:         _Z39paged_attention_ll4mi_QKV_mfma16_kernelI14__hip_bfloat16S0_LN4vllm18Fp8KVCacheDataTypeE0EhLi32ELi64ELi256ELb1ELi14EEvPKT_PKT0_S8_ifPKiSA_SA_iPKfiiiPfSD_PS3_PT2_iSC_SC_.kd
    .uniform_work_group_size: 1
    .uses_dynamic_stack: false
    .vgpr_count:     51
    .vgpr_spill_count: 0
    .wavefront_size: 32
  - .args:
      - .actual_access:  read_only
        .address_space:  global
        .offset:         0
        .size:           8
        .value_kind:     global_buffer
      - .actual_access:  read_only
        .address_space:  global
        .offset:         8
        .size:           8
        .value_kind:     global_buffer
      - .actual_access:  read_only
        .address_space:  global
        .offset:         16
        .size:           8
        .value_kind:     global_buffer
      - .offset:         24
        .size:           4
        .value_kind:     by_value
      - .offset:         28
        .size:           4
        .value_kind:     by_value
      - .actual_access:  read_only
        .address_space:  global
        .offset:         32
        .size:           8
        .value_kind:     global_buffer
      - .actual_access:  read_only
        .address_space:  global
        .offset:         40
        .size:           8
        .value_kind:     global_buffer
      - .actual_access:  read_only
        .address_space:  global
        .offset:         48
        .size:           8
        .value_kind:     global_buffer
      - .offset:         56
        .size:           4
        .value_kind:     by_value
      - .actual_access:  read_only
        .address_space:  global
        .offset:         64
        .size:           8
        .value_kind:     global_buffer
      - .offset:         72
        .size:           4
        .value_kind:     by_value
      - .offset:         76
        .size:           4
        .value_kind:     by_value
      - .offset:         80
        .size:           4
        .value_kind:     by_value
      - .actual_access:  read_only
        .address_space:  global
        .offset:         88
        .size:           8
        .value_kind:     global_buffer
      - .actual_access:  read_only
        .address_space:  global
        .offset:         96
        .size:           8
        .value_kind:     global_buffer
      - .actual_access:  read_only
        .address_space:  global
        .offset:         104
        .size:           8
        .value_kind:     global_buffer
      - .actual_access:  read_only
        .address_space:  global
        .offset:         112
        .size:           8
        .value_kind:     global_buffer
      - .offset:         120
        .size:           4
        .value_kind:     by_value
      - .address_space:  global
        .offset:         128
        .size:           8
        .value_kind:     global_buffer
      - .address_space:  global
        .offset:         136
        .size:           8
        .value_kind:     global_buffer
      - .offset:         144
        .size:           4
        .value_kind:     hidden_block_count_x
      - .offset:         148
        .size:           4
        .value_kind:     hidden_block_count_y
      - .offset:         152
        .size:           4
        .value_kind:     hidden_block_count_z
      - .offset:         156
        .size:           2
        .value_kind:     hidden_group_size_x
      - .offset:         158
        .size:           2
        .value_kind:     hidden_group_size_y
      - .offset:         160
        .size:           2
        .value_kind:     hidden_group_size_z
      - .offset:         162
        .size:           2
        .value_kind:     hidden_remainder_x
      - .offset:         164
        .size:           2
        .value_kind:     hidden_remainder_y
      - .offset:         166
        .size:           2
        .value_kind:     hidden_remainder_z
      - .offset:         184
        .size:           8
        .value_kind:     hidden_global_offset_x
      - .offset:         192
        .size:           8
        .value_kind:     hidden_global_offset_y
      - .offset:         200
        .size:           8
        .value_kind:     hidden_global_offset_z
      - .offset:         208
        .size:           2
        .value_kind:     hidden_grid_dims
      - .offset:         224
        .size:           8
        .value_kind:     hidden_hostcall_buffer
    .group_segment_fixed_size: 0
    .kernarg_segment_align: 8
    .kernarg_segment_size: 400
    .language:       OpenCL C
    .language_version:
      - 2
      - 0
    .max_flat_workgroup_size: 256
    .name:           _Z39paged_attention_ll4mi_QKV_mfma16_kernelI14__hip_bfloat16S0_LN4vllm18Fp8KVCacheDataTypeE0EhLi32ELi64ELi256ELb1ELi15EEvPKT_PKT0_S8_ifPKiSA_SA_iPKfiiiPfSD_PS3_PT2_iSC_SC_
    .private_segment_fixed_size: 64
    .sgpr_count:     36
    .sgpr_spill_count: 0
    .symbol:         _Z39paged_attention_ll4mi_QKV_mfma16_kernelI14__hip_bfloat16S0_LN4vllm18Fp8KVCacheDataTypeE0EhLi32ELi64ELi256ELb1ELi15EEvPKT_PKT0_S8_ifPKiSA_SA_iPKfiiiPfSD_PS3_PT2_iSC_SC_.kd
    .uniform_work_group_size: 1
    .uses_dynamic_stack: false
    .vgpr_count:     51
    .vgpr_spill_count: 0
    .wavefront_size: 32
  - .args:
      - .actual_access:  read_only
        .address_space:  global
        .offset:         0
        .size:           8
        .value_kind:     global_buffer
      - .actual_access:  read_only
        .address_space:  global
        .offset:         8
        .size:           8
        .value_kind:     global_buffer
      - .actual_access:  read_only
        .address_space:  global
        .offset:         16
        .size:           8
        .value_kind:     global_buffer
      - .offset:         24
        .size:           4
        .value_kind:     by_value
      - .offset:         28
        .size:           4
        .value_kind:     by_value
      - .actual_access:  read_only
        .address_space:  global
        .offset:         32
        .size:           8
        .value_kind:     global_buffer
      - .actual_access:  read_only
        .address_space:  global
        .offset:         40
        .size:           8
        .value_kind:     global_buffer
      - .actual_access:  read_only
        .address_space:  global
        .offset:         48
        .size:           8
        .value_kind:     global_buffer
      - .offset:         56
        .size:           4
        .value_kind:     by_value
      - .actual_access:  read_only
        .address_space:  global
        .offset:         64
        .size:           8
        .value_kind:     global_buffer
      - .offset:         72
        .size:           4
        .value_kind:     by_value
      - .offset:         76
        .size:           4
        .value_kind:     by_value
      - .offset:         80
        .size:           4
        .value_kind:     by_value
      - .actual_access:  read_only
        .address_space:  global
        .offset:         88
        .size:           8
        .value_kind:     global_buffer
      - .actual_access:  read_only
        .address_space:  global
        .offset:         96
        .size:           8
        .value_kind:     global_buffer
      - .actual_access:  read_only
        .address_space:  global
        .offset:         104
        .size:           8
        .value_kind:     global_buffer
      - .actual_access:  read_only
        .address_space:  global
        .offset:         112
        .size:           8
        .value_kind:     global_buffer
      - .offset:         120
        .size:           4
        .value_kind:     by_value
      - .address_space:  global
        .offset:         128
        .size:           8
        .value_kind:     global_buffer
      - .address_space:  global
        .offset:         136
        .size:           8
        .value_kind:     global_buffer
      - .offset:         144
        .size:           4
        .value_kind:     hidden_block_count_x
      - .offset:         148
        .size:           4
        .value_kind:     hidden_block_count_y
      - .offset:         152
        .size:           4
        .value_kind:     hidden_block_count_z
      - .offset:         156
        .size:           2
        .value_kind:     hidden_group_size_x
      - .offset:         158
        .size:           2
        .value_kind:     hidden_group_size_y
      - .offset:         160
        .size:           2
        .value_kind:     hidden_group_size_z
      - .offset:         162
        .size:           2
        .value_kind:     hidden_remainder_x
      - .offset:         164
        .size:           2
        .value_kind:     hidden_remainder_y
      - .offset:         166
        .size:           2
        .value_kind:     hidden_remainder_z
      - .offset:         184
        .size:           8
        .value_kind:     hidden_global_offset_x
      - .offset:         192
        .size:           8
        .value_kind:     hidden_global_offset_y
      - .offset:         200
        .size:           8
        .value_kind:     hidden_global_offset_z
      - .offset:         208
        .size:           2
        .value_kind:     hidden_grid_dims
      - .offset:         224
        .size:           8
        .value_kind:     hidden_hostcall_buffer
    .group_segment_fixed_size: 0
    .kernarg_segment_align: 8
    .kernarg_segment_size: 400
    .language:       OpenCL C
    .language_version:
      - 2
      - 0
    .max_flat_workgroup_size: 256
    .name:           _Z39paged_attention_ll4mi_QKV_mfma16_kernelI14__hip_bfloat16S0_LN4vllm18Fp8KVCacheDataTypeE0EhLi32ELi64ELi256ELb1ELi16EEvPKT_PKT0_S8_ifPKiSA_SA_iPKfiiiPfSD_PS3_PT2_iSC_SC_
    .private_segment_fixed_size: 64
    .sgpr_count:     36
    .sgpr_spill_count: 0
    .symbol:         _Z39paged_attention_ll4mi_QKV_mfma16_kernelI14__hip_bfloat16S0_LN4vllm18Fp8KVCacheDataTypeE0EhLi32ELi64ELi256ELb1ELi16EEvPKT_PKT0_S8_ifPKiSA_SA_iPKfiiiPfSD_PS3_PT2_iSC_SC_.kd
    .uniform_work_group_size: 1
    .uses_dynamic_stack: false
    .vgpr_count:     51
    .vgpr_spill_count: 0
    .wavefront_size: 32
  - .args:
      - .actual_access:  read_only
        .address_space:  global
        .offset:         0
        .size:           8
        .value_kind:     global_buffer
      - .actual_access:  read_only
        .address_space:  global
        .offset:         8
        .size:           8
        .value_kind:     global_buffer
      - .actual_access:  read_only
        .address_space:  global
        .offset:         16
        .size:           8
        .value_kind:     global_buffer
      - .offset:         24
        .size:           4
        .value_kind:     by_value
      - .offset:         28
        .size:           4
        .value_kind:     by_value
      - .actual_access:  read_only
        .address_space:  global
        .offset:         32
        .size:           8
        .value_kind:     global_buffer
      - .actual_access:  read_only
        .address_space:  global
        .offset:         40
        .size:           8
        .value_kind:     global_buffer
      - .actual_access:  read_only
        .address_space:  global
        .offset:         48
        .size:           8
        .value_kind:     global_buffer
      - .offset:         56
        .size:           4
        .value_kind:     by_value
      - .actual_access:  read_only
        .address_space:  global
        .offset:         64
        .size:           8
        .value_kind:     global_buffer
      - .offset:         72
        .size:           4
        .value_kind:     by_value
      - .offset:         76
        .size:           4
        .value_kind:     by_value
      - .offset:         80
        .size:           4
        .value_kind:     by_value
      - .actual_access:  read_only
        .address_space:  global
        .offset:         88
        .size:           8
        .value_kind:     global_buffer
      - .actual_access:  read_only
        .address_space:  global
        .offset:         96
        .size:           8
        .value_kind:     global_buffer
      - .actual_access:  read_only
        .address_space:  global
        .offset:         104
        .size:           8
        .value_kind:     global_buffer
      - .actual_access:  read_only
        .address_space:  global
        .offset:         112
        .size:           8
        .value_kind:     global_buffer
      - .offset:         120
        .size:           4
        .value_kind:     by_value
      - .address_space:  global
        .offset:         128
        .size:           8
        .value_kind:     global_buffer
      - .address_space:  global
        .offset:         136
        .size:           8
        .value_kind:     global_buffer
      - .offset:         144
        .size:           4
        .value_kind:     hidden_block_count_x
      - .offset:         148
        .size:           4
        .value_kind:     hidden_block_count_y
      - .offset:         152
        .size:           4
        .value_kind:     hidden_block_count_z
      - .offset:         156
        .size:           2
        .value_kind:     hidden_group_size_x
      - .offset:         158
        .size:           2
        .value_kind:     hidden_group_size_y
      - .offset:         160
        .size:           2
        .value_kind:     hidden_group_size_z
      - .offset:         162
        .size:           2
        .value_kind:     hidden_remainder_x
      - .offset:         164
        .size:           2
        .value_kind:     hidden_remainder_y
      - .offset:         166
        .size:           2
        .value_kind:     hidden_remainder_z
      - .offset:         184
        .size:           8
        .value_kind:     hidden_global_offset_x
      - .offset:         192
        .size:           8
        .value_kind:     hidden_global_offset_y
      - .offset:         200
        .size:           8
        .value_kind:     hidden_global_offset_z
      - .offset:         208
        .size:           2
        .value_kind:     hidden_grid_dims
      - .offset:         224
        .size:           8
        .value_kind:     hidden_hostcall_buffer
    .group_segment_fixed_size: 0
    .kernarg_segment_align: 8
    .kernarg_segment_size: 400
    .language:       OpenCL C
    .language_version:
      - 2
      - 0
    .max_flat_workgroup_size: 256
    .name:           _Z39paged_attention_ll4mi_QKV_mfma16_kernelI14__hip_bfloat16S0_LN4vllm18Fp8KVCacheDataTypeE0EhLi32ELi64ELi256ELb1ELi1EEvPKT_PKT0_S8_ifPKiSA_SA_iPKfiiiPfSD_PS3_PT2_iSC_SC_
    .private_segment_fixed_size: 64
    .sgpr_count:     36
    .sgpr_spill_count: 0
    .symbol:         _Z39paged_attention_ll4mi_QKV_mfma16_kernelI14__hip_bfloat16S0_LN4vllm18Fp8KVCacheDataTypeE0EhLi32ELi64ELi256ELb1ELi1EEvPKT_PKT0_S8_ifPKiSA_SA_iPKfiiiPfSD_PS3_PT2_iSC_SC_.kd
    .uniform_work_group_size: 1
    .uses_dynamic_stack: false
    .vgpr_count:     51
    .vgpr_spill_count: 0
    .wavefront_size: 32
  - .args:
      - .actual_access:  read_only
        .address_space:  global
        .offset:         0
        .size:           8
        .value_kind:     global_buffer
      - .actual_access:  read_only
        .address_space:  global
        .offset:         8
        .size:           8
        .value_kind:     global_buffer
      - .actual_access:  read_only
        .address_space:  global
        .offset:         16
        .size:           8
        .value_kind:     global_buffer
      - .offset:         24
        .size:           4
        .value_kind:     by_value
      - .offset:         28
        .size:           4
        .value_kind:     by_value
      - .actual_access:  read_only
        .address_space:  global
        .offset:         32
        .size:           8
        .value_kind:     global_buffer
      - .actual_access:  read_only
        .address_space:  global
        .offset:         40
        .size:           8
        .value_kind:     global_buffer
      - .actual_access:  read_only
        .address_space:  global
        .offset:         48
        .size:           8
        .value_kind:     global_buffer
      - .offset:         56
        .size:           4
        .value_kind:     by_value
      - .actual_access:  read_only
        .address_space:  global
        .offset:         64
        .size:           8
        .value_kind:     global_buffer
      - .offset:         72
        .size:           4
        .value_kind:     by_value
      - .offset:         76
        .size:           4
        .value_kind:     by_value
      - .offset:         80
        .size:           4
        .value_kind:     by_value
      - .actual_access:  read_only
        .address_space:  global
        .offset:         88
        .size:           8
        .value_kind:     global_buffer
      - .actual_access:  read_only
        .address_space:  global
        .offset:         96
        .size:           8
        .value_kind:     global_buffer
      - .actual_access:  read_only
        .address_space:  global
        .offset:         104
        .size:           8
        .value_kind:     global_buffer
      - .actual_access:  read_only
        .address_space:  global
        .offset:         112
        .size:           8
        .value_kind:     global_buffer
      - .offset:         120
        .size:           4
        .value_kind:     by_value
      - .address_space:  global
        .offset:         128
        .size:           8
        .value_kind:     global_buffer
      - .address_space:  global
        .offset:         136
        .size:           8
        .value_kind:     global_buffer
      - .offset:         144
        .size:           4
        .value_kind:     hidden_block_count_x
      - .offset:         148
        .size:           4
        .value_kind:     hidden_block_count_y
      - .offset:         152
        .size:           4
        .value_kind:     hidden_block_count_z
      - .offset:         156
        .size:           2
        .value_kind:     hidden_group_size_x
      - .offset:         158
        .size:           2
        .value_kind:     hidden_group_size_y
      - .offset:         160
        .size:           2
        .value_kind:     hidden_group_size_z
      - .offset:         162
        .size:           2
        .value_kind:     hidden_remainder_x
      - .offset:         164
        .size:           2
        .value_kind:     hidden_remainder_y
      - .offset:         166
        .size:           2
        .value_kind:     hidden_remainder_z
      - .offset:         184
        .size:           8
        .value_kind:     hidden_global_offset_x
      - .offset:         192
        .size:           8
        .value_kind:     hidden_global_offset_y
      - .offset:         200
        .size:           8
        .value_kind:     hidden_global_offset_z
      - .offset:         208
        .size:           2
        .value_kind:     hidden_grid_dims
      - .offset:         224
        .size:           8
        .value_kind:     hidden_hostcall_buffer
    .group_segment_fixed_size: 0
    .kernarg_segment_align: 8
    .kernarg_segment_size: 400
    .language:       OpenCL C
    .language_version:
      - 2
      - 0
    .max_flat_workgroup_size: 256
    .name:           _Z39paged_attention_ll4mi_QKV_mfma16_kernelI14__hip_bfloat16S0_LN4vllm18Fp8KVCacheDataTypeE0EhLi32ELi64ELi256ELb1ELi2EEvPKT_PKT0_S8_ifPKiSA_SA_iPKfiiiPfSD_PS3_PT2_iSC_SC_
    .private_segment_fixed_size: 64
    .sgpr_count:     36
    .sgpr_spill_count: 0
    .symbol:         _Z39paged_attention_ll4mi_QKV_mfma16_kernelI14__hip_bfloat16S0_LN4vllm18Fp8KVCacheDataTypeE0EhLi32ELi64ELi256ELb1ELi2EEvPKT_PKT0_S8_ifPKiSA_SA_iPKfiiiPfSD_PS3_PT2_iSC_SC_.kd
    .uniform_work_group_size: 1
    .uses_dynamic_stack: false
    .vgpr_count:     51
    .vgpr_spill_count: 0
    .wavefront_size: 32
  - .args:
      - .actual_access:  read_only
        .address_space:  global
        .offset:         0
        .size:           8
        .value_kind:     global_buffer
      - .actual_access:  read_only
        .address_space:  global
        .offset:         8
        .size:           8
        .value_kind:     global_buffer
      - .actual_access:  read_only
        .address_space:  global
        .offset:         16
        .size:           8
        .value_kind:     global_buffer
      - .offset:         24
        .size:           4
        .value_kind:     by_value
      - .offset:         28
        .size:           4
        .value_kind:     by_value
      - .actual_access:  read_only
        .address_space:  global
        .offset:         32
        .size:           8
        .value_kind:     global_buffer
      - .actual_access:  read_only
        .address_space:  global
        .offset:         40
        .size:           8
        .value_kind:     global_buffer
      - .actual_access:  read_only
        .address_space:  global
        .offset:         48
        .size:           8
        .value_kind:     global_buffer
      - .offset:         56
        .size:           4
        .value_kind:     by_value
      - .actual_access:  read_only
        .address_space:  global
        .offset:         64
        .size:           8
        .value_kind:     global_buffer
      - .offset:         72
        .size:           4
        .value_kind:     by_value
      - .offset:         76
        .size:           4
        .value_kind:     by_value
      - .offset:         80
        .size:           4
        .value_kind:     by_value
      - .actual_access:  read_only
        .address_space:  global
        .offset:         88
        .size:           8
        .value_kind:     global_buffer
      - .actual_access:  read_only
        .address_space:  global
        .offset:         96
        .size:           8
        .value_kind:     global_buffer
      - .actual_access:  read_only
        .address_space:  global
        .offset:         104
        .size:           8
        .value_kind:     global_buffer
      - .actual_access:  read_only
        .address_space:  global
        .offset:         112
        .size:           8
        .value_kind:     global_buffer
      - .offset:         120
        .size:           4
        .value_kind:     by_value
      - .address_space:  global
        .offset:         128
        .size:           8
        .value_kind:     global_buffer
      - .address_space:  global
        .offset:         136
        .size:           8
        .value_kind:     global_buffer
      - .offset:         144
        .size:           4
        .value_kind:     hidden_block_count_x
      - .offset:         148
        .size:           4
        .value_kind:     hidden_block_count_y
      - .offset:         152
        .size:           4
        .value_kind:     hidden_block_count_z
      - .offset:         156
        .size:           2
        .value_kind:     hidden_group_size_x
      - .offset:         158
        .size:           2
        .value_kind:     hidden_group_size_y
      - .offset:         160
        .size:           2
        .value_kind:     hidden_group_size_z
      - .offset:         162
        .size:           2
        .value_kind:     hidden_remainder_x
      - .offset:         164
        .size:           2
        .value_kind:     hidden_remainder_y
      - .offset:         166
        .size:           2
        .value_kind:     hidden_remainder_z
      - .offset:         184
        .size:           8
        .value_kind:     hidden_global_offset_x
      - .offset:         192
        .size:           8
        .value_kind:     hidden_global_offset_y
      - .offset:         200
        .size:           8
        .value_kind:     hidden_global_offset_z
      - .offset:         208
        .size:           2
        .value_kind:     hidden_grid_dims
      - .offset:         224
        .size:           8
        .value_kind:     hidden_hostcall_buffer
    .group_segment_fixed_size: 0
    .kernarg_segment_align: 8
    .kernarg_segment_size: 400
    .language:       OpenCL C
    .language_version:
      - 2
      - 0
    .max_flat_workgroup_size: 256
    .name:           _Z39paged_attention_ll4mi_QKV_mfma16_kernelI14__hip_bfloat16S0_LN4vllm18Fp8KVCacheDataTypeE0EhLi32ELi64ELi256ELb1ELi3EEvPKT_PKT0_S8_ifPKiSA_SA_iPKfiiiPfSD_PS3_PT2_iSC_SC_
    .private_segment_fixed_size: 64
    .sgpr_count:     36
    .sgpr_spill_count: 0
    .symbol:         _Z39paged_attention_ll4mi_QKV_mfma16_kernelI14__hip_bfloat16S0_LN4vllm18Fp8KVCacheDataTypeE0EhLi32ELi64ELi256ELb1ELi3EEvPKT_PKT0_S8_ifPKiSA_SA_iPKfiiiPfSD_PS3_PT2_iSC_SC_.kd
    .uniform_work_group_size: 1
    .uses_dynamic_stack: false
    .vgpr_count:     51
    .vgpr_spill_count: 0
    .wavefront_size: 32
  - .args:
      - .actual_access:  read_only
        .address_space:  global
        .offset:         0
        .size:           8
        .value_kind:     global_buffer
      - .actual_access:  read_only
        .address_space:  global
        .offset:         8
        .size:           8
        .value_kind:     global_buffer
      - .actual_access:  read_only
        .address_space:  global
        .offset:         16
        .size:           8
        .value_kind:     global_buffer
      - .offset:         24
        .size:           4
        .value_kind:     by_value
      - .offset:         28
        .size:           4
        .value_kind:     by_value
      - .actual_access:  read_only
        .address_space:  global
        .offset:         32
        .size:           8
        .value_kind:     global_buffer
      - .actual_access:  read_only
        .address_space:  global
        .offset:         40
        .size:           8
        .value_kind:     global_buffer
      - .actual_access:  read_only
        .address_space:  global
        .offset:         48
        .size:           8
        .value_kind:     global_buffer
      - .offset:         56
        .size:           4
        .value_kind:     by_value
      - .actual_access:  read_only
        .address_space:  global
        .offset:         64
        .size:           8
        .value_kind:     global_buffer
      - .offset:         72
        .size:           4
        .value_kind:     by_value
      - .offset:         76
        .size:           4
        .value_kind:     by_value
      - .offset:         80
        .size:           4
        .value_kind:     by_value
      - .actual_access:  read_only
        .address_space:  global
        .offset:         88
        .size:           8
        .value_kind:     global_buffer
      - .actual_access:  read_only
        .address_space:  global
        .offset:         96
        .size:           8
        .value_kind:     global_buffer
      - .actual_access:  read_only
        .address_space:  global
        .offset:         104
        .size:           8
        .value_kind:     global_buffer
      - .actual_access:  read_only
        .address_space:  global
        .offset:         112
        .size:           8
        .value_kind:     global_buffer
      - .offset:         120
        .size:           4
        .value_kind:     by_value
      - .address_space:  global
        .offset:         128
        .size:           8
        .value_kind:     global_buffer
      - .address_space:  global
        .offset:         136
        .size:           8
        .value_kind:     global_buffer
      - .offset:         144
        .size:           4
        .value_kind:     hidden_block_count_x
      - .offset:         148
        .size:           4
        .value_kind:     hidden_block_count_y
      - .offset:         152
        .size:           4
        .value_kind:     hidden_block_count_z
      - .offset:         156
        .size:           2
        .value_kind:     hidden_group_size_x
      - .offset:         158
        .size:           2
        .value_kind:     hidden_group_size_y
      - .offset:         160
        .size:           2
        .value_kind:     hidden_group_size_z
      - .offset:         162
        .size:           2
        .value_kind:     hidden_remainder_x
      - .offset:         164
        .size:           2
        .value_kind:     hidden_remainder_y
      - .offset:         166
        .size:           2
        .value_kind:     hidden_remainder_z
      - .offset:         184
        .size:           8
        .value_kind:     hidden_global_offset_x
      - .offset:         192
        .size:           8
        .value_kind:     hidden_global_offset_y
      - .offset:         200
        .size:           8
        .value_kind:     hidden_global_offset_z
      - .offset:         208
        .size:           2
        .value_kind:     hidden_grid_dims
      - .offset:         224
        .size:           8
        .value_kind:     hidden_hostcall_buffer
    .group_segment_fixed_size: 0
    .kernarg_segment_align: 8
    .kernarg_segment_size: 400
    .language:       OpenCL C
    .language_version:
      - 2
      - 0
    .max_flat_workgroup_size: 256
    .name:           _Z39paged_attention_ll4mi_QKV_mfma16_kernelI14__hip_bfloat16S0_LN4vllm18Fp8KVCacheDataTypeE0EhLi32ELi64ELi256ELb1ELi4EEvPKT_PKT0_S8_ifPKiSA_SA_iPKfiiiPfSD_PS3_PT2_iSC_SC_
    .private_segment_fixed_size: 64
    .sgpr_count:     36
    .sgpr_spill_count: 0
    .symbol:         _Z39paged_attention_ll4mi_QKV_mfma16_kernelI14__hip_bfloat16S0_LN4vllm18Fp8KVCacheDataTypeE0EhLi32ELi64ELi256ELb1ELi4EEvPKT_PKT0_S8_ifPKiSA_SA_iPKfiiiPfSD_PS3_PT2_iSC_SC_.kd
    .uniform_work_group_size: 1
    .uses_dynamic_stack: false
    .vgpr_count:     51
    .vgpr_spill_count: 0
    .wavefront_size: 32
  - .args:
      - .actual_access:  read_only
        .address_space:  global
        .offset:         0
        .size:           8
        .value_kind:     global_buffer
      - .actual_access:  read_only
        .address_space:  global
        .offset:         8
        .size:           8
        .value_kind:     global_buffer
      - .actual_access:  read_only
        .address_space:  global
        .offset:         16
        .size:           8
        .value_kind:     global_buffer
      - .offset:         24
        .size:           4
        .value_kind:     by_value
      - .offset:         28
        .size:           4
        .value_kind:     by_value
      - .actual_access:  read_only
        .address_space:  global
        .offset:         32
        .size:           8
        .value_kind:     global_buffer
      - .actual_access:  read_only
        .address_space:  global
        .offset:         40
        .size:           8
        .value_kind:     global_buffer
      - .actual_access:  read_only
        .address_space:  global
        .offset:         48
        .size:           8
        .value_kind:     global_buffer
      - .offset:         56
        .size:           4
        .value_kind:     by_value
      - .actual_access:  read_only
        .address_space:  global
        .offset:         64
        .size:           8
        .value_kind:     global_buffer
      - .offset:         72
        .size:           4
        .value_kind:     by_value
      - .offset:         76
        .size:           4
        .value_kind:     by_value
      - .offset:         80
        .size:           4
        .value_kind:     by_value
      - .actual_access:  read_only
        .address_space:  global
        .offset:         88
        .size:           8
        .value_kind:     global_buffer
      - .actual_access:  read_only
        .address_space:  global
        .offset:         96
        .size:           8
        .value_kind:     global_buffer
      - .actual_access:  read_only
        .address_space:  global
        .offset:         104
        .size:           8
        .value_kind:     global_buffer
      - .actual_access:  read_only
        .address_space:  global
        .offset:         112
        .size:           8
        .value_kind:     global_buffer
      - .offset:         120
        .size:           4
        .value_kind:     by_value
      - .address_space:  global
        .offset:         128
        .size:           8
        .value_kind:     global_buffer
      - .address_space:  global
        .offset:         136
        .size:           8
        .value_kind:     global_buffer
      - .offset:         144
        .size:           4
        .value_kind:     hidden_block_count_x
      - .offset:         148
        .size:           4
        .value_kind:     hidden_block_count_y
      - .offset:         152
        .size:           4
        .value_kind:     hidden_block_count_z
      - .offset:         156
        .size:           2
        .value_kind:     hidden_group_size_x
      - .offset:         158
        .size:           2
        .value_kind:     hidden_group_size_y
      - .offset:         160
        .size:           2
        .value_kind:     hidden_group_size_z
      - .offset:         162
        .size:           2
        .value_kind:     hidden_remainder_x
      - .offset:         164
        .size:           2
        .value_kind:     hidden_remainder_y
      - .offset:         166
        .size:           2
        .value_kind:     hidden_remainder_z
      - .offset:         184
        .size:           8
        .value_kind:     hidden_global_offset_x
      - .offset:         192
        .size:           8
        .value_kind:     hidden_global_offset_y
      - .offset:         200
        .size:           8
        .value_kind:     hidden_global_offset_z
      - .offset:         208
        .size:           2
        .value_kind:     hidden_grid_dims
      - .offset:         224
        .size:           8
        .value_kind:     hidden_hostcall_buffer
    .group_segment_fixed_size: 0
    .kernarg_segment_align: 8
    .kernarg_segment_size: 400
    .language:       OpenCL C
    .language_version:
      - 2
      - 0
    .max_flat_workgroup_size: 256
    .name:           _Z38paged_attention_ll4mi_QKV_mfma4_kernelI14__hip_bfloat16S0_LN4vllm18Fp8KVCacheDataTypeE0EhLi32ELi64ELi256ELb0ELi1EEvPKT_PKT0_S8_ifPKiSA_SA_iPKfiiiPfSD_PS3_PT2_iSC_SC_
    .private_segment_fixed_size: 64
    .sgpr_count:     36
    .sgpr_spill_count: 0
    .symbol:         _Z38paged_attention_ll4mi_QKV_mfma4_kernelI14__hip_bfloat16S0_LN4vllm18Fp8KVCacheDataTypeE0EhLi32ELi64ELi256ELb0ELi1EEvPKT_PKT0_S8_ifPKiSA_SA_iPKfiiiPfSD_PS3_PT2_iSC_SC_.kd
    .uniform_work_group_size: 1
    .uses_dynamic_stack: false
    .vgpr_count:     51
    .vgpr_spill_count: 0
    .wavefront_size: 32
  - .args:
      - .actual_access:  read_only
        .address_space:  global
        .offset:         0
        .size:           8
        .value_kind:     global_buffer
      - .actual_access:  read_only
        .address_space:  global
        .offset:         8
        .size:           8
        .value_kind:     global_buffer
      - .actual_access:  read_only
        .address_space:  global
        .offset:         16
        .size:           8
        .value_kind:     global_buffer
      - .offset:         24
        .size:           4
        .value_kind:     by_value
      - .offset:         28
        .size:           4
        .value_kind:     by_value
      - .actual_access:  read_only
        .address_space:  global
        .offset:         32
        .size:           8
        .value_kind:     global_buffer
      - .actual_access:  read_only
        .address_space:  global
        .offset:         40
        .size:           8
        .value_kind:     global_buffer
      - .actual_access:  read_only
        .address_space:  global
        .offset:         48
        .size:           8
        .value_kind:     global_buffer
      - .offset:         56
        .size:           4
        .value_kind:     by_value
      - .actual_access:  read_only
        .address_space:  global
        .offset:         64
        .size:           8
        .value_kind:     global_buffer
      - .offset:         72
        .size:           4
        .value_kind:     by_value
      - .offset:         76
        .size:           4
        .value_kind:     by_value
      - .offset:         80
        .size:           4
        .value_kind:     by_value
      - .actual_access:  read_only
        .address_space:  global
        .offset:         88
        .size:           8
        .value_kind:     global_buffer
      - .actual_access:  read_only
        .address_space:  global
        .offset:         96
        .size:           8
        .value_kind:     global_buffer
      - .actual_access:  read_only
        .address_space:  global
        .offset:         104
        .size:           8
        .value_kind:     global_buffer
      - .actual_access:  read_only
        .address_space:  global
        .offset:         112
        .size:           8
        .value_kind:     global_buffer
      - .offset:         120
        .size:           4
        .value_kind:     by_value
      - .address_space:  global
        .offset:         128
        .size:           8
        .value_kind:     global_buffer
      - .address_space:  global
        .offset:         136
        .size:           8
        .value_kind:     global_buffer
      - .offset:         144
        .size:           4
        .value_kind:     hidden_block_count_x
      - .offset:         148
        .size:           4
        .value_kind:     hidden_block_count_y
      - .offset:         152
        .size:           4
        .value_kind:     hidden_block_count_z
      - .offset:         156
        .size:           2
        .value_kind:     hidden_group_size_x
      - .offset:         158
        .size:           2
        .value_kind:     hidden_group_size_y
      - .offset:         160
        .size:           2
        .value_kind:     hidden_group_size_z
      - .offset:         162
        .size:           2
        .value_kind:     hidden_remainder_x
      - .offset:         164
        .size:           2
        .value_kind:     hidden_remainder_y
      - .offset:         166
        .size:           2
        .value_kind:     hidden_remainder_z
      - .offset:         184
        .size:           8
        .value_kind:     hidden_global_offset_x
      - .offset:         192
        .size:           8
        .value_kind:     hidden_global_offset_y
      - .offset:         200
        .size:           8
        .value_kind:     hidden_global_offset_z
      - .offset:         208
        .size:           2
        .value_kind:     hidden_grid_dims
      - .offset:         224
        .size:           8
        .value_kind:     hidden_hostcall_buffer
    .group_segment_fixed_size: 0
    .kernarg_segment_align: 8
    .kernarg_segment_size: 400
    .language:       OpenCL C
    .language_version:
      - 2
      - 0
    .max_flat_workgroup_size: 256
    .name:           _Z38paged_attention_ll4mi_QKV_mfma4_kernelI14__hip_bfloat16S0_LN4vllm18Fp8KVCacheDataTypeE0EhLi32ELi64ELi256ELb0ELi2EEvPKT_PKT0_S8_ifPKiSA_SA_iPKfiiiPfSD_PS3_PT2_iSC_SC_
    .private_segment_fixed_size: 64
    .sgpr_count:     36
    .sgpr_spill_count: 0
    .symbol:         _Z38paged_attention_ll4mi_QKV_mfma4_kernelI14__hip_bfloat16S0_LN4vllm18Fp8KVCacheDataTypeE0EhLi32ELi64ELi256ELb0ELi2EEvPKT_PKT0_S8_ifPKiSA_SA_iPKfiiiPfSD_PS3_PT2_iSC_SC_.kd
    .uniform_work_group_size: 1
    .uses_dynamic_stack: false
    .vgpr_count:     51
    .vgpr_spill_count: 0
    .wavefront_size: 32
  - .args:
      - .actual_access:  read_only
        .address_space:  global
        .offset:         0
        .size:           8
        .value_kind:     global_buffer
      - .actual_access:  read_only
        .address_space:  global
        .offset:         8
        .size:           8
        .value_kind:     global_buffer
      - .actual_access:  read_only
        .address_space:  global
        .offset:         16
        .size:           8
        .value_kind:     global_buffer
      - .offset:         24
        .size:           4
        .value_kind:     by_value
      - .offset:         28
        .size:           4
        .value_kind:     by_value
      - .actual_access:  read_only
        .address_space:  global
        .offset:         32
        .size:           8
        .value_kind:     global_buffer
      - .actual_access:  read_only
        .address_space:  global
        .offset:         40
        .size:           8
        .value_kind:     global_buffer
      - .actual_access:  read_only
        .address_space:  global
        .offset:         48
        .size:           8
        .value_kind:     global_buffer
      - .offset:         56
        .size:           4
        .value_kind:     by_value
      - .actual_access:  read_only
        .address_space:  global
        .offset:         64
        .size:           8
        .value_kind:     global_buffer
      - .offset:         72
        .size:           4
        .value_kind:     by_value
      - .offset:         76
        .size:           4
        .value_kind:     by_value
      - .offset:         80
        .size:           4
        .value_kind:     by_value
      - .actual_access:  read_only
        .address_space:  global
        .offset:         88
        .size:           8
        .value_kind:     global_buffer
      - .actual_access:  read_only
        .address_space:  global
        .offset:         96
        .size:           8
        .value_kind:     global_buffer
      - .actual_access:  read_only
        .address_space:  global
        .offset:         104
        .size:           8
        .value_kind:     global_buffer
      - .actual_access:  read_only
        .address_space:  global
        .offset:         112
        .size:           8
        .value_kind:     global_buffer
      - .offset:         120
        .size:           4
        .value_kind:     by_value
      - .address_space:  global
        .offset:         128
        .size:           8
        .value_kind:     global_buffer
      - .address_space:  global
        .offset:         136
        .size:           8
        .value_kind:     global_buffer
      - .offset:         144
        .size:           4
        .value_kind:     hidden_block_count_x
      - .offset:         148
        .size:           4
        .value_kind:     hidden_block_count_y
      - .offset:         152
        .size:           4
        .value_kind:     hidden_block_count_z
      - .offset:         156
        .size:           2
        .value_kind:     hidden_group_size_x
      - .offset:         158
        .size:           2
        .value_kind:     hidden_group_size_y
      - .offset:         160
        .size:           2
        .value_kind:     hidden_group_size_z
      - .offset:         162
        .size:           2
        .value_kind:     hidden_remainder_x
      - .offset:         164
        .size:           2
        .value_kind:     hidden_remainder_y
      - .offset:         166
        .size:           2
        .value_kind:     hidden_remainder_z
      - .offset:         184
        .size:           8
        .value_kind:     hidden_global_offset_x
      - .offset:         192
        .size:           8
        .value_kind:     hidden_global_offset_y
      - .offset:         200
        .size:           8
        .value_kind:     hidden_global_offset_z
      - .offset:         208
        .size:           2
        .value_kind:     hidden_grid_dims
      - .offset:         224
        .size:           8
        .value_kind:     hidden_hostcall_buffer
    .group_segment_fixed_size: 0
    .kernarg_segment_align: 8
    .kernarg_segment_size: 400
    .language:       OpenCL C
    .language_version:
      - 2
      - 0
    .max_flat_workgroup_size: 256
    .name:           _Z38paged_attention_ll4mi_QKV_mfma4_kernelI14__hip_bfloat16S0_LN4vllm18Fp8KVCacheDataTypeE0EhLi32ELi64ELi256ELb0ELi3EEvPKT_PKT0_S8_ifPKiSA_SA_iPKfiiiPfSD_PS3_PT2_iSC_SC_
    .private_segment_fixed_size: 64
    .sgpr_count:     36
    .sgpr_spill_count: 0
    .symbol:         _Z38paged_attention_ll4mi_QKV_mfma4_kernelI14__hip_bfloat16S0_LN4vllm18Fp8KVCacheDataTypeE0EhLi32ELi64ELi256ELb0ELi3EEvPKT_PKT0_S8_ifPKiSA_SA_iPKfiiiPfSD_PS3_PT2_iSC_SC_.kd
    .uniform_work_group_size: 1
    .uses_dynamic_stack: false
    .vgpr_count:     51
    .vgpr_spill_count: 0
    .wavefront_size: 32
  - .args:
      - .actual_access:  read_only
        .address_space:  global
        .offset:         0
        .size:           8
        .value_kind:     global_buffer
      - .actual_access:  read_only
        .address_space:  global
        .offset:         8
        .size:           8
        .value_kind:     global_buffer
      - .actual_access:  read_only
        .address_space:  global
        .offset:         16
        .size:           8
        .value_kind:     global_buffer
      - .offset:         24
        .size:           4
        .value_kind:     by_value
      - .offset:         28
        .size:           4
        .value_kind:     by_value
      - .actual_access:  read_only
        .address_space:  global
        .offset:         32
        .size:           8
        .value_kind:     global_buffer
      - .actual_access:  read_only
        .address_space:  global
        .offset:         40
        .size:           8
        .value_kind:     global_buffer
      - .actual_access:  read_only
        .address_space:  global
        .offset:         48
        .size:           8
        .value_kind:     global_buffer
      - .offset:         56
        .size:           4
        .value_kind:     by_value
      - .actual_access:  read_only
        .address_space:  global
        .offset:         64
        .size:           8
        .value_kind:     global_buffer
      - .offset:         72
        .size:           4
        .value_kind:     by_value
      - .offset:         76
        .size:           4
        .value_kind:     by_value
      - .offset:         80
        .size:           4
        .value_kind:     by_value
      - .actual_access:  read_only
        .address_space:  global
        .offset:         88
        .size:           8
        .value_kind:     global_buffer
      - .actual_access:  read_only
        .address_space:  global
        .offset:         96
        .size:           8
        .value_kind:     global_buffer
      - .actual_access:  read_only
        .address_space:  global
        .offset:         104
        .size:           8
        .value_kind:     global_buffer
      - .actual_access:  read_only
        .address_space:  global
        .offset:         112
        .size:           8
        .value_kind:     global_buffer
      - .offset:         120
        .size:           4
        .value_kind:     by_value
      - .address_space:  global
        .offset:         128
        .size:           8
        .value_kind:     global_buffer
      - .address_space:  global
        .offset:         136
        .size:           8
        .value_kind:     global_buffer
      - .offset:         144
        .size:           4
        .value_kind:     hidden_block_count_x
      - .offset:         148
        .size:           4
        .value_kind:     hidden_block_count_y
      - .offset:         152
        .size:           4
        .value_kind:     hidden_block_count_z
      - .offset:         156
        .size:           2
        .value_kind:     hidden_group_size_x
      - .offset:         158
        .size:           2
        .value_kind:     hidden_group_size_y
      - .offset:         160
        .size:           2
        .value_kind:     hidden_group_size_z
      - .offset:         162
        .size:           2
        .value_kind:     hidden_remainder_x
      - .offset:         164
        .size:           2
        .value_kind:     hidden_remainder_y
      - .offset:         166
        .size:           2
        .value_kind:     hidden_remainder_z
      - .offset:         184
        .size:           8
        .value_kind:     hidden_global_offset_x
      - .offset:         192
        .size:           8
        .value_kind:     hidden_global_offset_y
      - .offset:         200
        .size:           8
        .value_kind:     hidden_global_offset_z
      - .offset:         208
        .size:           2
        .value_kind:     hidden_grid_dims
      - .offset:         224
        .size:           8
        .value_kind:     hidden_hostcall_buffer
    .group_segment_fixed_size: 0
    .kernarg_segment_align: 8
    .kernarg_segment_size: 400
    .language:       OpenCL C
    .language_version:
      - 2
      - 0
    .max_flat_workgroup_size: 256
    .name:           _Z38paged_attention_ll4mi_QKV_mfma4_kernelI14__hip_bfloat16S0_LN4vllm18Fp8KVCacheDataTypeE0EhLi32ELi64ELi256ELb0ELi4EEvPKT_PKT0_S8_ifPKiSA_SA_iPKfiiiPfSD_PS3_PT2_iSC_SC_
    .private_segment_fixed_size: 64
    .sgpr_count:     36
    .sgpr_spill_count: 0
    .symbol:         _Z38paged_attention_ll4mi_QKV_mfma4_kernelI14__hip_bfloat16S0_LN4vllm18Fp8KVCacheDataTypeE0EhLi32ELi64ELi256ELb0ELi4EEvPKT_PKT0_S8_ifPKiSA_SA_iPKfiiiPfSD_PS3_PT2_iSC_SC_.kd
    .uniform_work_group_size: 1
    .uses_dynamic_stack: false
    .vgpr_count:     51
    .vgpr_spill_count: 0
    .wavefront_size: 32
  - .args:
      - .actual_access:  read_only
        .address_space:  global
        .offset:         0
        .size:           8
        .value_kind:     global_buffer
      - .actual_access:  read_only
        .address_space:  global
        .offset:         8
        .size:           8
        .value_kind:     global_buffer
      - .actual_access:  read_only
        .address_space:  global
        .offset:         16
        .size:           8
        .value_kind:     global_buffer
      - .offset:         24
        .size:           4
        .value_kind:     by_value
      - .offset:         28
        .size:           4
        .value_kind:     by_value
      - .actual_access:  read_only
        .address_space:  global
        .offset:         32
        .size:           8
        .value_kind:     global_buffer
      - .actual_access:  read_only
        .address_space:  global
        .offset:         40
        .size:           8
        .value_kind:     global_buffer
      - .actual_access:  read_only
        .address_space:  global
        .offset:         48
        .size:           8
        .value_kind:     global_buffer
      - .offset:         56
        .size:           4
        .value_kind:     by_value
      - .actual_access:  read_only
        .address_space:  global
        .offset:         64
        .size:           8
        .value_kind:     global_buffer
      - .offset:         72
        .size:           4
        .value_kind:     by_value
      - .offset:         76
        .size:           4
        .value_kind:     by_value
      - .offset:         80
        .size:           4
        .value_kind:     by_value
      - .actual_access:  read_only
        .address_space:  global
        .offset:         88
        .size:           8
        .value_kind:     global_buffer
      - .actual_access:  read_only
        .address_space:  global
        .offset:         96
        .size:           8
        .value_kind:     global_buffer
      - .actual_access:  read_only
        .address_space:  global
        .offset:         104
        .size:           8
        .value_kind:     global_buffer
      - .actual_access:  read_only
        .address_space:  global
        .offset:         112
        .size:           8
        .value_kind:     global_buffer
      - .offset:         120
        .size:           4
        .value_kind:     by_value
      - .address_space:  global
        .offset:         128
        .size:           8
        .value_kind:     global_buffer
      - .address_space:  global
        .offset:         136
        .size:           8
        .value_kind:     global_buffer
      - .offset:         144
        .size:           4
        .value_kind:     hidden_block_count_x
      - .offset:         148
        .size:           4
        .value_kind:     hidden_block_count_y
      - .offset:         152
        .size:           4
        .value_kind:     hidden_block_count_z
      - .offset:         156
        .size:           2
        .value_kind:     hidden_group_size_x
      - .offset:         158
        .size:           2
        .value_kind:     hidden_group_size_y
      - .offset:         160
        .size:           2
        .value_kind:     hidden_group_size_z
      - .offset:         162
        .size:           2
        .value_kind:     hidden_remainder_x
      - .offset:         164
        .size:           2
        .value_kind:     hidden_remainder_y
      - .offset:         166
        .size:           2
        .value_kind:     hidden_remainder_z
      - .offset:         184
        .size:           8
        .value_kind:     hidden_global_offset_x
      - .offset:         192
        .size:           8
        .value_kind:     hidden_global_offset_y
      - .offset:         200
        .size:           8
        .value_kind:     hidden_global_offset_z
      - .offset:         208
        .size:           2
        .value_kind:     hidden_grid_dims
      - .offset:         224
        .size:           8
        .value_kind:     hidden_hostcall_buffer
    .group_segment_fixed_size: 0
    .kernarg_segment_align: 8
    .kernarg_segment_size: 400
    .language:       OpenCL C
    .language_version:
      - 2
      - 0
    .max_flat_workgroup_size: 256
    .name:           _Z39paged_attention_ll4mi_QKV_mfma16_kernelI14__hip_bfloat16S0_LN4vllm18Fp8KVCacheDataTypeE0EhLi32ELi64ELi256ELb0ELi5EEvPKT_PKT0_S8_ifPKiSA_SA_iPKfiiiPfSD_PS3_PT2_iSC_SC_
    .private_segment_fixed_size: 64
    .sgpr_count:     36
    .sgpr_spill_count: 0
    .symbol:         _Z39paged_attention_ll4mi_QKV_mfma16_kernelI14__hip_bfloat16S0_LN4vllm18Fp8KVCacheDataTypeE0EhLi32ELi64ELi256ELb0ELi5EEvPKT_PKT0_S8_ifPKiSA_SA_iPKfiiiPfSD_PS3_PT2_iSC_SC_.kd
    .uniform_work_group_size: 1
    .uses_dynamic_stack: false
    .vgpr_count:     51
    .vgpr_spill_count: 0
    .wavefront_size: 32
  - .args:
      - .actual_access:  read_only
        .address_space:  global
        .offset:         0
        .size:           8
        .value_kind:     global_buffer
      - .actual_access:  read_only
        .address_space:  global
        .offset:         8
        .size:           8
        .value_kind:     global_buffer
      - .actual_access:  read_only
        .address_space:  global
        .offset:         16
        .size:           8
        .value_kind:     global_buffer
      - .offset:         24
        .size:           4
        .value_kind:     by_value
      - .offset:         28
        .size:           4
        .value_kind:     by_value
      - .actual_access:  read_only
        .address_space:  global
        .offset:         32
        .size:           8
        .value_kind:     global_buffer
      - .actual_access:  read_only
        .address_space:  global
        .offset:         40
        .size:           8
        .value_kind:     global_buffer
      - .actual_access:  read_only
        .address_space:  global
        .offset:         48
        .size:           8
        .value_kind:     global_buffer
      - .offset:         56
        .size:           4
        .value_kind:     by_value
      - .actual_access:  read_only
        .address_space:  global
        .offset:         64
        .size:           8
        .value_kind:     global_buffer
      - .offset:         72
        .size:           4
        .value_kind:     by_value
      - .offset:         76
        .size:           4
        .value_kind:     by_value
      - .offset:         80
        .size:           4
        .value_kind:     by_value
      - .actual_access:  read_only
        .address_space:  global
        .offset:         88
        .size:           8
        .value_kind:     global_buffer
      - .actual_access:  read_only
        .address_space:  global
        .offset:         96
        .size:           8
        .value_kind:     global_buffer
      - .actual_access:  read_only
        .address_space:  global
        .offset:         104
        .size:           8
        .value_kind:     global_buffer
      - .actual_access:  read_only
        .address_space:  global
        .offset:         112
        .size:           8
        .value_kind:     global_buffer
      - .offset:         120
        .size:           4
        .value_kind:     by_value
      - .address_space:  global
        .offset:         128
        .size:           8
        .value_kind:     global_buffer
      - .address_space:  global
        .offset:         136
        .size:           8
        .value_kind:     global_buffer
      - .offset:         144
        .size:           4
        .value_kind:     hidden_block_count_x
      - .offset:         148
        .size:           4
        .value_kind:     hidden_block_count_y
      - .offset:         152
        .size:           4
        .value_kind:     hidden_block_count_z
      - .offset:         156
        .size:           2
        .value_kind:     hidden_group_size_x
      - .offset:         158
        .size:           2
        .value_kind:     hidden_group_size_y
      - .offset:         160
        .size:           2
        .value_kind:     hidden_group_size_z
      - .offset:         162
        .size:           2
        .value_kind:     hidden_remainder_x
      - .offset:         164
        .size:           2
        .value_kind:     hidden_remainder_y
      - .offset:         166
        .size:           2
        .value_kind:     hidden_remainder_z
      - .offset:         184
        .size:           8
        .value_kind:     hidden_global_offset_x
      - .offset:         192
        .size:           8
        .value_kind:     hidden_global_offset_y
      - .offset:         200
        .size:           8
        .value_kind:     hidden_global_offset_z
      - .offset:         208
        .size:           2
        .value_kind:     hidden_grid_dims
      - .offset:         224
        .size:           8
        .value_kind:     hidden_hostcall_buffer
    .group_segment_fixed_size: 0
    .kernarg_segment_align: 8
    .kernarg_segment_size: 400
    .language:       OpenCL C
    .language_version:
      - 2
      - 0
    .max_flat_workgroup_size: 256
    .name:           _Z39paged_attention_ll4mi_QKV_mfma16_kernelI14__hip_bfloat16S0_LN4vllm18Fp8KVCacheDataTypeE0EhLi32ELi64ELi256ELb0ELi6EEvPKT_PKT0_S8_ifPKiSA_SA_iPKfiiiPfSD_PS3_PT2_iSC_SC_
    .private_segment_fixed_size: 64
    .sgpr_count:     36
    .sgpr_spill_count: 0
    .symbol:         _Z39paged_attention_ll4mi_QKV_mfma16_kernelI14__hip_bfloat16S0_LN4vllm18Fp8KVCacheDataTypeE0EhLi32ELi64ELi256ELb0ELi6EEvPKT_PKT0_S8_ifPKiSA_SA_iPKfiiiPfSD_PS3_PT2_iSC_SC_.kd
    .uniform_work_group_size: 1
    .uses_dynamic_stack: false
    .vgpr_count:     51
    .vgpr_spill_count: 0
    .wavefront_size: 32
  - .args:
      - .actual_access:  read_only
        .address_space:  global
        .offset:         0
        .size:           8
        .value_kind:     global_buffer
      - .actual_access:  read_only
        .address_space:  global
        .offset:         8
        .size:           8
        .value_kind:     global_buffer
      - .actual_access:  read_only
        .address_space:  global
        .offset:         16
        .size:           8
        .value_kind:     global_buffer
      - .offset:         24
        .size:           4
        .value_kind:     by_value
      - .offset:         28
        .size:           4
        .value_kind:     by_value
      - .actual_access:  read_only
        .address_space:  global
        .offset:         32
        .size:           8
        .value_kind:     global_buffer
      - .actual_access:  read_only
        .address_space:  global
        .offset:         40
        .size:           8
        .value_kind:     global_buffer
      - .actual_access:  read_only
        .address_space:  global
        .offset:         48
        .size:           8
        .value_kind:     global_buffer
      - .offset:         56
        .size:           4
        .value_kind:     by_value
      - .actual_access:  read_only
        .address_space:  global
        .offset:         64
        .size:           8
        .value_kind:     global_buffer
      - .offset:         72
        .size:           4
        .value_kind:     by_value
      - .offset:         76
        .size:           4
        .value_kind:     by_value
      - .offset:         80
        .size:           4
        .value_kind:     by_value
      - .actual_access:  read_only
        .address_space:  global
        .offset:         88
        .size:           8
        .value_kind:     global_buffer
      - .actual_access:  read_only
        .address_space:  global
        .offset:         96
        .size:           8
        .value_kind:     global_buffer
      - .actual_access:  read_only
        .address_space:  global
        .offset:         104
        .size:           8
        .value_kind:     global_buffer
      - .actual_access:  read_only
        .address_space:  global
        .offset:         112
        .size:           8
        .value_kind:     global_buffer
      - .offset:         120
        .size:           4
        .value_kind:     by_value
      - .address_space:  global
        .offset:         128
        .size:           8
        .value_kind:     global_buffer
      - .address_space:  global
        .offset:         136
        .size:           8
        .value_kind:     global_buffer
      - .offset:         144
        .size:           4
        .value_kind:     hidden_block_count_x
      - .offset:         148
        .size:           4
        .value_kind:     hidden_block_count_y
      - .offset:         152
        .size:           4
        .value_kind:     hidden_block_count_z
      - .offset:         156
        .size:           2
        .value_kind:     hidden_group_size_x
      - .offset:         158
        .size:           2
        .value_kind:     hidden_group_size_y
      - .offset:         160
        .size:           2
        .value_kind:     hidden_group_size_z
      - .offset:         162
        .size:           2
        .value_kind:     hidden_remainder_x
      - .offset:         164
        .size:           2
        .value_kind:     hidden_remainder_y
      - .offset:         166
        .size:           2
        .value_kind:     hidden_remainder_z
      - .offset:         184
        .size:           8
        .value_kind:     hidden_global_offset_x
      - .offset:         192
        .size:           8
        .value_kind:     hidden_global_offset_y
      - .offset:         200
        .size:           8
        .value_kind:     hidden_global_offset_z
      - .offset:         208
        .size:           2
        .value_kind:     hidden_grid_dims
      - .offset:         224
        .size:           8
        .value_kind:     hidden_hostcall_buffer
    .group_segment_fixed_size: 0
    .kernarg_segment_align: 8
    .kernarg_segment_size: 400
    .language:       OpenCL C
    .language_version:
      - 2
      - 0
    .max_flat_workgroup_size: 256
    .name:           _Z39paged_attention_ll4mi_QKV_mfma16_kernelI14__hip_bfloat16S0_LN4vllm18Fp8KVCacheDataTypeE0EhLi32ELi64ELi256ELb0ELi7EEvPKT_PKT0_S8_ifPKiSA_SA_iPKfiiiPfSD_PS3_PT2_iSC_SC_
    .private_segment_fixed_size: 64
    .sgpr_count:     36
    .sgpr_spill_count: 0
    .symbol:         _Z39paged_attention_ll4mi_QKV_mfma16_kernelI14__hip_bfloat16S0_LN4vllm18Fp8KVCacheDataTypeE0EhLi32ELi64ELi256ELb0ELi7EEvPKT_PKT0_S8_ifPKiSA_SA_iPKfiiiPfSD_PS3_PT2_iSC_SC_.kd
    .uniform_work_group_size: 1
    .uses_dynamic_stack: false
    .vgpr_count:     51
    .vgpr_spill_count: 0
    .wavefront_size: 32
  - .args:
      - .actual_access:  read_only
        .address_space:  global
        .offset:         0
        .size:           8
        .value_kind:     global_buffer
      - .actual_access:  read_only
        .address_space:  global
        .offset:         8
        .size:           8
        .value_kind:     global_buffer
      - .actual_access:  read_only
        .address_space:  global
        .offset:         16
        .size:           8
        .value_kind:     global_buffer
      - .offset:         24
        .size:           4
        .value_kind:     by_value
      - .offset:         28
        .size:           4
        .value_kind:     by_value
      - .actual_access:  read_only
        .address_space:  global
        .offset:         32
        .size:           8
        .value_kind:     global_buffer
      - .actual_access:  read_only
        .address_space:  global
        .offset:         40
        .size:           8
        .value_kind:     global_buffer
      - .actual_access:  read_only
        .address_space:  global
        .offset:         48
        .size:           8
        .value_kind:     global_buffer
      - .offset:         56
        .size:           4
        .value_kind:     by_value
      - .actual_access:  read_only
        .address_space:  global
        .offset:         64
        .size:           8
        .value_kind:     global_buffer
      - .offset:         72
        .size:           4
        .value_kind:     by_value
      - .offset:         76
        .size:           4
        .value_kind:     by_value
      - .offset:         80
        .size:           4
        .value_kind:     by_value
      - .actual_access:  read_only
        .address_space:  global
        .offset:         88
        .size:           8
        .value_kind:     global_buffer
      - .actual_access:  read_only
        .address_space:  global
        .offset:         96
        .size:           8
        .value_kind:     global_buffer
      - .actual_access:  read_only
        .address_space:  global
        .offset:         104
        .size:           8
        .value_kind:     global_buffer
      - .actual_access:  read_only
        .address_space:  global
        .offset:         112
        .size:           8
        .value_kind:     global_buffer
      - .offset:         120
        .size:           4
        .value_kind:     by_value
      - .address_space:  global
        .offset:         128
        .size:           8
        .value_kind:     global_buffer
      - .address_space:  global
        .offset:         136
        .size:           8
        .value_kind:     global_buffer
      - .offset:         144
        .size:           4
        .value_kind:     hidden_block_count_x
      - .offset:         148
        .size:           4
        .value_kind:     hidden_block_count_y
      - .offset:         152
        .size:           4
        .value_kind:     hidden_block_count_z
      - .offset:         156
        .size:           2
        .value_kind:     hidden_group_size_x
      - .offset:         158
        .size:           2
        .value_kind:     hidden_group_size_y
      - .offset:         160
        .size:           2
        .value_kind:     hidden_group_size_z
      - .offset:         162
        .size:           2
        .value_kind:     hidden_remainder_x
      - .offset:         164
        .size:           2
        .value_kind:     hidden_remainder_y
      - .offset:         166
        .size:           2
        .value_kind:     hidden_remainder_z
      - .offset:         184
        .size:           8
        .value_kind:     hidden_global_offset_x
      - .offset:         192
        .size:           8
        .value_kind:     hidden_global_offset_y
      - .offset:         200
        .size:           8
        .value_kind:     hidden_global_offset_z
      - .offset:         208
        .size:           2
        .value_kind:     hidden_grid_dims
      - .offset:         224
        .size:           8
        .value_kind:     hidden_hostcall_buffer
    .group_segment_fixed_size: 0
    .kernarg_segment_align: 8
    .kernarg_segment_size: 400
    .language:       OpenCL C
    .language_version:
      - 2
      - 0
    .max_flat_workgroup_size: 256
    .name:           _Z39paged_attention_ll4mi_QKV_mfma16_kernelI14__hip_bfloat16S0_LN4vllm18Fp8KVCacheDataTypeE0EhLi32ELi64ELi256ELb0ELi8EEvPKT_PKT0_S8_ifPKiSA_SA_iPKfiiiPfSD_PS3_PT2_iSC_SC_
    .private_segment_fixed_size: 64
    .sgpr_count:     36
    .sgpr_spill_count: 0
    .symbol:         _Z39paged_attention_ll4mi_QKV_mfma16_kernelI14__hip_bfloat16S0_LN4vllm18Fp8KVCacheDataTypeE0EhLi32ELi64ELi256ELb0ELi8EEvPKT_PKT0_S8_ifPKiSA_SA_iPKfiiiPfSD_PS3_PT2_iSC_SC_.kd
    .uniform_work_group_size: 1
    .uses_dynamic_stack: false
    .vgpr_count:     51
    .vgpr_spill_count: 0
    .wavefront_size: 32
  - .args:
      - .actual_access:  read_only
        .address_space:  global
        .offset:         0
        .size:           8
        .value_kind:     global_buffer
      - .actual_access:  read_only
        .address_space:  global
        .offset:         8
        .size:           8
        .value_kind:     global_buffer
      - .actual_access:  read_only
        .address_space:  global
        .offset:         16
        .size:           8
        .value_kind:     global_buffer
      - .offset:         24
        .size:           4
        .value_kind:     by_value
      - .offset:         28
        .size:           4
        .value_kind:     by_value
      - .actual_access:  read_only
        .address_space:  global
        .offset:         32
        .size:           8
        .value_kind:     global_buffer
      - .actual_access:  read_only
        .address_space:  global
        .offset:         40
        .size:           8
        .value_kind:     global_buffer
      - .actual_access:  read_only
        .address_space:  global
        .offset:         48
        .size:           8
        .value_kind:     global_buffer
      - .offset:         56
        .size:           4
        .value_kind:     by_value
      - .actual_access:  read_only
        .address_space:  global
        .offset:         64
        .size:           8
        .value_kind:     global_buffer
      - .offset:         72
        .size:           4
        .value_kind:     by_value
      - .offset:         76
        .size:           4
        .value_kind:     by_value
      - .offset:         80
        .size:           4
        .value_kind:     by_value
      - .actual_access:  read_only
        .address_space:  global
        .offset:         88
        .size:           8
        .value_kind:     global_buffer
      - .actual_access:  read_only
        .address_space:  global
        .offset:         96
        .size:           8
        .value_kind:     global_buffer
      - .actual_access:  read_only
        .address_space:  global
        .offset:         104
        .size:           8
        .value_kind:     global_buffer
      - .actual_access:  read_only
        .address_space:  global
        .offset:         112
        .size:           8
        .value_kind:     global_buffer
      - .offset:         120
        .size:           4
        .value_kind:     by_value
      - .address_space:  global
        .offset:         128
        .size:           8
        .value_kind:     global_buffer
      - .address_space:  global
        .offset:         136
        .size:           8
        .value_kind:     global_buffer
      - .offset:         144
        .size:           4
        .value_kind:     hidden_block_count_x
      - .offset:         148
        .size:           4
        .value_kind:     hidden_block_count_y
      - .offset:         152
        .size:           4
        .value_kind:     hidden_block_count_z
      - .offset:         156
        .size:           2
        .value_kind:     hidden_group_size_x
      - .offset:         158
        .size:           2
        .value_kind:     hidden_group_size_y
      - .offset:         160
        .size:           2
        .value_kind:     hidden_group_size_z
      - .offset:         162
        .size:           2
        .value_kind:     hidden_remainder_x
      - .offset:         164
        .size:           2
        .value_kind:     hidden_remainder_y
      - .offset:         166
        .size:           2
        .value_kind:     hidden_remainder_z
      - .offset:         184
        .size:           8
        .value_kind:     hidden_global_offset_x
      - .offset:         192
        .size:           8
        .value_kind:     hidden_global_offset_y
      - .offset:         200
        .size:           8
        .value_kind:     hidden_global_offset_z
      - .offset:         208
        .size:           2
        .value_kind:     hidden_grid_dims
      - .offset:         224
        .size:           8
        .value_kind:     hidden_hostcall_buffer
    .group_segment_fixed_size: 0
    .kernarg_segment_align: 8
    .kernarg_segment_size: 400
    .language:       OpenCL C
    .language_version:
      - 2
      - 0
    .max_flat_workgroup_size: 256
    .name:           _Z39paged_attention_ll4mi_QKV_mfma16_kernelI14__hip_bfloat16S0_LN4vllm18Fp8KVCacheDataTypeE0EhLi32ELi64ELi256ELb0ELi9EEvPKT_PKT0_S8_ifPKiSA_SA_iPKfiiiPfSD_PS3_PT2_iSC_SC_
    .private_segment_fixed_size: 64
    .sgpr_count:     36
    .sgpr_spill_count: 0
    .symbol:         _Z39paged_attention_ll4mi_QKV_mfma16_kernelI14__hip_bfloat16S0_LN4vllm18Fp8KVCacheDataTypeE0EhLi32ELi64ELi256ELb0ELi9EEvPKT_PKT0_S8_ifPKiSA_SA_iPKfiiiPfSD_PS3_PT2_iSC_SC_.kd
    .uniform_work_group_size: 1
    .uses_dynamic_stack: false
    .vgpr_count:     51
    .vgpr_spill_count: 0
    .wavefront_size: 32
  - .args:
      - .actual_access:  read_only
        .address_space:  global
        .offset:         0
        .size:           8
        .value_kind:     global_buffer
      - .actual_access:  read_only
        .address_space:  global
        .offset:         8
        .size:           8
        .value_kind:     global_buffer
      - .actual_access:  read_only
        .address_space:  global
        .offset:         16
        .size:           8
        .value_kind:     global_buffer
      - .offset:         24
        .size:           4
        .value_kind:     by_value
      - .offset:         28
        .size:           4
        .value_kind:     by_value
      - .actual_access:  read_only
        .address_space:  global
        .offset:         32
        .size:           8
        .value_kind:     global_buffer
      - .actual_access:  read_only
        .address_space:  global
        .offset:         40
        .size:           8
        .value_kind:     global_buffer
      - .actual_access:  read_only
        .address_space:  global
        .offset:         48
        .size:           8
        .value_kind:     global_buffer
      - .offset:         56
        .size:           4
        .value_kind:     by_value
      - .actual_access:  read_only
        .address_space:  global
        .offset:         64
        .size:           8
        .value_kind:     global_buffer
      - .offset:         72
        .size:           4
        .value_kind:     by_value
      - .offset:         76
        .size:           4
        .value_kind:     by_value
      - .offset:         80
        .size:           4
        .value_kind:     by_value
      - .actual_access:  read_only
        .address_space:  global
        .offset:         88
        .size:           8
        .value_kind:     global_buffer
      - .actual_access:  read_only
        .address_space:  global
        .offset:         96
        .size:           8
        .value_kind:     global_buffer
      - .actual_access:  read_only
        .address_space:  global
        .offset:         104
        .size:           8
        .value_kind:     global_buffer
      - .actual_access:  read_only
        .address_space:  global
        .offset:         112
        .size:           8
        .value_kind:     global_buffer
      - .offset:         120
        .size:           4
        .value_kind:     by_value
      - .address_space:  global
        .offset:         128
        .size:           8
        .value_kind:     global_buffer
      - .address_space:  global
        .offset:         136
        .size:           8
        .value_kind:     global_buffer
      - .offset:         144
        .size:           4
        .value_kind:     hidden_block_count_x
      - .offset:         148
        .size:           4
        .value_kind:     hidden_block_count_y
      - .offset:         152
        .size:           4
        .value_kind:     hidden_block_count_z
      - .offset:         156
        .size:           2
        .value_kind:     hidden_group_size_x
      - .offset:         158
        .size:           2
        .value_kind:     hidden_group_size_y
      - .offset:         160
        .size:           2
        .value_kind:     hidden_group_size_z
      - .offset:         162
        .size:           2
        .value_kind:     hidden_remainder_x
      - .offset:         164
        .size:           2
        .value_kind:     hidden_remainder_y
      - .offset:         166
        .size:           2
        .value_kind:     hidden_remainder_z
      - .offset:         184
        .size:           8
        .value_kind:     hidden_global_offset_x
      - .offset:         192
        .size:           8
        .value_kind:     hidden_global_offset_y
      - .offset:         200
        .size:           8
        .value_kind:     hidden_global_offset_z
      - .offset:         208
        .size:           2
        .value_kind:     hidden_grid_dims
      - .offset:         224
        .size:           8
        .value_kind:     hidden_hostcall_buffer
    .group_segment_fixed_size: 0
    .kernarg_segment_align: 8
    .kernarg_segment_size: 400
    .language:       OpenCL C
    .language_version:
      - 2
      - 0
    .max_flat_workgroup_size: 256
    .name:           _Z39paged_attention_ll4mi_QKV_mfma16_kernelI14__hip_bfloat16S0_LN4vllm18Fp8KVCacheDataTypeE0EhLi32ELi64ELi256ELb0ELi10EEvPKT_PKT0_S8_ifPKiSA_SA_iPKfiiiPfSD_PS3_PT2_iSC_SC_
    .private_segment_fixed_size: 64
    .sgpr_count:     36
    .sgpr_spill_count: 0
    .symbol:         _Z39paged_attention_ll4mi_QKV_mfma16_kernelI14__hip_bfloat16S0_LN4vllm18Fp8KVCacheDataTypeE0EhLi32ELi64ELi256ELb0ELi10EEvPKT_PKT0_S8_ifPKiSA_SA_iPKfiiiPfSD_PS3_PT2_iSC_SC_.kd
    .uniform_work_group_size: 1
    .uses_dynamic_stack: false
    .vgpr_count:     51
    .vgpr_spill_count: 0
    .wavefront_size: 32
  - .args:
      - .actual_access:  read_only
        .address_space:  global
        .offset:         0
        .size:           8
        .value_kind:     global_buffer
      - .actual_access:  read_only
        .address_space:  global
        .offset:         8
        .size:           8
        .value_kind:     global_buffer
      - .actual_access:  read_only
        .address_space:  global
        .offset:         16
        .size:           8
        .value_kind:     global_buffer
      - .offset:         24
        .size:           4
        .value_kind:     by_value
      - .offset:         28
        .size:           4
        .value_kind:     by_value
      - .actual_access:  read_only
        .address_space:  global
        .offset:         32
        .size:           8
        .value_kind:     global_buffer
      - .actual_access:  read_only
        .address_space:  global
        .offset:         40
        .size:           8
        .value_kind:     global_buffer
      - .actual_access:  read_only
        .address_space:  global
        .offset:         48
        .size:           8
        .value_kind:     global_buffer
      - .offset:         56
        .size:           4
        .value_kind:     by_value
      - .actual_access:  read_only
        .address_space:  global
        .offset:         64
        .size:           8
        .value_kind:     global_buffer
      - .offset:         72
        .size:           4
        .value_kind:     by_value
      - .offset:         76
        .size:           4
        .value_kind:     by_value
      - .offset:         80
        .size:           4
        .value_kind:     by_value
      - .actual_access:  read_only
        .address_space:  global
        .offset:         88
        .size:           8
        .value_kind:     global_buffer
      - .actual_access:  read_only
        .address_space:  global
        .offset:         96
        .size:           8
        .value_kind:     global_buffer
      - .actual_access:  read_only
        .address_space:  global
        .offset:         104
        .size:           8
        .value_kind:     global_buffer
      - .actual_access:  read_only
        .address_space:  global
        .offset:         112
        .size:           8
        .value_kind:     global_buffer
      - .offset:         120
        .size:           4
        .value_kind:     by_value
      - .address_space:  global
        .offset:         128
        .size:           8
        .value_kind:     global_buffer
      - .address_space:  global
        .offset:         136
        .size:           8
        .value_kind:     global_buffer
      - .offset:         144
        .size:           4
        .value_kind:     hidden_block_count_x
      - .offset:         148
        .size:           4
        .value_kind:     hidden_block_count_y
      - .offset:         152
        .size:           4
        .value_kind:     hidden_block_count_z
      - .offset:         156
        .size:           2
        .value_kind:     hidden_group_size_x
      - .offset:         158
        .size:           2
        .value_kind:     hidden_group_size_y
      - .offset:         160
        .size:           2
        .value_kind:     hidden_group_size_z
      - .offset:         162
        .size:           2
        .value_kind:     hidden_remainder_x
      - .offset:         164
        .size:           2
        .value_kind:     hidden_remainder_y
      - .offset:         166
        .size:           2
        .value_kind:     hidden_remainder_z
      - .offset:         184
        .size:           8
        .value_kind:     hidden_global_offset_x
      - .offset:         192
        .size:           8
        .value_kind:     hidden_global_offset_y
      - .offset:         200
        .size:           8
        .value_kind:     hidden_global_offset_z
      - .offset:         208
        .size:           2
        .value_kind:     hidden_grid_dims
      - .offset:         224
        .size:           8
        .value_kind:     hidden_hostcall_buffer
    .group_segment_fixed_size: 0
    .kernarg_segment_align: 8
    .kernarg_segment_size: 400
    .language:       OpenCL C
    .language_version:
      - 2
      - 0
    .max_flat_workgroup_size: 256
    .name:           _Z39paged_attention_ll4mi_QKV_mfma16_kernelI14__hip_bfloat16S0_LN4vllm18Fp8KVCacheDataTypeE0EhLi32ELi64ELi256ELb0ELi11EEvPKT_PKT0_S8_ifPKiSA_SA_iPKfiiiPfSD_PS3_PT2_iSC_SC_
    .private_segment_fixed_size: 64
    .sgpr_count:     36
    .sgpr_spill_count: 0
    .symbol:         _Z39paged_attention_ll4mi_QKV_mfma16_kernelI14__hip_bfloat16S0_LN4vllm18Fp8KVCacheDataTypeE0EhLi32ELi64ELi256ELb0ELi11EEvPKT_PKT0_S8_ifPKiSA_SA_iPKfiiiPfSD_PS3_PT2_iSC_SC_.kd
    .uniform_work_group_size: 1
    .uses_dynamic_stack: false
    .vgpr_count:     51
    .vgpr_spill_count: 0
    .wavefront_size: 32
  - .args:
      - .actual_access:  read_only
        .address_space:  global
        .offset:         0
        .size:           8
        .value_kind:     global_buffer
      - .actual_access:  read_only
        .address_space:  global
        .offset:         8
        .size:           8
        .value_kind:     global_buffer
      - .actual_access:  read_only
        .address_space:  global
        .offset:         16
        .size:           8
        .value_kind:     global_buffer
      - .offset:         24
        .size:           4
        .value_kind:     by_value
      - .offset:         28
        .size:           4
        .value_kind:     by_value
      - .actual_access:  read_only
        .address_space:  global
        .offset:         32
        .size:           8
        .value_kind:     global_buffer
      - .actual_access:  read_only
        .address_space:  global
        .offset:         40
        .size:           8
        .value_kind:     global_buffer
      - .actual_access:  read_only
        .address_space:  global
        .offset:         48
        .size:           8
        .value_kind:     global_buffer
      - .offset:         56
        .size:           4
        .value_kind:     by_value
      - .actual_access:  read_only
        .address_space:  global
        .offset:         64
        .size:           8
        .value_kind:     global_buffer
      - .offset:         72
        .size:           4
        .value_kind:     by_value
      - .offset:         76
        .size:           4
        .value_kind:     by_value
      - .offset:         80
        .size:           4
        .value_kind:     by_value
      - .actual_access:  read_only
        .address_space:  global
        .offset:         88
        .size:           8
        .value_kind:     global_buffer
      - .actual_access:  read_only
        .address_space:  global
        .offset:         96
        .size:           8
        .value_kind:     global_buffer
      - .actual_access:  read_only
        .address_space:  global
        .offset:         104
        .size:           8
        .value_kind:     global_buffer
      - .actual_access:  read_only
        .address_space:  global
        .offset:         112
        .size:           8
        .value_kind:     global_buffer
      - .offset:         120
        .size:           4
        .value_kind:     by_value
      - .address_space:  global
        .offset:         128
        .size:           8
        .value_kind:     global_buffer
      - .address_space:  global
        .offset:         136
        .size:           8
        .value_kind:     global_buffer
      - .offset:         144
        .size:           4
        .value_kind:     hidden_block_count_x
      - .offset:         148
        .size:           4
        .value_kind:     hidden_block_count_y
      - .offset:         152
        .size:           4
        .value_kind:     hidden_block_count_z
      - .offset:         156
        .size:           2
        .value_kind:     hidden_group_size_x
      - .offset:         158
        .size:           2
        .value_kind:     hidden_group_size_y
      - .offset:         160
        .size:           2
        .value_kind:     hidden_group_size_z
      - .offset:         162
        .size:           2
        .value_kind:     hidden_remainder_x
      - .offset:         164
        .size:           2
        .value_kind:     hidden_remainder_y
      - .offset:         166
        .size:           2
        .value_kind:     hidden_remainder_z
      - .offset:         184
        .size:           8
        .value_kind:     hidden_global_offset_x
      - .offset:         192
        .size:           8
        .value_kind:     hidden_global_offset_y
      - .offset:         200
        .size:           8
        .value_kind:     hidden_global_offset_z
      - .offset:         208
        .size:           2
        .value_kind:     hidden_grid_dims
      - .offset:         224
        .size:           8
        .value_kind:     hidden_hostcall_buffer
    .group_segment_fixed_size: 0
    .kernarg_segment_align: 8
    .kernarg_segment_size: 400
    .language:       OpenCL C
    .language_version:
      - 2
      - 0
    .max_flat_workgroup_size: 256
    .name:           _Z39paged_attention_ll4mi_QKV_mfma16_kernelI14__hip_bfloat16S0_LN4vllm18Fp8KVCacheDataTypeE0EhLi32ELi64ELi256ELb0ELi12EEvPKT_PKT0_S8_ifPKiSA_SA_iPKfiiiPfSD_PS3_PT2_iSC_SC_
    .private_segment_fixed_size: 64
    .sgpr_count:     36
    .sgpr_spill_count: 0
    .symbol:         _Z39paged_attention_ll4mi_QKV_mfma16_kernelI14__hip_bfloat16S0_LN4vllm18Fp8KVCacheDataTypeE0EhLi32ELi64ELi256ELb0ELi12EEvPKT_PKT0_S8_ifPKiSA_SA_iPKfiiiPfSD_PS3_PT2_iSC_SC_.kd
    .uniform_work_group_size: 1
    .uses_dynamic_stack: false
    .vgpr_count:     51
    .vgpr_spill_count: 0
    .wavefront_size: 32
  - .args:
      - .actual_access:  read_only
        .address_space:  global
        .offset:         0
        .size:           8
        .value_kind:     global_buffer
      - .actual_access:  read_only
        .address_space:  global
        .offset:         8
        .size:           8
        .value_kind:     global_buffer
      - .actual_access:  read_only
        .address_space:  global
        .offset:         16
        .size:           8
        .value_kind:     global_buffer
      - .offset:         24
        .size:           4
        .value_kind:     by_value
      - .offset:         28
        .size:           4
        .value_kind:     by_value
      - .actual_access:  read_only
        .address_space:  global
        .offset:         32
        .size:           8
        .value_kind:     global_buffer
      - .actual_access:  read_only
        .address_space:  global
        .offset:         40
        .size:           8
        .value_kind:     global_buffer
      - .actual_access:  read_only
        .address_space:  global
        .offset:         48
        .size:           8
        .value_kind:     global_buffer
      - .offset:         56
        .size:           4
        .value_kind:     by_value
      - .actual_access:  read_only
        .address_space:  global
        .offset:         64
        .size:           8
        .value_kind:     global_buffer
      - .offset:         72
        .size:           4
        .value_kind:     by_value
      - .offset:         76
        .size:           4
        .value_kind:     by_value
      - .offset:         80
        .size:           4
        .value_kind:     by_value
      - .actual_access:  read_only
        .address_space:  global
        .offset:         88
        .size:           8
        .value_kind:     global_buffer
      - .actual_access:  read_only
        .address_space:  global
        .offset:         96
        .size:           8
        .value_kind:     global_buffer
      - .actual_access:  read_only
        .address_space:  global
        .offset:         104
        .size:           8
        .value_kind:     global_buffer
      - .actual_access:  read_only
        .address_space:  global
        .offset:         112
        .size:           8
        .value_kind:     global_buffer
      - .offset:         120
        .size:           4
        .value_kind:     by_value
      - .address_space:  global
        .offset:         128
        .size:           8
        .value_kind:     global_buffer
      - .address_space:  global
        .offset:         136
        .size:           8
        .value_kind:     global_buffer
      - .offset:         144
        .size:           4
        .value_kind:     hidden_block_count_x
      - .offset:         148
        .size:           4
        .value_kind:     hidden_block_count_y
      - .offset:         152
        .size:           4
        .value_kind:     hidden_block_count_z
      - .offset:         156
        .size:           2
        .value_kind:     hidden_group_size_x
      - .offset:         158
        .size:           2
        .value_kind:     hidden_group_size_y
      - .offset:         160
        .size:           2
        .value_kind:     hidden_group_size_z
      - .offset:         162
        .size:           2
        .value_kind:     hidden_remainder_x
      - .offset:         164
        .size:           2
        .value_kind:     hidden_remainder_y
      - .offset:         166
        .size:           2
        .value_kind:     hidden_remainder_z
      - .offset:         184
        .size:           8
        .value_kind:     hidden_global_offset_x
      - .offset:         192
        .size:           8
        .value_kind:     hidden_global_offset_y
      - .offset:         200
        .size:           8
        .value_kind:     hidden_global_offset_z
      - .offset:         208
        .size:           2
        .value_kind:     hidden_grid_dims
      - .offset:         224
        .size:           8
        .value_kind:     hidden_hostcall_buffer
    .group_segment_fixed_size: 0
    .kernarg_segment_align: 8
    .kernarg_segment_size: 400
    .language:       OpenCL C
    .language_version:
      - 2
      - 0
    .max_flat_workgroup_size: 256
    .name:           _Z39paged_attention_ll4mi_QKV_mfma16_kernelI14__hip_bfloat16S0_LN4vllm18Fp8KVCacheDataTypeE0EhLi32ELi64ELi256ELb0ELi13EEvPKT_PKT0_S8_ifPKiSA_SA_iPKfiiiPfSD_PS3_PT2_iSC_SC_
    .private_segment_fixed_size: 64
    .sgpr_count:     36
    .sgpr_spill_count: 0
    .symbol:         _Z39paged_attention_ll4mi_QKV_mfma16_kernelI14__hip_bfloat16S0_LN4vllm18Fp8KVCacheDataTypeE0EhLi32ELi64ELi256ELb0ELi13EEvPKT_PKT0_S8_ifPKiSA_SA_iPKfiiiPfSD_PS3_PT2_iSC_SC_.kd
    .uniform_work_group_size: 1
    .uses_dynamic_stack: false
    .vgpr_count:     51
    .vgpr_spill_count: 0
    .wavefront_size: 32
  - .args:
      - .actual_access:  read_only
        .address_space:  global
        .offset:         0
        .size:           8
        .value_kind:     global_buffer
      - .actual_access:  read_only
        .address_space:  global
        .offset:         8
        .size:           8
        .value_kind:     global_buffer
      - .actual_access:  read_only
        .address_space:  global
        .offset:         16
        .size:           8
        .value_kind:     global_buffer
      - .offset:         24
        .size:           4
        .value_kind:     by_value
      - .offset:         28
        .size:           4
        .value_kind:     by_value
      - .actual_access:  read_only
        .address_space:  global
        .offset:         32
        .size:           8
        .value_kind:     global_buffer
      - .actual_access:  read_only
        .address_space:  global
        .offset:         40
        .size:           8
        .value_kind:     global_buffer
      - .actual_access:  read_only
        .address_space:  global
        .offset:         48
        .size:           8
        .value_kind:     global_buffer
      - .offset:         56
        .size:           4
        .value_kind:     by_value
      - .actual_access:  read_only
        .address_space:  global
        .offset:         64
        .size:           8
        .value_kind:     global_buffer
      - .offset:         72
        .size:           4
        .value_kind:     by_value
      - .offset:         76
        .size:           4
        .value_kind:     by_value
      - .offset:         80
        .size:           4
        .value_kind:     by_value
      - .actual_access:  read_only
        .address_space:  global
        .offset:         88
        .size:           8
        .value_kind:     global_buffer
      - .actual_access:  read_only
        .address_space:  global
        .offset:         96
        .size:           8
        .value_kind:     global_buffer
      - .actual_access:  read_only
        .address_space:  global
        .offset:         104
        .size:           8
        .value_kind:     global_buffer
      - .actual_access:  read_only
        .address_space:  global
        .offset:         112
        .size:           8
        .value_kind:     global_buffer
      - .offset:         120
        .size:           4
        .value_kind:     by_value
      - .address_space:  global
        .offset:         128
        .size:           8
        .value_kind:     global_buffer
      - .address_space:  global
        .offset:         136
        .size:           8
        .value_kind:     global_buffer
      - .offset:         144
        .size:           4
        .value_kind:     hidden_block_count_x
      - .offset:         148
        .size:           4
        .value_kind:     hidden_block_count_y
      - .offset:         152
        .size:           4
        .value_kind:     hidden_block_count_z
      - .offset:         156
        .size:           2
        .value_kind:     hidden_group_size_x
      - .offset:         158
        .size:           2
        .value_kind:     hidden_group_size_y
      - .offset:         160
        .size:           2
        .value_kind:     hidden_group_size_z
      - .offset:         162
        .size:           2
        .value_kind:     hidden_remainder_x
      - .offset:         164
        .size:           2
        .value_kind:     hidden_remainder_y
      - .offset:         166
        .size:           2
        .value_kind:     hidden_remainder_z
      - .offset:         184
        .size:           8
        .value_kind:     hidden_global_offset_x
      - .offset:         192
        .size:           8
        .value_kind:     hidden_global_offset_y
      - .offset:         200
        .size:           8
        .value_kind:     hidden_global_offset_z
      - .offset:         208
        .size:           2
        .value_kind:     hidden_grid_dims
      - .offset:         224
        .size:           8
        .value_kind:     hidden_hostcall_buffer
    .group_segment_fixed_size: 0
    .kernarg_segment_align: 8
    .kernarg_segment_size: 400
    .language:       OpenCL C
    .language_version:
      - 2
      - 0
    .max_flat_workgroup_size: 256
    .name:           _Z39paged_attention_ll4mi_QKV_mfma16_kernelI14__hip_bfloat16S0_LN4vllm18Fp8KVCacheDataTypeE0EhLi32ELi64ELi256ELb0ELi14EEvPKT_PKT0_S8_ifPKiSA_SA_iPKfiiiPfSD_PS3_PT2_iSC_SC_
    .private_segment_fixed_size: 64
    .sgpr_count:     36
    .sgpr_spill_count: 0
    .symbol:         _Z39paged_attention_ll4mi_QKV_mfma16_kernelI14__hip_bfloat16S0_LN4vllm18Fp8KVCacheDataTypeE0EhLi32ELi64ELi256ELb0ELi14EEvPKT_PKT0_S8_ifPKiSA_SA_iPKfiiiPfSD_PS3_PT2_iSC_SC_.kd
    .uniform_work_group_size: 1
    .uses_dynamic_stack: false
    .vgpr_count:     51
    .vgpr_spill_count: 0
    .wavefront_size: 32
  - .args:
      - .actual_access:  read_only
        .address_space:  global
        .offset:         0
        .size:           8
        .value_kind:     global_buffer
      - .actual_access:  read_only
        .address_space:  global
        .offset:         8
        .size:           8
        .value_kind:     global_buffer
      - .actual_access:  read_only
        .address_space:  global
        .offset:         16
        .size:           8
        .value_kind:     global_buffer
      - .offset:         24
        .size:           4
        .value_kind:     by_value
      - .offset:         28
        .size:           4
        .value_kind:     by_value
      - .actual_access:  read_only
        .address_space:  global
        .offset:         32
        .size:           8
        .value_kind:     global_buffer
      - .actual_access:  read_only
        .address_space:  global
        .offset:         40
        .size:           8
        .value_kind:     global_buffer
      - .actual_access:  read_only
        .address_space:  global
        .offset:         48
        .size:           8
        .value_kind:     global_buffer
      - .offset:         56
        .size:           4
        .value_kind:     by_value
      - .actual_access:  read_only
        .address_space:  global
        .offset:         64
        .size:           8
        .value_kind:     global_buffer
      - .offset:         72
        .size:           4
        .value_kind:     by_value
      - .offset:         76
        .size:           4
        .value_kind:     by_value
      - .offset:         80
        .size:           4
        .value_kind:     by_value
      - .actual_access:  read_only
        .address_space:  global
        .offset:         88
        .size:           8
        .value_kind:     global_buffer
      - .actual_access:  read_only
        .address_space:  global
        .offset:         96
        .size:           8
        .value_kind:     global_buffer
      - .actual_access:  read_only
        .address_space:  global
        .offset:         104
        .size:           8
        .value_kind:     global_buffer
      - .actual_access:  read_only
        .address_space:  global
        .offset:         112
        .size:           8
        .value_kind:     global_buffer
      - .offset:         120
        .size:           4
        .value_kind:     by_value
      - .address_space:  global
        .offset:         128
        .size:           8
        .value_kind:     global_buffer
      - .address_space:  global
        .offset:         136
        .size:           8
        .value_kind:     global_buffer
      - .offset:         144
        .size:           4
        .value_kind:     hidden_block_count_x
      - .offset:         148
        .size:           4
        .value_kind:     hidden_block_count_y
      - .offset:         152
        .size:           4
        .value_kind:     hidden_block_count_z
      - .offset:         156
        .size:           2
        .value_kind:     hidden_group_size_x
      - .offset:         158
        .size:           2
        .value_kind:     hidden_group_size_y
      - .offset:         160
        .size:           2
        .value_kind:     hidden_group_size_z
      - .offset:         162
        .size:           2
        .value_kind:     hidden_remainder_x
      - .offset:         164
        .size:           2
        .value_kind:     hidden_remainder_y
      - .offset:         166
        .size:           2
        .value_kind:     hidden_remainder_z
      - .offset:         184
        .size:           8
        .value_kind:     hidden_global_offset_x
      - .offset:         192
        .size:           8
        .value_kind:     hidden_global_offset_y
      - .offset:         200
        .size:           8
        .value_kind:     hidden_global_offset_z
      - .offset:         208
        .size:           2
        .value_kind:     hidden_grid_dims
      - .offset:         224
        .size:           8
        .value_kind:     hidden_hostcall_buffer
    .group_segment_fixed_size: 0
    .kernarg_segment_align: 8
    .kernarg_segment_size: 400
    .language:       OpenCL C
    .language_version:
      - 2
      - 0
    .max_flat_workgroup_size: 256
    .name:           _Z39paged_attention_ll4mi_QKV_mfma16_kernelI14__hip_bfloat16S0_LN4vllm18Fp8KVCacheDataTypeE0EhLi32ELi64ELi256ELb0ELi15EEvPKT_PKT0_S8_ifPKiSA_SA_iPKfiiiPfSD_PS3_PT2_iSC_SC_
    .private_segment_fixed_size: 64
    .sgpr_count:     36
    .sgpr_spill_count: 0
    .symbol:         _Z39paged_attention_ll4mi_QKV_mfma16_kernelI14__hip_bfloat16S0_LN4vllm18Fp8KVCacheDataTypeE0EhLi32ELi64ELi256ELb0ELi15EEvPKT_PKT0_S8_ifPKiSA_SA_iPKfiiiPfSD_PS3_PT2_iSC_SC_.kd
    .uniform_work_group_size: 1
    .uses_dynamic_stack: false
    .vgpr_count:     51
    .vgpr_spill_count: 0
    .wavefront_size: 32
  - .args:
      - .actual_access:  read_only
        .address_space:  global
        .offset:         0
        .size:           8
        .value_kind:     global_buffer
      - .actual_access:  read_only
        .address_space:  global
        .offset:         8
        .size:           8
        .value_kind:     global_buffer
      - .actual_access:  read_only
        .address_space:  global
        .offset:         16
        .size:           8
        .value_kind:     global_buffer
      - .offset:         24
        .size:           4
        .value_kind:     by_value
      - .offset:         28
        .size:           4
        .value_kind:     by_value
      - .actual_access:  read_only
        .address_space:  global
        .offset:         32
        .size:           8
        .value_kind:     global_buffer
      - .actual_access:  read_only
        .address_space:  global
        .offset:         40
        .size:           8
        .value_kind:     global_buffer
      - .actual_access:  read_only
        .address_space:  global
        .offset:         48
        .size:           8
        .value_kind:     global_buffer
      - .offset:         56
        .size:           4
        .value_kind:     by_value
      - .actual_access:  read_only
        .address_space:  global
        .offset:         64
        .size:           8
        .value_kind:     global_buffer
      - .offset:         72
        .size:           4
        .value_kind:     by_value
      - .offset:         76
        .size:           4
        .value_kind:     by_value
      - .offset:         80
        .size:           4
        .value_kind:     by_value
      - .actual_access:  read_only
        .address_space:  global
        .offset:         88
        .size:           8
        .value_kind:     global_buffer
      - .actual_access:  read_only
        .address_space:  global
        .offset:         96
        .size:           8
        .value_kind:     global_buffer
      - .actual_access:  read_only
        .address_space:  global
        .offset:         104
        .size:           8
        .value_kind:     global_buffer
      - .actual_access:  read_only
        .address_space:  global
        .offset:         112
        .size:           8
        .value_kind:     global_buffer
      - .offset:         120
        .size:           4
        .value_kind:     by_value
      - .address_space:  global
        .offset:         128
        .size:           8
        .value_kind:     global_buffer
      - .address_space:  global
        .offset:         136
        .size:           8
        .value_kind:     global_buffer
      - .offset:         144
        .size:           4
        .value_kind:     hidden_block_count_x
      - .offset:         148
        .size:           4
        .value_kind:     hidden_block_count_y
      - .offset:         152
        .size:           4
        .value_kind:     hidden_block_count_z
      - .offset:         156
        .size:           2
        .value_kind:     hidden_group_size_x
      - .offset:         158
        .size:           2
        .value_kind:     hidden_group_size_y
      - .offset:         160
        .size:           2
        .value_kind:     hidden_group_size_z
      - .offset:         162
        .size:           2
        .value_kind:     hidden_remainder_x
      - .offset:         164
        .size:           2
        .value_kind:     hidden_remainder_y
      - .offset:         166
        .size:           2
        .value_kind:     hidden_remainder_z
      - .offset:         184
        .size:           8
        .value_kind:     hidden_global_offset_x
      - .offset:         192
        .size:           8
        .value_kind:     hidden_global_offset_y
      - .offset:         200
        .size:           8
        .value_kind:     hidden_global_offset_z
      - .offset:         208
        .size:           2
        .value_kind:     hidden_grid_dims
      - .offset:         224
        .size:           8
        .value_kind:     hidden_hostcall_buffer
    .group_segment_fixed_size: 0
    .kernarg_segment_align: 8
    .kernarg_segment_size: 400
    .language:       OpenCL C
    .language_version:
      - 2
      - 0
    .max_flat_workgroup_size: 256
    .name:           _Z39paged_attention_ll4mi_QKV_mfma16_kernelI14__hip_bfloat16S0_LN4vllm18Fp8KVCacheDataTypeE0EhLi32ELi64ELi256ELb0ELi16EEvPKT_PKT0_S8_ifPKiSA_SA_iPKfiiiPfSD_PS3_PT2_iSC_SC_
    .private_segment_fixed_size: 64
    .sgpr_count:     36
    .sgpr_spill_count: 0
    .symbol:         _Z39paged_attention_ll4mi_QKV_mfma16_kernelI14__hip_bfloat16S0_LN4vllm18Fp8KVCacheDataTypeE0EhLi32ELi64ELi256ELb0ELi16EEvPKT_PKT0_S8_ifPKiSA_SA_iPKfiiiPfSD_PS3_PT2_iSC_SC_.kd
    .uniform_work_group_size: 1
    .uses_dynamic_stack: false
    .vgpr_count:     51
    .vgpr_spill_count: 0
    .wavefront_size: 32
  - .args:
      - .actual_access:  read_only
        .address_space:  global
        .offset:         0
        .size:           8
        .value_kind:     global_buffer
      - .actual_access:  read_only
        .address_space:  global
        .offset:         8
        .size:           8
        .value_kind:     global_buffer
      - .actual_access:  read_only
        .address_space:  global
        .offset:         16
        .size:           8
        .value_kind:     global_buffer
      - .offset:         24
        .size:           4
        .value_kind:     by_value
      - .offset:         28
        .size:           4
        .value_kind:     by_value
      - .actual_access:  read_only
        .address_space:  global
        .offset:         32
        .size:           8
        .value_kind:     global_buffer
      - .actual_access:  read_only
        .address_space:  global
        .offset:         40
        .size:           8
        .value_kind:     global_buffer
      - .actual_access:  read_only
        .address_space:  global
        .offset:         48
        .size:           8
        .value_kind:     global_buffer
      - .offset:         56
        .size:           4
        .value_kind:     by_value
      - .actual_access:  read_only
        .address_space:  global
        .offset:         64
        .size:           8
        .value_kind:     global_buffer
      - .offset:         72
        .size:           4
        .value_kind:     by_value
      - .offset:         76
        .size:           4
        .value_kind:     by_value
      - .offset:         80
        .size:           4
        .value_kind:     by_value
      - .actual_access:  read_only
        .address_space:  global
        .offset:         88
        .size:           8
        .value_kind:     global_buffer
      - .actual_access:  read_only
        .address_space:  global
        .offset:         96
        .size:           8
        .value_kind:     global_buffer
      - .actual_access:  read_only
        .address_space:  global
        .offset:         104
        .size:           8
        .value_kind:     global_buffer
      - .actual_access:  read_only
        .address_space:  global
        .offset:         112
        .size:           8
        .value_kind:     global_buffer
      - .offset:         120
        .size:           4
        .value_kind:     by_value
      - .address_space:  global
        .offset:         128
        .size:           8
        .value_kind:     global_buffer
      - .address_space:  global
        .offset:         136
        .size:           8
        .value_kind:     global_buffer
      - .offset:         144
        .size:           4
        .value_kind:     hidden_block_count_x
      - .offset:         148
        .size:           4
        .value_kind:     hidden_block_count_y
      - .offset:         152
        .size:           4
        .value_kind:     hidden_block_count_z
      - .offset:         156
        .size:           2
        .value_kind:     hidden_group_size_x
      - .offset:         158
        .size:           2
        .value_kind:     hidden_group_size_y
      - .offset:         160
        .size:           2
        .value_kind:     hidden_group_size_z
      - .offset:         162
        .size:           2
        .value_kind:     hidden_remainder_x
      - .offset:         164
        .size:           2
        .value_kind:     hidden_remainder_y
      - .offset:         166
        .size:           2
        .value_kind:     hidden_remainder_z
      - .offset:         184
        .size:           8
        .value_kind:     hidden_global_offset_x
      - .offset:         192
        .size:           8
        .value_kind:     hidden_global_offset_y
      - .offset:         200
        .size:           8
        .value_kind:     hidden_global_offset_z
      - .offset:         208
        .size:           2
        .value_kind:     hidden_grid_dims
      - .offset:         224
        .size:           8
        .value_kind:     hidden_hostcall_buffer
    .group_segment_fixed_size: 0
    .kernarg_segment_align: 8
    .kernarg_segment_size: 400
    .language:       OpenCL C
    .language_version:
      - 2
      - 0
    .max_flat_workgroup_size: 256
    .name:           _Z39paged_attention_ll4mi_QKV_mfma16_kernelI14__hip_bfloat16S0_LN4vllm18Fp8KVCacheDataTypeE0EhLi32ELi64ELi256ELb0ELi1EEvPKT_PKT0_S8_ifPKiSA_SA_iPKfiiiPfSD_PS3_PT2_iSC_SC_
    .private_segment_fixed_size: 64
    .sgpr_count:     36
    .sgpr_spill_count: 0
    .symbol:         _Z39paged_attention_ll4mi_QKV_mfma16_kernelI14__hip_bfloat16S0_LN4vllm18Fp8KVCacheDataTypeE0EhLi32ELi64ELi256ELb0ELi1EEvPKT_PKT0_S8_ifPKiSA_SA_iPKfiiiPfSD_PS3_PT2_iSC_SC_.kd
    .uniform_work_group_size: 1
    .uses_dynamic_stack: false
    .vgpr_count:     51
    .vgpr_spill_count: 0
    .wavefront_size: 32
  - .args:
      - .actual_access:  read_only
        .address_space:  global
        .offset:         0
        .size:           8
        .value_kind:     global_buffer
      - .actual_access:  read_only
        .address_space:  global
        .offset:         8
        .size:           8
        .value_kind:     global_buffer
      - .actual_access:  read_only
        .address_space:  global
        .offset:         16
        .size:           8
        .value_kind:     global_buffer
      - .offset:         24
        .size:           4
        .value_kind:     by_value
      - .offset:         28
        .size:           4
        .value_kind:     by_value
      - .actual_access:  read_only
        .address_space:  global
        .offset:         32
        .size:           8
        .value_kind:     global_buffer
      - .actual_access:  read_only
        .address_space:  global
        .offset:         40
        .size:           8
        .value_kind:     global_buffer
      - .actual_access:  read_only
        .address_space:  global
        .offset:         48
        .size:           8
        .value_kind:     global_buffer
      - .offset:         56
        .size:           4
        .value_kind:     by_value
      - .actual_access:  read_only
        .address_space:  global
        .offset:         64
        .size:           8
        .value_kind:     global_buffer
      - .offset:         72
        .size:           4
        .value_kind:     by_value
      - .offset:         76
        .size:           4
        .value_kind:     by_value
      - .offset:         80
        .size:           4
        .value_kind:     by_value
      - .actual_access:  read_only
        .address_space:  global
        .offset:         88
        .size:           8
        .value_kind:     global_buffer
      - .actual_access:  read_only
        .address_space:  global
        .offset:         96
        .size:           8
        .value_kind:     global_buffer
      - .actual_access:  read_only
        .address_space:  global
        .offset:         104
        .size:           8
        .value_kind:     global_buffer
      - .actual_access:  read_only
        .address_space:  global
        .offset:         112
        .size:           8
        .value_kind:     global_buffer
      - .offset:         120
        .size:           4
        .value_kind:     by_value
      - .address_space:  global
        .offset:         128
        .size:           8
        .value_kind:     global_buffer
      - .address_space:  global
        .offset:         136
        .size:           8
        .value_kind:     global_buffer
      - .offset:         144
        .size:           4
        .value_kind:     hidden_block_count_x
      - .offset:         148
        .size:           4
        .value_kind:     hidden_block_count_y
      - .offset:         152
        .size:           4
        .value_kind:     hidden_block_count_z
      - .offset:         156
        .size:           2
        .value_kind:     hidden_group_size_x
      - .offset:         158
        .size:           2
        .value_kind:     hidden_group_size_y
      - .offset:         160
        .size:           2
        .value_kind:     hidden_group_size_z
      - .offset:         162
        .size:           2
        .value_kind:     hidden_remainder_x
      - .offset:         164
        .size:           2
        .value_kind:     hidden_remainder_y
      - .offset:         166
        .size:           2
        .value_kind:     hidden_remainder_z
      - .offset:         184
        .size:           8
        .value_kind:     hidden_global_offset_x
      - .offset:         192
        .size:           8
        .value_kind:     hidden_global_offset_y
      - .offset:         200
        .size:           8
        .value_kind:     hidden_global_offset_z
      - .offset:         208
        .size:           2
        .value_kind:     hidden_grid_dims
      - .offset:         224
        .size:           8
        .value_kind:     hidden_hostcall_buffer
    .group_segment_fixed_size: 0
    .kernarg_segment_align: 8
    .kernarg_segment_size: 400
    .language:       OpenCL C
    .language_version:
      - 2
      - 0
    .max_flat_workgroup_size: 256
    .name:           _Z39paged_attention_ll4mi_QKV_mfma16_kernelI14__hip_bfloat16S0_LN4vllm18Fp8KVCacheDataTypeE0EhLi32ELi64ELi256ELb0ELi2EEvPKT_PKT0_S8_ifPKiSA_SA_iPKfiiiPfSD_PS3_PT2_iSC_SC_
    .private_segment_fixed_size: 64
    .sgpr_count:     36
    .sgpr_spill_count: 0
    .symbol:         _Z39paged_attention_ll4mi_QKV_mfma16_kernelI14__hip_bfloat16S0_LN4vllm18Fp8KVCacheDataTypeE0EhLi32ELi64ELi256ELb0ELi2EEvPKT_PKT0_S8_ifPKiSA_SA_iPKfiiiPfSD_PS3_PT2_iSC_SC_.kd
    .uniform_work_group_size: 1
    .uses_dynamic_stack: false
    .vgpr_count:     51
    .vgpr_spill_count: 0
    .wavefront_size: 32
  - .args:
      - .actual_access:  read_only
        .address_space:  global
        .offset:         0
        .size:           8
        .value_kind:     global_buffer
      - .actual_access:  read_only
        .address_space:  global
        .offset:         8
        .size:           8
        .value_kind:     global_buffer
      - .actual_access:  read_only
        .address_space:  global
        .offset:         16
        .size:           8
        .value_kind:     global_buffer
      - .offset:         24
        .size:           4
        .value_kind:     by_value
      - .offset:         28
        .size:           4
        .value_kind:     by_value
      - .actual_access:  read_only
        .address_space:  global
        .offset:         32
        .size:           8
        .value_kind:     global_buffer
      - .actual_access:  read_only
        .address_space:  global
        .offset:         40
        .size:           8
        .value_kind:     global_buffer
      - .actual_access:  read_only
        .address_space:  global
        .offset:         48
        .size:           8
        .value_kind:     global_buffer
      - .offset:         56
        .size:           4
        .value_kind:     by_value
      - .actual_access:  read_only
        .address_space:  global
        .offset:         64
        .size:           8
        .value_kind:     global_buffer
      - .offset:         72
        .size:           4
        .value_kind:     by_value
      - .offset:         76
        .size:           4
        .value_kind:     by_value
      - .offset:         80
        .size:           4
        .value_kind:     by_value
      - .actual_access:  read_only
        .address_space:  global
        .offset:         88
        .size:           8
        .value_kind:     global_buffer
      - .actual_access:  read_only
        .address_space:  global
        .offset:         96
        .size:           8
        .value_kind:     global_buffer
      - .actual_access:  read_only
        .address_space:  global
        .offset:         104
        .size:           8
        .value_kind:     global_buffer
      - .actual_access:  read_only
        .address_space:  global
        .offset:         112
        .size:           8
        .value_kind:     global_buffer
      - .offset:         120
        .size:           4
        .value_kind:     by_value
      - .address_space:  global
        .offset:         128
        .size:           8
        .value_kind:     global_buffer
      - .address_space:  global
        .offset:         136
        .size:           8
        .value_kind:     global_buffer
      - .offset:         144
        .size:           4
        .value_kind:     hidden_block_count_x
      - .offset:         148
        .size:           4
        .value_kind:     hidden_block_count_y
      - .offset:         152
        .size:           4
        .value_kind:     hidden_block_count_z
      - .offset:         156
        .size:           2
        .value_kind:     hidden_group_size_x
      - .offset:         158
        .size:           2
        .value_kind:     hidden_group_size_y
      - .offset:         160
        .size:           2
        .value_kind:     hidden_group_size_z
      - .offset:         162
        .size:           2
        .value_kind:     hidden_remainder_x
      - .offset:         164
        .size:           2
        .value_kind:     hidden_remainder_y
      - .offset:         166
        .size:           2
        .value_kind:     hidden_remainder_z
      - .offset:         184
        .size:           8
        .value_kind:     hidden_global_offset_x
      - .offset:         192
        .size:           8
        .value_kind:     hidden_global_offset_y
      - .offset:         200
        .size:           8
        .value_kind:     hidden_global_offset_z
      - .offset:         208
        .size:           2
        .value_kind:     hidden_grid_dims
      - .offset:         224
        .size:           8
        .value_kind:     hidden_hostcall_buffer
    .group_segment_fixed_size: 0
    .kernarg_segment_align: 8
    .kernarg_segment_size: 400
    .language:       OpenCL C
    .language_version:
      - 2
      - 0
    .max_flat_workgroup_size: 256
    .name:           _Z39paged_attention_ll4mi_QKV_mfma16_kernelI14__hip_bfloat16S0_LN4vllm18Fp8KVCacheDataTypeE0EhLi32ELi64ELi256ELb0ELi3EEvPKT_PKT0_S8_ifPKiSA_SA_iPKfiiiPfSD_PS3_PT2_iSC_SC_
    .private_segment_fixed_size: 64
    .sgpr_count:     36
    .sgpr_spill_count: 0
    .symbol:         _Z39paged_attention_ll4mi_QKV_mfma16_kernelI14__hip_bfloat16S0_LN4vllm18Fp8KVCacheDataTypeE0EhLi32ELi64ELi256ELb0ELi3EEvPKT_PKT0_S8_ifPKiSA_SA_iPKfiiiPfSD_PS3_PT2_iSC_SC_.kd
    .uniform_work_group_size: 1
    .uses_dynamic_stack: false
    .vgpr_count:     51
    .vgpr_spill_count: 0
    .wavefront_size: 32
  - .args:
      - .actual_access:  read_only
        .address_space:  global
        .offset:         0
        .size:           8
        .value_kind:     global_buffer
      - .actual_access:  read_only
        .address_space:  global
        .offset:         8
        .size:           8
        .value_kind:     global_buffer
      - .actual_access:  read_only
        .address_space:  global
        .offset:         16
        .size:           8
        .value_kind:     global_buffer
      - .offset:         24
        .size:           4
        .value_kind:     by_value
      - .offset:         28
        .size:           4
        .value_kind:     by_value
      - .actual_access:  read_only
        .address_space:  global
        .offset:         32
        .size:           8
        .value_kind:     global_buffer
      - .actual_access:  read_only
        .address_space:  global
        .offset:         40
        .size:           8
        .value_kind:     global_buffer
      - .actual_access:  read_only
        .address_space:  global
        .offset:         48
        .size:           8
        .value_kind:     global_buffer
      - .offset:         56
        .size:           4
        .value_kind:     by_value
      - .actual_access:  read_only
        .address_space:  global
        .offset:         64
        .size:           8
        .value_kind:     global_buffer
      - .offset:         72
        .size:           4
        .value_kind:     by_value
      - .offset:         76
        .size:           4
        .value_kind:     by_value
      - .offset:         80
        .size:           4
        .value_kind:     by_value
      - .actual_access:  read_only
        .address_space:  global
        .offset:         88
        .size:           8
        .value_kind:     global_buffer
      - .actual_access:  read_only
        .address_space:  global
        .offset:         96
        .size:           8
        .value_kind:     global_buffer
      - .actual_access:  read_only
        .address_space:  global
        .offset:         104
        .size:           8
        .value_kind:     global_buffer
      - .actual_access:  read_only
        .address_space:  global
        .offset:         112
        .size:           8
        .value_kind:     global_buffer
      - .offset:         120
        .size:           4
        .value_kind:     by_value
      - .address_space:  global
        .offset:         128
        .size:           8
        .value_kind:     global_buffer
      - .address_space:  global
        .offset:         136
        .size:           8
        .value_kind:     global_buffer
      - .offset:         144
        .size:           4
        .value_kind:     hidden_block_count_x
      - .offset:         148
        .size:           4
        .value_kind:     hidden_block_count_y
      - .offset:         152
        .size:           4
        .value_kind:     hidden_block_count_z
      - .offset:         156
        .size:           2
        .value_kind:     hidden_group_size_x
      - .offset:         158
        .size:           2
        .value_kind:     hidden_group_size_y
      - .offset:         160
        .size:           2
        .value_kind:     hidden_group_size_z
      - .offset:         162
        .size:           2
        .value_kind:     hidden_remainder_x
      - .offset:         164
        .size:           2
        .value_kind:     hidden_remainder_y
      - .offset:         166
        .size:           2
        .value_kind:     hidden_remainder_z
      - .offset:         184
        .size:           8
        .value_kind:     hidden_global_offset_x
      - .offset:         192
        .size:           8
        .value_kind:     hidden_global_offset_y
      - .offset:         200
        .size:           8
        .value_kind:     hidden_global_offset_z
      - .offset:         208
        .size:           2
        .value_kind:     hidden_grid_dims
      - .offset:         224
        .size:           8
        .value_kind:     hidden_hostcall_buffer
    .group_segment_fixed_size: 0
    .kernarg_segment_align: 8
    .kernarg_segment_size: 400
    .language:       OpenCL C
    .language_version:
      - 2
      - 0
    .max_flat_workgroup_size: 256
    .name:           _Z39paged_attention_ll4mi_QKV_mfma16_kernelI14__hip_bfloat16S0_LN4vllm18Fp8KVCacheDataTypeE0EhLi32ELi64ELi256ELb0ELi4EEvPKT_PKT0_S8_ifPKiSA_SA_iPKfiiiPfSD_PS3_PT2_iSC_SC_
    .private_segment_fixed_size: 64
    .sgpr_count:     36
    .sgpr_spill_count: 0
    .symbol:         _Z39paged_attention_ll4mi_QKV_mfma16_kernelI14__hip_bfloat16S0_LN4vllm18Fp8KVCacheDataTypeE0EhLi32ELi64ELi256ELb0ELi4EEvPKT_PKT0_S8_ifPKiSA_SA_iPKfiiiPfSD_PS3_PT2_iSC_SC_.kd
    .uniform_work_group_size: 1
    .uses_dynamic_stack: false
    .vgpr_count:     51
    .vgpr_spill_count: 0
    .wavefront_size: 32
  - .args:
      - .actual_access:  read_only
        .address_space:  global
        .offset:         0
        .size:           8
        .value_kind:     global_buffer
      - .actual_access:  read_only
        .address_space:  global
        .offset:         8
        .size:           8
        .value_kind:     global_buffer
      - .actual_access:  read_only
        .address_space:  global
        .offset:         16
        .size:           8
        .value_kind:     global_buffer
      - .offset:         24
        .size:           4
        .value_kind:     by_value
      - .offset:         28
        .size:           4
        .value_kind:     by_value
      - .actual_access:  read_only
        .address_space:  global
        .offset:         32
        .size:           8
        .value_kind:     global_buffer
      - .actual_access:  read_only
        .address_space:  global
        .offset:         40
        .size:           8
        .value_kind:     global_buffer
      - .actual_access:  read_only
        .address_space:  global
        .offset:         48
        .size:           8
        .value_kind:     global_buffer
      - .offset:         56
        .size:           4
        .value_kind:     by_value
      - .actual_access:  read_only
        .address_space:  global
        .offset:         64
        .size:           8
        .value_kind:     global_buffer
      - .offset:         72
        .size:           4
        .value_kind:     by_value
      - .offset:         76
        .size:           4
        .value_kind:     by_value
      - .offset:         80
        .size:           4
        .value_kind:     by_value
      - .actual_access:  read_only
        .address_space:  global
        .offset:         88
        .size:           8
        .value_kind:     global_buffer
      - .actual_access:  read_only
        .address_space:  global
        .offset:         96
        .size:           8
        .value_kind:     global_buffer
      - .actual_access:  read_only
        .address_space:  global
        .offset:         104
        .size:           8
        .value_kind:     global_buffer
      - .actual_access:  read_only
        .address_space:  global
        .offset:         112
        .size:           8
        .value_kind:     global_buffer
      - .offset:         120
        .size:           4
        .value_kind:     by_value
      - .address_space:  global
        .offset:         128
        .size:           8
        .value_kind:     global_buffer
      - .address_space:  global
        .offset:         136
        .size:           8
        .value_kind:     global_buffer
      - .offset:         144
        .size:           4
        .value_kind:     hidden_block_count_x
      - .offset:         148
        .size:           4
        .value_kind:     hidden_block_count_y
      - .offset:         152
        .size:           4
        .value_kind:     hidden_block_count_z
      - .offset:         156
        .size:           2
        .value_kind:     hidden_group_size_x
      - .offset:         158
        .size:           2
        .value_kind:     hidden_group_size_y
      - .offset:         160
        .size:           2
        .value_kind:     hidden_group_size_z
      - .offset:         162
        .size:           2
        .value_kind:     hidden_remainder_x
      - .offset:         164
        .size:           2
        .value_kind:     hidden_remainder_y
      - .offset:         166
        .size:           2
        .value_kind:     hidden_remainder_z
      - .offset:         184
        .size:           8
        .value_kind:     hidden_global_offset_x
      - .offset:         192
        .size:           8
        .value_kind:     hidden_global_offset_y
      - .offset:         200
        .size:           8
        .value_kind:     hidden_global_offset_z
      - .offset:         208
        .size:           2
        .value_kind:     hidden_grid_dims
      - .offset:         224
        .size:           8
        .value_kind:     hidden_hostcall_buffer
    .group_segment_fixed_size: 0
    .kernarg_segment_align: 8
    .kernarg_segment_size: 400
    .language:       OpenCL C
    .language_version:
      - 2
      - 0
    .max_flat_workgroup_size: 256
    .name:           _Z38paged_attention_ll4mi_QKV_mfma4_kernelI14__hip_bfloat16S0_LN4vllm18Fp8KVCacheDataTypeE0ES0_Li32ELi64ELi256ELb1ELi1EEvPKT_PKT0_S8_ifPKiSA_SA_iPKfiiiPfSD_PS3_PT2_iSC_SC_
    .private_segment_fixed_size: 64
    .sgpr_count:     36
    .sgpr_spill_count: 0
    .symbol:         _Z38paged_attention_ll4mi_QKV_mfma4_kernelI14__hip_bfloat16S0_LN4vllm18Fp8KVCacheDataTypeE0ES0_Li32ELi64ELi256ELb1ELi1EEvPKT_PKT0_S8_ifPKiSA_SA_iPKfiiiPfSD_PS3_PT2_iSC_SC_.kd
    .uniform_work_group_size: 1
    .uses_dynamic_stack: false
    .vgpr_count:     51
    .vgpr_spill_count: 0
    .wavefront_size: 32
  - .args:
      - .actual_access:  read_only
        .address_space:  global
        .offset:         0
        .size:           8
        .value_kind:     global_buffer
      - .actual_access:  read_only
        .address_space:  global
        .offset:         8
        .size:           8
        .value_kind:     global_buffer
      - .actual_access:  read_only
        .address_space:  global
        .offset:         16
        .size:           8
        .value_kind:     global_buffer
      - .offset:         24
        .size:           4
        .value_kind:     by_value
      - .offset:         28
        .size:           4
        .value_kind:     by_value
      - .actual_access:  read_only
        .address_space:  global
        .offset:         32
        .size:           8
        .value_kind:     global_buffer
      - .actual_access:  read_only
        .address_space:  global
        .offset:         40
        .size:           8
        .value_kind:     global_buffer
      - .actual_access:  read_only
        .address_space:  global
        .offset:         48
        .size:           8
        .value_kind:     global_buffer
      - .offset:         56
        .size:           4
        .value_kind:     by_value
      - .actual_access:  read_only
        .address_space:  global
        .offset:         64
        .size:           8
        .value_kind:     global_buffer
      - .offset:         72
        .size:           4
        .value_kind:     by_value
      - .offset:         76
        .size:           4
        .value_kind:     by_value
      - .offset:         80
        .size:           4
        .value_kind:     by_value
      - .actual_access:  read_only
        .address_space:  global
        .offset:         88
        .size:           8
        .value_kind:     global_buffer
      - .actual_access:  read_only
        .address_space:  global
        .offset:         96
        .size:           8
        .value_kind:     global_buffer
      - .actual_access:  read_only
        .address_space:  global
        .offset:         104
        .size:           8
        .value_kind:     global_buffer
      - .actual_access:  read_only
        .address_space:  global
        .offset:         112
        .size:           8
        .value_kind:     global_buffer
      - .offset:         120
        .size:           4
        .value_kind:     by_value
      - .address_space:  global
        .offset:         128
        .size:           8
        .value_kind:     global_buffer
      - .address_space:  global
        .offset:         136
        .size:           8
        .value_kind:     global_buffer
      - .offset:         144
        .size:           4
        .value_kind:     hidden_block_count_x
      - .offset:         148
        .size:           4
        .value_kind:     hidden_block_count_y
      - .offset:         152
        .size:           4
        .value_kind:     hidden_block_count_z
      - .offset:         156
        .size:           2
        .value_kind:     hidden_group_size_x
      - .offset:         158
        .size:           2
        .value_kind:     hidden_group_size_y
      - .offset:         160
        .size:           2
        .value_kind:     hidden_group_size_z
      - .offset:         162
        .size:           2
        .value_kind:     hidden_remainder_x
      - .offset:         164
        .size:           2
        .value_kind:     hidden_remainder_y
      - .offset:         166
        .size:           2
        .value_kind:     hidden_remainder_z
      - .offset:         184
        .size:           8
        .value_kind:     hidden_global_offset_x
      - .offset:         192
        .size:           8
        .value_kind:     hidden_global_offset_y
      - .offset:         200
        .size:           8
        .value_kind:     hidden_global_offset_z
      - .offset:         208
        .size:           2
        .value_kind:     hidden_grid_dims
      - .offset:         224
        .size:           8
        .value_kind:     hidden_hostcall_buffer
    .group_segment_fixed_size: 0
    .kernarg_segment_align: 8
    .kernarg_segment_size: 400
    .language:       OpenCL C
    .language_version:
      - 2
      - 0
    .max_flat_workgroup_size: 256
    .name:           _Z38paged_attention_ll4mi_QKV_mfma4_kernelI14__hip_bfloat16S0_LN4vllm18Fp8KVCacheDataTypeE0ES0_Li32ELi64ELi256ELb1ELi2EEvPKT_PKT0_S8_ifPKiSA_SA_iPKfiiiPfSD_PS3_PT2_iSC_SC_
    .private_segment_fixed_size: 64
    .sgpr_count:     36
    .sgpr_spill_count: 0
    .symbol:         _Z38paged_attention_ll4mi_QKV_mfma4_kernelI14__hip_bfloat16S0_LN4vllm18Fp8KVCacheDataTypeE0ES0_Li32ELi64ELi256ELb1ELi2EEvPKT_PKT0_S8_ifPKiSA_SA_iPKfiiiPfSD_PS3_PT2_iSC_SC_.kd
    .uniform_work_group_size: 1
    .uses_dynamic_stack: false
    .vgpr_count:     51
    .vgpr_spill_count: 0
    .wavefront_size: 32
  - .args:
      - .actual_access:  read_only
        .address_space:  global
        .offset:         0
        .size:           8
        .value_kind:     global_buffer
      - .actual_access:  read_only
        .address_space:  global
        .offset:         8
        .size:           8
        .value_kind:     global_buffer
      - .actual_access:  read_only
        .address_space:  global
        .offset:         16
        .size:           8
        .value_kind:     global_buffer
      - .offset:         24
        .size:           4
        .value_kind:     by_value
      - .offset:         28
        .size:           4
        .value_kind:     by_value
      - .actual_access:  read_only
        .address_space:  global
        .offset:         32
        .size:           8
        .value_kind:     global_buffer
      - .actual_access:  read_only
        .address_space:  global
        .offset:         40
        .size:           8
        .value_kind:     global_buffer
      - .actual_access:  read_only
        .address_space:  global
        .offset:         48
        .size:           8
        .value_kind:     global_buffer
      - .offset:         56
        .size:           4
        .value_kind:     by_value
      - .actual_access:  read_only
        .address_space:  global
        .offset:         64
        .size:           8
        .value_kind:     global_buffer
      - .offset:         72
        .size:           4
        .value_kind:     by_value
      - .offset:         76
        .size:           4
        .value_kind:     by_value
      - .offset:         80
        .size:           4
        .value_kind:     by_value
      - .actual_access:  read_only
        .address_space:  global
        .offset:         88
        .size:           8
        .value_kind:     global_buffer
      - .actual_access:  read_only
        .address_space:  global
        .offset:         96
        .size:           8
        .value_kind:     global_buffer
      - .actual_access:  read_only
        .address_space:  global
        .offset:         104
        .size:           8
        .value_kind:     global_buffer
      - .actual_access:  read_only
        .address_space:  global
        .offset:         112
        .size:           8
        .value_kind:     global_buffer
      - .offset:         120
        .size:           4
        .value_kind:     by_value
      - .address_space:  global
        .offset:         128
        .size:           8
        .value_kind:     global_buffer
      - .address_space:  global
        .offset:         136
        .size:           8
        .value_kind:     global_buffer
      - .offset:         144
        .size:           4
        .value_kind:     hidden_block_count_x
      - .offset:         148
        .size:           4
        .value_kind:     hidden_block_count_y
      - .offset:         152
        .size:           4
        .value_kind:     hidden_block_count_z
      - .offset:         156
        .size:           2
        .value_kind:     hidden_group_size_x
      - .offset:         158
        .size:           2
        .value_kind:     hidden_group_size_y
      - .offset:         160
        .size:           2
        .value_kind:     hidden_group_size_z
      - .offset:         162
        .size:           2
        .value_kind:     hidden_remainder_x
      - .offset:         164
        .size:           2
        .value_kind:     hidden_remainder_y
      - .offset:         166
        .size:           2
        .value_kind:     hidden_remainder_z
      - .offset:         184
        .size:           8
        .value_kind:     hidden_global_offset_x
      - .offset:         192
        .size:           8
        .value_kind:     hidden_global_offset_y
      - .offset:         200
        .size:           8
        .value_kind:     hidden_global_offset_z
      - .offset:         208
        .size:           2
        .value_kind:     hidden_grid_dims
      - .offset:         224
        .size:           8
        .value_kind:     hidden_hostcall_buffer
    .group_segment_fixed_size: 0
    .kernarg_segment_align: 8
    .kernarg_segment_size: 400
    .language:       OpenCL C
    .language_version:
      - 2
      - 0
    .max_flat_workgroup_size: 256
    .name:           _Z38paged_attention_ll4mi_QKV_mfma4_kernelI14__hip_bfloat16S0_LN4vllm18Fp8KVCacheDataTypeE0ES0_Li32ELi64ELi256ELb1ELi3EEvPKT_PKT0_S8_ifPKiSA_SA_iPKfiiiPfSD_PS3_PT2_iSC_SC_
    .private_segment_fixed_size: 64
    .sgpr_count:     36
    .sgpr_spill_count: 0
    .symbol:         _Z38paged_attention_ll4mi_QKV_mfma4_kernelI14__hip_bfloat16S0_LN4vllm18Fp8KVCacheDataTypeE0ES0_Li32ELi64ELi256ELb1ELi3EEvPKT_PKT0_S8_ifPKiSA_SA_iPKfiiiPfSD_PS3_PT2_iSC_SC_.kd
    .uniform_work_group_size: 1
    .uses_dynamic_stack: false
    .vgpr_count:     51
    .vgpr_spill_count: 0
    .wavefront_size: 32
  - .args:
      - .actual_access:  read_only
        .address_space:  global
        .offset:         0
        .size:           8
        .value_kind:     global_buffer
      - .actual_access:  read_only
        .address_space:  global
        .offset:         8
        .size:           8
        .value_kind:     global_buffer
      - .actual_access:  read_only
        .address_space:  global
        .offset:         16
        .size:           8
        .value_kind:     global_buffer
      - .offset:         24
        .size:           4
        .value_kind:     by_value
      - .offset:         28
        .size:           4
        .value_kind:     by_value
      - .actual_access:  read_only
        .address_space:  global
        .offset:         32
        .size:           8
        .value_kind:     global_buffer
      - .actual_access:  read_only
        .address_space:  global
        .offset:         40
        .size:           8
        .value_kind:     global_buffer
      - .actual_access:  read_only
        .address_space:  global
        .offset:         48
        .size:           8
        .value_kind:     global_buffer
      - .offset:         56
        .size:           4
        .value_kind:     by_value
      - .actual_access:  read_only
        .address_space:  global
        .offset:         64
        .size:           8
        .value_kind:     global_buffer
      - .offset:         72
        .size:           4
        .value_kind:     by_value
      - .offset:         76
        .size:           4
        .value_kind:     by_value
      - .offset:         80
        .size:           4
        .value_kind:     by_value
      - .actual_access:  read_only
        .address_space:  global
        .offset:         88
        .size:           8
        .value_kind:     global_buffer
      - .actual_access:  read_only
        .address_space:  global
        .offset:         96
        .size:           8
        .value_kind:     global_buffer
      - .actual_access:  read_only
        .address_space:  global
        .offset:         104
        .size:           8
        .value_kind:     global_buffer
      - .actual_access:  read_only
        .address_space:  global
        .offset:         112
        .size:           8
        .value_kind:     global_buffer
      - .offset:         120
        .size:           4
        .value_kind:     by_value
      - .address_space:  global
        .offset:         128
        .size:           8
        .value_kind:     global_buffer
      - .address_space:  global
        .offset:         136
        .size:           8
        .value_kind:     global_buffer
      - .offset:         144
        .size:           4
        .value_kind:     hidden_block_count_x
      - .offset:         148
        .size:           4
        .value_kind:     hidden_block_count_y
      - .offset:         152
        .size:           4
        .value_kind:     hidden_block_count_z
      - .offset:         156
        .size:           2
        .value_kind:     hidden_group_size_x
      - .offset:         158
        .size:           2
        .value_kind:     hidden_group_size_y
      - .offset:         160
        .size:           2
        .value_kind:     hidden_group_size_z
      - .offset:         162
        .size:           2
        .value_kind:     hidden_remainder_x
      - .offset:         164
        .size:           2
        .value_kind:     hidden_remainder_y
      - .offset:         166
        .size:           2
        .value_kind:     hidden_remainder_z
      - .offset:         184
        .size:           8
        .value_kind:     hidden_global_offset_x
      - .offset:         192
        .size:           8
        .value_kind:     hidden_global_offset_y
      - .offset:         200
        .size:           8
        .value_kind:     hidden_global_offset_z
      - .offset:         208
        .size:           2
        .value_kind:     hidden_grid_dims
      - .offset:         224
        .size:           8
        .value_kind:     hidden_hostcall_buffer
    .group_segment_fixed_size: 0
    .kernarg_segment_align: 8
    .kernarg_segment_size: 400
    .language:       OpenCL C
    .language_version:
      - 2
      - 0
    .max_flat_workgroup_size: 256
    .name:           _Z38paged_attention_ll4mi_QKV_mfma4_kernelI14__hip_bfloat16S0_LN4vllm18Fp8KVCacheDataTypeE0ES0_Li32ELi64ELi256ELb1ELi4EEvPKT_PKT0_S8_ifPKiSA_SA_iPKfiiiPfSD_PS3_PT2_iSC_SC_
    .private_segment_fixed_size: 64
    .sgpr_count:     36
    .sgpr_spill_count: 0
    .symbol:         _Z38paged_attention_ll4mi_QKV_mfma4_kernelI14__hip_bfloat16S0_LN4vllm18Fp8KVCacheDataTypeE0ES0_Li32ELi64ELi256ELb1ELi4EEvPKT_PKT0_S8_ifPKiSA_SA_iPKfiiiPfSD_PS3_PT2_iSC_SC_.kd
    .uniform_work_group_size: 1
    .uses_dynamic_stack: false
    .vgpr_count:     51
    .vgpr_spill_count: 0
    .wavefront_size: 32
  - .args:
      - .actual_access:  read_only
        .address_space:  global
        .offset:         0
        .size:           8
        .value_kind:     global_buffer
      - .actual_access:  read_only
        .address_space:  global
        .offset:         8
        .size:           8
        .value_kind:     global_buffer
      - .actual_access:  read_only
        .address_space:  global
        .offset:         16
        .size:           8
        .value_kind:     global_buffer
      - .offset:         24
        .size:           4
        .value_kind:     by_value
      - .offset:         28
        .size:           4
        .value_kind:     by_value
      - .actual_access:  read_only
        .address_space:  global
        .offset:         32
        .size:           8
        .value_kind:     global_buffer
      - .actual_access:  read_only
        .address_space:  global
        .offset:         40
        .size:           8
        .value_kind:     global_buffer
      - .actual_access:  read_only
        .address_space:  global
        .offset:         48
        .size:           8
        .value_kind:     global_buffer
      - .offset:         56
        .size:           4
        .value_kind:     by_value
      - .actual_access:  read_only
        .address_space:  global
        .offset:         64
        .size:           8
        .value_kind:     global_buffer
      - .offset:         72
        .size:           4
        .value_kind:     by_value
      - .offset:         76
        .size:           4
        .value_kind:     by_value
      - .offset:         80
        .size:           4
        .value_kind:     by_value
      - .actual_access:  read_only
        .address_space:  global
        .offset:         88
        .size:           8
        .value_kind:     global_buffer
      - .actual_access:  read_only
        .address_space:  global
        .offset:         96
        .size:           8
        .value_kind:     global_buffer
      - .actual_access:  read_only
        .address_space:  global
        .offset:         104
        .size:           8
        .value_kind:     global_buffer
      - .actual_access:  read_only
        .address_space:  global
        .offset:         112
        .size:           8
        .value_kind:     global_buffer
      - .offset:         120
        .size:           4
        .value_kind:     by_value
      - .address_space:  global
        .offset:         128
        .size:           8
        .value_kind:     global_buffer
      - .address_space:  global
        .offset:         136
        .size:           8
        .value_kind:     global_buffer
      - .offset:         144
        .size:           4
        .value_kind:     hidden_block_count_x
      - .offset:         148
        .size:           4
        .value_kind:     hidden_block_count_y
      - .offset:         152
        .size:           4
        .value_kind:     hidden_block_count_z
      - .offset:         156
        .size:           2
        .value_kind:     hidden_group_size_x
      - .offset:         158
        .size:           2
        .value_kind:     hidden_group_size_y
      - .offset:         160
        .size:           2
        .value_kind:     hidden_group_size_z
      - .offset:         162
        .size:           2
        .value_kind:     hidden_remainder_x
      - .offset:         164
        .size:           2
        .value_kind:     hidden_remainder_y
      - .offset:         166
        .size:           2
        .value_kind:     hidden_remainder_z
      - .offset:         184
        .size:           8
        .value_kind:     hidden_global_offset_x
      - .offset:         192
        .size:           8
        .value_kind:     hidden_global_offset_y
      - .offset:         200
        .size:           8
        .value_kind:     hidden_global_offset_z
      - .offset:         208
        .size:           2
        .value_kind:     hidden_grid_dims
      - .offset:         224
        .size:           8
        .value_kind:     hidden_hostcall_buffer
    .group_segment_fixed_size: 0
    .kernarg_segment_align: 8
    .kernarg_segment_size: 400
    .language:       OpenCL C
    .language_version:
      - 2
      - 0
    .max_flat_workgroup_size: 256
    .name:           _Z39paged_attention_ll4mi_QKV_mfma16_kernelI14__hip_bfloat16S0_LN4vllm18Fp8KVCacheDataTypeE0ES0_Li32ELi64ELi256ELb1ELi5EEvPKT_PKT0_S8_ifPKiSA_SA_iPKfiiiPfSD_PS3_PT2_iSC_SC_
    .private_segment_fixed_size: 64
    .sgpr_count:     36
    .sgpr_spill_count: 0
    .symbol:         _Z39paged_attention_ll4mi_QKV_mfma16_kernelI14__hip_bfloat16S0_LN4vllm18Fp8KVCacheDataTypeE0ES0_Li32ELi64ELi256ELb1ELi5EEvPKT_PKT0_S8_ifPKiSA_SA_iPKfiiiPfSD_PS3_PT2_iSC_SC_.kd
    .uniform_work_group_size: 1
    .uses_dynamic_stack: false
    .vgpr_count:     51
    .vgpr_spill_count: 0
    .wavefront_size: 32
  - .args:
      - .actual_access:  read_only
        .address_space:  global
        .offset:         0
        .size:           8
        .value_kind:     global_buffer
      - .actual_access:  read_only
        .address_space:  global
        .offset:         8
        .size:           8
        .value_kind:     global_buffer
      - .actual_access:  read_only
        .address_space:  global
        .offset:         16
        .size:           8
        .value_kind:     global_buffer
      - .offset:         24
        .size:           4
        .value_kind:     by_value
      - .offset:         28
        .size:           4
        .value_kind:     by_value
      - .actual_access:  read_only
        .address_space:  global
        .offset:         32
        .size:           8
        .value_kind:     global_buffer
      - .actual_access:  read_only
        .address_space:  global
        .offset:         40
        .size:           8
        .value_kind:     global_buffer
      - .actual_access:  read_only
        .address_space:  global
        .offset:         48
        .size:           8
        .value_kind:     global_buffer
      - .offset:         56
        .size:           4
        .value_kind:     by_value
      - .actual_access:  read_only
        .address_space:  global
        .offset:         64
        .size:           8
        .value_kind:     global_buffer
      - .offset:         72
        .size:           4
        .value_kind:     by_value
      - .offset:         76
        .size:           4
        .value_kind:     by_value
      - .offset:         80
        .size:           4
        .value_kind:     by_value
      - .actual_access:  read_only
        .address_space:  global
        .offset:         88
        .size:           8
        .value_kind:     global_buffer
      - .actual_access:  read_only
        .address_space:  global
        .offset:         96
        .size:           8
        .value_kind:     global_buffer
      - .actual_access:  read_only
        .address_space:  global
        .offset:         104
        .size:           8
        .value_kind:     global_buffer
      - .actual_access:  read_only
        .address_space:  global
        .offset:         112
        .size:           8
        .value_kind:     global_buffer
      - .offset:         120
        .size:           4
        .value_kind:     by_value
      - .address_space:  global
        .offset:         128
        .size:           8
        .value_kind:     global_buffer
      - .address_space:  global
        .offset:         136
        .size:           8
        .value_kind:     global_buffer
      - .offset:         144
        .size:           4
        .value_kind:     hidden_block_count_x
      - .offset:         148
        .size:           4
        .value_kind:     hidden_block_count_y
      - .offset:         152
        .size:           4
        .value_kind:     hidden_block_count_z
      - .offset:         156
        .size:           2
        .value_kind:     hidden_group_size_x
      - .offset:         158
        .size:           2
        .value_kind:     hidden_group_size_y
      - .offset:         160
        .size:           2
        .value_kind:     hidden_group_size_z
      - .offset:         162
        .size:           2
        .value_kind:     hidden_remainder_x
      - .offset:         164
        .size:           2
        .value_kind:     hidden_remainder_y
      - .offset:         166
        .size:           2
        .value_kind:     hidden_remainder_z
      - .offset:         184
        .size:           8
        .value_kind:     hidden_global_offset_x
      - .offset:         192
        .size:           8
        .value_kind:     hidden_global_offset_y
      - .offset:         200
        .size:           8
        .value_kind:     hidden_global_offset_z
      - .offset:         208
        .size:           2
        .value_kind:     hidden_grid_dims
      - .offset:         224
        .size:           8
        .value_kind:     hidden_hostcall_buffer
    .group_segment_fixed_size: 0
    .kernarg_segment_align: 8
    .kernarg_segment_size: 400
    .language:       OpenCL C
    .language_version:
      - 2
      - 0
    .max_flat_workgroup_size: 256
    .name:           _Z39paged_attention_ll4mi_QKV_mfma16_kernelI14__hip_bfloat16S0_LN4vllm18Fp8KVCacheDataTypeE0ES0_Li32ELi64ELi256ELb1ELi6EEvPKT_PKT0_S8_ifPKiSA_SA_iPKfiiiPfSD_PS3_PT2_iSC_SC_
    .private_segment_fixed_size: 64
    .sgpr_count:     36
    .sgpr_spill_count: 0
    .symbol:         _Z39paged_attention_ll4mi_QKV_mfma16_kernelI14__hip_bfloat16S0_LN4vllm18Fp8KVCacheDataTypeE0ES0_Li32ELi64ELi256ELb1ELi6EEvPKT_PKT0_S8_ifPKiSA_SA_iPKfiiiPfSD_PS3_PT2_iSC_SC_.kd
    .uniform_work_group_size: 1
    .uses_dynamic_stack: false
    .vgpr_count:     51
    .vgpr_spill_count: 0
    .wavefront_size: 32
  - .args:
      - .actual_access:  read_only
        .address_space:  global
        .offset:         0
        .size:           8
        .value_kind:     global_buffer
      - .actual_access:  read_only
        .address_space:  global
        .offset:         8
        .size:           8
        .value_kind:     global_buffer
      - .actual_access:  read_only
        .address_space:  global
        .offset:         16
        .size:           8
        .value_kind:     global_buffer
      - .offset:         24
        .size:           4
        .value_kind:     by_value
      - .offset:         28
        .size:           4
        .value_kind:     by_value
      - .actual_access:  read_only
        .address_space:  global
        .offset:         32
        .size:           8
        .value_kind:     global_buffer
      - .actual_access:  read_only
        .address_space:  global
        .offset:         40
        .size:           8
        .value_kind:     global_buffer
      - .actual_access:  read_only
        .address_space:  global
        .offset:         48
        .size:           8
        .value_kind:     global_buffer
      - .offset:         56
        .size:           4
        .value_kind:     by_value
      - .actual_access:  read_only
        .address_space:  global
        .offset:         64
        .size:           8
        .value_kind:     global_buffer
      - .offset:         72
        .size:           4
        .value_kind:     by_value
      - .offset:         76
        .size:           4
        .value_kind:     by_value
      - .offset:         80
        .size:           4
        .value_kind:     by_value
      - .actual_access:  read_only
        .address_space:  global
        .offset:         88
        .size:           8
        .value_kind:     global_buffer
      - .actual_access:  read_only
        .address_space:  global
        .offset:         96
        .size:           8
        .value_kind:     global_buffer
      - .actual_access:  read_only
        .address_space:  global
        .offset:         104
        .size:           8
        .value_kind:     global_buffer
      - .actual_access:  read_only
        .address_space:  global
        .offset:         112
        .size:           8
        .value_kind:     global_buffer
      - .offset:         120
        .size:           4
        .value_kind:     by_value
      - .address_space:  global
        .offset:         128
        .size:           8
        .value_kind:     global_buffer
      - .address_space:  global
        .offset:         136
        .size:           8
        .value_kind:     global_buffer
      - .offset:         144
        .size:           4
        .value_kind:     hidden_block_count_x
      - .offset:         148
        .size:           4
        .value_kind:     hidden_block_count_y
      - .offset:         152
        .size:           4
        .value_kind:     hidden_block_count_z
      - .offset:         156
        .size:           2
        .value_kind:     hidden_group_size_x
      - .offset:         158
        .size:           2
        .value_kind:     hidden_group_size_y
      - .offset:         160
        .size:           2
        .value_kind:     hidden_group_size_z
      - .offset:         162
        .size:           2
        .value_kind:     hidden_remainder_x
      - .offset:         164
        .size:           2
        .value_kind:     hidden_remainder_y
      - .offset:         166
        .size:           2
        .value_kind:     hidden_remainder_z
      - .offset:         184
        .size:           8
        .value_kind:     hidden_global_offset_x
      - .offset:         192
        .size:           8
        .value_kind:     hidden_global_offset_y
      - .offset:         200
        .size:           8
        .value_kind:     hidden_global_offset_z
      - .offset:         208
        .size:           2
        .value_kind:     hidden_grid_dims
      - .offset:         224
        .size:           8
        .value_kind:     hidden_hostcall_buffer
    .group_segment_fixed_size: 0
    .kernarg_segment_align: 8
    .kernarg_segment_size: 400
    .language:       OpenCL C
    .language_version:
      - 2
      - 0
    .max_flat_workgroup_size: 256
    .name:           _Z39paged_attention_ll4mi_QKV_mfma16_kernelI14__hip_bfloat16S0_LN4vllm18Fp8KVCacheDataTypeE0ES0_Li32ELi64ELi256ELb1ELi7EEvPKT_PKT0_S8_ifPKiSA_SA_iPKfiiiPfSD_PS3_PT2_iSC_SC_
    .private_segment_fixed_size: 64
    .sgpr_count:     36
    .sgpr_spill_count: 0
    .symbol:         _Z39paged_attention_ll4mi_QKV_mfma16_kernelI14__hip_bfloat16S0_LN4vllm18Fp8KVCacheDataTypeE0ES0_Li32ELi64ELi256ELb1ELi7EEvPKT_PKT0_S8_ifPKiSA_SA_iPKfiiiPfSD_PS3_PT2_iSC_SC_.kd
    .uniform_work_group_size: 1
    .uses_dynamic_stack: false
    .vgpr_count:     51
    .vgpr_spill_count: 0
    .wavefront_size: 32
  - .args:
      - .actual_access:  read_only
        .address_space:  global
        .offset:         0
        .size:           8
        .value_kind:     global_buffer
      - .actual_access:  read_only
        .address_space:  global
        .offset:         8
        .size:           8
        .value_kind:     global_buffer
      - .actual_access:  read_only
        .address_space:  global
        .offset:         16
        .size:           8
        .value_kind:     global_buffer
      - .offset:         24
        .size:           4
        .value_kind:     by_value
      - .offset:         28
        .size:           4
        .value_kind:     by_value
      - .actual_access:  read_only
        .address_space:  global
        .offset:         32
        .size:           8
        .value_kind:     global_buffer
      - .actual_access:  read_only
        .address_space:  global
        .offset:         40
        .size:           8
        .value_kind:     global_buffer
      - .actual_access:  read_only
        .address_space:  global
        .offset:         48
        .size:           8
        .value_kind:     global_buffer
      - .offset:         56
        .size:           4
        .value_kind:     by_value
      - .actual_access:  read_only
        .address_space:  global
        .offset:         64
        .size:           8
        .value_kind:     global_buffer
      - .offset:         72
        .size:           4
        .value_kind:     by_value
      - .offset:         76
        .size:           4
        .value_kind:     by_value
      - .offset:         80
        .size:           4
        .value_kind:     by_value
      - .actual_access:  read_only
        .address_space:  global
        .offset:         88
        .size:           8
        .value_kind:     global_buffer
      - .actual_access:  read_only
        .address_space:  global
        .offset:         96
        .size:           8
        .value_kind:     global_buffer
      - .actual_access:  read_only
        .address_space:  global
        .offset:         104
        .size:           8
        .value_kind:     global_buffer
      - .actual_access:  read_only
        .address_space:  global
        .offset:         112
        .size:           8
        .value_kind:     global_buffer
      - .offset:         120
        .size:           4
        .value_kind:     by_value
      - .address_space:  global
        .offset:         128
        .size:           8
        .value_kind:     global_buffer
      - .address_space:  global
        .offset:         136
        .size:           8
        .value_kind:     global_buffer
      - .offset:         144
        .size:           4
        .value_kind:     hidden_block_count_x
      - .offset:         148
        .size:           4
        .value_kind:     hidden_block_count_y
      - .offset:         152
        .size:           4
        .value_kind:     hidden_block_count_z
      - .offset:         156
        .size:           2
        .value_kind:     hidden_group_size_x
      - .offset:         158
        .size:           2
        .value_kind:     hidden_group_size_y
      - .offset:         160
        .size:           2
        .value_kind:     hidden_group_size_z
      - .offset:         162
        .size:           2
        .value_kind:     hidden_remainder_x
      - .offset:         164
        .size:           2
        .value_kind:     hidden_remainder_y
      - .offset:         166
        .size:           2
        .value_kind:     hidden_remainder_z
      - .offset:         184
        .size:           8
        .value_kind:     hidden_global_offset_x
      - .offset:         192
        .size:           8
        .value_kind:     hidden_global_offset_y
      - .offset:         200
        .size:           8
        .value_kind:     hidden_global_offset_z
      - .offset:         208
        .size:           2
        .value_kind:     hidden_grid_dims
      - .offset:         224
        .size:           8
        .value_kind:     hidden_hostcall_buffer
    .group_segment_fixed_size: 0
    .kernarg_segment_align: 8
    .kernarg_segment_size: 400
    .language:       OpenCL C
    .language_version:
      - 2
      - 0
    .max_flat_workgroup_size: 256
    .name:           _Z39paged_attention_ll4mi_QKV_mfma16_kernelI14__hip_bfloat16S0_LN4vllm18Fp8KVCacheDataTypeE0ES0_Li32ELi64ELi256ELb1ELi8EEvPKT_PKT0_S8_ifPKiSA_SA_iPKfiiiPfSD_PS3_PT2_iSC_SC_
    .private_segment_fixed_size: 64
    .sgpr_count:     36
    .sgpr_spill_count: 0
    .symbol:         _Z39paged_attention_ll4mi_QKV_mfma16_kernelI14__hip_bfloat16S0_LN4vllm18Fp8KVCacheDataTypeE0ES0_Li32ELi64ELi256ELb1ELi8EEvPKT_PKT0_S8_ifPKiSA_SA_iPKfiiiPfSD_PS3_PT2_iSC_SC_.kd
    .uniform_work_group_size: 1
    .uses_dynamic_stack: false
    .vgpr_count:     51
    .vgpr_spill_count: 0
    .wavefront_size: 32
  - .args:
      - .actual_access:  read_only
        .address_space:  global
        .offset:         0
        .size:           8
        .value_kind:     global_buffer
      - .actual_access:  read_only
        .address_space:  global
        .offset:         8
        .size:           8
        .value_kind:     global_buffer
      - .actual_access:  read_only
        .address_space:  global
        .offset:         16
        .size:           8
        .value_kind:     global_buffer
      - .offset:         24
        .size:           4
        .value_kind:     by_value
      - .offset:         28
        .size:           4
        .value_kind:     by_value
      - .actual_access:  read_only
        .address_space:  global
        .offset:         32
        .size:           8
        .value_kind:     global_buffer
      - .actual_access:  read_only
        .address_space:  global
        .offset:         40
        .size:           8
        .value_kind:     global_buffer
      - .actual_access:  read_only
        .address_space:  global
        .offset:         48
        .size:           8
        .value_kind:     global_buffer
      - .offset:         56
        .size:           4
        .value_kind:     by_value
      - .actual_access:  read_only
        .address_space:  global
        .offset:         64
        .size:           8
        .value_kind:     global_buffer
      - .offset:         72
        .size:           4
        .value_kind:     by_value
      - .offset:         76
        .size:           4
        .value_kind:     by_value
      - .offset:         80
        .size:           4
        .value_kind:     by_value
      - .actual_access:  read_only
        .address_space:  global
        .offset:         88
        .size:           8
        .value_kind:     global_buffer
      - .actual_access:  read_only
        .address_space:  global
        .offset:         96
        .size:           8
        .value_kind:     global_buffer
      - .actual_access:  read_only
        .address_space:  global
        .offset:         104
        .size:           8
        .value_kind:     global_buffer
      - .actual_access:  read_only
        .address_space:  global
        .offset:         112
        .size:           8
        .value_kind:     global_buffer
      - .offset:         120
        .size:           4
        .value_kind:     by_value
      - .address_space:  global
        .offset:         128
        .size:           8
        .value_kind:     global_buffer
      - .address_space:  global
        .offset:         136
        .size:           8
        .value_kind:     global_buffer
      - .offset:         144
        .size:           4
        .value_kind:     hidden_block_count_x
      - .offset:         148
        .size:           4
        .value_kind:     hidden_block_count_y
      - .offset:         152
        .size:           4
        .value_kind:     hidden_block_count_z
      - .offset:         156
        .size:           2
        .value_kind:     hidden_group_size_x
      - .offset:         158
        .size:           2
        .value_kind:     hidden_group_size_y
      - .offset:         160
        .size:           2
        .value_kind:     hidden_group_size_z
      - .offset:         162
        .size:           2
        .value_kind:     hidden_remainder_x
      - .offset:         164
        .size:           2
        .value_kind:     hidden_remainder_y
      - .offset:         166
        .size:           2
        .value_kind:     hidden_remainder_z
      - .offset:         184
        .size:           8
        .value_kind:     hidden_global_offset_x
      - .offset:         192
        .size:           8
        .value_kind:     hidden_global_offset_y
      - .offset:         200
        .size:           8
        .value_kind:     hidden_global_offset_z
      - .offset:         208
        .size:           2
        .value_kind:     hidden_grid_dims
      - .offset:         224
        .size:           8
        .value_kind:     hidden_hostcall_buffer
    .group_segment_fixed_size: 0
    .kernarg_segment_align: 8
    .kernarg_segment_size: 400
    .language:       OpenCL C
    .language_version:
      - 2
      - 0
    .max_flat_workgroup_size: 256
    .name:           _Z39paged_attention_ll4mi_QKV_mfma16_kernelI14__hip_bfloat16S0_LN4vllm18Fp8KVCacheDataTypeE0ES0_Li32ELi64ELi256ELb1ELi9EEvPKT_PKT0_S8_ifPKiSA_SA_iPKfiiiPfSD_PS3_PT2_iSC_SC_
    .private_segment_fixed_size: 64
    .sgpr_count:     36
    .sgpr_spill_count: 0
    .symbol:         _Z39paged_attention_ll4mi_QKV_mfma16_kernelI14__hip_bfloat16S0_LN4vllm18Fp8KVCacheDataTypeE0ES0_Li32ELi64ELi256ELb1ELi9EEvPKT_PKT0_S8_ifPKiSA_SA_iPKfiiiPfSD_PS3_PT2_iSC_SC_.kd
    .uniform_work_group_size: 1
    .uses_dynamic_stack: false
    .vgpr_count:     51
    .vgpr_spill_count: 0
    .wavefront_size: 32
  - .args:
      - .actual_access:  read_only
        .address_space:  global
        .offset:         0
        .size:           8
        .value_kind:     global_buffer
      - .actual_access:  read_only
        .address_space:  global
        .offset:         8
        .size:           8
        .value_kind:     global_buffer
      - .actual_access:  read_only
        .address_space:  global
        .offset:         16
        .size:           8
        .value_kind:     global_buffer
      - .offset:         24
        .size:           4
        .value_kind:     by_value
      - .offset:         28
        .size:           4
        .value_kind:     by_value
      - .actual_access:  read_only
        .address_space:  global
        .offset:         32
        .size:           8
        .value_kind:     global_buffer
      - .actual_access:  read_only
        .address_space:  global
        .offset:         40
        .size:           8
        .value_kind:     global_buffer
      - .actual_access:  read_only
        .address_space:  global
        .offset:         48
        .size:           8
        .value_kind:     global_buffer
      - .offset:         56
        .size:           4
        .value_kind:     by_value
      - .actual_access:  read_only
        .address_space:  global
        .offset:         64
        .size:           8
        .value_kind:     global_buffer
      - .offset:         72
        .size:           4
        .value_kind:     by_value
      - .offset:         76
        .size:           4
        .value_kind:     by_value
      - .offset:         80
        .size:           4
        .value_kind:     by_value
      - .actual_access:  read_only
        .address_space:  global
        .offset:         88
        .size:           8
        .value_kind:     global_buffer
      - .actual_access:  read_only
        .address_space:  global
        .offset:         96
        .size:           8
        .value_kind:     global_buffer
      - .actual_access:  read_only
        .address_space:  global
        .offset:         104
        .size:           8
        .value_kind:     global_buffer
      - .actual_access:  read_only
        .address_space:  global
        .offset:         112
        .size:           8
        .value_kind:     global_buffer
      - .offset:         120
        .size:           4
        .value_kind:     by_value
      - .address_space:  global
        .offset:         128
        .size:           8
        .value_kind:     global_buffer
      - .address_space:  global
        .offset:         136
        .size:           8
        .value_kind:     global_buffer
      - .offset:         144
        .size:           4
        .value_kind:     hidden_block_count_x
      - .offset:         148
        .size:           4
        .value_kind:     hidden_block_count_y
      - .offset:         152
        .size:           4
        .value_kind:     hidden_block_count_z
      - .offset:         156
        .size:           2
        .value_kind:     hidden_group_size_x
      - .offset:         158
        .size:           2
        .value_kind:     hidden_group_size_y
      - .offset:         160
        .size:           2
        .value_kind:     hidden_group_size_z
      - .offset:         162
        .size:           2
        .value_kind:     hidden_remainder_x
      - .offset:         164
        .size:           2
        .value_kind:     hidden_remainder_y
      - .offset:         166
        .size:           2
        .value_kind:     hidden_remainder_z
      - .offset:         184
        .size:           8
        .value_kind:     hidden_global_offset_x
      - .offset:         192
        .size:           8
        .value_kind:     hidden_global_offset_y
      - .offset:         200
        .size:           8
        .value_kind:     hidden_global_offset_z
      - .offset:         208
        .size:           2
        .value_kind:     hidden_grid_dims
      - .offset:         224
        .size:           8
        .value_kind:     hidden_hostcall_buffer
    .group_segment_fixed_size: 0
    .kernarg_segment_align: 8
    .kernarg_segment_size: 400
    .language:       OpenCL C
    .language_version:
      - 2
      - 0
    .max_flat_workgroup_size: 256
    .name:           _Z39paged_attention_ll4mi_QKV_mfma16_kernelI14__hip_bfloat16S0_LN4vllm18Fp8KVCacheDataTypeE0ES0_Li32ELi64ELi256ELb1ELi10EEvPKT_PKT0_S8_ifPKiSA_SA_iPKfiiiPfSD_PS3_PT2_iSC_SC_
    .private_segment_fixed_size: 64
    .sgpr_count:     36
    .sgpr_spill_count: 0
    .symbol:         _Z39paged_attention_ll4mi_QKV_mfma16_kernelI14__hip_bfloat16S0_LN4vllm18Fp8KVCacheDataTypeE0ES0_Li32ELi64ELi256ELb1ELi10EEvPKT_PKT0_S8_ifPKiSA_SA_iPKfiiiPfSD_PS3_PT2_iSC_SC_.kd
    .uniform_work_group_size: 1
    .uses_dynamic_stack: false
    .vgpr_count:     51
    .vgpr_spill_count: 0
    .wavefront_size: 32
  - .args:
      - .actual_access:  read_only
        .address_space:  global
        .offset:         0
        .size:           8
        .value_kind:     global_buffer
      - .actual_access:  read_only
        .address_space:  global
        .offset:         8
        .size:           8
        .value_kind:     global_buffer
      - .actual_access:  read_only
        .address_space:  global
        .offset:         16
        .size:           8
        .value_kind:     global_buffer
      - .offset:         24
        .size:           4
        .value_kind:     by_value
      - .offset:         28
        .size:           4
        .value_kind:     by_value
      - .actual_access:  read_only
        .address_space:  global
        .offset:         32
        .size:           8
        .value_kind:     global_buffer
      - .actual_access:  read_only
        .address_space:  global
        .offset:         40
        .size:           8
        .value_kind:     global_buffer
      - .actual_access:  read_only
        .address_space:  global
        .offset:         48
        .size:           8
        .value_kind:     global_buffer
      - .offset:         56
        .size:           4
        .value_kind:     by_value
      - .actual_access:  read_only
        .address_space:  global
        .offset:         64
        .size:           8
        .value_kind:     global_buffer
      - .offset:         72
        .size:           4
        .value_kind:     by_value
      - .offset:         76
        .size:           4
        .value_kind:     by_value
      - .offset:         80
        .size:           4
        .value_kind:     by_value
      - .actual_access:  read_only
        .address_space:  global
        .offset:         88
        .size:           8
        .value_kind:     global_buffer
      - .actual_access:  read_only
        .address_space:  global
        .offset:         96
        .size:           8
        .value_kind:     global_buffer
      - .actual_access:  read_only
        .address_space:  global
        .offset:         104
        .size:           8
        .value_kind:     global_buffer
      - .actual_access:  read_only
        .address_space:  global
        .offset:         112
        .size:           8
        .value_kind:     global_buffer
      - .offset:         120
        .size:           4
        .value_kind:     by_value
      - .address_space:  global
        .offset:         128
        .size:           8
        .value_kind:     global_buffer
      - .address_space:  global
        .offset:         136
        .size:           8
        .value_kind:     global_buffer
      - .offset:         144
        .size:           4
        .value_kind:     hidden_block_count_x
      - .offset:         148
        .size:           4
        .value_kind:     hidden_block_count_y
      - .offset:         152
        .size:           4
        .value_kind:     hidden_block_count_z
      - .offset:         156
        .size:           2
        .value_kind:     hidden_group_size_x
      - .offset:         158
        .size:           2
        .value_kind:     hidden_group_size_y
      - .offset:         160
        .size:           2
        .value_kind:     hidden_group_size_z
      - .offset:         162
        .size:           2
        .value_kind:     hidden_remainder_x
      - .offset:         164
        .size:           2
        .value_kind:     hidden_remainder_y
      - .offset:         166
        .size:           2
        .value_kind:     hidden_remainder_z
      - .offset:         184
        .size:           8
        .value_kind:     hidden_global_offset_x
      - .offset:         192
        .size:           8
        .value_kind:     hidden_global_offset_y
      - .offset:         200
        .size:           8
        .value_kind:     hidden_global_offset_z
      - .offset:         208
        .size:           2
        .value_kind:     hidden_grid_dims
      - .offset:         224
        .size:           8
        .value_kind:     hidden_hostcall_buffer
    .group_segment_fixed_size: 0
    .kernarg_segment_align: 8
    .kernarg_segment_size: 400
    .language:       OpenCL C
    .language_version:
      - 2
      - 0
    .max_flat_workgroup_size: 256
    .name:           _Z39paged_attention_ll4mi_QKV_mfma16_kernelI14__hip_bfloat16S0_LN4vllm18Fp8KVCacheDataTypeE0ES0_Li32ELi64ELi256ELb1ELi11EEvPKT_PKT0_S8_ifPKiSA_SA_iPKfiiiPfSD_PS3_PT2_iSC_SC_
    .private_segment_fixed_size: 64
    .sgpr_count:     36
    .sgpr_spill_count: 0
    .symbol:         _Z39paged_attention_ll4mi_QKV_mfma16_kernelI14__hip_bfloat16S0_LN4vllm18Fp8KVCacheDataTypeE0ES0_Li32ELi64ELi256ELb1ELi11EEvPKT_PKT0_S8_ifPKiSA_SA_iPKfiiiPfSD_PS3_PT2_iSC_SC_.kd
    .uniform_work_group_size: 1
    .uses_dynamic_stack: false
    .vgpr_count:     51
    .vgpr_spill_count: 0
    .wavefront_size: 32
  - .args:
      - .actual_access:  read_only
        .address_space:  global
        .offset:         0
        .size:           8
        .value_kind:     global_buffer
      - .actual_access:  read_only
        .address_space:  global
        .offset:         8
        .size:           8
        .value_kind:     global_buffer
      - .actual_access:  read_only
        .address_space:  global
        .offset:         16
        .size:           8
        .value_kind:     global_buffer
      - .offset:         24
        .size:           4
        .value_kind:     by_value
      - .offset:         28
        .size:           4
        .value_kind:     by_value
      - .actual_access:  read_only
        .address_space:  global
        .offset:         32
        .size:           8
        .value_kind:     global_buffer
      - .actual_access:  read_only
        .address_space:  global
        .offset:         40
        .size:           8
        .value_kind:     global_buffer
      - .actual_access:  read_only
        .address_space:  global
        .offset:         48
        .size:           8
        .value_kind:     global_buffer
      - .offset:         56
        .size:           4
        .value_kind:     by_value
      - .actual_access:  read_only
        .address_space:  global
        .offset:         64
        .size:           8
        .value_kind:     global_buffer
      - .offset:         72
        .size:           4
        .value_kind:     by_value
      - .offset:         76
        .size:           4
        .value_kind:     by_value
      - .offset:         80
        .size:           4
        .value_kind:     by_value
      - .actual_access:  read_only
        .address_space:  global
        .offset:         88
        .size:           8
        .value_kind:     global_buffer
      - .actual_access:  read_only
        .address_space:  global
        .offset:         96
        .size:           8
        .value_kind:     global_buffer
      - .actual_access:  read_only
        .address_space:  global
        .offset:         104
        .size:           8
        .value_kind:     global_buffer
      - .actual_access:  read_only
        .address_space:  global
        .offset:         112
        .size:           8
        .value_kind:     global_buffer
      - .offset:         120
        .size:           4
        .value_kind:     by_value
      - .address_space:  global
        .offset:         128
        .size:           8
        .value_kind:     global_buffer
      - .address_space:  global
        .offset:         136
        .size:           8
        .value_kind:     global_buffer
      - .offset:         144
        .size:           4
        .value_kind:     hidden_block_count_x
      - .offset:         148
        .size:           4
        .value_kind:     hidden_block_count_y
      - .offset:         152
        .size:           4
        .value_kind:     hidden_block_count_z
      - .offset:         156
        .size:           2
        .value_kind:     hidden_group_size_x
      - .offset:         158
        .size:           2
        .value_kind:     hidden_group_size_y
      - .offset:         160
        .size:           2
        .value_kind:     hidden_group_size_z
      - .offset:         162
        .size:           2
        .value_kind:     hidden_remainder_x
      - .offset:         164
        .size:           2
        .value_kind:     hidden_remainder_y
      - .offset:         166
        .size:           2
        .value_kind:     hidden_remainder_z
      - .offset:         184
        .size:           8
        .value_kind:     hidden_global_offset_x
      - .offset:         192
        .size:           8
        .value_kind:     hidden_global_offset_y
      - .offset:         200
        .size:           8
        .value_kind:     hidden_global_offset_z
      - .offset:         208
        .size:           2
        .value_kind:     hidden_grid_dims
      - .offset:         224
        .size:           8
        .value_kind:     hidden_hostcall_buffer
    .group_segment_fixed_size: 0
    .kernarg_segment_align: 8
    .kernarg_segment_size: 400
    .language:       OpenCL C
    .language_version:
      - 2
      - 0
    .max_flat_workgroup_size: 256
    .name:           _Z39paged_attention_ll4mi_QKV_mfma16_kernelI14__hip_bfloat16S0_LN4vllm18Fp8KVCacheDataTypeE0ES0_Li32ELi64ELi256ELb1ELi12EEvPKT_PKT0_S8_ifPKiSA_SA_iPKfiiiPfSD_PS3_PT2_iSC_SC_
    .private_segment_fixed_size: 64
    .sgpr_count:     36
    .sgpr_spill_count: 0
    .symbol:         _Z39paged_attention_ll4mi_QKV_mfma16_kernelI14__hip_bfloat16S0_LN4vllm18Fp8KVCacheDataTypeE0ES0_Li32ELi64ELi256ELb1ELi12EEvPKT_PKT0_S8_ifPKiSA_SA_iPKfiiiPfSD_PS3_PT2_iSC_SC_.kd
    .uniform_work_group_size: 1
    .uses_dynamic_stack: false
    .vgpr_count:     51
    .vgpr_spill_count: 0
    .wavefront_size: 32
  - .args:
      - .actual_access:  read_only
        .address_space:  global
        .offset:         0
        .size:           8
        .value_kind:     global_buffer
      - .actual_access:  read_only
        .address_space:  global
        .offset:         8
        .size:           8
        .value_kind:     global_buffer
      - .actual_access:  read_only
        .address_space:  global
        .offset:         16
        .size:           8
        .value_kind:     global_buffer
      - .offset:         24
        .size:           4
        .value_kind:     by_value
      - .offset:         28
        .size:           4
        .value_kind:     by_value
      - .actual_access:  read_only
        .address_space:  global
        .offset:         32
        .size:           8
        .value_kind:     global_buffer
      - .actual_access:  read_only
        .address_space:  global
        .offset:         40
        .size:           8
        .value_kind:     global_buffer
      - .actual_access:  read_only
        .address_space:  global
        .offset:         48
        .size:           8
        .value_kind:     global_buffer
      - .offset:         56
        .size:           4
        .value_kind:     by_value
      - .actual_access:  read_only
        .address_space:  global
        .offset:         64
        .size:           8
        .value_kind:     global_buffer
      - .offset:         72
        .size:           4
        .value_kind:     by_value
      - .offset:         76
        .size:           4
        .value_kind:     by_value
      - .offset:         80
        .size:           4
        .value_kind:     by_value
      - .actual_access:  read_only
        .address_space:  global
        .offset:         88
        .size:           8
        .value_kind:     global_buffer
      - .actual_access:  read_only
        .address_space:  global
        .offset:         96
        .size:           8
        .value_kind:     global_buffer
      - .actual_access:  read_only
        .address_space:  global
        .offset:         104
        .size:           8
        .value_kind:     global_buffer
      - .actual_access:  read_only
        .address_space:  global
        .offset:         112
        .size:           8
        .value_kind:     global_buffer
      - .offset:         120
        .size:           4
        .value_kind:     by_value
      - .address_space:  global
        .offset:         128
        .size:           8
        .value_kind:     global_buffer
      - .address_space:  global
        .offset:         136
        .size:           8
        .value_kind:     global_buffer
      - .offset:         144
        .size:           4
        .value_kind:     hidden_block_count_x
      - .offset:         148
        .size:           4
        .value_kind:     hidden_block_count_y
      - .offset:         152
        .size:           4
        .value_kind:     hidden_block_count_z
      - .offset:         156
        .size:           2
        .value_kind:     hidden_group_size_x
      - .offset:         158
        .size:           2
        .value_kind:     hidden_group_size_y
      - .offset:         160
        .size:           2
        .value_kind:     hidden_group_size_z
      - .offset:         162
        .size:           2
        .value_kind:     hidden_remainder_x
      - .offset:         164
        .size:           2
        .value_kind:     hidden_remainder_y
      - .offset:         166
        .size:           2
        .value_kind:     hidden_remainder_z
      - .offset:         184
        .size:           8
        .value_kind:     hidden_global_offset_x
      - .offset:         192
        .size:           8
        .value_kind:     hidden_global_offset_y
      - .offset:         200
        .size:           8
        .value_kind:     hidden_global_offset_z
      - .offset:         208
        .size:           2
        .value_kind:     hidden_grid_dims
      - .offset:         224
        .size:           8
        .value_kind:     hidden_hostcall_buffer
    .group_segment_fixed_size: 0
    .kernarg_segment_align: 8
    .kernarg_segment_size: 400
    .language:       OpenCL C
    .language_version:
      - 2
      - 0
    .max_flat_workgroup_size: 256
    .name:           _Z39paged_attention_ll4mi_QKV_mfma16_kernelI14__hip_bfloat16S0_LN4vllm18Fp8KVCacheDataTypeE0ES0_Li32ELi64ELi256ELb1ELi13EEvPKT_PKT0_S8_ifPKiSA_SA_iPKfiiiPfSD_PS3_PT2_iSC_SC_
    .private_segment_fixed_size: 64
    .sgpr_count:     36
    .sgpr_spill_count: 0
    .symbol:         _Z39paged_attention_ll4mi_QKV_mfma16_kernelI14__hip_bfloat16S0_LN4vllm18Fp8KVCacheDataTypeE0ES0_Li32ELi64ELi256ELb1ELi13EEvPKT_PKT0_S8_ifPKiSA_SA_iPKfiiiPfSD_PS3_PT2_iSC_SC_.kd
    .uniform_work_group_size: 1
    .uses_dynamic_stack: false
    .vgpr_count:     51
    .vgpr_spill_count: 0
    .wavefront_size: 32
  - .args:
      - .actual_access:  read_only
        .address_space:  global
        .offset:         0
        .size:           8
        .value_kind:     global_buffer
      - .actual_access:  read_only
        .address_space:  global
        .offset:         8
        .size:           8
        .value_kind:     global_buffer
      - .actual_access:  read_only
        .address_space:  global
        .offset:         16
        .size:           8
        .value_kind:     global_buffer
      - .offset:         24
        .size:           4
        .value_kind:     by_value
      - .offset:         28
        .size:           4
        .value_kind:     by_value
      - .actual_access:  read_only
        .address_space:  global
        .offset:         32
        .size:           8
        .value_kind:     global_buffer
      - .actual_access:  read_only
        .address_space:  global
        .offset:         40
        .size:           8
        .value_kind:     global_buffer
      - .actual_access:  read_only
        .address_space:  global
        .offset:         48
        .size:           8
        .value_kind:     global_buffer
      - .offset:         56
        .size:           4
        .value_kind:     by_value
      - .actual_access:  read_only
        .address_space:  global
        .offset:         64
        .size:           8
        .value_kind:     global_buffer
      - .offset:         72
        .size:           4
        .value_kind:     by_value
      - .offset:         76
        .size:           4
        .value_kind:     by_value
      - .offset:         80
        .size:           4
        .value_kind:     by_value
      - .actual_access:  read_only
        .address_space:  global
        .offset:         88
        .size:           8
        .value_kind:     global_buffer
      - .actual_access:  read_only
        .address_space:  global
        .offset:         96
        .size:           8
        .value_kind:     global_buffer
      - .actual_access:  read_only
        .address_space:  global
        .offset:         104
        .size:           8
        .value_kind:     global_buffer
      - .actual_access:  read_only
        .address_space:  global
        .offset:         112
        .size:           8
        .value_kind:     global_buffer
      - .offset:         120
        .size:           4
        .value_kind:     by_value
      - .address_space:  global
        .offset:         128
        .size:           8
        .value_kind:     global_buffer
      - .address_space:  global
        .offset:         136
        .size:           8
        .value_kind:     global_buffer
      - .offset:         144
        .size:           4
        .value_kind:     hidden_block_count_x
      - .offset:         148
        .size:           4
        .value_kind:     hidden_block_count_y
      - .offset:         152
        .size:           4
        .value_kind:     hidden_block_count_z
      - .offset:         156
        .size:           2
        .value_kind:     hidden_group_size_x
      - .offset:         158
        .size:           2
        .value_kind:     hidden_group_size_y
      - .offset:         160
        .size:           2
        .value_kind:     hidden_group_size_z
      - .offset:         162
        .size:           2
        .value_kind:     hidden_remainder_x
      - .offset:         164
        .size:           2
        .value_kind:     hidden_remainder_y
      - .offset:         166
        .size:           2
        .value_kind:     hidden_remainder_z
      - .offset:         184
        .size:           8
        .value_kind:     hidden_global_offset_x
      - .offset:         192
        .size:           8
        .value_kind:     hidden_global_offset_y
      - .offset:         200
        .size:           8
        .value_kind:     hidden_global_offset_z
      - .offset:         208
        .size:           2
        .value_kind:     hidden_grid_dims
      - .offset:         224
        .size:           8
        .value_kind:     hidden_hostcall_buffer
    .group_segment_fixed_size: 0
    .kernarg_segment_align: 8
    .kernarg_segment_size: 400
    .language:       OpenCL C
    .language_version:
      - 2
      - 0
    .max_flat_workgroup_size: 256
    .name:           _Z39paged_attention_ll4mi_QKV_mfma16_kernelI14__hip_bfloat16S0_LN4vllm18Fp8KVCacheDataTypeE0ES0_Li32ELi64ELi256ELb1ELi14EEvPKT_PKT0_S8_ifPKiSA_SA_iPKfiiiPfSD_PS3_PT2_iSC_SC_
    .private_segment_fixed_size: 64
    .sgpr_count:     36
    .sgpr_spill_count: 0
    .symbol:         _Z39paged_attention_ll4mi_QKV_mfma16_kernelI14__hip_bfloat16S0_LN4vllm18Fp8KVCacheDataTypeE0ES0_Li32ELi64ELi256ELb1ELi14EEvPKT_PKT0_S8_ifPKiSA_SA_iPKfiiiPfSD_PS3_PT2_iSC_SC_.kd
    .uniform_work_group_size: 1
    .uses_dynamic_stack: false
    .vgpr_count:     51
    .vgpr_spill_count: 0
    .wavefront_size: 32
  - .args:
      - .actual_access:  read_only
        .address_space:  global
        .offset:         0
        .size:           8
        .value_kind:     global_buffer
      - .actual_access:  read_only
        .address_space:  global
        .offset:         8
        .size:           8
        .value_kind:     global_buffer
      - .actual_access:  read_only
        .address_space:  global
        .offset:         16
        .size:           8
        .value_kind:     global_buffer
      - .offset:         24
        .size:           4
        .value_kind:     by_value
      - .offset:         28
        .size:           4
        .value_kind:     by_value
      - .actual_access:  read_only
        .address_space:  global
        .offset:         32
        .size:           8
        .value_kind:     global_buffer
      - .actual_access:  read_only
        .address_space:  global
        .offset:         40
        .size:           8
        .value_kind:     global_buffer
      - .actual_access:  read_only
        .address_space:  global
        .offset:         48
        .size:           8
        .value_kind:     global_buffer
      - .offset:         56
        .size:           4
        .value_kind:     by_value
      - .actual_access:  read_only
        .address_space:  global
        .offset:         64
        .size:           8
        .value_kind:     global_buffer
      - .offset:         72
        .size:           4
        .value_kind:     by_value
      - .offset:         76
        .size:           4
        .value_kind:     by_value
      - .offset:         80
        .size:           4
        .value_kind:     by_value
      - .actual_access:  read_only
        .address_space:  global
        .offset:         88
        .size:           8
        .value_kind:     global_buffer
      - .actual_access:  read_only
        .address_space:  global
        .offset:         96
        .size:           8
        .value_kind:     global_buffer
      - .actual_access:  read_only
        .address_space:  global
        .offset:         104
        .size:           8
        .value_kind:     global_buffer
      - .actual_access:  read_only
        .address_space:  global
        .offset:         112
        .size:           8
        .value_kind:     global_buffer
      - .offset:         120
        .size:           4
        .value_kind:     by_value
      - .address_space:  global
        .offset:         128
        .size:           8
        .value_kind:     global_buffer
      - .address_space:  global
        .offset:         136
        .size:           8
        .value_kind:     global_buffer
      - .offset:         144
        .size:           4
        .value_kind:     hidden_block_count_x
      - .offset:         148
        .size:           4
        .value_kind:     hidden_block_count_y
      - .offset:         152
        .size:           4
        .value_kind:     hidden_block_count_z
      - .offset:         156
        .size:           2
        .value_kind:     hidden_group_size_x
      - .offset:         158
        .size:           2
        .value_kind:     hidden_group_size_y
      - .offset:         160
        .size:           2
        .value_kind:     hidden_group_size_z
      - .offset:         162
        .size:           2
        .value_kind:     hidden_remainder_x
      - .offset:         164
        .size:           2
        .value_kind:     hidden_remainder_y
      - .offset:         166
        .size:           2
        .value_kind:     hidden_remainder_z
      - .offset:         184
        .size:           8
        .value_kind:     hidden_global_offset_x
      - .offset:         192
        .size:           8
        .value_kind:     hidden_global_offset_y
      - .offset:         200
        .size:           8
        .value_kind:     hidden_global_offset_z
      - .offset:         208
        .size:           2
        .value_kind:     hidden_grid_dims
      - .offset:         224
        .size:           8
        .value_kind:     hidden_hostcall_buffer
    .group_segment_fixed_size: 0
    .kernarg_segment_align: 8
    .kernarg_segment_size: 400
    .language:       OpenCL C
    .language_version:
      - 2
      - 0
    .max_flat_workgroup_size: 256
    .name:           _Z39paged_attention_ll4mi_QKV_mfma16_kernelI14__hip_bfloat16S0_LN4vllm18Fp8KVCacheDataTypeE0ES0_Li32ELi64ELi256ELb1ELi15EEvPKT_PKT0_S8_ifPKiSA_SA_iPKfiiiPfSD_PS3_PT2_iSC_SC_
    .private_segment_fixed_size: 64
    .sgpr_count:     36
    .sgpr_spill_count: 0
    .symbol:         _Z39paged_attention_ll4mi_QKV_mfma16_kernelI14__hip_bfloat16S0_LN4vllm18Fp8KVCacheDataTypeE0ES0_Li32ELi64ELi256ELb1ELi15EEvPKT_PKT0_S8_ifPKiSA_SA_iPKfiiiPfSD_PS3_PT2_iSC_SC_.kd
    .uniform_work_group_size: 1
    .uses_dynamic_stack: false
    .vgpr_count:     51
    .vgpr_spill_count: 0
    .wavefront_size: 32
  - .args:
      - .actual_access:  read_only
        .address_space:  global
        .offset:         0
        .size:           8
        .value_kind:     global_buffer
      - .actual_access:  read_only
        .address_space:  global
        .offset:         8
        .size:           8
        .value_kind:     global_buffer
      - .actual_access:  read_only
        .address_space:  global
        .offset:         16
        .size:           8
        .value_kind:     global_buffer
      - .offset:         24
        .size:           4
        .value_kind:     by_value
      - .offset:         28
        .size:           4
        .value_kind:     by_value
      - .actual_access:  read_only
        .address_space:  global
        .offset:         32
        .size:           8
        .value_kind:     global_buffer
      - .actual_access:  read_only
        .address_space:  global
        .offset:         40
        .size:           8
        .value_kind:     global_buffer
      - .actual_access:  read_only
        .address_space:  global
        .offset:         48
        .size:           8
        .value_kind:     global_buffer
      - .offset:         56
        .size:           4
        .value_kind:     by_value
      - .actual_access:  read_only
        .address_space:  global
        .offset:         64
        .size:           8
        .value_kind:     global_buffer
      - .offset:         72
        .size:           4
        .value_kind:     by_value
      - .offset:         76
        .size:           4
        .value_kind:     by_value
      - .offset:         80
        .size:           4
        .value_kind:     by_value
      - .actual_access:  read_only
        .address_space:  global
        .offset:         88
        .size:           8
        .value_kind:     global_buffer
      - .actual_access:  read_only
        .address_space:  global
        .offset:         96
        .size:           8
        .value_kind:     global_buffer
      - .actual_access:  read_only
        .address_space:  global
        .offset:         104
        .size:           8
        .value_kind:     global_buffer
      - .actual_access:  read_only
        .address_space:  global
        .offset:         112
        .size:           8
        .value_kind:     global_buffer
      - .offset:         120
        .size:           4
        .value_kind:     by_value
      - .address_space:  global
        .offset:         128
        .size:           8
        .value_kind:     global_buffer
      - .address_space:  global
        .offset:         136
        .size:           8
        .value_kind:     global_buffer
      - .offset:         144
        .size:           4
        .value_kind:     hidden_block_count_x
      - .offset:         148
        .size:           4
        .value_kind:     hidden_block_count_y
      - .offset:         152
        .size:           4
        .value_kind:     hidden_block_count_z
      - .offset:         156
        .size:           2
        .value_kind:     hidden_group_size_x
      - .offset:         158
        .size:           2
        .value_kind:     hidden_group_size_y
      - .offset:         160
        .size:           2
        .value_kind:     hidden_group_size_z
      - .offset:         162
        .size:           2
        .value_kind:     hidden_remainder_x
      - .offset:         164
        .size:           2
        .value_kind:     hidden_remainder_y
      - .offset:         166
        .size:           2
        .value_kind:     hidden_remainder_z
      - .offset:         184
        .size:           8
        .value_kind:     hidden_global_offset_x
      - .offset:         192
        .size:           8
        .value_kind:     hidden_global_offset_y
      - .offset:         200
        .size:           8
        .value_kind:     hidden_global_offset_z
      - .offset:         208
        .size:           2
        .value_kind:     hidden_grid_dims
      - .offset:         224
        .size:           8
        .value_kind:     hidden_hostcall_buffer
    .group_segment_fixed_size: 0
    .kernarg_segment_align: 8
    .kernarg_segment_size: 400
    .language:       OpenCL C
    .language_version:
      - 2
      - 0
    .max_flat_workgroup_size: 256
    .name:           _Z39paged_attention_ll4mi_QKV_mfma16_kernelI14__hip_bfloat16S0_LN4vllm18Fp8KVCacheDataTypeE0ES0_Li32ELi64ELi256ELb1ELi16EEvPKT_PKT0_S8_ifPKiSA_SA_iPKfiiiPfSD_PS3_PT2_iSC_SC_
    .private_segment_fixed_size: 64
    .sgpr_count:     36
    .sgpr_spill_count: 0
    .symbol:         _Z39paged_attention_ll4mi_QKV_mfma16_kernelI14__hip_bfloat16S0_LN4vllm18Fp8KVCacheDataTypeE0ES0_Li32ELi64ELi256ELb1ELi16EEvPKT_PKT0_S8_ifPKiSA_SA_iPKfiiiPfSD_PS3_PT2_iSC_SC_.kd
    .uniform_work_group_size: 1
    .uses_dynamic_stack: false
    .vgpr_count:     51
    .vgpr_spill_count: 0
    .wavefront_size: 32
  - .args:
      - .actual_access:  read_only
        .address_space:  global
        .offset:         0
        .size:           8
        .value_kind:     global_buffer
      - .actual_access:  read_only
        .address_space:  global
        .offset:         8
        .size:           8
        .value_kind:     global_buffer
      - .actual_access:  read_only
        .address_space:  global
        .offset:         16
        .size:           8
        .value_kind:     global_buffer
      - .offset:         24
        .size:           4
        .value_kind:     by_value
      - .offset:         28
        .size:           4
        .value_kind:     by_value
      - .actual_access:  read_only
        .address_space:  global
        .offset:         32
        .size:           8
        .value_kind:     global_buffer
      - .actual_access:  read_only
        .address_space:  global
        .offset:         40
        .size:           8
        .value_kind:     global_buffer
      - .actual_access:  read_only
        .address_space:  global
        .offset:         48
        .size:           8
        .value_kind:     global_buffer
      - .offset:         56
        .size:           4
        .value_kind:     by_value
      - .actual_access:  read_only
        .address_space:  global
        .offset:         64
        .size:           8
        .value_kind:     global_buffer
      - .offset:         72
        .size:           4
        .value_kind:     by_value
      - .offset:         76
        .size:           4
        .value_kind:     by_value
      - .offset:         80
        .size:           4
        .value_kind:     by_value
      - .actual_access:  read_only
        .address_space:  global
        .offset:         88
        .size:           8
        .value_kind:     global_buffer
      - .actual_access:  read_only
        .address_space:  global
        .offset:         96
        .size:           8
        .value_kind:     global_buffer
      - .actual_access:  read_only
        .address_space:  global
        .offset:         104
        .size:           8
        .value_kind:     global_buffer
      - .actual_access:  read_only
        .address_space:  global
        .offset:         112
        .size:           8
        .value_kind:     global_buffer
      - .offset:         120
        .size:           4
        .value_kind:     by_value
      - .address_space:  global
        .offset:         128
        .size:           8
        .value_kind:     global_buffer
      - .address_space:  global
        .offset:         136
        .size:           8
        .value_kind:     global_buffer
      - .offset:         144
        .size:           4
        .value_kind:     hidden_block_count_x
      - .offset:         148
        .size:           4
        .value_kind:     hidden_block_count_y
      - .offset:         152
        .size:           4
        .value_kind:     hidden_block_count_z
      - .offset:         156
        .size:           2
        .value_kind:     hidden_group_size_x
      - .offset:         158
        .size:           2
        .value_kind:     hidden_group_size_y
      - .offset:         160
        .size:           2
        .value_kind:     hidden_group_size_z
      - .offset:         162
        .size:           2
        .value_kind:     hidden_remainder_x
      - .offset:         164
        .size:           2
        .value_kind:     hidden_remainder_y
      - .offset:         166
        .size:           2
        .value_kind:     hidden_remainder_z
      - .offset:         184
        .size:           8
        .value_kind:     hidden_global_offset_x
      - .offset:         192
        .size:           8
        .value_kind:     hidden_global_offset_y
      - .offset:         200
        .size:           8
        .value_kind:     hidden_global_offset_z
      - .offset:         208
        .size:           2
        .value_kind:     hidden_grid_dims
      - .offset:         224
        .size:           8
        .value_kind:     hidden_hostcall_buffer
    .group_segment_fixed_size: 0
    .kernarg_segment_align: 8
    .kernarg_segment_size: 400
    .language:       OpenCL C
    .language_version:
      - 2
      - 0
    .max_flat_workgroup_size: 256
    .name:           _Z39paged_attention_ll4mi_QKV_mfma16_kernelI14__hip_bfloat16S0_LN4vllm18Fp8KVCacheDataTypeE0ES0_Li32ELi64ELi256ELb1ELi1EEvPKT_PKT0_S8_ifPKiSA_SA_iPKfiiiPfSD_PS3_PT2_iSC_SC_
    .private_segment_fixed_size: 64
    .sgpr_count:     36
    .sgpr_spill_count: 0
    .symbol:         _Z39paged_attention_ll4mi_QKV_mfma16_kernelI14__hip_bfloat16S0_LN4vllm18Fp8KVCacheDataTypeE0ES0_Li32ELi64ELi256ELb1ELi1EEvPKT_PKT0_S8_ifPKiSA_SA_iPKfiiiPfSD_PS3_PT2_iSC_SC_.kd
    .uniform_work_group_size: 1
    .uses_dynamic_stack: false
    .vgpr_count:     51
    .vgpr_spill_count: 0
    .wavefront_size: 32
  - .args:
      - .actual_access:  read_only
        .address_space:  global
        .offset:         0
        .size:           8
        .value_kind:     global_buffer
      - .actual_access:  read_only
        .address_space:  global
        .offset:         8
        .size:           8
        .value_kind:     global_buffer
      - .actual_access:  read_only
        .address_space:  global
        .offset:         16
        .size:           8
        .value_kind:     global_buffer
      - .offset:         24
        .size:           4
        .value_kind:     by_value
      - .offset:         28
        .size:           4
        .value_kind:     by_value
      - .actual_access:  read_only
        .address_space:  global
        .offset:         32
        .size:           8
        .value_kind:     global_buffer
      - .actual_access:  read_only
        .address_space:  global
        .offset:         40
        .size:           8
        .value_kind:     global_buffer
      - .actual_access:  read_only
        .address_space:  global
        .offset:         48
        .size:           8
        .value_kind:     global_buffer
      - .offset:         56
        .size:           4
        .value_kind:     by_value
      - .actual_access:  read_only
        .address_space:  global
        .offset:         64
        .size:           8
        .value_kind:     global_buffer
      - .offset:         72
        .size:           4
        .value_kind:     by_value
      - .offset:         76
        .size:           4
        .value_kind:     by_value
      - .offset:         80
        .size:           4
        .value_kind:     by_value
      - .actual_access:  read_only
        .address_space:  global
        .offset:         88
        .size:           8
        .value_kind:     global_buffer
      - .actual_access:  read_only
        .address_space:  global
        .offset:         96
        .size:           8
        .value_kind:     global_buffer
      - .actual_access:  read_only
        .address_space:  global
        .offset:         104
        .size:           8
        .value_kind:     global_buffer
      - .actual_access:  read_only
        .address_space:  global
        .offset:         112
        .size:           8
        .value_kind:     global_buffer
      - .offset:         120
        .size:           4
        .value_kind:     by_value
      - .address_space:  global
        .offset:         128
        .size:           8
        .value_kind:     global_buffer
      - .address_space:  global
        .offset:         136
        .size:           8
        .value_kind:     global_buffer
      - .offset:         144
        .size:           4
        .value_kind:     hidden_block_count_x
      - .offset:         148
        .size:           4
        .value_kind:     hidden_block_count_y
      - .offset:         152
        .size:           4
        .value_kind:     hidden_block_count_z
      - .offset:         156
        .size:           2
        .value_kind:     hidden_group_size_x
      - .offset:         158
        .size:           2
        .value_kind:     hidden_group_size_y
      - .offset:         160
        .size:           2
        .value_kind:     hidden_group_size_z
      - .offset:         162
        .size:           2
        .value_kind:     hidden_remainder_x
      - .offset:         164
        .size:           2
        .value_kind:     hidden_remainder_y
      - .offset:         166
        .size:           2
        .value_kind:     hidden_remainder_z
      - .offset:         184
        .size:           8
        .value_kind:     hidden_global_offset_x
      - .offset:         192
        .size:           8
        .value_kind:     hidden_global_offset_y
      - .offset:         200
        .size:           8
        .value_kind:     hidden_global_offset_z
      - .offset:         208
        .size:           2
        .value_kind:     hidden_grid_dims
      - .offset:         224
        .size:           8
        .value_kind:     hidden_hostcall_buffer
    .group_segment_fixed_size: 0
    .kernarg_segment_align: 8
    .kernarg_segment_size: 400
    .language:       OpenCL C
    .language_version:
      - 2
      - 0
    .max_flat_workgroup_size: 256
    .name:           _Z39paged_attention_ll4mi_QKV_mfma16_kernelI14__hip_bfloat16S0_LN4vllm18Fp8KVCacheDataTypeE0ES0_Li32ELi64ELi256ELb1ELi2EEvPKT_PKT0_S8_ifPKiSA_SA_iPKfiiiPfSD_PS3_PT2_iSC_SC_
    .private_segment_fixed_size: 64
    .sgpr_count:     36
    .sgpr_spill_count: 0
    .symbol:         _Z39paged_attention_ll4mi_QKV_mfma16_kernelI14__hip_bfloat16S0_LN4vllm18Fp8KVCacheDataTypeE0ES0_Li32ELi64ELi256ELb1ELi2EEvPKT_PKT0_S8_ifPKiSA_SA_iPKfiiiPfSD_PS3_PT2_iSC_SC_.kd
    .uniform_work_group_size: 1
    .uses_dynamic_stack: false
    .vgpr_count:     51
    .vgpr_spill_count: 0
    .wavefront_size: 32
  - .args:
      - .actual_access:  read_only
        .address_space:  global
        .offset:         0
        .size:           8
        .value_kind:     global_buffer
      - .actual_access:  read_only
        .address_space:  global
        .offset:         8
        .size:           8
        .value_kind:     global_buffer
      - .actual_access:  read_only
        .address_space:  global
        .offset:         16
        .size:           8
        .value_kind:     global_buffer
      - .offset:         24
        .size:           4
        .value_kind:     by_value
      - .offset:         28
        .size:           4
        .value_kind:     by_value
      - .actual_access:  read_only
        .address_space:  global
        .offset:         32
        .size:           8
        .value_kind:     global_buffer
      - .actual_access:  read_only
        .address_space:  global
        .offset:         40
        .size:           8
        .value_kind:     global_buffer
      - .actual_access:  read_only
        .address_space:  global
        .offset:         48
        .size:           8
        .value_kind:     global_buffer
      - .offset:         56
        .size:           4
        .value_kind:     by_value
      - .actual_access:  read_only
        .address_space:  global
        .offset:         64
        .size:           8
        .value_kind:     global_buffer
      - .offset:         72
        .size:           4
        .value_kind:     by_value
      - .offset:         76
        .size:           4
        .value_kind:     by_value
      - .offset:         80
        .size:           4
        .value_kind:     by_value
      - .actual_access:  read_only
        .address_space:  global
        .offset:         88
        .size:           8
        .value_kind:     global_buffer
      - .actual_access:  read_only
        .address_space:  global
        .offset:         96
        .size:           8
        .value_kind:     global_buffer
      - .actual_access:  read_only
        .address_space:  global
        .offset:         104
        .size:           8
        .value_kind:     global_buffer
      - .actual_access:  read_only
        .address_space:  global
        .offset:         112
        .size:           8
        .value_kind:     global_buffer
      - .offset:         120
        .size:           4
        .value_kind:     by_value
      - .address_space:  global
        .offset:         128
        .size:           8
        .value_kind:     global_buffer
      - .address_space:  global
        .offset:         136
        .size:           8
        .value_kind:     global_buffer
      - .offset:         144
        .size:           4
        .value_kind:     hidden_block_count_x
      - .offset:         148
        .size:           4
        .value_kind:     hidden_block_count_y
      - .offset:         152
        .size:           4
        .value_kind:     hidden_block_count_z
      - .offset:         156
        .size:           2
        .value_kind:     hidden_group_size_x
      - .offset:         158
        .size:           2
        .value_kind:     hidden_group_size_y
      - .offset:         160
        .size:           2
        .value_kind:     hidden_group_size_z
      - .offset:         162
        .size:           2
        .value_kind:     hidden_remainder_x
      - .offset:         164
        .size:           2
        .value_kind:     hidden_remainder_y
      - .offset:         166
        .size:           2
        .value_kind:     hidden_remainder_z
      - .offset:         184
        .size:           8
        .value_kind:     hidden_global_offset_x
      - .offset:         192
        .size:           8
        .value_kind:     hidden_global_offset_y
      - .offset:         200
        .size:           8
        .value_kind:     hidden_global_offset_z
      - .offset:         208
        .size:           2
        .value_kind:     hidden_grid_dims
      - .offset:         224
        .size:           8
        .value_kind:     hidden_hostcall_buffer
    .group_segment_fixed_size: 0
    .kernarg_segment_align: 8
    .kernarg_segment_size: 400
    .language:       OpenCL C
    .language_version:
      - 2
      - 0
    .max_flat_workgroup_size: 256
    .name:           _Z39paged_attention_ll4mi_QKV_mfma16_kernelI14__hip_bfloat16S0_LN4vllm18Fp8KVCacheDataTypeE0ES0_Li32ELi64ELi256ELb1ELi3EEvPKT_PKT0_S8_ifPKiSA_SA_iPKfiiiPfSD_PS3_PT2_iSC_SC_
    .private_segment_fixed_size: 64
    .sgpr_count:     36
    .sgpr_spill_count: 0
    .symbol:         _Z39paged_attention_ll4mi_QKV_mfma16_kernelI14__hip_bfloat16S0_LN4vllm18Fp8KVCacheDataTypeE0ES0_Li32ELi64ELi256ELb1ELi3EEvPKT_PKT0_S8_ifPKiSA_SA_iPKfiiiPfSD_PS3_PT2_iSC_SC_.kd
    .uniform_work_group_size: 1
    .uses_dynamic_stack: false
    .vgpr_count:     51
    .vgpr_spill_count: 0
    .wavefront_size: 32
  - .args:
      - .actual_access:  read_only
        .address_space:  global
        .offset:         0
        .size:           8
        .value_kind:     global_buffer
      - .actual_access:  read_only
        .address_space:  global
        .offset:         8
        .size:           8
        .value_kind:     global_buffer
      - .actual_access:  read_only
        .address_space:  global
        .offset:         16
        .size:           8
        .value_kind:     global_buffer
      - .offset:         24
        .size:           4
        .value_kind:     by_value
      - .offset:         28
        .size:           4
        .value_kind:     by_value
      - .actual_access:  read_only
        .address_space:  global
        .offset:         32
        .size:           8
        .value_kind:     global_buffer
      - .actual_access:  read_only
        .address_space:  global
        .offset:         40
        .size:           8
        .value_kind:     global_buffer
      - .actual_access:  read_only
        .address_space:  global
        .offset:         48
        .size:           8
        .value_kind:     global_buffer
      - .offset:         56
        .size:           4
        .value_kind:     by_value
      - .actual_access:  read_only
        .address_space:  global
        .offset:         64
        .size:           8
        .value_kind:     global_buffer
      - .offset:         72
        .size:           4
        .value_kind:     by_value
      - .offset:         76
        .size:           4
        .value_kind:     by_value
      - .offset:         80
        .size:           4
        .value_kind:     by_value
      - .actual_access:  read_only
        .address_space:  global
        .offset:         88
        .size:           8
        .value_kind:     global_buffer
      - .actual_access:  read_only
        .address_space:  global
        .offset:         96
        .size:           8
        .value_kind:     global_buffer
      - .actual_access:  read_only
        .address_space:  global
        .offset:         104
        .size:           8
        .value_kind:     global_buffer
      - .actual_access:  read_only
        .address_space:  global
        .offset:         112
        .size:           8
        .value_kind:     global_buffer
      - .offset:         120
        .size:           4
        .value_kind:     by_value
      - .address_space:  global
        .offset:         128
        .size:           8
        .value_kind:     global_buffer
      - .address_space:  global
        .offset:         136
        .size:           8
        .value_kind:     global_buffer
      - .offset:         144
        .size:           4
        .value_kind:     hidden_block_count_x
      - .offset:         148
        .size:           4
        .value_kind:     hidden_block_count_y
      - .offset:         152
        .size:           4
        .value_kind:     hidden_block_count_z
      - .offset:         156
        .size:           2
        .value_kind:     hidden_group_size_x
      - .offset:         158
        .size:           2
        .value_kind:     hidden_group_size_y
      - .offset:         160
        .size:           2
        .value_kind:     hidden_group_size_z
      - .offset:         162
        .size:           2
        .value_kind:     hidden_remainder_x
      - .offset:         164
        .size:           2
        .value_kind:     hidden_remainder_y
      - .offset:         166
        .size:           2
        .value_kind:     hidden_remainder_z
      - .offset:         184
        .size:           8
        .value_kind:     hidden_global_offset_x
      - .offset:         192
        .size:           8
        .value_kind:     hidden_global_offset_y
      - .offset:         200
        .size:           8
        .value_kind:     hidden_global_offset_z
      - .offset:         208
        .size:           2
        .value_kind:     hidden_grid_dims
      - .offset:         224
        .size:           8
        .value_kind:     hidden_hostcall_buffer
    .group_segment_fixed_size: 0
    .kernarg_segment_align: 8
    .kernarg_segment_size: 400
    .language:       OpenCL C
    .language_version:
      - 2
      - 0
    .max_flat_workgroup_size: 256
    .name:           _Z39paged_attention_ll4mi_QKV_mfma16_kernelI14__hip_bfloat16S0_LN4vllm18Fp8KVCacheDataTypeE0ES0_Li32ELi64ELi256ELb1ELi4EEvPKT_PKT0_S8_ifPKiSA_SA_iPKfiiiPfSD_PS3_PT2_iSC_SC_
    .private_segment_fixed_size: 64
    .sgpr_count:     36
    .sgpr_spill_count: 0
    .symbol:         _Z39paged_attention_ll4mi_QKV_mfma16_kernelI14__hip_bfloat16S0_LN4vllm18Fp8KVCacheDataTypeE0ES0_Li32ELi64ELi256ELb1ELi4EEvPKT_PKT0_S8_ifPKiSA_SA_iPKfiiiPfSD_PS3_PT2_iSC_SC_.kd
    .uniform_work_group_size: 1
    .uses_dynamic_stack: false
    .vgpr_count:     51
    .vgpr_spill_count: 0
    .wavefront_size: 32
  - .args:
      - .actual_access:  read_only
        .address_space:  global
        .offset:         0
        .size:           8
        .value_kind:     global_buffer
      - .actual_access:  read_only
        .address_space:  global
        .offset:         8
        .size:           8
        .value_kind:     global_buffer
      - .actual_access:  read_only
        .address_space:  global
        .offset:         16
        .size:           8
        .value_kind:     global_buffer
      - .offset:         24
        .size:           4
        .value_kind:     by_value
      - .offset:         28
        .size:           4
        .value_kind:     by_value
      - .actual_access:  read_only
        .address_space:  global
        .offset:         32
        .size:           8
        .value_kind:     global_buffer
      - .actual_access:  read_only
        .address_space:  global
        .offset:         40
        .size:           8
        .value_kind:     global_buffer
      - .actual_access:  read_only
        .address_space:  global
        .offset:         48
        .size:           8
        .value_kind:     global_buffer
      - .offset:         56
        .size:           4
        .value_kind:     by_value
      - .actual_access:  read_only
        .address_space:  global
        .offset:         64
        .size:           8
        .value_kind:     global_buffer
      - .offset:         72
        .size:           4
        .value_kind:     by_value
      - .offset:         76
        .size:           4
        .value_kind:     by_value
      - .offset:         80
        .size:           4
        .value_kind:     by_value
      - .actual_access:  read_only
        .address_space:  global
        .offset:         88
        .size:           8
        .value_kind:     global_buffer
      - .actual_access:  read_only
        .address_space:  global
        .offset:         96
        .size:           8
        .value_kind:     global_buffer
      - .actual_access:  read_only
        .address_space:  global
        .offset:         104
        .size:           8
        .value_kind:     global_buffer
      - .actual_access:  read_only
        .address_space:  global
        .offset:         112
        .size:           8
        .value_kind:     global_buffer
      - .offset:         120
        .size:           4
        .value_kind:     by_value
      - .address_space:  global
        .offset:         128
        .size:           8
        .value_kind:     global_buffer
      - .address_space:  global
        .offset:         136
        .size:           8
        .value_kind:     global_buffer
      - .offset:         144
        .size:           4
        .value_kind:     hidden_block_count_x
      - .offset:         148
        .size:           4
        .value_kind:     hidden_block_count_y
      - .offset:         152
        .size:           4
        .value_kind:     hidden_block_count_z
      - .offset:         156
        .size:           2
        .value_kind:     hidden_group_size_x
      - .offset:         158
        .size:           2
        .value_kind:     hidden_group_size_y
      - .offset:         160
        .size:           2
        .value_kind:     hidden_group_size_z
      - .offset:         162
        .size:           2
        .value_kind:     hidden_remainder_x
      - .offset:         164
        .size:           2
        .value_kind:     hidden_remainder_y
      - .offset:         166
        .size:           2
        .value_kind:     hidden_remainder_z
      - .offset:         184
        .size:           8
        .value_kind:     hidden_global_offset_x
      - .offset:         192
        .size:           8
        .value_kind:     hidden_global_offset_y
      - .offset:         200
        .size:           8
        .value_kind:     hidden_global_offset_z
      - .offset:         208
        .size:           2
        .value_kind:     hidden_grid_dims
      - .offset:         224
        .size:           8
        .value_kind:     hidden_hostcall_buffer
    .group_segment_fixed_size: 0
    .kernarg_segment_align: 8
    .kernarg_segment_size: 400
    .language:       OpenCL C
    .language_version:
      - 2
      - 0
    .max_flat_workgroup_size: 256
    .name:           _Z38paged_attention_ll4mi_QKV_mfma4_kernelI14__hip_bfloat16S0_LN4vllm18Fp8KVCacheDataTypeE0ES0_Li32ELi64ELi256ELb0ELi1EEvPKT_PKT0_S8_ifPKiSA_SA_iPKfiiiPfSD_PS3_PT2_iSC_SC_
    .private_segment_fixed_size: 64
    .sgpr_count:     36
    .sgpr_spill_count: 0
    .symbol:         _Z38paged_attention_ll4mi_QKV_mfma4_kernelI14__hip_bfloat16S0_LN4vllm18Fp8KVCacheDataTypeE0ES0_Li32ELi64ELi256ELb0ELi1EEvPKT_PKT0_S8_ifPKiSA_SA_iPKfiiiPfSD_PS3_PT2_iSC_SC_.kd
    .uniform_work_group_size: 1
    .uses_dynamic_stack: false
    .vgpr_count:     51
    .vgpr_spill_count: 0
    .wavefront_size: 32
  - .args:
      - .actual_access:  read_only
        .address_space:  global
        .offset:         0
        .size:           8
        .value_kind:     global_buffer
      - .actual_access:  read_only
        .address_space:  global
        .offset:         8
        .size:           8
        .value_kind:     global_buffer
      - .actual_access:  read_only
        .address_space:  global
        .offset:         16
        .size:           8
        .value_kind:     global_buffer
      - .offset:         24
        .size:           4
        .value_kind:     by_value
      - .offset:         28
        .size:           4
        .value_kind:     by_value
      - .actual_access:  read_only
        .address_space:  global
        .offset:         32
        .size:           8
        .value_kind:     global_buffer
      - .actual_access:  read_only
        .address_space:  global
        .offset:         40
        .size:           8
        .value_kind:     global_buffer
      - .actual_access:  read_only
        .address_space:  global
        .offset:         48
        .size:           8
        .value_kind:     global_buffer
      - .offset:         56
        .size:           4
        .value_kind:     by_value
      - .actual_access:  read_only
        .address_space:  global
        .offset:         64
        .size:           8
        .value_kind:     global_buffer
      - .offset:         72
        .size:           4
        .value_kind:     by_value
      - .offset:         76
        .size:           4
        .value_kind:     by_value
      - .offset:         80
        .size:           4
        .value_kind:     by_value
      - .actual_access:  read_only
        .address_space:  global
        .offset:         88
        .size:           8
        .value_kind:     global_buffer
      - .actual_access:  read_only
        .address_space:  global
        .offset:         96
        .size:           8
        .value_kind:     global_buffer
      - .actual_access:  read_only
        .address_space:  global
        .offset:         104
        .size:           8
        .value_kind:     global_buffer
      - .actual_access:  read_only
        .address_space:  global
        .offset:         112
        .size:           8
        .value_kind:     global_buffer
      - .offset:         120
        .size:           4
        .value_kind:     by_value
      - .address_space:  global
        .offset:         128
        .size:           8
        .value_kind:     global_buffer
      - .address_space:  global
        .offset:         136
        .size:           8
        .value_kind:     global_buffer
      - .offset:         144
        .size:           4
        .value_kind:     hidden_block_count_x
      - .offset:         148
        .size:           4
        .value_kind:     hidden_block_count_y
      - .offset:         152
        .size:           4
        .value_kind:     hidden_block_count_z
      - .offset:         156
        .size:           2
        .value_kind:     hidden_group_size_x
      - .offset:         158
        .size:           2
        .value_kind:     hidden_group_size_y
      - .offset:         160
        .size:           2
        .value_kind:     hidden_group_size_z
      - .offset:         162
        .size:           2
        .value_kind:     hidden_remainder_x
      - .offset:         164
        .size:           2
        .value_kind:     hidden_remainder_y
      - .offset:         166
        .size:           2
        .value_kind:     hidden_remainder_z
      - .offset:         184
        .size:           8
        .value_kind:     hidden_global_offset_x
      - .offset:         192
        .size:           8
        .value_kind:     hidden_global_offset_y
      - .offset:         200
        .size:           8
        .value_kind:     hidden_global_offset_z
      - .offset:         208
        .size:           2
        .value_kind:     hidden_grid_dims
      - .offset:         224
        .size:           8
        .value_kind:     hidden_hostcall_buffer
    .group_segment_fixed_size: 0
    .kernarg_segment_align: 8
    .kernarg_segment_size: 400
    .language:       OpenCL C
    .language_version:
      - 2
      - 0
    .max_flat_workgroup_size: 256
    .name:           _Z38paged_attention_ll4mi_QKV_mfma4_kernelI14__hip_bfloat16S0_LN4vllm18Fp8KVCacheDataTypeE0ES0_Li32ELi64ELi256ELb0ELi2EEvPKT_PKT0_S8_ifPKiSA_SA_iPKfiiiPfSD_PS3_PT2_iSC_SC_
    .private_segment_fixed_size: 64
    .sgpr_count:     36
    .sgpr_spill_count: 0
    .symbol:         _Z38paged_attention_ll4mi_QKV_mfma4_kernelI14__hip_bfloat16S0_LN4vllm18Fp8KVCacheDataTypeE0ES0_Li32ELi64ELi256ELb0ELi2EEvPKT_PKT0_S8_ifPKiSA_SA_iPKfiiiPfSD_PS3_PT2_iSC_SC_.kd
    .uniform_work_group_size: 1
    .uses_dynamic_stack: false
    .vgpr_count:     51
    .vgpr_spill_count: 0
    .wavefront_size: 32
  - .args:
      - .actual_access:  read_only
        .address_space:  global
        .offset:         0
        .size:           8
        .value_kind:     global_buffer
      - .actual_access:  read_only
        .address_space:  global
        .offset:         8
        .size:           8
        .value_kind:     global_buffer
      - .actual_access:  read_only
        .address_space:  global
        .offset:         16
        .size:           8
        .value_kind:     global_buffer
      - .offset:         24
        .size:           4
        .value_kind:     by_value
      - .offset:         28
        .size:           4
        .value_kind:     by_value
      - .actual_access:  read_only
        .address_space:  global
        .offset:         32
        .size:           8
        .value_kind:     global_buffer
      - .actual_access:  read_only
        .address_space:  global
        .offset:         40
        .size:           8
        .value_kind:     global_buffer
      - .actual_access:  read_only
        .address_space:  global
        .offset:         48
        .size:           8
        .value_kind:     global_buffer
      - .offset:         56
        .size:           4
        .value_kind:     by_value
      - .actual_access:  read_only
        .address_space:  global
        .offset:         64
        .size:           8
        .value_kind:     global_buffer
      - .offset:         72
        .size:           4
        .value_kind:     by_value
      - .offset:         76
        .size:           4
        .value_kind:     by_value
      - .offset:         80
        .size:           4
        .value_kind:     by_value
      - .actual_access:  read_only
        .address_space:  global
        .offset:         88
        .size:           8
        .value_kind:     global_buffer
      - .actual_access:  read_only
        .address_space:  global
        .offset:         96
        .size:           8
        .value_kind:     global_buffer
      - .actual_access:  read_only
        .address_space:  global
        .offset:         104
        .size:           8
        .value_kind:     global_buffer
      - .actual_access:  read_only
        .address_space:  global
        .offset:         112
        .size:           8
        .value_kind:     global_buffer
      - .offset:         120
        .size:           4
        .value_kind:     by_value
      - .address_space:  global
        .offset:         128
        .size:           8
        .value_kind:     global_buffer
      - .address_space:  global
        .offset:         136
        .size:           8
        .value_kind:     global_buffer
      - .offset:         144
        .size:           4
        .value_kind:     hidden_block_count_x
      - .offset:         148
        .size:           4
        .value_kind:     hidden_block_count_y
      - .offset:         152
        .size:           4
        .value_kind:     hidden_block_count_z
      - .offset:         156
        .size:           2
        .value_kind:     hidden_group_size_x
      - .offset:         158
        .size:           2
        .value_kind:     hidden_group_size_y
      - .offset:         160
        .size:           2
        .value_kind:     hidden_group_size_z
      - .offset:         162
        .size:           2
        .value_kind:     hidden_remainder_x
      - .offset:         164
        .size:           2
        .value_kind:     hidden_remainder_y
      - .offset:         166
        .size:           2
        .value_kind:     hidden_remainder_z
      - .offset:         184
        .size:           8
        .value_kind:     hidden_global_offset_x
      - .offset:         192
        .size:           8
        .value_kind:     hidden_global_offset_y
      - .offset:         200
        .size:           8
        .value_kind:     hidden_global_offset_z
      - .offset:         208
        .size:           2
        .value_kind:     hidden_grid_dims
      - .offset:         224
        .size:           8
        .value_kind:     hidden_hostcall_buffer
    .group_segment_fixed_size: 0
    .kernarg_segment_align: 8
    .kernarg_segment_size: 400
    .language:       OpenCL C
    .language_version:
      - 2
      - 0
    .max_flat_workgroup_size: 256
    .name:           _Z38paged_attention_ll4mi_QKV_mfma4_kernelI14__hip_bfloat16S0_LN4vllm18Fp8KVCacheDataTypeE0ES0_Li32ELi64ELi256ELb0ELi3EEvPKT_PKT0_S8_ifPKiSA_SA_iPKfiiiPfSD_PS3_PT2_iSC_SC_
    .private_segment_fixed_size: 64
    .sgpr_count:     36
    .sgpr_spill_count: 0
    .symbol:         _Z38paged_attention_ll4mi_QKV_mfma4_kernelI14__hip_bfloat16S0_LN4vllm18Fp8KVCacheDataTypeE0ES0_Li32ELi64ELi256ELb0ELi3EEvPKT_PKT0_S8_ifPKiSA_SA_iPKfiiiPfSD_PS3_PT2_iSC_SC_.kd
    .uniform_work_group_size: 1
    .uses_dynamic_stack: false
    .vgpr_count:     51
    .vgpr_spill_count: 0
    .wavefront_size: 32
  - .args:
      - .actual_access:  read_only
        .address_space:  global
        .offset:         0
        .size:           8
        .value_kind:     global_buffer
      - .actual_access:  read_only
        .address_space:  global
        .offset:         8
        .size:           8
        .value_kind:     global_buffer
      - .actual_access:  read_only
        .address_space:  global
        .offset:         16
        .size:           8
        .value_kind:     global_buffer
      - .offset:         24
        .size:           4
        .value_kind:     by_value
      - .offset:         28
        .size:           4
        .value_kind:     by_value
      - .actual_access:  read_only
        .address_space:  global
        .offset:         32
        .size:           8
        .value_kind:     global_buffer
      - .actual_access:  read_only
        .address_space:  global
        .offset:         40
        .size:           8
        .value_kind:     global_buffer
      - .actual_access:  read_only
        .address_space:  global
        .offset:         48
        .size:           8
        .value_kind:     global_buffer
      - .offset:         56
        .size:           4
        .value_kind:     by_value
      - .actual_access:  read_only
        .address_space:  global
        .offset:         64
        .size:           8
        .value_kind:     global_buffer
      - .offset:         72
        .size:           4
        .value_kind:     by_value
      - .offset:         76
        .size:           4
        .value_kind:     by_value
      - .offset:         80
        .size:           4
        .value_kind:     by_value
      - .actual_access:  read_only
        .address_space:  global
        .offset:         88
        .size:           8
        .value_kind:     global_buffer
      - .actual_access:  read_only
        .address_space:  global
        .offset:         96
        .size:           8
        .value_kind:     global_buffer
      - .actual_access:  read_only
        .address_space:  global
        .offset:         104
        .size:           8
        .value_kind:     global_buffer
      - .actual_access:  read_only
        .address_space:  global
        .offset:         112
        .size:           8
        .value_kind:     global_buffer
      - .offset:         120
        .size:           4
        .value_kind:     by_value
      - .address_space:  global
        .offset:         128
        .size:           8
        .value_kind:     global_buffer
      - .address_space:  global
        .offset:         136
        .size:           8
        .value_kind:     global_buffer
      - .offset:         144
        .size:           4
        .value_kind:     hidden_block_count_x
      - .offset:         148
        .size:           4
        .value_kind:     hidden_block_count_y
      - .offset:         152
        .size:           4
        .value_kind:     hidden_block_count_z
      - .offset:         156
        .size:           2
        .value_kind:     hidden_group_size_x
      - .offset:         158
        .size:           2
        .value_kind:     hidden_group_size_y
      - .offset:         160
        .size:           2
        .value_kind:     hidden_group_size_z
      - .offset:         162
        .size:           2
        .value_kind:     hidden_remainder_x
      - .offset:         164
        .size:           2
        .value_kind:     hidden_remainder_y
      - .offset:         166
        .size:           2
        .value_kind:     hidden_remainder_z
      - .offset:         184
        .size:           8
        .value_kind:     hidden_global_offset_x
      - .offset:         192
        .size:           8
        .value_kind:     hidden_global_offset_y
      - .offset:         200
        .size:           8
        .value_kind:     hidden_global_offset_z
      - .offset:         208
        .size:           2
        .value_kind:     hidden_grid_dims
      - .offset:         224
        .size:           8
        .value_kind:     hidden_hostcall_buffer
    .group_segment_fixed_size: 0
    .kernarg_segment_align: 8
    .kernarg_segment_size: 400
    .language:       OpenCL C
    .language_version:
      - 2
      - 0
    .max_flat_workgroup_size: 256
    .name:           _Z38paged_attention_ll4mi_QKV_mfma4_kernelI14__hip_bfloat16S0_LN4vllm18Fp8KVCacheDataTypeE0ES0_Li32ELi64ELi256ELb0ELi4EEvPKT_PKT0_S8_ifPKiSA_SA_iPKfiiiPfSD_PS3_PT2_iSC_SC_
    .private_segment_fixed_size: 64
    .sgpr_count:     36
    .sgpr_spill_count: 0
    .symbol:         _Z38paged_attention_ll4mi_QKV_mfma4_kernelI14__hip_bfloat16S0_LN4vllm18Fp8KVCacheDataTypeE0ES0_Li32ELi64ELi256ELb0ELi4EEvPKT_PKT0_S8_ifPKiSA_SA_iPKfiiiPfSD_PS3_PT2_iSC_SC_.kd
    .uniform_work_group_size: 1
    .uses_dynamic_stack: false
    .vgpr_count:     51
    .vgpr_spill_count: 0
    .wavefront_size: 32
  - .args:
      - .actual_access:  read_only
        .address_space:  global
        .offset:         0
        .size:           8
        .value_kind:     global_buffer
      - .actual_access:  read_only
        .address_space:  global
        .offset:         8
        .size:           8
        .value_kind:     global_buffer
      - .actual_access:  read_only
        .address_space:  global
        .offset:         16
        .size:           8
        .value_kind:     global_buffer
      - .offset:         24
        .size:           4
        .value_kind:     by_value
      - .offset:         28
        .size:           4
        .value_kind:     by_value
      - .actual_access:  read_only
        .address_space:  global
        .offset:         32
        .size:           8
        .value_kind:     global_buffer
      - .actual_access:  read_only
        .address_space:  global
        .offset:         40
        .size:           8
        .value_kind:     global_buffer
      - .actual_access:  read_only
        .address_space:  global
        .offset:         48
        .size:           8
        .value_kind:     global_buffer
      - .offset:         56
        .size:           4
        .value_kind:     by_value
      - .actual_access:  read_only
        .address_space:  global
        .offset:         64
        .size:           8
        .value_kind:     global_buffer
      - .offset:         72
        .size:           4
        .value_kind:     by_value
      - .offset:         76
        .size:           4
        .value_kind:     by_value
      - .offset:         80
        .size:           4
        .value_kind:     by_value
      - .actual_access:  read_only
        .address_space:  global
        .offset:         88
        .size:           8
        .value_kind:     global_buffer
      - .actual_access:  read_only
        .address_space:  global
        .offset:         96
        .size:           8
        .value_kind:     global_buffer
      - .actual_access:  read_only
        .address_space:  global
        .offset:         104
        .size:           8
        .value_kind:     global_buffer
      - .actual_access:  read_only
        .address_space:  global
        .offset:         112
        .size:           8
        .value_kind:     global_buffer
      - .offset:         120
        .size:           4
        .value_kind:     by_value
      - .address_space:  global
        .offset:         128
        .size:           8
        .value_kind:     global_buffer
      - .address_space:  global
        .offset:         136
        .size:           8
        .value_kind:     global_buffer
      - .offset:         144
        .size:           4
        .value_kind:     hidden_block_count_x
      - .offset:         148
        .size:           4
        .value_kind:     hidden_block_count_y
      - .offset:         152
        .size:           4
        .value_kind:     hidden_block_count_z
      - .offset:         156
        .size:           2
        .value_kind:     hidden_group_size_x
      - .offset:         158
        .size:           2
        .value_kind:     hidden_group_size_y
      - .offset:         160
        .size:           2
        .value_kind:     hidden_group_size_z
      - .offset:         162
        .size:           2
        .value_kind:     hidden_remainder_x
      - .offset:         164
        .size:           2
        .value_kind:     hidden_remainder_y
      - .offset:         166
        .size:           2
        .value_kind:     hidden_remainder_z
      - .offset:         184
        .size:           8
        .value_kind:     hidden_global_offset_x
      - .offset:         192
        .size:           8
        .value_kind:     hidden_global_offset_y
      - .offset:         200
        .size:           8
        .value_kind:     hidden_global_offset_z
      - .offset:         208
        .size:           2
        .value_kind:     hidden_grid_dims
      - .offset:         224
        .size:           8
        .value_kind:     hidden_hostcall_buffer
    .group_segment_fixed_size: 0
    .kernarg_segment_align: 8
    .kernarg_segment_size: 400
    .language:       OpenCL C
    .language_version:
      - 2
      - 0
    .max_flat_workgroup_size: 256
    .name:           _Z39paged_attention_ll4mi_QKV_mfma16_kernelI14__hip_bfloat16S0_LN4vllm18Fp8KVCacheDataTypeE0ES0_Li32ELi64ELi256ELb0ELi5EEvPKT_PKT0_S8_ifPKiSA_SA_iPKfiiiPfSD_PS3_PT2_iSC_SC_
    .private_segment_fixed_size: 64
    .sgpr_count:     36
    .sgpr_spill_count: 0
    .symbol:         _Z39paged_attention_ll4mi_QKV_mfma16_kernelI14__hip_bfloat16S0_LN4vllm18Fp8KVCacheDataTypeE0ES0_Li32ELi64ELi256ELb0ELi5EEvPKT_PKT0_S8_ifPKiSA_SA_iPKfiiiPfSD_PS3_PT2_iSC_SC_.kd
    .uniform_work_group_size: 1
    .uses_dynamic_stack: false
    .vgpr_count:     51
    .vgpr_spill_count: 0
    .wavefront_size: 32
  - .args:
      - .actual_access:  read_only
        .address_space:  global
        .offset:         0
        .size:           8
        .value_kind:     global_buffer
      - .actual_access:  read_only
        .address_space:  global
        .offset:         8
        .size:           8
        .value_kind:     global_buffer
      - .actual_access:  read_only
        .address_space:  global
        .offset:         16
        .size:           8
        .value_kind:     global_buffer
      - .offset:         24
        .size:           4
        .value_kind:     by_value
      - .offset:         28
        .size:           4
        .value_kind:     by_value
      - .actual_access:  read_only
        .address_space:  global
        .offset:         32
        .size:           8
        .value_kind:     global_buffer
      - .actual_access:  read_only
        .address_space:  global
        .offset:         40
        .size:           8
        .value_kind:     global_buffer
      - .actual_access:  read_only
        .address_space:  global
        .offset:         48
        .size:           8
        .value_kind:     global_buffer
      - .offset:         56
        .size:           4
        .value_kind:     by_value
      - .actual_access:  read_only
        .address_space:  global
        .offset:         64
        .size:           8
        .value_kind:     global_buffer
      - .offset:         72
        .size:           4
        .value_kind:     by_value
      - .offset:         76
        .size:           4
        .value_kind:     by_value
      - .offset:         80
        .size:           4
        .value_kind:     by_value
      - .actual_access:  read_only
        .address_space:  global
        .offset:         88
        .size:           8
        .value_kind:     global_buffer
      - .actual_access:  read_only
        .address_space:  global
        .offset:         96
        .size:           8
        .value_kind:     global_buffer
      - .actual_access:  read_only
        .address_space:  global
        .offset:         104
        .size:           8
        .value_kind:     global_buffer
      - .actual_access:  read_only
        .address_space:  global
        .offset:         112
        .size:           8
        .value_kind:     global_buffer
      - .offset:         120
        .size:           4
        .value_kind:     by_value
      - .address_space:  global
        .offset:         128
        .size:           8
        .value_kind:     global_buffer
      - .address_space:  global
        .offset:         136
        .size:           8
        .value_kind:     global_buffer
      - .offset:         144
        .size:           4
        .value_kind:     hidden_block_count_x
      - .offset:         148
        .size:           4
        .value_kind:     hidden_block_count_y
      - .offset:         152
        .size:           4
        .value_kind:     hidden_block_count_z
      - .offset:         156
        .size:           2
        .value_kind:     hidden_group_size_x
      - .offset:         158
        .size:           2
        .value_kind:     hidden_group_size_y
      - .offset:         160
        .size:           2
        .value_kind:     hidden_group_size_z
      - .offset:         162
        .size:           2
        .value_kind:     hidden_remainder_x
      - .offset:         164
        .size:           2
        .value_kind:     hidden_remainder_y
      - .offset:         166
        .size:           2
        .value_kind:     hidden_remainder_z
      - .offset:         184
        .size:           8
        .value_kind:     hidden_global_offset_x
      - .offset:         192
        .size:           8
        .value_kind:     hidden_global_offset_y
      - .offset:         200
        .size:           8
        .value_kind:     hidden_global_offset_z
      - .offset:         208
        .size:           2
        .value_kind:     hidden_grid_dims
      - .offset:         224
        .size:           8
        .value_kind:     hidden_hostcall_buffer
    .group_segment_fixed_size: 0
    .kernarg_segment_align: 8
    .kernarg_segment_size: 400
    .language:       OpenCL C
    .language_version:
      - 2
      - 0
    .max_flat_workgroup_size: 256
    .name:           _Z39paged_attention_ll4mi_QKV_mfma16_kernelI14__hip_bfloat16S0_LN4vllm18Fp8KVCacheDataTypeE0ES0_Li32ELi64ELi256ELb0ELi6EEvPKT_PKT0_S8_ifPKiSA_SA_iPKfiiiPfSD_PS3_PT2_iSC_SC_
    .private_segment_fixed_size: 64
    .sgpr_count:     36
    .sgpr_spill_count: 0
    .symbol:         _Z39paged_attention_ll4mi_QKV_mfma16_kernelI14__hip_bfloat16S0_LN4vllm18Fp8KVCacheDataTypeE0ES0_Li32ELi64ELi256ELb0ELi6EEvPKT_PKT0_S8_ifPKiSA_SA_iPKfiiiPfSD_PS3_PT2_iSC_SC_.kd
    .uniform_work_group_size: 1
    .uses_dynamic_stack: false
    .vgpr_count:     51
    .vgpr_spill_count: 0
    .wavefront_size: 32
  - .args:
      - .actual_access:  read_only
        .address_space:  global
        .offset:         0
        .size:           8
        .value_kind:     global_buffer
      - .actual_access:  read_only
        .address_space:  global
        .offset:         8
        .size:           8
        .value_kind:     global_buffer
      - .actual_access:  read_only
        .address_space:  global
        .offset:         16
        .size:           8
        .value_kind:     global_buffer
      - .offset:         24
        .size:           4
        .value_kind:     by_value
      - .offset:         28
        .size:           4
        .value_kind:     by_value
      - .actual_access:  read_only
        .address_space:  global
        .offset:         32
        .size:           8
        .value_kind:     global_buffer
      - .actual_access:  read_only
        .address_space:  global
        .offset:         40
        .size:           8
        .value_kind:     global_buffer
      - .actual_access:  read_only
        .address_space:  global
        .offset:         48
        .size:           8
        .value_kind:     global_buffer
      - .offset:         56
        .size:           4
        .value_kind:     by_value
      - .actual_access:  read_only
        .address_space:  global
        .offset:         64
        .size:           8
        .value_kind:     global_buffer
      - .offset:         72
        .size:           4
        .value_kind:     by_value
      - .offset:         76
        .size:           4
        .value_kind:     by_value
      - .offset:         80
        .size:           4
        .value_kind:     by_value
      - .actual_access:  read_only
        .address_space:  global
        .offset:         88
        .size:           8
        .value_kind:     global_buffer
      - .actual_access:  read_only
        .address_space:  global
        .offset:         96
        .size:           8
        .value_kind:     global_buffer
      - .actual_access:  read_only
        .address_space:  global
        .offset:         104
        .size:           8
        .value_kind:     global_buffer
      - .actual_access:  read_only
        .address_space:  global
        .offset:         112
        .size:           8
        .value_kind:     global_buffer
      - .offset:         120
        .size:           4
        .value_kind:     by_value
      - .address_space:  global
        .offset:         128
        .size:           8
        .value_kind:     global_buffer
      - .address_space:  global
        .offset:         136
        .size:           8
        .value_kind:     global_buffer
      - .offset:         144
        .size:           4
        .value_kind:     hidden_block_count_x
      - .offset:         148
        .size:           4
        .value_kind:     hidden_block_count_y
      - .offset:         152
        .size:           4
        .value_kind:     hidden_block_count_z
      - .offset:         156
        .size:           2
        .value_kind:     hidden_group_size_x
      - .offset:         158
        .size:           2
        .value_kind:     hidden_group_size_y
      - .offset:         160
        .size:           2
        .value_kind:     hidden_group_size_z
      - .offset:         162
        .size:           2
        .value_kind:     hidden_remainder_x
      - .offset:         164
        .size:           2
        .value_kind:     hidden_remainder_y
      - .offset:         166
        .size:           2
        .value_kind:     hidden_remainder_z
      - .offset:         184
        .size:           8
        .value_kind:     hidden_global_offset_x
      - .offset:         192
        .size:           8
        .value_kind:     hidden_global_offset_y
      - .offset:         200
        .size:           8
        .value_kind:     hidden_global_offset_z
      - .offset:         208
        .size:           2
        .value_kind:     hidden_grid_dims
      - .offset:         224
        .size:           8
        .value_kind:     hidden_hostcall_buffer
    .group_segment_fixed_size: 0
    .kernarg_segment_align: 8
    .kernarg_segment_size: 400
    .language:       OpenCL C
    .language_version:
      - 2
      - 0
    .max_flat_workgroup_size: 256
    .name:           _Z39paged_attention_ll4mi_QKV_mfma16_kernelI14__hip_bfloat16S0_LN4vllm18Fp8KVCacheDataTypeE0ES0_Li32ELi64ELi256ELb0ELi7EEvPKT_PKT0_S8_ifPKiSA_SA_iPKfiiiPfSD_PS3_PT2_iSC_SC_
    .private_segment_fixed_size: 64
    .sgpr_count:     36
    .sgpr_spill_count: 0
    .symbol:         _Z39paged_attention_ll4mi_QKV_mfma16_kernelI14__hip_bfloat16S0_LN4vllm18Fp8KVCacheDataTypeE0ES0_Li32ELi64ELi256ELb0ELi7EEvPKT_PKT0_S8_ifPKiSA_SA_iPKfiiiPfSD_PS3_PT2_iSC_SC_.kd
    .uniform_work_group_size: 1
    .uses_dynamic_stack: false
    .vgpr_count:     51
    .vgpr_spill_count: 0
    .wavefront_size: 32
  - .args:
      - .actual_access:  read_only
        .address_space:  global
        .offset:         0
        .size:           8
        .value_kind:     global_buffer
      - .actual_access:  read_only
        .address_space:  global
        .offset:         8
        .size:           8
        .value_kind:     global_buffer
      - .actual_access:  read_only
        .address_space:  global
        .offset:         16
        .size:           8
        .value_kind:     global_buffer
      - .offset:         24
        .size:           4
        .value_kind:     by_value
      - .offset:         28
        .size:           4
        .value_kind:     by_value
      - .actual_access:  read_only
        .address_space:  global
        .offset:         32
        .size:           8
        .value_kind:     global_buffer
      - .actual_access:  read_only
        .address_space:  global
        .offset:         40
        .size:           8
        .value_kind:     global_buffer
      - .actual_access:  read_only
        .address_space:  global
        .offset:         48
        .size:           8
        .value_kind:     global_buffer
      - .offset:         56
        .size:           4
        .value_kind:     by_value
      - .actual_access:  read_only
        .address_space:  global
        .offset:         64
        .size:           8
        .value_kind:     global_buffer
      - .offset:         72
        .size:           4
        .value_kind:     by_value
      - .offset:         76
        .size:           4
        .value_kind:     by_value
      - .offset:         80
        .size:           4
        .value_kind:     by_value
      - .actual_access:  read_only
        .address_space:  global
        .offset:         88
        .size:           8
        .value_kind:     global_buffer
      - .actual_access:  read_only
        .address_space:  global
        .offset:         96
        .size:           8
        .value_kind:     global_buffer
      - .actual_access:  read_only
        .address_space:  global
        .offset:         104
        .size:           8
        .value_kind:     global_buffer
      - .actual_access:  read_only
        .address_space:  global
        .offset:         112
        .size:           8
        .value_kind:     global_buffer
      - .offset:         120
        .size:           4
        .value_kind:     by_value
      - .address_space:  global
        .offset:         128
        .size:           8
        .value_kind:     global_buffer
      - .address_space:  global
        .offset:         136
        .size:           8
        .value_kind:     global_buffer
      - .offset:         144
        .size:           4
        .value_kind:     hidden_block_count_x
      - .offset:         148
        .size:           4
        .value_kind:     hidden_block_count_y
      - .offset:         152
        .size:           4
        .value_kind:     hidden_block_count_z
      - .offset:         156
        .size:           2
        .value_kind:     hidden_group_size_x
      - .offset:         158
        .size:           2
        .value_kind:     hidden_group_size_y
      - .offset:         160
        .size:           2
        .value_kind:     hidden_group_size_z
      - .offset:         162
        .size:           2
        .value_kind:     hidden_remainder_x
      - .offset:         164
        .size:           2
        .value_kind:     hidden_remainder_y
      - .offset:         166
        .size:           2
        .value_kind:     hidden_remainder_z
      - .offset:         184
        .size:           8
        .value_kind:     hidden_global_offset_x
      - .offset:         192
        .size:           8
        .value_kind:     hidden_global_offset_y
      - .offset:         200
        .size:           8
        .value_kind:     hidden_global_offset_z
      - .offset:         208
        .size:           2
        .value_kind:     hidden_grid_dims
      - .offset:         224
        .size:           8
        .value_kind:     hidden_hostcall_buffer
    .group_segment_fixed_size: 0
    .kernarg_segment_align: 8
    .kernarg_segment_size: 400
    .language:       OpenCL C
    .language_version:
      - 2
      - 0
    .max_flat_workgroup_size: 256
    .name:           _Z39paged_attention_ll4mi_QKV_mfma16_kernelI14__hip_bfloat16S0_LN4vllm18Fp8KVCacheDataTypeE0ES0_Li32ELi64ELi256ELb0ELi8EEvPKT_PKT0_S8_ifPKiSA_SA_iPKfiiiPfSD_PS3_PT2_iSC_SC_
    .private_segment_fixed_size: 64
    .sgpr_count:     36
    .sgpr_spill_count: 0
    .symbol:         _Z39paged_attention_ll4mi_QKV_mfma16_kernelI14__hip_bfloat16S0_LN4vllm18Fp8KVCacheDataTypeE0ES0_Li32ELi64ELi256ELb0ELi8EEvPKT_PKT0_S8_ifPKiSA_SA_iPKfiiiPfSD_PS3_PT2_iSC_SC_.kd
    .uniform_work_group_size: 1
    .uses_dynamic_stack: false
    .vgpr_count:     51
    .vgpr_spill_count: 0
    .wavefront_size: 32
  - .args:
      - .actual_access:  read_only
        .address_space:  global
        .offset:         0
        .size:           8
        .value_kind:     global_buffer
      - .actual_access:  read_only
        .address_space:  global
        .offset:         8
        .size:           8
        .value_kind:     global_buffer
      - .actual_access:  read_only
        .address_space:  global
        .offset:         16
        .size:           8
        .value_kind:     global_buffer
      - .offset:         24
        .size:           4
        .value_kind:     by_value
      - .offset:         28
        .size:           4
        .value_kind:     by_value
      - .actual_access:  read_only
        .address_space:  global
        .offset:         32
        .size:           8
        .value_kind:     global_buffer
      - .actual_access:  read_only
        .address_space:  global
        .offset:         40
        .size:           8
        .value_kind:     global_buffer
      - .actual_access:  read_only
        .address_space:  global
        .offset:         48
        .size:           8
        .value_kind:     global_buffer
      - .offset:         56
        .size:           4
        .value_kind:     by_value
      - .actual_access:  read_only
        .address_space:  global
        .offset:         64
        .size:           8
        .value_kind:     global_buffer
      - .offset:         72
        .size:           4
        .value_kind:     by_value
      - .offset:         76
        .size:           4
        .value_kind:     by_value
      - .offset:         80
        .size:           4
        .value_kind:     by_value
      - .actual_access:  read_only
        .address_space:  global
        .offset:         88
        .size:           8
        .value_kind:     global_buffer
      - .actual_access:  read_only
        .address_space:  global
        .offset:         96
        .size:           8
        .value_kind:     global_buffer
      - .actual_access:  read_only
        .address_space:  global
        .offset:         104
        .size:           8
        .value_kind:     global_buffer
      - .actual_access:  read_only
        .address_space:  global
        .offset:         112
        .size:           8
        .value_kind:     global_buffer
      - .offset:         120
        .size:           4
        .value_kind:     by_value
      - .address_space:  global
        .offset:         128
        .size:           8
        .value_kind:     global_buffer
      - .address_space:  global
        .offset:         136
        .size:           8
        .value_kind:     global_buffer
      - .offset:         144
        .size:           4
        .value_kind:     hidden_block_count_x
      - .offset:         148
        .size:           4
        .value_kind:     hidden_block_count_y
      - .offset:         152
        .size:           4
        .value_kind:     hidden_block_count_z
      - .offset:         156
        .size:           2
        .value_kind:     hidden_group_size_x
      - .offset:         158
        .size:           2
        .value_kind:     hidden_group_size_y
      - .offset:         160
        .size:           2
        .value_kind:     hidden_group_size_z
      - .offset:         162
        .size:           2
        .value_kind:     hidden_remainder_x
      - .offset:         164
        .size:           2
        .value_kind:     hidden_remainder_y
      - .offset:         166
        .size:           2
        .value_kind:     hidden_remainder_z
      - .offset:         184
        .size:           8
        .value_kind:     hidden_global_offset_x
      - .offset:         192
        .size:           8
        .value_kind:     hidden_global_offset_y
      - .offset:         200
        .size:           8
        .value_kind:     hidden_global_offset_z
      - .offset:         208
        .size:           2
        .value_kind:     hidden_grid_dims
      - .offset:         224
        .size:           8
        .value_kind:     hidden_hostcall_buffer
    .group_segment_fixed_size: 0
    .kernarg_segment_align: 8
    .kernarg_segment_size: 400
    .language:       OpenCL C
    .language_version:
      - 2
      - 0
    .max_flat_workgroup_size: 256
    .name:           _Z39paged_attention_ll4mi_QKV_mfma16_kernelI14__hip_bfloat16S0_LN4vllm18Fp8KVCacheDataTypeE0ES0_Li32ELi64ELi256ELb0ELi9EEvPKT_PKT0_S8_ifPKiSA_SA_iPKfiiiPfSD_PS3_PT2_iSC_SC_
    .private_segment_fixed_size: 64
    .sgpr_count:     36
    .sgpr_spill_count: 0
    .symbol:         _Z39paged_attention_ll4mi_QKV_mfma16_kernelI14__hip_bfloat16S0_LN4vllm18Fp8KVCacheDataTypeE0ES0_Li32ELi64ELi256ELb0ELi9EEvPKT_PKT0_S8_ifPKiSA_SA_iPKfiiiPfSD_PS3_PT2_iSC_SC_.kd
    .uniform_work_group_size: 1
    .uses_dynamic_stack: false
    .vgpr_count:     51
    .vgpr_spill_count: 0
    .wavefront_size: 32
  - .args:
      - .actual_access:  read_only
        .address_space:  global
        .offset:         0
        .size:           8
        .value_kind:     global_buffer
      - .actual_access:  read_only
        .address_space:  global
        .offset:         8
        .size:           8
        .value_kind:     global_buffer
      - .actual_access:  read_only
        .address_space:  global
        .offset:         16
        .size:           8
        .value_kind:     global_buffer
      - .offset:         24
        .size:           4
        .value_kind:     by_value
      - .offset:         28
        .size:           4
        .value_kind:     by_value
      - .actual_access:  read_only
        .address_space:  global
        .offset:         32
        .size:           8
        .value_kind:     global_buffer
      - .actual_access:  read_only
        .address_space:  global
        .offset:         40
        .size:           8
        .value_kind:     global_buffer
      - .actual_access:  read_only
        .address_space:  global
        .offset:         48
        .size:           8
        .value_kind:     global_buffer
      - .offset:         56
        .size:           4
        .value_kind:     by_value
      - .actual_access:  read_only
        .address_space:  global
        .offset:         64
        .size:           8
        .value_kind:     global_buffer
      - .offset:         72
        .size:           4
        .value_kind:     by_value
      - .offset:         76
        .size:           4
        .value_kind:     by_value
      - .offset:         80
        .size:           4
        .value_kind:     by_value
      - .actual_access:  read_only
        .address_space:  global
        .offset:         88
        .size:           8
        .value_kind:     global_buffer
      - .actual_access:  read_only
        .address_space:  global
        .offset:         96
        .size:           8
        .value_kind:     global_buffer
      - .actual_access:  read_only
        .address_space:  global
        .offset:         104
        .size:           8
        .value_kind:     global_buffer
      - .actual_access:  read_only
        .address_space:  global
        .offset:         112
        .size:           8
        .value_kind:     global_buffer
      - .offset:         120
        .size:           4
        .value_kind:     by_value
      - .address_space:  global
        .offset:         128
        .size:           8
        .value_kind:     global_buffer
      - .address_space:  global
        .offset:         136
        .size:           8
        .value_kind:     global_buffer
      - .offset:         144
        .size:           4
        .value_kind:     hidden_block_count_x
      - .offset:         148
        .size:           4
        .value_kind:     hidden_block_count_y
      - .offset:         152
        .size:           4
        .value_kind:     hidden_block_count_z
      - .offset:         156
        .size:           2
        .value_kind:     hidden_group_size_x
      - .offset:         158
        .size:           2
        .value_kind:     hidden_group_size_y
      - .offset:         160
        .size:           2
        .value_kind:     hidden_group_size_z
      - .offset:         162
        .size:           2
        .value_kind:     hidden_remainder_x
      - .offset:         164
        .size:           2
        .value_kind:     hidden_remainder_y
      - .offset:         166
        .size:           2
        .value_kind:     hidden_remainder_z
      - .offset:         184
        .size:           8
        .value_kind:     hidden_global_offset_x
      - .offset:         192
        .size:           8
        .value_kind:     hidden_global_offset_y
      - .offset:         200
        .size:           8
        .value_kind:     hidden_global_offset_z
      - .offset:         208
        .size:           2
        .value_kind:     hidden_grid_dims
      - .offset:         224
        .size:           8
        .value_kind:     hidden_hostcall_buffer
    .group_segment_fixed_size: 0
    .kernarg_segment_align: 8
    .kernarg_segment_size: 400
    .language:       OpenCL C
    .language_version:
      - 2
      - 0
    .max_flat_workgroup_size: 256
    .name:           _Z39paged_attention_ll4mi_QKV_mfma16_kernelI14__hip_bfloat16S0_LN4vllm18Fp8KVCacheDataTypeE0ES0_Li32ELi64ELi256ELb0ELi10EEvPKT_PKT0_S8_ifPKiSA_SA_iPKfiiiPfSD_PS3_PT2_iSC_SC_
    .private_segment_fixed_size: 64
    .sgpr_count:     36
    .sgpr_spill_count: 0
    .symbol:         _Z39paged_attention_ll4mi_QKV_mfma16_kernelI14__hip_bfloat16S0_LN4vllm18Fp8KVCacheDataTypeE0ES0_Li32ELi64ELi256ELb0ELi10EEvPKT_PKT0_S8_ifPKiSA_SA_iPKfiiiPfSD_PS3_PT2_iSC_SC_.kd
    .uniform_work_group_size: 1
    .uses_dynamic_stack: false
    .vgpr_count:     51
    .vgpr_spill_count: 0
    .wavefront_size: 32
  - .args:
      - .actual_access:  read_only
        .address_space:  global
        .offset:         0
        .size:           8
        .value_kind:     global_buffer
      - .actual_access:  read_only
        .address_space:  global
        .offset:         8
        .size:           8
        .value_kind:     global_buffer
      - .actual_access:  read_only
        .address_space:  global
        .offset:         16
        .size:           8
        .value_kind:     global_buffer
      - .offset:         24
        .size:           4
        .value_kind:     by_value
      - .offset:         28
        .size:           4
        .value_kind:     by_value
      - .actual_access:  read_only
        .address_space:  global
        .offset:         32
        .size:           8
        .value_kind:     global_buffer
      - .actual_access:  read_only
        .address_space:  global
        .offset:         40
        .size:           8
        .value_kind:     global_buffer
      - .actual_access:  read_only
        .address_space:  global
        .offset:         48
        .size:           8
        .value_kind:     global_buffer
      - .offset:         56
        .size:           4
        .value_kind:     by_value
      - .actual_access:  read_only
        .address_space:  global
        .offset:         64
        .size:           8
        .value_kind:     global_buffer
      - .offset:         72
        .size:           4
        .value_kind:     by_value
      - .offset:         76
        .size:           4
        .value_kind:     by_value
      - .offset:         80
        .size:           4
        .value_kind:     by_value
      - .actual_access:  read_only
        .address_space:  global
        .offset:         88
        .size:           8
        .value_kind:     global_buffer
      - .actual_access:  read_only
        .address_space:  global
        .offset:         96
        .size:           8
        .value_kind:     global_buffer
      - .actual_access:  read_only
        .address_space:  global
        .offset:         104
        .size:           8
        .value_kind:     global_buffer
      - .actual_access:  read_only
        .address_space:  global
        .offset:         112
        .size:           8
        .value_kind:     global_buffer
      - .offset:         120
        .size:           4
        .value_kind:     by_value
      - .address_space:  global
        .offset:         128
        .size:           8
        .value_kind:     global_buffer
      - .address_space:  global
        .offset:         136
        .size:           8
        .value_kind:     global_buffer
      - .offset:         144
        .size:           4
        .value_kind:     hidden_block_count_x
      - .offset:         148
        .size:           4
        .value_kind:     hidden_block_count_y
      - .offset:         152
        .size:           4
        .value_kind:     hidden_block_count_z
      - .offset:         156
        .size:           2
        .value_kind:     hidden_group_size_x
      - .offset:         158
        .size:           2
        .value_kind:     hidden_group_size_y
      - .offset:         160
        .size:           2
        .value_kind:     hidden_group_size_z
      - .offset:         162
        .size:           2
        .value_kind:     hidden_remainder_x
      - .offset:         164
        .size:           2
        .value_kind:     hidden_remainder_y
      - .offset:         166
        .size:           2
        .value_kind:     hidden_remainder_z
      - .offset:         184
        .size:           8
        .value_kind:     hidden_global_offset_x
      - .offset:         192
        .size:           8
        .value_kind:     hidden_global_offset_y
      - .offset:         200
        .size:           8
        .value_kind:     hidden_global_offset_z
      - .offset:         208
        .size:           2
        .value_kind:     hidden_grid_dims
      - .offset:         224
        .size:           8
        .value_kind:     hidden_hostcall_buffer
    .group_segment_fixed_size: 0
    .kernarg_segment_align: 8
    .kernarg_segment_size: 400
    .language:       OpenCL C
    .language_version:
      - 2
      - 0
    .max_flat_workgroup_size: 256
    .name:           _Z39paged_attention_ll4mi_QKV_mfma16_kernelI14__hip_bfloat16S0_LN4vllm18Fp8KVCacheDataTypeE0ES0_Li32ELi64ELi256ELb0ELi11EEvPKT_PKT0_S8_ifPKiSA_SA_iPKfiiiPfSD_PS3_PT2_iSC_SC_
    .private_segment_fixed_size: 64
    .sgpr_count:     36
    .sgpr_spill_count: 0
    .symbol:         _Z39paged_attention_ll4mi_QKV_mfma16_kernelI14__hip_bfloat16S0_LN4vllm18Fp8KVCacheDataTypeE0ES0_Li32ELi64ELi256ELb0ELi11EEvPKT_PKT0_S8_ifPKiSA_SA_iPKfiiiPfSD_PS3_PT2_iSC_SC_.kd
    .uniform_work_group_size: 1
    .uses_dynamic_stack: false
    .vgpr_count:     51
    .vgpr_spill_count: 0
    .wavefront_size: 32
  - .args:
      - .actual_access:  read_only
        .address_space:  global
        .offset:         0
        .size:           8
        .value_kind:     global_buffer
      - .actual_access:  read_only
        .address_space:  global
        .offset:         8
        .size:           8
        .value_kind:     global_buffer
      - .actual_access:  read_only
        .address_space:  global
        .offset:         16
        .size:           8
        .value_kind:     global_buffer
      - .offset:         24
        .size:           4
        .value_kind:     by_value
      - .offset:         28
        .size:           4
        .value_kind:     by_value
      - .actual_access:  read_only
        .address_space:  global
        .offset:         32
        .size:           8
        .value_kind:     global_buffer
      - .actual_access:  read_only
        .address_space:  global
        .offset:         40
        .size:           8
        .value_kind:     global_buffer
      - .actual_access:  read_only
        .address_space:  global
        .offset:         48
        .size:           8
        .value_kind:     global_buffer
      - .offset:         56
        .size:           4
        .value_kind:     by_value
      - .actual_access:  read_only
        .address_space:  global
        .offset:         64
        .size:           8
        .value_kind:     global_buffer
      - .offset:         72
        .size:           4
        .value_kind:     by_value
      - .offset:         76
        .size:           4
        .value_kind:     by_value
      - .offset:         80
        .size:           4
        .value_kind:     by_value
      - .actual_access:  read_only
        .address_space:  global
        .offset:         88
        .size:           8
        .value_kind:     global_buffer
      - .actual_access:  read_only
        .address_space:  global
        .offset:         96
        .size:           8
        .value_kind:     global_buffer
      - .actual_access:  read_only
        .address_space:  global
        .offset:         104
        .size:           8
        .value_kind:     global_buffer
      - .actual_access:  read_only
        .address_space:  global
        .offset:         112
        .size:           8
        .value_kind:     global_buffer
      - .offset:         120
        .size:           4
        .value_kind:     by_value
      - .address_space:  global
        .offset:         128
        .size:           8
        .value_kind:     global_buffer
      - .address_space:  global
        .offset:         136
        .size:           8
        .value_kind:     global_buffer
      - .offset:         144
        .size:           4
        .value_kind:     hidden_block_count_x
      - .offset:         148
        .size:           4
        .value_kind:     hidden_block_count_y
      - .offset:         152
        .size:           4
        .value_kind:     hidden_block_count_z
      - .offset:         156
        .size:           2
        .value_kind:     hidden_group_size_x
      - .offset:         158
        .size:           2
        .value_kind:     hidden_group_size_y
      - .offset:         160
        .size:           2
        .value_kind:     hidden_group_size_z
      - .offset:         162
        .size:           2
        .value_kind:     hidden_remainder_x
      - .offset:         164
        .size:           2
        .value_kind:     hidden_remainder_y
      - .offset:         166
        .size:           2
        .value_kind:     hidden_remainder_z
      - .offset:         184
        .size:           8
        .value_kind:     hidden_global_offset_x
      - .offset:         192
        .size:           8
        .value_kind:     hidden_global_offset_y
      - .offset:         200
        .size:           8
        .value_kind:     hidden_global_offset_z
      - .offset:         208
        .size:           2
        .value_kind:     hidden_grid_dims
      - .offset:         224
        .size:           8
        .value_kind:     hidden_hostcall_buffer
    .group_segment_fixed_size: 0
    .kernarg_segment_align: 8
    .kernarg_segment_size: 400
    .language:       OpenCL C
    .language_version:
      - 2
      - 0
    .max_flat_workgroup_size: 256
    .name:           _Z39paged_attention_ll4mi_QKV_mfma16_kernelI14__hip_bfloat16S0_LN4vllm18Fp8KVCacheDataTypeE0ES0_Li32ELi64ELi256ELb0ELi12EEvPKT_PKT0_S8_ifPKiSA_SA_iPKfiiiPfSD_PS3_PT2_iSC_SC_
    .private_segment_fixed_size: 64
    .sgpr_count:     36
    .sgpr_spill_count: 0
    .symbol:         _Z39paged_attention_ll4mi_QKV_mfma16_kernelI14__hip_bfloat16S0_LN4vllm18Fp8KVCacheDataTypeE0ES0_Li32ELi64ELi256ELb0ELi12EEvPKT_PKT0_S8_ifPKiSA_SA_iPKfiiiPfSD_PS3_PT2_iSC_SC_.kd
    .uniform_work_group_size: 1
    .uses_dynamic_stack: false
    .vgpr_count:     51
    .vgpr_spill_count: 0
    .wavefront_size: 32
  - .args:
      - .actual_access:  read_only
        .address_space:  global
        .offset:         0
        .size:           8
        .value_kind:     global_buffer
      - .actual_access:  read_only
        .address_space:  global
        .offset:         8
        .size:           8
        .value_kind:     global_buffer
      - .actual_access:  read_only
        .address_space:  global
        .offset:         16
        .size:           8
        .value_kind:     global_buffer
      - .offset:         24
        .size:           4
        .value_kind:     by_value
      - .offset:         28
        .size:           4
        .value_kind:     by_value
      - .actual_access:  read_only
        .address_space:  global
        .offset:         32
        .size:           8
        .value_kind:     global_buffer
      - .actual_access:  read_only
        .address_space:  global
        .offset:         40
        .size:           8
        .value_kind:     global_buffer
      - .actual_access:  read_only
        .address_space:  global
        .offset:         48
        .size:           8
        .value_kind:     global_buffer
      - .offset:         56
        .size:           4
        .value_kind:     by_value
      - .actual_access:  read_only
        .address_space:  global
        .offset:         64
        .size:           8
        .value_kind:     global_buffer
      - .offset:         72
        .size:           4
        .value_kind:     by_value
      - .offset:         76
        .size:           4
        .value_kind:     by_value
      - .offset:         80
        .size:           4
        .value_kind:     by_value
      - .actual_access:  read_only
        .address_space:  global
        .offset:         88
        .size:           8
        .value_kind:     global_buffer
      - .actual_access:  read_only
        .address_space:  global
        .offset:         96
        .size:           8
        .value_kind:     global_buffer
      - .actual_access:  read_only
        .address_space:  global
        .offset:         104
        .size:           8
        .value_kind:     global_buffer
      - .actual_access:  read_only
        .address_space:  global
        .offset:         112
        .size:           8
        .value_kind:     global_buffer
      - .offset:         120
        .size:           4
        .value_kind:     by_value
      - .address_space:  global
        .offset:         128
        .size:           8
        .value_kind:     global_buffer
      - .address_space:  global
        .offset:         136
        .size:           8
        .value_kind:     global_buffer
      - .offset:         144
        .size:           4
        .value_kind:     hidden_block_count_x
      - .offset:         148
        .size:           4
        .value_kind:     hidden_block_count_y
      - .offset:         152
        .size:           4
        .value_kind:     hidden_block_count_z
      - .offset:         156
        .size:           2
        .value_kind:     hidden_group_size_x
      - .offset:         158
        .size:           2
        .value_kind:     hidden_group_size_y
      - .offset:         160
        .size:           2
        .value_kind:     hidden_group_size_z
      - .offset:         162
        .size:           2
        .value_kind:     hidden_remainder_x
      - .offset:         164
        .size:           2
        .value_kind:     hidden_remainder_y
      - .offset:         166
        .size:           2
        .value_kind:     hidden_remainder_z
      - .offset:         184
        .size:           8
        .value_kind:     hidden_global_offset_x
      - .offset:         192
        .size:           8
        .value_kind:     hidden_global_offset_y
      - .offset:         200
        .size:           8
        .value_kind:     hidden_global_offset_z
      - .offset:         208
        .size:           2
        .value_kind:     hidden_grid_dims
      - .offset:         224
        .size:           8
        .value_kind:     hidden_hostcall_buffer
    .group_segment_fixed_size: 0
    .kernarg_segment_align: 8
    .kernarg_segment_size: 400
    .language:       OpenCL C
    .language_version:
      - 2
      - 0
    .max_flat_workgroup_size: 256
    .name:           _Z39paged_attention_ll4mi_QKV_mfma16_kernelI14__hip_bfloat16S0_LN4vllm18Fp8KVCacheDataTypeE0ES0_Li32ELi64ELi256ELb0ELi13EEvPKT_PKT0_S8_ifPKiSA_SA_iPKfiiiPfSD_PS3_PT2_iSC_SC_
    .private_segment_fixed_size: 64
    .sgpr_count:     36
    .sgpr_spill_count: 0
    .symbol:         _Z39paged_attention_ll4mi_QKV_mfma16_kernelI14__hip_bfloat16S0_LN4vllm18Fp8KVCacheDataTypeE0ES0_Li32ELi64ELi256ELb0ELi13EEvPKT_PKT0_S8_ifPKiSA_SA_iPKfiiiPfSD_PS3_PT2_iSC_SC_.kd
    .uniform_work_group_size: 1
    .uses_dynamic_stack: false
    .vgpr_count:     51
    .vgpr_spill_count: 0
    .wavefront_size: 32
  - .args:
      - .actual_access:  read_only
        .address_space:  global
        .offset:         0
        .size:           8
        .value_kind:     global_buffer
      - .actual_access:  read_only
        .address_space:  global
        .offset:         8
        .size:           8
        .value_kind:     global_buffer
      - .actual_access:  read_only
        .address_space:  global
        .offset:         16
        .size:           8
        .value_kind:     global_buffer
      - .offset:         24
        .size:           4
        .value_kind:     by_value
      - .offset:         28
        .size:           4
        .value_kind:     by_value
      - .actual_access:  read_only
        .address_space:  global
        .offset:         32
        .size:           8
        .value_kind:     global_buffer
      - .actual_access:  read_only
        .address_space:  global
        .offset:         40
        .size:           8
        .value_kind:     global_buffer
      - .actual_access:  read_only
        .address_space:  global
        .offset:         48
        .size:           8
        .value_kind:     global_buffer
      - .offset:         56
        .size:           4
        .value_kind:     by_value
      - .actual_access:  read_only
        .address_space:  global
        .offset:         64
        .size:           8
        .value_kind:     global_buffer
      - .offset:         72
        .size:           4
        .value_kind:     by_value
      - .offset:         76
        .size:           4
        .value_kind:     by_value
      - .offset:         80
        .size:           4
        .value_kind:     by_value
      - .actual_access:  read_only
        .address_space:  global
        .offset:         88
        .size:           8
        .value_kind:     global_buffer
      - .actual_access:  read_only
        .address_space:  global
        .offset:         96
        .size:           8
        .value_kind:     global_buffer
      - .actual_access:  read_only
        .address_space:  global
        .offset:         104
        .size:           8
        .value_kind:     global_buffer
      - .actual_access:  read_only
        .address_space:  global
        .offset:         112
        .size:           8
        .value_kind:     global_buffer
      - .offset:         120
        .size:           4
        .value_kind:     by_value
      - .address_space:  global
        .offset:         128
        .size:           8
        .value_kind:     global_buffer
      - .address_space:  global
        .offset:         136
        .size:           8
        .value_kind:     global_buffer
      - .offset:         144
        .size:           4
        .value_kind:     hidden_block_count_x
      - .offset:         148
        .size:           4
        .value_kind:     hidden_block_count_y
      - .offset:         152
        .size:           4
        .value_kind:     hidden_block_count_z
      - .offset:         156
        .size:           2
        .value_kind:     hidden_group_size_x
      - .offset:         158
        .size:           2
        .value_kind:     hidden_group_size_y
      - .offset:         160
        .size:           2
        .value_kind:     hidden_group_size_z
      - .offset:         162
        .size:           2
        .value_kind:     hidden_remainder_x
      - .offset:         164
        .size:           2
        .value_kind:     hidden_remainder_y
      - .offset:         166
        .size:           2
        .value_kind:     hidden_remainder_z
      - .offset:         184
        .size:           8
        .value_kind:     hidden_global_offset_x
      - .offset:         192
        .size:           8
        .value_kind:     hidden_global_offset_y
      - .offset:         200
        .size:           8
        .value_kind:     hidden_global_offset_z
      - .offset:         208
        .size:           2
        .value_kind:     hidden_grid_dims
      - .offset:         224
        .size:           8
        .value_kind:     hidden_hostcall_buffer
    .group_segment_fixed_size: 0
    .kernarg_segment_align: 8
    .kernarg_segment_size: 400
    .language:       OpenCL C
    .language_version:
      - 2
      - 0
    .max_flat_workgroup_size: 256
    .name:           _Z39paged_attention_ll4mi_QKV_mfma16_kernelI14__hip_bfloat16S0_LN4vllm18Fp8KVCacheDataTypeE0ES0_Li32ELi64ELi256ELb0ELi14EEvPKT_PKT0_S8_ifPKiSA_SA_iPKfiiiPfSD_PS3_PT2_iSC_SC_
    .private_segment_fixed_size: 64
    .sgpr_count:     36
    .sgpr_spill_count: 0
    .symbol:         _Z39paged_attention_ll4mi_QKV_mfma16_kernelI14__hip_bfloat16S0_LN4vllm18Fp8KVCacheDataTypeE0ES0_Li32ELi64ELi256ELb0ELi14EEvPKT_PKT0_S8_ifPKiSA_SA_iPKfiiiPfSD_PS3_PT2_iSC_SC_.kd
    .uniform_work_group_size: 1
    .uses_dynamic_stack: false
    .vgpr_count:     51
    .vgpr_spill_count: 0
    .wavefront_size: 32
  - .args:
      - .actual_access:  read_only
        .address_space:  global
        .offset:         0
        .size:           8
        .value_kind:     global_buffer
      - .actual_access:  read_only
        .address_space:  global
        .offset:         8
        .size:           8
        .value_kind:     global_buffer
      - .actual_access:  read_only
        .address_space:  global
        .offset:         16
        .size:           8
        .value_kind:     global_buffer
      - .offset:         24
        .size:           4
        .value_kind:     by_value
      - .offset:         28
        .size:           4
        .value_kind:     by_value
      - .actual_access:  read_only
        .address_space:  global
        .offset:         32
        .size:           8
        .value_kind:     global_buffer
      - .actual_access:  read_only
        .address_space:  global
        .offset:         40
        .size:           8
        .value_kind:     global_buffer
      - .actual_access:  read_only
        .address_space:  global
        .offset:         48
        .size:           8
        .value_kind:     global_buffer
      - .offset:         56
        .size:           4
        .value_kind:     by_value
      - .actual_access:  read_only
        .address_space:  global
        .offset:         64
        .size:           8
        .value_kind:     global_buffer
      - .offset:         72
        .size:           4
        .value_kind:     by_value
      - .offset:         76
        .size:           4
        .value_kind:     by_value
      - .offset:         80
        .size:           4
        .value_kind:     by_value
      - .actual_access:  read_only
        .address_space:  global
        .offset:         88
        .size:           8
        .value_kind:     global_buffer
      - .actual_access:  read_only
        .address_space:  global
        .offset:         96
        .size:           8
        .value_kind:     global_buffer
      - .actual_access:  read_only
        .address_space:  global
        .offset:         104
        .size:           8
        .value_kind:     global_buffer
      - .actual_access:  read_only
        .address_space:  global
        .offset:         112
        .size:           8
        .value_kind:     global_buffer
      - .offset:         120
        .size:           4
        .value_kind:     by_value
      - .address_space:  global
        .offset:         128
        .size:           8
        .value_kind:     global_buffer
      - .address_space:  global
        .offset:         136
        .size:           8
        .value_kind:     global_buffer
      - .offset:         144
        .size:           4
        .value_kind:     hidden_block_count_x
      - .offset:         148
        .size:           4
        .value_kind:     hidden_block_count_y
      - .offset:         152
        .size:           4
        .value_kind:     hidden_block_count_z
      - .offset:         156
        .size:           2
        .value_kind:     hidden_group_size_x
      - .offset:         158
        .size:           2
        .value_kind:     hidden_group_size_y
      - .offset:         160
        .size:           2
        .value_kind:     hidden_group_size_z
      - .offset:         162
        .size:           2
        .value_kind:     hidden_remainder_x
      - .offset:         164
        .size:           2
        .value_kind:     hidden_remainder_y
      - .offset:         166
        .size:           2
        .value_kind:     hidden_remainder_z
      - .offset:         184
        .size:           8
        .value_kind:     hidden_global_offset_x
      - .offset:         192
        .size:           8
        .value_kind:     hidden_global_offset_y
      - .offset:         200
        .size:           8
        .value_kind:     hidden_global_offset_z
      - .offset:         208
        .size:           2
        .value_kind:     hidden_grid_dims
      - .offset:         224
        .size:           8
        .value_kind:     hidden_hostcall_buffer
    .group_segment_fixed_size: 0
    .kernarg_segment_align: 8
    .kernarg_segment_size: 400
    .language:       OpenCL C
    .language_version:
      - 2
      - 0
    .max_flat_workgroup_size: 256
    .name:           _Z39paged_attention_ll4mi_QKV_mfma16_kernelI14__hip_bfloat16S0_LN4vllm18Fp8KVCacheDataTypeE0ES0_Li32ELi64ELi256ELb0ELi15EEvPKT_PKT0_S8_ifPKiSA_SA_iPKfiiiPfSD_PS3_PT2_iSC_SC_
    .private_segment_fixed_size: 64
    .sgpr_count:     36
    .sgpr_spill_count: 0
    .symbol:         _Z39paged_attention_ll4mi_QKV_mfma16_kernelI14__hip_bfloat16S0_LN4vllm18Fp8KVCacheDataTypeE0ES0_Li32ELi64ELi256ELb0ELi15EEvPKT_PKT0_S8_ifPKiSA_SA_iPKfiiiPfSD_PS3_PT2_iSC_SC_.kd
    .uniform_work_group_size: 1
    .uses_dynamic_stack: false
    .vgpr_count:     51
    .vgpr_spill_count: 0
    .wavefront_size: 32
  - .args:
      - .actual_access:  read_only
        .address_space:  global
        .offset:         0
        .size:           8
        .value_kind:     global_buffer
      - .actual_access:  read_only
        .address_space:  global
        .offset:         8
        .size:           8
        .value_kind:     global_buffer
      - .actual_access:  read_only
        .address_space:  global
        .offset:         16
        .size:           8
        .value_kind:     global_buffer
      - .offset:         24
        .size:           4
        .value_kind:     by_value
      - .offset:         28
        .size:           4
        .value_kind:     by_value
      - .actual_access:  read_only
        .address_space:  global
        .offset:         32
        .size:           8
        .value_kind:     global_buffer
      - .actual_access:  read_only
        .address_space:  global
        .offset:         40
        .size:           8
        .value_kind:     global_buffer
      - .actual_access:  read_only
        .address_space:  global
        .offset:         48
        .size:           8
        .value_kind:     global_buffer
      - .offset:         56
        .size:           4
        .value_kind:     by_value
      - .actual_access:  read_only
        .address_space:  global
        .offset:         64
        .size:           8
        .value_kind:     global_buffer
      - .offset:         72
        .size:           4
        .value_kind:     by_value
      - .offset:         76
        .size:           4
        .value_kind:     by_value
      - .offset:         80
        .size:           4
        .value_kind:     by_value
      - .actual_access:  read_only
        .address_space:  global
        .offset:         88
        .size:           8
        .value_kind:     global_buffer
      - .actual_access:  read_only
        .address_space:  global
        .offset:         96
        .size:           8
        .value_kind:     global_buffer
      - .actual_access:  read_only
        .address_space:  global
        .offset:         104
        .size:           8
        .value_kind:     global_buffer
      - .actual_access:  read_only
        .address_space:  global
        .offset:         112
        .size:           8
        .value_kind:     global_buffer
      - .offset:         120
        .size:           4
        .value_kind:     by_value
      - .address_space:  global
        .offset:         128
        .size:           8
        .value_kind:     global_buffer
      - .address_space:  global
        .offset:         136
        .size:           8
        .value_kind:     global_buffer
      - .offset:         144
        .size:           4
        .value_kind:     hidden_block_count_x
      - .offset:         148
        .size:           4
        .value_kind:     hidden_block_count_y
      - .offset:         152
        .size:           4
        .value_kind:     hidden_block_count_z
      - .offset:         156
        .size:           2
        .value_kind:     hidden_group_size_x
      - .offset:         158
        .size:           2
        .value_kind:     hidden_group_size_y
      - .offset:         160
        .size:           2
        .value_kind:     hidden_group_size_z
      - .offset:         162
        .size:           2
        .value_kind:     hidden_remainder_x
      - .offset:         164
        .size:           2
        .value_kind:     hidden_remainder_y
      - .offset:         166
        .size:           2
        .value_kind:     hidden_remainder_z
      - .offset:         184
        .size:           8
        .value_kind:     hidden_global_offset_x
      - .offset:         192
        .size:           8
        .value_kind:     hidden_global_offset_y
      - .offset:         200
        .size:           8
        .value_kind:     hidden_global_offset_z
      - .offset:         208
        .size:           2
        .value_kind:     hidden_grid_dims
      - .offset:         224
        .size:           8
        .value_kind:     hidden_hostcall_buffer
    .group_segment_fixed_size: 0
    .kernarg_segment_align: 8
    .kernarg_segment_size: 400
    .language:       OpenCL C
    .language_version:
      - 2
      - 0
    .max_flat_workgroup_size: 256
    .name:           _Z39paged_attention_ll4mi_QKV_mfma16_kernelI14__hip_bfloat16S0_LN4vllm18Fp8KVCacheDataTypeE0ES0_Li32ELi64ELi256ELb0ELi16EEvPKT_PKT0_S8_ifPKiSA_SA_iPKfiiiPfSD_PS3_PT2_iSC_SC_
    .private_segment_fixed_size: 64
    .sgpr_count:     36
    .sgpr_spill_count: 0
    .symbol:         _Z39paged_attention_ll4mi_QKV_mfma16_kernelI14__hip_bfloat16S0_LN4vllm18Fp8KVCacheDataTypeE0ES0_Li32ELi64ELi256ELb0ELi16EEvPKT_PKT0_S8_ifPKiSA_SA_iPKfiiiPfSD_PS3_PT2_iSC_SC_.kd
    .uniform_work_group_size: 1
    .uses_dynamic_stack: false
    .vgpr_count:     51
    .vgpr_spill_count: 0
    .wavefront_size: 32
  - .args:
      - .actual_access:  read_only
        .address_space:  global
        .offset:         0
        .size:           8
        .value_kind:     global_buffer
      - .actual_access:  read_only
        .address_space:  global
        .offset:         8
        .size:           8
        .value_kind:     global_buffer
      - .actual_access:  read_only
        .address_space:  global
        .offset:         16
        .size:           8
        .value_kind:     global_buffer
      - .offset:         24
        .size:           4
        .value_kind:     by_value
      - .offset:         28
        .size:           4
        .value_kind:     by_value
      - .actual_access:  read_only
        .address_space:  global
        .offset:         32
        .size:           8
        .value_kind:     global_buffer
      - .actual_access:  read_only
        .address_space:  global
        .offset:         40
        .size:           8
        .value_kind:     global_buffer
      - .actual_access:  read_only
        .address_space:  global
        .offset:         48
        .size:           8
        .value_kind:     global_buffer
      - .offset:         56
        .size:           4
        .value_kind:     by_value
      - .actual_access:  read_only
        .address_space:  global
        .offset:         64
        .size:           8
        .value_kind:     global_buffer
      - .offset:         72
        .size:           4
        .value_kind:     by_value
      - .offset:         76
        .size:           4
        .value_kind:     by_value
      - .offset:         80
        .size:           4
        .value_kind:     by_value
      - .actual_access:  read_only
        .address_space:  global
        .offset:         88
        .size:           8
        .value_kind:     global_buffer
      - .actual_access:  read_only
        .address_space:  global
        .offset:         96
        .size:           8
        .value_kind:     global_buffer
      - .actual_access:  read_only
        .address_space:  global
        .offset:         104
        .size:           8
        .value_kind:     global_buffer
      - .actual_access:  read_only
        .address_space:  global
        .offset:         112
        .size:           8
        .value_kind:     global_buffer
      - .offset:         120
        .size:           4
        .value_kind:     by_value
      - .address_space:  global
        .offset:         128
        .size:           8
        .value_kind:     global_buffer
      - .address_space:  global
        .offset:         136
        .size:           8
        .value_kind:     global_buffer
      - .offset:         144
        .size:           4
        .value_kind:     hidden_block_count_x
      - .offset:         148
        .size:           4
        .value_kind:     hidden_block_count_y
      - .offset:         152
        .size:           4
        .value_kind:     hidden_block_count_z
      - .offset:         156
        .size:           2
        .value_kind:     hidden_group_size_x
      - .offset:         158
        .size:           2
        .value_kind:     hidden_group_size_y
      - .offset:         160
        .size:           2
        .value_kind:     hidden_group_size_z
      - .offset:         162
        .size:           2
        .value_kind:     hidden_remainder_x
      - .offset:         164
        .size:           2
        .value_kind:     hidden_remainder_y
      - .offset:         166
        .size:           2
        .value_kind:     hidden_remainder_z
      - .offset:         184
        .size:           8
        .value_kind:     hidden_global_offset_x
      - .offset:         192
        .size:           8
        .value_kind:     hidden_global_offset_y
      - .offset:         200
        .size:           8
        .value_kind:     hidden_global_offset_z
      - .offset:         208
        .size:           2
        .value_kind:     hidden_grid_dims
      - .offset:         224
        .size:           8
        .value_kind:     hidden_hostcall_buffer
    .group_segment_fixed_size: 0
    .kernarg_segment_align: 8
    .kernarg_segment_size: 400
    .language:       OpenCL C
    .language_version:
      - 2
      - 0
    .max_flat_workgroup_size: 256
    .name:           _Z39paged_attention_ll4mi_QKV_mfma16_kernelI14__hip_bfloat16S0_LN4vllm18Fp8KVCacheDataTypeE0ES0_Li32ELi64ELi256ELb0ELi1EEvPKT_PKT0_S8_ifPKiSA_SA_iPKfiiiPfSD_PS3_PT2_iSC_SC_
    .private_segment_fixed_size: 64
    .sgpr_count:     36
    .sgpr_spill_count: 0
    .symbol:         _Z39paged_attention_ll4mi_QKV_mfma16_kernelI14__hip_bfloat16S0_LN4vllm18Fp8KVCacheDataTypeE0ES0_Li32ELi64ELi256ELb0ELi1EEvPKT_PKT0_S8_ifPKiSA_SA_iPKfiiiPfSD_PS3_PT2_iSC_SC_.kd
    .uniform_work_group_size: 1
    .uses_dynamic_stack: false
    .vgpr_count:     51
    .vgpr_spill_count: 0
    .wavefront_size: 32
  - .args:
      - .actual_access:  read_only
        .address_space:  global
        .offset:         0
        .size:           8
        .value_kind:     global_buffer
      - .actual_access:  read_only
        .address_space:  global
        .offset:         8
        .size:           8
        .value_kind:     global_buffer
      - .actual_access:  read_only
        .address_space:  global
        .offset:         16
        .size:           8
        .value_kind:     global_buffer
      - .offset:         24
        .size:           4
        .value_kind:     by_value
      - .offset:         28
        .size:           4
        .value_kind:     by_value
      - .actual_access:  read_only
        .address_space:  global
        .offset:         32
        .size:           8
        .value_kind:     global_buffer
      - .actual_access:  read_only
        .address_space:  global
        .offset:         40
        .size:           8
        .value_kind:     global_buffer
      - .actual_access:  read_only
        .address_space:  global
        .offset:         48
        .size:           8
        .value_kind:     global_buffer
      - .offset:         56
        .size:           4
        .value_kind:     by_value
      - .actual_access:  read_only
        .address_space:  global
        .offset:         64
        .size:           8
        .value_kind:     global_buffer
      - .offset:         72
        .size:           4
        .value_kind:     by_value
      - .offset:         76
        .size:           4
        .value_kind:     by_value
      - .offset:         80
        .size:           4
        .value_kind:     by_value
      - .actual_access:  read_only
        .address_space:  global
        .offset:         88
        .size:           8
        .value_kind:     global_buffer
      - .actual_access:  read_only
        .address_space:  global
        .offset:         96
        .size:           8
        .value_kind:     global_buffer
      - .actual_access:  read_only
        .address_space:  global
        .offset:         104
        .size:           8
        .value_kind:     global_buffer
      - .actual_access:  read_only
        .address_space:  global
        .offset:         112
        .size:           8
        .value_kind:     global_buffer
      - .offset:         120
        .size:           4
        .value_kind:     by_value
      - .address_space:  global
        .offset:         128
        .size:           8
        .value_kind:     global_buffer
      - .address_space:  global
        .offset:         136
        .size:           8
        .value_kind:     global_buffer
      - .offset:         144
        .size:           4
        .value_kind:     hidden_block_count_x
      - .offset:         148
        .size:           4
        .value_kind:     hidden_block_count_y
      - .offset:         152
        .size:           4
        .value_kind:     hidden_block_count_z
      - .offset:         156
        .size:           2
        .value_kind:     hidden_group_size_x
      - .offset:         158
        .size:           2
        .value_kind:     hidden_group_size_y
      - .offset:         160
        .size:           2
        .value_kind:     hidden_group_size_z
      - .offset:         162
        .size:           2
        .value_kind:     hidden_remainder_x
      - .offset:         164
        .size:           2
        .value_kind:     hidden_remainder_y
      - .offset:         166
        .size:           2
        .value_kind:     hidden_remainder_z
      - .offset:         184
        .size:           8
        .value_kind:     hidden_global_offset_x
      - .offset:         192
        .size:           8
        .value_kind:     hidden_global_offset_y
      - .offset:         200
        .size:           8
        .value_kind:     hidden_global_offset_z
      - .offset:         208
        .size:           2
        .value_kind:     hidden_grid_dims
      - .offset:         224
        .size:           8
        .value_kind:     hidden_hostcall_buffer
    .group_segment_fixed_size: 0
    .kernarg_segment_align: 8
    .kernarg_segment_size: 400
    .language:       OpenCL C
    .language_version:
      - 2
      - 0
    .max_flat_workgroup_size: 256
    .name:           _Z39paged_attention_ll4mi_QKV_mfma16_kernelI14__hip_bfloat16S0_LN4vllm18Fp8KVCacheDataTypeE0ES0_Li32ELi64ELi256ELb0ELi2EEvPKT_PKT0_S8_ifPKiSA_SA_iPKfiiiPfSD_PS3_PT2_iSC_SC_
    .private_segment_fixed_size: 64
    .sgpr_count:     36
    .sgpr_spill_count: 0
    .symbol:         _Z39paged_attention_ll4mi_QKV_mfma16_kernelI14__hip_bfloat16S0_LN4vllm18Fp8KVCacheDataTypeE0ES0_Li32ELi64ELi256ELb0ELi2EEvPKT_PKT0_S8_ifPKiSA_SA_iPKfiiiPfSD_PS3_PT2_iSC_SC_.kd
    .uniform_work_group_size: 1
    .uses_dynamic_stack: false
    .vgpr_count:     51
    .vgpr_spill_count: 0
    .wavefront_size: 32
  - .args:
      - .actual_access:  read_only
        .address_space:  global
        .offset:         0
        .size:           8
        .value_kind:     global_buffer
      - .actual_access:  read_only
        .address_space:  global
        .offset:         8
        .size:           8
        .value_kind:     global_buffer
      - .actual_access:  read_only
        .address_space:  global
        .offset:         16
        .size:           8
        .value_kind:     global_buffer
      - .offset:         24
        .size:           4
        .value_kind:     by_value
      - .offset:         28
        .size:           4
        .value_kind:     by_value
      - .actual_access:  read_only
        .address_space:  global
        .offset:         32
        .size:           8
        .value_kind:     global_buffer
      - .actual_access:  read_only
        .address_space:  global
        .offset:         40
        .size:           8
        .value_kind:     global_buffer
      - .actual_access:  read_only
        .address_space:  global
        .offset:         48
        .size:           8
        .value_kind:     global_buffer
      - .offset:         56
        .size:           4
        .value_kind:     by_value
      - .actual_access:  read_only
        .address_space:  global
        .offset:         64
        .size:           8
        .value_kind:     global_buffer
      - .offset:         72
        .size:           4
        .value_kind:     by_value
      - .offset:         76
        .size:           4
        .value_kind:     by_value
      - .offset:         80
        .size:           4
        .value_kind:     by_value
      - .actual_access:  read_only
        .address_space:  global
        .offset:         88
        .size:           8
        .value_kind:     global_buffer
      - .actual_access:  read_only
        .address_space:  global
        .offset:         96
        .size:           8
        .value_kind:     global_buffer
      - .actual_access:  read_only
        .address_space:  global
        .offset:         104
        .size:           8
        .value_kind:     global_buffer
      - .actual_access:  read_only
        .address_space:  global
        .offset:         112
        .size:           8
        .value_kind:     global_buffer
      - .offset:         120
        .size:           4
        .value_kind:     by_value
      - .address_space:  global
        .offset:         128
        .size:           8
        .value_kind:     global_buffer
      - .address_space:  global
        .offset:         136
        .size:           8
        .value_kind:     global_buffer
      - .offset:         144
        .size:           4
        .value_kind:     hidden_block_count_x
      - .offset:         148
        .size:           4
        .value_kind:     hidden_block_count_y
      - .offset:         152
        .size:           4
        .value_kind:     hidden_block_count_z
      - .offset:         156
        .size:           2
        .value_kind:     hidden_group_size_x
      - .offset:         158
        .size:           2
        .value_kind:     hidden_group_size_y
      - .offset:         160
        .size:           2
        .value_kind:     hidden_group_size_z
      - .offset:         162
        .size:           2
        .value_kind:     hidden_remainder_x
      - .offset:         164
        .size:           2
        .value_kind:     hidden_remainder_y
      - .offset:         166
        .size:           2
        .value_kind:     hidden_remainder_z
      - .offset:         184
        .size:           8
        .value_kind:     hidden_global_offset_x
      - .offset:         192
        .size:           8
        .value_kind:     hidden_global_offset_y
      - .offset:         200
        .size:           8
        .value_kind:     hidden_global_offset_z
      - .offset:         208
        .size:           2
        .value_kind:     hidden_grid_dims
      - .offset:         224
        .size:           8
        .value_kind:     hidden_hostcall_buffer
    .group_segment_fixed_size: 0
    .kernarg_segment_align: 8
    .kernarg_segment_size: 400
    .language:       OpenCL C
    .language_version:
      - 2
      - 0
    .max_flat_workgroup_size: 256
    .name:           _Z39paged_attention_ll4mi_QKV_mfma16_kernelI14__hip_bfloat16S0_LN4vllm18Fp8KVCacheDataTypeE0ES0_Li32ELi64ELi256ELb0ELi3EEvPKT_PKT0_S8_ifPKiSA_SA_iPKfiiiPfSD_PS3_PT2_iSC_SC_
    .private_segment_fixed_size: 64
    .sgpr_count:     36
    .sgpr_spill_count: 0
    .symbol:         _Z39paged_attention_ll4mi_QKV_mfma16_kernelI14__hip_bfloat16S0_LN4vllm18Fp8KVCacheDataTypeE0ES0_Li32ELi64ELi256ELb0ELi3EEvPKT_PKT0_S8_ifPKiSA_SA_iPKfiiiPfSD_PS3_PT2_iSC_SC_.kd
    .uniform_work_group_size: 1
    .uses_dynamic_stack: false
    .vgpr_count:     51
    .vgpr_spill_count: 0
    .wavefront_size: 32
  - .args:
      - .actual_access:  read_only
        .address_space:  global
        .offset:         0
        .size:           8
        .value_kind:     global_buffer
      - .actual_access:  read_only
        .address_space:  global
        .offset:         8
        .size:           8
        .value_kind:     global_buffer
      - .actual_access:  read_only
        .address_space:  global
        .offset:         16
        .size:           8
        .value_kind:     global_buffer
      - .offset:         24
        .size:           4
        .value_kind:     by_value
      - .offset:         28
        .size:           4
        .value_kind:     by_value
      - .actual_access:  read_only
        .address_space:  global
        .offset:         32
        .size:           8
        .value_kind:     global_buffer
      - .actual_access:  read_only
        .address_space:  global
        .offset:         40
        .size:           8
        .value_kind:     global_buffer
      - .actual_access:  read_only
        .address_space:  global
        .offset:         48
        .size:           8
        .value_kind:     global_buffer
      - .offset:         56
        .size:           4
        .value_kind:     by_value
      - .actual_access:  read_only
        .address_space:  global
        .offset:         64
        .size:           8
        .value_kind:     global_buffer
      - .offset:         72
        .size:           4
        .value_kind:     by_value
      - .offset:         76
        .size:           4
        .value_kind:     by_value
      - .offset:         80
        .size:           4
        .value_kind:     by_value
      - .actual_access:  read_only
        .address_space:  global
        .offset:         88
        .size:           8
        .value_kind:     global_buffer
      - .actual_access:  read_only
        .address_space:  global
        .offset:         96
        .size:           8
        .value_kind:     global_buffer
      - .actual_access:  read_only
        .address_space:  global
        .offset:         104
        .size:           8
        .value_kind:     global_buffer
      - .actual_access:  read_only
        .address_space:  global
        .offset:         112
        .size:           8
        .value_kind:     global_buffer
      - .offset:         120
        .size:           4
        .value_kind:     by_value
      - .address_space:  global
        .offset:         128
        .size:           8
        .value_kind:     global_buffer
      - .address_space:  global
        .offset:         136
        .size:           8
        .value_kind:     global_buffer
      - .offset:         144
        .size:           4
        .value_kind:     hidden_block_count_x
      - .offset:         148
        .size:           4
        .value_kind:     hidden_block_count_y
      - .offset:         152
        .size:           4
        .value_kind:     hidden_block_count_z
      - .offset:         156
        .size:           2
        .value_kind:     hidden_group_size_x
      - .offset:         158
        .size:           2
        .value_kind:     hidden_group_size_y
      - .offset:         160
        .size:           2
        .value_kind:     hidden_group_size_z
      - .offset:         162
        .size:           2
        .value_kind:     hidden_remainder_x
      - .offset:         164
        .size:           2
        .value_kind:     hidden_remainder_y
      - .offset:         166
        .size:           2
        .value_kind:     hidden_remainder_z
      - .offset:         184
        .size:           8
        .value_kind:     hidden_global_offset_x
      - .offset:         192
        .size:           8
        .value_kind:     hidden_global_offset_y
      - .offset:         200
        .size:           8
        .value_kind:     hidden_global_offset_z
      - .offset:         208
        .size:           2
        .value_kind:     hidden_grid_dims
      - .offset:         224
        .size:           8
        .value_kind:     hidden_hostcall_buffer
    .group_segment_fixed_size: 0
    .kernarg_segment_align: 8
    .kernarg_segment_size: 400
    .language:       OpenCL C
    .language_version:
      - 2
      - 0
    .max_flat_workgroup_size: 256
    .name:           _Z39paged_attention_ll4mi_QKV_mfma16_kernelI14__hip_bfloat16S0_LN4vllm18Fp8KVCacheDataTypeE0ES0_Li32ELi64ELi256ELb0ELi4EEvPKT_PKT0_S8_ifPKiSA_SA_iPKfiiiPfSD_PS3_PT2_iSC_SC_
    .private_segment_fixed_size: 64
    .sgpr_count:     36
    .sgpr_spill_count: 0
    .symbol:         _Z39paged_attention_ll4mi_QKV_mfma16_kernelI14__hip_bfloat16S0_LN4vllm18Fp8KVCacheDataTypeE0ES0_Li32ELi64ELi256ELb0ELi4EEvPKT_PKT0_S8_ifPKiSA_SA_iPKfiiiPfSD_PS3_PT2_iSC_SC_.kd
    .uniform_work_group_size: 1
    .uses_dynamic_stack: false
    .vgpr_count:     51
    .vgpr_spill_count: 0
    .wavefront_size: 32
  - .args:
      - .actual_access:  read_only
        .address_space:  global
        .offset:         0
        .size:           8
        .value_kind:     global_buffer
      - .actual_access:  read_only
        .address_space:  global
        .offset:         8
        .size:           8
        .value_kind:     global_buffer
      - .actual_access:  read_only
        .address_space:  global
        .offset:         16
        .size:           8
        .value_kind:     global_buffer
      - .offset:         24
        .size:           4
        .value_kind:     by_value
      - .offset:         28
        .size:           4
        .value_kind:     by_value
      - .actual_access:  read_only
        .address_space:  global
        .offset:         32
        .size:           8
        .value_kind:     global_buffer
      - .actual_access:  read_only
        .address_space:  global
        .offset:         40
        .size:           8
        .value_kind:     global_buffer
      - .actual_access:  read_only
        .address_space:  global
        .offset:         48
        .size:           8
        .value_kind:     global_buffer
      - .offset:         56
        .size:           4
        .value_kind:     by_value
      - .actual_access:  read_only
        .address_space:  global
        .offset:         64
        .size:           8
        .value_kind:     global_buffer
      - .offset:         72
        .size:           4
        .value_kind:     by_value
      - .offset:         76
        .size:           4
        .value_kind:     by_value
      - .offset:         80
        .size:           4
        .value_kind:     by_value
      - .actual_access:  read_only
        .address_space:  global
        .offset:         88
        .size:           8
        .value_kind:     global_buffer
      - .actual_access:  read_only
        .address_space:  global
        .offset:         96
        .size:           8
        .value_kind:     global_buffer
      - .actual_access:  read_only
        .address_space:  global
        .offset:         104
        .size:           8
        .value_kind:     global_buffer
      - .actual_access:  read_only
        .address_space:  global
        .offset:         112
        .size:           8
        .value_kind:     global_buffer
      - .offset:         120
        .size:           4
        .value_kind:     by_value
      - .address_space:  global
        .offset:         128
        .size:           8
        .value_kind:     global_buffer
      - .address_space:  global
        .offset:         136
        .size:           8
        .value_kind:     global_buffer
      - .offset:         144
        .size:           4
        .value_kind:     hidden_block_count_x
      - .offset:         148
        .size:           4
        .value_kind:     hidden_block_count_y
      - .offset:         152
        .size:           4
        .value_kind:     hidden_block_count_z
      - .offset:         156
        .size:           2
        .value_kind:     hidden_group_size_x
      - .offset:         158
        .size:           2
        .value_kind:     hidden_group_size_y
      - .offset:         160
        .size:           2
        .value_kind:     hidden_group_size_z
      - .offset:         162
        .size:           2
        .value_kind:     hidden_remainder_x
      - .offset:         164
        .size:           2
        .value_kind:     hidden_remainder_y
      - .offset:         166
        .size:           2
        .value_kind:     hidden_remainder_z
      - .offset:         184
        .size:           8
        .value_kind:     hidden_global_offset_x
      - .offset:         192
        .size:           8
        .value_kind:     hidden_global_offset_y
      - .offset:         200
        .size:           8
        .value_kind:     hidden_global_offset_z
      - .offset:         208
        .size:           2
        .value_kind:     hidden_grid_dims
      - .offset:         224
        .size:           8
        .value_kind:     hidden_hostcall_buffer
    .group_segment_fixed_size: 0
    .kernarg_segment_align: 8
    .kernarg_segment_size: 400
    .language:       OpenCL C
    .language_version:
      - 2
      - 0
    .max_flat_workgroup_size: 256
    .name:           _Z38paged_attention_ll4mi_QKV_mfma4_kernelI14__hip_bfloat16S0_LN4vllm18Fp8KVCacheDataTypeE0EhLi16ELi128ELi256ELb1ELi1EEvPKT_PKT0_S8_ifPKiSA_SA_iPKfiiiPfSD_PS3_PT2_iSC_SC_
    .private_segment_fixed_size: 64
    .sgpr_count:     36
    .sgpr_spill_count: 0
    .symbol:         _Z38paged_attention_ll4mi_QKV_mfma4_kernelI14__hip_bfloat16S0_LN4vllm18Fp8KVCacheDataTypeE0EhLi16ELi128ELi256ELb1ELi1EEvPKT_PKT0_S8_ifPKiSA_SA_iPKfiiiPfSD_PS3_PT2_iSC_SC_.kd
    .uniform_work_group_size: 1
    .uses_dynamic_stack: false
    .vgpr_count:     51
    .vgpr_spill_count: 0
    .wavefront_size: 32
  - .args:
      - .actual_access:  read_only
        .address_space:  global
        .offset:         0
        .size:           8
        .value_kind:     global_buffer
      - .actual_access:  read_only
        .address_space:  global
        .offset:         8
        .size:           8
        .value_kind:     global_buffer
      - .actual_access:  read_only
        .address_space:  global
        .offset:         16
        .size:           8
        .value_kind:     global_buffer
      - .offset:         24
        .size:           4
        .value_kind:     by_value
      - .offset:         28
        .size:           4
        .value_kind:     by_value
      - .actual_access:  read_only
        .address_space:  global
        .offset:         32
        .size:           8
        .value_kind:     global_buffer
      - .actual_access:  read_only
        .address_space:  global
        .offset:         40
        .size:           8
        .value_kind:     global_buffer
      - .actual_access:  read_only
        .address_space:  global
        .offset:         48
        .size:           8
        .value_kind:     global_buffer
      - .offset:         56
        .size:           4
        .value_kind:     by_value
      - .actual_access:  read_only
        .address_space:  global
        .offset:         64
        .size:           8
        .value_kind:     global_buffer
      - .offset:         72
        .size:           4
        .value_kind:     by_value
      - .offset:         76
        .size:           4
        .value_kind:     by_value
      - .offset:         80
        .size:           4
        .value_kind:     by_value
      - .actual_access:  read_only
        .address_space:  global
        .offset:         88
        .size:           8
        .value_kind:     global_buffer
      - .actual_access:  read_only
        .address_space:  global
        .offset:         96
        .size:           8
        .value_kind:     global_buffer
      - .actual_access:  read_only
        .address_space:  global
        .offset:         104
        .size:           8
        .value_kind:     global_buffer
      - .actual_access:  read_only
        .address_space:  global
        .offset:         112
        .size:           8
        .value_kind:     global_buffer
      - .offset:         120
        .size:           4
        .value_kind:     by_value
      - .address_space:  global
        .offset:         128
        .size:           8
        .value_kind:     global_buffer
      - .address_space:  global
        .offset:         136
        .size:           8
        .value_kind:     global_buffer
      - .offset:         144
        .size:           4
        .value_kind:     hidden_block_count_x
      - .offset:         148
        .size:           4
        .value_kind:     hidden_block_count_y
      - .offset:         152
        .size:           4
        .value_kind:     hidden_block_count_z
      - .offset:         156
        .size:           2
        .value_kind:     hidden_group_size_x
      - .offset:         158
        .size:           2
        .value_kind:     hidden_group_size_y
      - .offset:         160
        .size:           2
        .value_kind:     hidden_group_size_z
      - .offset:         162
        .size:           2
        .value_kind:     hidden_remainder_x
      - .offset:         164
        .size:           2
        .value_kind:     hidden_remainder_y
      - .offset:         166
        .size:           2
        .value_kind:     hidden_remainder_z
      - .offset:         184
        .size:           8
        .value_kind:     hidden_global_offset_x
      - .offset:         192
        .size:           8
        .value_kind:     hidden_global_offset_y
      - .offset:         200
        .size:           8
        .value_kind:     hidden_global_offset_z
      - .offset:         208
        .size:           2
        .value_kind:     hidden_grid_dims
      - .offset:         224
        .size:           8
        .value_kind:     hidden_hostcall_buffer
    .group_segment_fixed_size: 0
    .kernarg_segment_align: 8
    .kernarg_segment_size: 400
    .language:       OpenCL C
    .language_version:
      - 2
      - 0
    .max_flat_workgroup_size: 256
    .name:           _Z38paged_attention_ll4mi_QKV_mfma4_kernelI14__hip_bfloat16S0_LN4vllm18Fp8KVCacheDataTypeE0EhLi16ELi128ELi256ELb1ELi2EEvPKT_PKT0_S8_ifPKiSA_SA_iPKfiiiPfSD_PS3_PT2_iSC_SC_
    .private_segment_fixed_size: 64
    .sgpr_count:     36
    .sgpr_spill_count: 0
    .symbol:         _Z38paged_attention_ll4mi_QKV_mfma4_kernelI14__hip_bfloat16S0_LN4vllm18Fp8KVCacheDataTypeE0EhLi16ELi128ELi256ELb1ELi2EEvPKT_PKT0_S8_ifPKiSA_SA_iPKfiiiPfSD_PS3_PT2_iSC_SC_.kd
    .uniform_work_group_size: 1
    .uses_dynamic_stack: false
    .vgpr_count:     51
    .vgpr_spill_count: 0
    .wavefront_size: 32
  - .args:
      - .actual_access:  read_only
        .address_space:  global
        .offset:         0
        .size:           8
        .value_kind:     global_buffer
      - .actual_access:  read_only
        .address_space:  global
        .offset:         8
        .size:           8
        .value_kind:     global_buffer
      - .actual_access:  read_only
        .address_space:  global
        .offset:         16
        .size:           8
        .value_kind:     global_buffer
      - .offset:         24
        .size:           4
        .value_kind:     by_value
      - .offset:         28
        .size:           4
        .value_kind:     by_value
      - .actual_access:  read_only
        .address_space:  global
        .offset:         32
        .size:           8
        .value_kind:     global_buffer
      - .actual_access:  read_only
        .address_space:  global
        .offset:         40
        .size:           8
        .value_kind:     global_buffer
      - .actual_access:  read_only
        .address_space:  global
        .offset:         48
        .size:           8
        .value_kind:     global_buffer
      - .offset:         56
        .size:           4
        .value_kind:     by_value
      - .actual_access:  read_only
        .address_space:  global
        .offset:         64
        .size:           8
        .value_kind:     global_buffer
      - .offset:         72
        .size:           4
        .value_kind:     by_value
      - .offset:         76
        .size:           4
        .value_kind:     by_value
      - .offset:         80
        .size:           4
        .value_kind:     by_value
      - .actual_access:  read_only
        .address_space:  global
        .offset:         88
        .size:           8
        .value_kind:     global_buffer
      - .actual_access:  read_only
        .address_space:  global
        .offset:         96
        .size:           8
        .value_kind:     global_buffer
      - .actual_access:  read_only
        .address_space:  global
        .offset:         104
        .size:           8
        .value_kind:     global_buffer
      - .actual_access:  read_only
        .address_space:  global
        .offset:         112
        .size:           8
        .value_kind:     global_buffer
      - .offset:         120
        .size:           4
        .value_kind:     by_value
      - .address_space:  global
        .offset:         128
        .size:           8
        .value_kind:     global_buffer
      - .address_space:  global
        .offset:         136
        .size:           8
        .value_kind:     global_buffer
      - .offset:         144
        .size:           4
        .value_kind:     hidden_block_count_x
      - .offset:         148
        .size:           4
        .value_kind:     hidden_block_count_y
      - .offset:         152
        .size:           4
        .value_kind:     hidden_block_count_z
      - .offset:         156
        .size:           2
        .value_kind:     hidden_group_size_x
      - .offset:         158
        .size:           2
        .value_kind:     hidden_group_size_y
      - .offset:         160
        .size:           2
        .value_kind:     hidden_group_size_z
      - .offset:         162
        .size:           2
        .value_kind:     hidden_remainder_x
      - .offset:         164
        .size:           2
        .value_kind:     hidden_remainder_y
      - .offset:         166
        .size:           2
        .value_kind:     hidden_remainder_z
      - .offset:         184
        .size:           8
        .value_kind:     hidden_global_offset_x
      - .offset:         192
        .size:           8
        .value_kind:     hidden_global_offset_y
      - .offset:         200
        .size:           8
        .value_kind:     hidden_global_offset_z
      - .offset:         208
        .size:           2
        .value_kind:     hidden_grid_dims
      - .offset:         224
        .size:           8
        .value_kind:     hidden_hostcall_buffer
    .group_segment_fixed_size: 0
    .kernarg_segment_align: 8
    .kernarg_segment_size: 400
    .language:       OpenCL C
    .language_version:
      - 2
      - 0
    .max_flat_workgroup_size: 256
    .name:           _Z38paged_attention_ll4mi_QKV_mfma4_kernelI14__hip_bfloat16S0_LN4vllm18Fp8KVCacheDataTypeE0EhLi16ELi128ELi256ELb1ELi3EEvPKT_PKT0_S8_ifPKiSA_SA_iPKfiiiPfSD_PS3_PT2_iSC_SC_
    .private_segment_fixed_size: 64
    .sgpr_count:     36
    .sgpr_spill_count: 0
    .symbol:         _Z38paged_attention_ll4mi_QKV_mfma4_kernelI14__hip_bfloat16S0_LN4vllm18Fp8KVCacheDataTypeE0EhLi16ELi128ELi256ELb1ELi3EEvPKT_PKT0_S8_ifPKiSA_SA_iPKfiiiPfSD_PS3_PT2_iSC_SC_.kd
    .uniform_work_group_size: 1
    .uses_dynamic_stack: false
    .vgpr_count:     51
    .vgpr_spill_count: 0
    .wavefront_size: 32
  - .args:
      - .actual_access:  read_only
        .address_space:  global
        .offset:         0
        .size:           8
        .value_kind:     global_buffer
      - .actual_access:  read_only
        .address_space:  global
        .offset:         8
        .size:           8
        .value_kind:     global_buffer
      - .actual_access:  read_only
        .address_space:  global
        .offset:         16
        .size:           8
        .value_kind:     global_buffer
      - .offset:         24
        .size:           4
        .value_kind:     by_value
      - .offset:         28
        .size:           4
        .value_kind:     by_value
      - .actual_access:  read_only
        .address_space:  global
        .offset:         32
        .size:           8
        .value_kind:     global_buffer
      - .actual_access:  read_only
        .address_space:  global
        .offset:         40
        .size:           8
        .value_kind:     global_buffer
      - .actual_access:  read_only
        .address_space:  global
        .offset:         48
        .size:           8
        .value_kind:     global_buffer
      - .offset:         56
        .size:           4
        .value_kind:     by_value
      - .actual_access:  read_only
        .address_space:  global
        .offset:         64
        .size:           8
        .value_kind:     global_buffer
      - .offset:         72
        .size:           4
        .value_kind:     by_value
      - .offset:         76
        .size:           4
        .value_kind:     by_value
      - .offset:         80
        .size:           4
        .value_kind:     by_value
      - .actual_access:  read_only
        .address_space:  global
        .offset:         88
        .size:           8
        .value_kind:     global_buffer
      - .actual_access:  read_only
        .address_space:  global
        .offset:         96
        .size:           8
        .value_kind:     global_buffer
      - .actual_access:  read_only
        .address_space:  global
        .offset:         104
        .size:           8
        .value_kind:     global_buffer
      - .actual_access:  read_only
        .address_space:  global
        .offset:         112
        .size:           8
        .value_kind:     global_buffer
      - .offset:         120
        .size:           4
        .value_kind:     by_value
      - .address_space:  global
        .offset:         128
        .size:           8
        .value_kind:     global_buffer
      - .address_space:  global
        .offset:         136
        .size:           8
        .value_kind:     global_buffer
      - .offset:         144
        .size:           4
        .value_kind:     hidden_block_count_x
      - .offset:         148
        .size:           4
        .value_kind:     hidden_block_count_y
      - .offset:         152
        .size:           4
        .value_kind:     hidden_block_count_z
      - .offset:         156
        .size:           2
        .value_kind:     hidden_group_size_x
      - .offset:         158
        .size:           2
        .value_kind:     hidden_group_size_y
      - .offset:         160
        .size:           2
        .value_kind:     hidden_group_size_z
      - .offset:         162
        .size:           2
        .value_kind:     hidden_remainder_x
      - .offset:         164
        .size:           2
        .value_kind:     hidden_remainder_y
      - .offset:         166
        .size:           2
        .value_kind:     hidden_remainder_z
      - .offset:         184
        .size:           8
        .value_kind:     hidden_global_offset_x
      - .offset:         192
        .size:           8
        .value_kind:     hidden_global_offset_y
      - .offset:         200
        .size:           8
        .value_kind:     hidden_global_offset_z
      - .offset:         208
        .size:           2
        .value_kind:     hidden_grid_dims
      - .offset:         224
        .size:           8
        .value_kind:     hidden_hostcall_buffer
    .group_segment_fixed_size: 0
    .kernarg_segment_align: 8
    .kernarg_segment_size: 400
    .language:       OpenCL C
    .language_version:
      - 2
      - 0
    .max_flat_workgroup_size: 256
    .name:           _Z38paged_attention_ll4mi_QKV_mfma4_kernelI14__hip_bfloat16S0_LN4vllm18Fp8KVCacheDataTypeE0EhLi16ELi128ELi256ELb1ELi4EEvPKT_PKT0_S8_ifPKiSA_SA_iPKfiiiPfSD_PS3_PT2_iSC_SC_
    .private_segment_fixed_size: 64
    .sgpr_count:     36
    .sgpr_spill_count: 0
    .symbol:         _Z38paged_attention_ll4mi_QKV_mfma4_kernelI14__hip_bfloat16S0_LN4vllm18Fp8KVCacheDataTypeE0EhLi16ELi128ELi256ELb1ELi4EEvPKT_PKT0_S8_ifPKiSA_SA_iPKfiiiPfSD_PS3_PT2_iSC_SC_.kd
    .uniform_work_group_size: 1
    .uses_dynamic_stack: false
    .vgpr_count:     51
    .vgpr_spill_count: 0
    .wavefront_size: 32
  - .args:
      - .actual_access:  read_only
        .address_space:  global
        .offset:         0
        .size:           8
        .value_kind:     global_buffer
      - .actual_access:  read_only
        .address_space:  global
        .offset:         8
        .size:           8
        .value_kind:     global_buffer
      - .actual_access:  read_only
        .address_space:  global
        .offset:         16
        .size:           8
        .value_kind:     global_buffer
      - .offset:         24
        .size:           4
        .value_kind:     by_value
      - .offset:         28
        .size:           4
        .value_kind:     by_value
      - .actual_access:  read_only
        .address_space:  global
        .offset:         32
        .size:           8
        .value_kind:     global_buffer
      - .actual_access:  read_only
        .address_space:  global
        .offset:         40
        .size:           8
        .value_kind:     global_buffer
      - .actual_access:  read_only
        .address_space:  global
        .offset:         48
        .size:           8
        .value_kind:     global_buffer
      - .offset:         56
        .size:           4
        .value_kind:     by_value
      - .actual_access:  read_only
        .address_space:  global
        .offset:         64
        .size:           8
        .value_kind:     global_buffer
      - .offset:         72
        .size:           4
        .value_kind:     by_value
      - .offset:         76
        .size:           4
        .value_kind:     by_value
      - .offset:         80
        .size:           4
        .value_kind:     by_value
      - .actual_access:  read_only
        .address_space:  global
        .offset:         88
        .size:           8
        .value_kind:     global_buffer
      - .actual_access:  read_only
        .address_space:  global
        .offset:         96
        .size:           8
        .value_kind:     global_buffer
      - .actual_access:  read_only
        .address_space:  global
        .offset:         104
        .size:           8
        .value_kind:     global_buffer
      - .actual_access:  read_only
        .address_space:  global
        .offset:         112
        .size:           8
        .value_kind:     global_buffer
      - .offset:         120
        .size:           4
        .value_kind:     by_value
      - .address_space:  global
        .offset:         128
        .size:           8
        .value_kind:     global_buffer
      - .address_space:  global
        .offset:         136
        .size:           8
        .value_kind:     global_buffer
      - .offset:         144
        .size:           4
        .value_kind:     hidden_block_count_x
      - .offset:         148
        .size:           4
        .value_kind:     hidden_block_count_y
      - .offset:         152
        .size:           4
        .value_kind:     hidden_block_count_z
      - .offset:         156
        .size:           2
        .value_kind:     hidden_group_size_x
      - .offset:         158
        .size:           2
        .value_kind:     hidden_group_size_y
      - .offset:         160
        .size:           2
        .value_kind:     hidden_group_size_z
      - .offset:         162
        .size:           2
        .value_kind:     hidden_remainder_x
      - .offset:         164
        .size:           2
        .value_kind:     hidden_remainder_y
      - .offset:         166
        .size:           2
        .value_kind:     hidden_remainder_z
      - .offset:         184
        .size:           8
        .value_kind:     hidden_global_offset_x
      - .offset:         192
        .size:           8
        .value_kind:     hidden_global_offset_y
      - .offset:         200
        .size:           8
        .value_kind:     hidden_global_offset_z
      - .offset:         208
        .size:           2
        .value_kind:     hidden_grid_dims
      - .offset:         224
        .size:           8
        .value_kind:     hidden_hostcall_buffer
    .group_segment_fixed_size: 0
    .kernarg_segment_align: 8
    .kernarg_segment_size: 400
    .language:       OpenCL C
    .language_version:
      - 2
      - 0
    .max_flat_workgroup_size: 256
    .name:           _Z39paged_attention_ll4mi_QKV_mfma16_kernelI14__hip_bfloat16S0_LN4vllm18Fp8KVCacheDataTypeE0EhLi16ELi128ELi256ELb1ELi5EEvPKT_PKT0_S8_ifPKiSA_SA_iPKfiiiPfSD_PS3_PT2_iSC_SC_
    .private_segment_fixed_size: 64
    .sgpr_count:     36
    .sgpr_spill_count: 0
    .symbol:         _Z39paged_attention_ll4mi_QKV_mfma16_kernelI14__hip_bfloat16S0_LN4vllm18Fp8KVCacheDataTypeE0EhLi16ELi128ELi256ELb1ELi5EEvPKT_PKT0_S8_ifPKiSA_SA_iPKfiiiPfSD_PS3_PT2_iSC_SC_.kd
    .uniform_work_group_size: 1
    .uses_dynamic_stack: false
    .vgpr_count:     51
    .vgpr_spill_count: 0
    .wavefront_size: 32
  - .args:
      - .actual_access:  read_only
        .address_space:  global
        .offset:         0
        .size:           8
        .value_kind:     global_buffer
      - .actual_access:  read_only
        .address_space:  global
        .offset:         8
        .size:           8
        .value_kind:     global_buffer
      - .actual_access:  read_only
        .address_space:  global
        .offset:         16
        .size:           8
        .value_kind:     global_buffer
      - .offset:         24
        .size:           4
        .value_kind:     by_value
      - .offset:         28
        .size:           4
        .value_kind:     by_value
      - .actual_access:  read_only
        .address_space:  global
        .offset:         32
        .size:           8
        .value_kind:     global_buffer
      - .actual_access:  read_only
        .address_space:  global
        .offset:         40
        .size:           8
        .value_kind:     global_buffer
      - .actual_access:  read_only
        .address_space:  global
        .offset:         48
        .size:           8
        .value_kind:     global_buffer
      - .offset:         56
        .size:           4
        .value_kind:     by_value
      - .actual_access:  read_only
        .address_space:  global
        .offset:         64
        .size:           8
        .value_kind:     global_buffer
      - .offset:         72
        .size:           4
        .value_kind:     by_value
      - .offset:         76
        .size:           4
        .value_kind:     by_value
      - .offset:         80
        .size:           4
        .value_kind:     by_value
      - .actual_access:  read_only
        .address_space:  global
        .offset:         88
        .size:           8
        .value_kind:     global_buffer
      - .actual_access:  read_only
        .address_space:  global
        .offset:         96
        .size:           8
        .value_kind:     global_buffer
      - .actual_access:  read_only
        .address_space:  global
        .offset:         104
        .size:           8
        .value_kind:     global_buffer
      - .actual_access:  read_only
        .address_space:  global
        .offset:         112
        .size:           8
        .value_kind:     global_buffer
      - .offset:         120
        .size:           4
        .value_kind:     by_value
      - .address_space:  global
        .offset:         128
        .size:           8
        .value_kind:     global_buffer
      - .address_space:  global
        .offset:         136
        .size:           8
        .value_kind:     global_buffer
      - .offset:         144
        .size:           4
        .value_kind:     hidden_block_count_x
      - .offset:         148
        .size:           4
        .value_kind:     hidden_block_count_y
      - .offset:         152
        .size:           4
        .value_kind:     hidden_block_count_z
      - .offset:         156
        .size:           2
        .value_kind:     hidden_group_size_x
      - .offset:         158
        .size:           2
        .value_kind:     hidden_group_size_y
      - .offset:         160
        .size:           2
        .value_kind:     hidden_group_size_z
      - .offset:         162
        .size:           2
        .value_kind:     hidden_remainder_x
      - .offset:         164
        .size:           2
        .value_kind:     hidden_remainder_y
      - .offset:         166
        .size:           2
        .value_kind:     hidden_remainder_z
      - .offset:         184
        .size:           8
        .value_kind:     hidden_global_offset_x
      - .offset:         192
        .size:           8
        .value_kind:     hidden_global_offset_y
      - .offset:         200
        .size:           8
        .value_kind:     hidden_global_offset_z
      - .offset:         208
        .size:           2
        .value_kind:     hidden_grid_dims
      - .offset:         224
        .size:           8
        .value_kind:     hidden_hostcall_buffer
    .group_segment_fixed_size: 0
    .kernarg_segment_align: 8
    .kernarg_segment_size: 400
    .language:       OpenCL C
    .language_version:
      - 2
      - 0
    .max_flat_workgroup_size: 256
    .name:           _Z39paged_attention_ll4mi_QKV_mfma16_kernelI14__hip_bfloat16S0_LN4vllm18Fp8KVCacheDataTypeE0EhLi16ELi128ELi256ELb1ELi6EEvPKT_PKT0_S8_ifPKiSA_SA_iPKfiiiPfSD_PS3_PT2_iSC_SC_
    .private_segment_fixed_size: 64
    .sgpr_count:     36
    .sgpr_spill_count: 0
    .symbol:         _Z39paged_attention_ll4mi_QKV_mfma16_kernelI14__hip_bfloat16S0_LN4vllm18Fp8KVCacheDataTypeE0EhLi16ELi128ELi256ELb1ELi6EEvPKT_PKT0_S8_ifPKiSA_SA_iPKfiiiPfSD_PS3_PT2_iSC_SC_.kd
    .uniform_work_group_size: 1
    .uses_dynamic_stack: false
    .vgpr_count:     51
    .vgpr_spill_count: 0
    .wavefront_size: 32
  - .args:
      - .actual_access:  read_only
        .address_space:  global
        .offset:         0
        .size:           8
        .value_kind:     global_buffer
      - .actual_access:  read_only
        .address_space:  global
        .offset:         8
        .size:           8
        .value_kind:     global_buffer
      - .actual_access:  read_only
        .address_space:  global
        .offset:         16
        .size:           8
        .value_kind:     global_buffer
      - .offset:         24
        .size:           4
        .value_kind:     by_value
      - .offset:         28
        .size:           4
        .value_kind:     by_value
      - .actual_access:  read_only
        .address_space:  global
        .offset:         32
        .size:           8
        .value_kind:     global_buffer
      - .actual_access:  read_only
        .address_space:  global
        .offset:         40
        .size:           8
        .value_kind:     global_buffer
      - .actual_access:  read_only
        .address_space:  global
        .offset:         48
        .size:           8
        .value_kind:     global_buffer
      - .offset:         56
        .size:           4
        .value_kind:     by_value
      - .actual_access:  read_only
        .address_space:  global
        .offset:         64
        .size:           8
        .value_kind:     global_buffer
      - .offset:         72
        .size:           4
        .value_kind:     by_value
      - .offset:         76
        .size:           4
        .value_kind:     by_value
      - .offset:         80
        .size:           4
        .value_kind:     by_value
      - .actual_access:  read_only
        .address_space:  global
        .offset:         88
        .size:           8
        .value_kind:     global_buffer
      - .actual_access:  read_only
        .address_space:  global
        .offset:         96
        .size:           8
        .value_kind:     global_buffer
      - .actual_access:  read_only
        .address_space:  global
        .offset:         104
        .size:           8
        .value_kind:     global_buffer
      - .actual_access:  read_only
        .address_space:  global
        .offset:         112
        .size:           8
        .value_kind:     global_buffer
      - .offset:         120
        .size:           4
        .value_kind:     by_value
      - .address_space:  global
        .offset:         128
        .size:           8
        .value_kind:     global_buffer
      - .address_space:  global
        .offset:         136
        .size:           8
        .value_kind:     global_buffer
      - .offset:         144
        .size:           4
        .value_kind:     hidden_block_count_x
      - .offset:         148
        .size:           4
        .value_kind:     hidden_block_count_y
      - .offset:         152
        .size:           4
        .value_kind:     hidden_block_count_z
      - .offset:         156
        .size:           2
        .value_kind:     hidden_group_size_x
      - .offset:         158
        .size:           2
        .value_kind:     hidden_group_size_y
      - .offset:         160
        .size:           2
        .value_kind:     hidden_group_size_z
      - .offset:         162
        .size:           2
        .value_kind:     hidden_remainder_x
      - .offset:         164
        .size:           2
        .value_kind:     hidden_remainder_y
      - .offset:         166
        .size:           2
        .value_kind:     hidden_remainder_z
      - .offset:         184
        .size:           8
        .value_kind:     hidden_global_offset_x
      - .offset:         192
        .size:           8
        .value_kind:     hidden_global_offset_y
      - .offset:         200
        .size:           8
        .value_kind:     hidden_global_offset_z
      - .offset:         208
        .size:           2
        .value_kind:     hidden_grid_dims
      - .offset:         224
        .size:           8
        .value_kind:     hidden_hostcall_buffer
    .group_segment_fixed_size: 0
    .kernarg_segment_align: 8
    .kernarg_segment_size: 400
    .language:       OpenCL C
    .language_version:
      - 2
      - 0
    .max_flat_workgroup_size: 256
    .name:           _Z39paged_attention_ll4mi_QKV_mfma16_kernelI14__hip_bfloat16S0_LN4vllm18Fp8KVCacheDataTypeE0EhLi16ELi128ELi256ELb1ELi7EEvPKT_PKT0_S8_ifPKiSA_SA_iPKfiiiPfSD_PS3_PT2_iSC_SC_
    .private_segment_fixed_size: 64
    .sgpr_count:     36
    .sgpr_spill_count: 0
    .symbol:         _Z39paged_attention_ll4mi_QKV_mfma16_kernelI14__hip_bfloat16S0_LN4vllm18Fp8KVCacheDataTypeE0EhLi16ELi128ELi256ELb1ELi7EEvPKT_PKT0_S8_ifPKiSA_SA_iPKfiiiPfSD_PS3_PT2_iSC_SC_.kd
    .uniform_work_group_size: 1
    .uses_dynamic_stack: false
    .vgpr_count:     51
    .vgpr_spill_count: 0
    .wavefront_size: 32
  - .args:
      - .actual_access:  read_only
        .address_space:  global
        .offset:         0
        .size:           8
        .value_kind:     global_buffer
      - .actual_access:  read_only
        .address_space:  global
        .offset:         8
        .size:           8
        .value_kind:     global_buffer
      - .actual_access:  read_only
        .address_space:  global
        .offset:         16
        .size:           8
        .value_kind:     global_buffer
      - .offset:         24
        .size:           4
        .value_kind:     by_value
      - .offset:         28
        .size:           4
        .value_kind:     by_value
      - .actual_access:  read_only
        .address_space:  global
        .offset:         32
        .size:           8
        .value_kind:     global_buffer
      - .actual_access:  read_only
        .address_space:  global
        .offset:         40
        .size:           8
        .value_kind:     global_buffer
      - .actual_access:  read_only
        .address_space:  global
        .offset:         48
        .size:           8
        .value_kind:     global_buffer
      - .offset:         56
        .size:           4
        .value_kind:     by_value
      - .actual_access:  read_only
        .address_space:  global
        .offset:         64
        .size:           8
        .value_kind:     global_buffer
      - .offset:         72
        .size:           4
        .value_kind:     by_value
      - .offset:         76
        .size:           4
        .value_kind:     by_value
      - .offset:         80
        .size:           4
        .value_kind:     by_value
      - .actual_access:  read_only
        .address_space:  global
        .offset:         88
        .size:           8
        .value_kind:     global_buffer
      - .actual_access:  read_only
        .address_space:  global
        .offset:         96
        .size:           8
        .value_kind:     global_buffer
      - .actual_access:  read_only
        .address_space:  global
        .offset:         104
        .size:           8
        .value_kind:     global_buffer
      - .actual_access:  read_only
        .address_space:  global
        .offset:         112
        .size:           8
        .value_kind:     global_buffer
      - .offset:         120
        .size:           4
        .value_kind:     by_value
      - .address_space:  global
        .offset:         128
        .size:           8
        .value_kind:     global_buffer
      - .address_space:  global
        .offset:         136
        .size:           8
        .value_kind:     global_buffer
      - .offset:         144
        .size:           4
        .value_kind:     hidden_block_count_x
      - .offset:         148
        .size:           4
        .value_kind:     hidden_block_count_y
      - .offset:         152
        .size:           4
        .value_kind:     hidden_block_count_z
      - .offset:         156
        .size:           2
        .value_kind:     hidden_group_size_x
      - .offset:         158
        .size:           2
        .value_kind:     hidden_group_size_y
      - .offset:         160
        .size:           2
        .value_kind:     hidden_group_size_z
      - .offset:         162
        .size:           2
        .value_kind:     hidden_remainder_x
      - .offset:         164
        .size:           2
        .value_kind:     hidden_remainder_y
      - .offset:         166
        .size:           2
        .value_kind:     hidden_remainder_z
      - .offset:         184
        .size:           8
        .value_kind:     hidden_global_offset_x
      - .offset:         192
        .size:           8
        .value_kind:     hidden_global_offset_y
      - .offset:         200
        .size:           8
        .value_kind:     hidden_global_offset_z
      - .offset:         208
        .size:           2
        .value_kind:     hidden_grid_dims
      - .offset:         224
        .size:           8
        .value_kind:     hidden_hostcall_buffer
    .group_segment_fixed_size: 0
    .kernarg_segment_align: 8
    .kernarg_segment_size: 400
    .language:       OpenCL C
    .language_version:
      - 2
      - 0
    .max_flat_workgroup_size: 256
    .name:           _Z39paged_attention_ll4mi_QKV_mfma16_kernelI14__hip_bfloat16S0_LN4vllm18Fp8KVCacheDataTypeE0EhLi16ELi128ELi256ELb1ELi8EEvPKT_PKT0_S8_ifPKiSA_SA_iPKfiiiPfSD_PS3_PT2_iSC_SC_
    .private_segment_fixed_size: 64
    .sgpr_count:     36
    .sgpr_spill_count: 0
    .symbol:         _Z39paged_attention_ll4mi_QKV_mfma16_kernelI14__hip_bfloat16S0_LN4vllm18Fp8KVCacheDataTypeE0EhLi16ELi128ELi256ELb1ELi8EEvPKT_PKT0_S8_ifPKiSA_SA_iPKfiiiPfSD_PS3_PT2_iSC_SC_.kd
    .uniform_work_group_size: 1
    .uses_dynamic_stack: false
    .vgpr_count:     51
    .vgpr_spill_count: 0
    .wavefront_size: 32
  - .args:
      - .actual_access:  read_only
        .address_space:  global
        .offset:         0
        .size:           8
        .value_kind:     global_buffer
      - .actual_access:  read_only
        .address_space:  global
        .offset:         8
        .size:           8
        .value_kind:     global_buffer
      - .actual_access:  read_only
        .address_space:  global
        .offset:         16
        .size:           8
        .value_kind:     global_buffer
      - .offset:         24
        .size:           4
        .value_kind:     by_value
      - .offset:         28
        .size:           4
        .value_kind:     by_value
      - .actual_access:  read_only
        .address_space:  global
        .offset:         32
        .size:           8
        .value_kind:     global_buffer
      - .actual_access:  read_only
        .address_space:  global
        .offset:         40
        .size:           8
        .value_kind:     global_buffer
      - .actual_access:  read_only
        .address_space:  global
        .offset:         48
        .size:           8
        .value_kind:     global_buffer
      - .offset:         56
        .size:           4
        .value_kind:     by_value
      - .actual_access:  read_only
        .address_space:  global
        .offset:         64
        .size:           8
        .value_kind:     global_buffer
      - .offset:         72
        .size:           4
        .value_kind:     by_value
      - .offset:         76
        .size:           4
        .value_kind:     by_value
      - .offset:         80
        .size:           4
        .value_kind:     by_value
      - .actual_access:  read_only
        .address_space:  global
        .offset:         88
        .size:           8
        .value_kind:     global_buffer
      - .actual_access:  read_only
        .address_space:  global
        .offset:         96
        .size:           8
        .value_kind:     global_buffer
      - .actual_access:  read_only
        .address_space:  global
        .offset:         104
        .size:           8
        .value_kind:     global_buffer
      - .actual_access:  read_only
        .address_space:  global
        .offset:         112
        .size:           8
        .value_kind:     global_buffer
      - .offset:         120
        .size:           4
        .value_kind:     by_value
      - .address_space:  global
        .offset:         128
        .size:           8
        .value_kind:     global_buffer
      - .address_space:  global
        .offset:         136
        .size:           8
        .value_kind:     global_buffer
      - .offset:         144
        .size:           4
        .value_kind:     hidden_block_count_x
      - .offset:         148
        .size:           4
        .value_kind:     hidden_block_count_y
      - .offset:         152
        .size:           4
        .value_kind:     hidden_block_count_z
      - .offset:         156
        .size:           2
        .value_kind:     hidden_group_size_x
      - .offset:         158
        .size:           2
        .value_kind:     hidden_group_size_y
      - .offset:         160
        .size:           2
        .value_kind:     hidden_group_size_z
      - .offset:         162
        .size:           2
        .value_kind:     hidden_remainder_x
      - .offset:         164
        .size:           2
        .value_kind:     hidden_remainder_y
      - .offset:         166
        .size:           2
        .value_kind:     hidden_remainder_z
      - .offset:         184
        .size:           8
        .value_kind:     hidden_global_offset_x
      - .offset:         192
        .size:           8
        .value_kind:     hidden_global_offset_y
      - .offset:         200
        .size:           8
        .value_kind:     hidden_global_offset_z
      - .offset:         208
        .size:           2
        .value_kind:     hidden_grid_dims
      - .offset:         224
        .size:           8
        .value_kind:     hidden_hostcall_buffer
    .group_segment_fixed_size: 0
    .kernarg_segment_align: 8
    .kernarg_segment_size: 400
    .language:       OpenCL C
    .language_version:
      - 2
      - 0
    .max_flat_workgroup_size: 256
    .name:           _Z39paged_attention_ll4mi_QKV_mfma16_kernelI14__hip_bfloat16S0_LN4vllm18Fp8KVCacheDataTypeE0EhLi16ELi128ELi256ELb1ELi9EEvPKT_PKT0_S8_ifPKiSA_SA_iPKfiiiPfSD_PS3_PT2_iSC_SC_
    .private_segment_fixed_size: 64
    .sgpr_count:     36
    .sgpr_spill_count: 0
    .symbol:         _Z39paged_attention_ll4mi_QKV_mfma16_kernelI14__hip_bfloat16S0_LN4vllm18Fp8KVCacheDataTypeE0EhLi16ELi128ELi256ELb1ELi9EEvPKT_PKT0_S8_ifPKiSA_SA_iPKfiiiPfSD_PS3_PT2_iSC_SC_.kd
    .uniform_work_group_size: 1
    .uses_dynamic_stack: false
    .vgpr_count:     51
    .vgpr_spill_count: 0
    .wavefront_size: 32
  - .args:
      - .actual_access:  read_only
        .address_space:  global
        .offset:         0
        .size:           8
        .value_kind:     global_buffer
      - .actual_access:  read_only
        .address_space:  global
        .offset:         8
        .size:           8
        .value_kind:     global_buffer
      - .actual_access:  read_only
        .address_space:  global
        .offset:         16
        .size:           8
        .value_kind:     global_buffer
      - .offset:         24
        .size:           4
        .value_kind:     by_value
      - .offset:         28
        .size:           4
        .value_kind:     by_value
      - .actual_access:  read_only
        .address_space:  global
        .offset:         32
        .size:           8
        .value_kind:     global_buffer
      - .actual_access:  read_only
        .address_space:  global
        .offset:         40
        .size:           8
        .value_kind:     global_buffer
      - .actual_access:  read_only
        .address_space:  global
        .offset:         48
        .size:           8
        .value_kind:     global_buffer
      - .offset:         56
        .size:           4
        .value_kind:     by_value
      - .actual_access:  read_only
        .address_space:  global
        .offset:         64
        .size:           8
        .value_kind:     global_buffer
      - .offset:         72
        .size:           4
        .value_kind:     by_value
      - .offset:         76
        .size:           4
        .value_kind:     by_value
      - .offset:         80
        .size:           4
        .value_kind:     by_value
      - .actual_access:  read_only
        .address_space:  global
        .offset:         88
        .size:           8
        .value_kind:     global_buffer
      - .actual_access:  read_only
        .address_space:  global
        .offset:         96
        .size:           8
        .value_kind:     global_buffer
      - .actual_access:  read_only
        .address_space:  global
        .offset:         104
        .size:           8
        .value_kind:     global_buffer
      - .actual_access:  read_only
        .address_space:  global
        .offset:         112
        .size:           8
        .value_kind:     global_buffer
      - .offset:         120
        .size:           4
        .value_kind:     by_value
      - .address_space:  global
        .offset:         128
        .size:           8
        .value_kind:     global_buffer
      - .address_space:  global
        .offset:         136
        .size:           8
        .value_kind:     global_buffer
      - .offset:         144
        .size:           4
        .value_kind:     hidden_block_count_x
      - .offset:         148
        .size:           4
        .value_kind:     hidden_block_count_y
      - .offset:         152
        .size:           4
        .value_kind:     hidden_block_count_z
      - .offset:         156
        .size:           2
        .value_kind:     hidden_group_size_x
      - .offset:         158
        .size:           2
        .value_kind:     hidden_group_size_y
      - .offset:         160
        .size:           2
        .value_kind:     hidden_group_size_z
      - .offset:         162
        .size:           2
        .value_kind:     hidden_remainder_x
      - .offset:         164
        .size:           2
        .value_kind:     hidden_remainder_y
      - .offset:         166
        .size:           2
        .value_kind:     hidden_remainder_z
      - .offset:         184
        .size:           8
        .value_kind:     hidden_global_offset_x
      - .offset:         192
        .size:           8
        .value_kind:     hidden_global_offset_y
      - .offset:         200
        .size:           8
        .value_kind:     hidden_global_offset_z
      - .offset:         208
        .size:           2
        .value_kind:     hidden_grid_dims
      - .offset:         224
        .size:           8
        .value_kind:     hidden_hostcall_buffer
    .group_segment_fixed_size: 0
    .kernarg_segment_align: 8
    .kernarg_segment_size: 400
    .language:       OpenCL C
    .language_version:
      - 2
      - 0
    .max_flat_workgroup_size: 256
    .name:           _Z39paged_attention_ll4mi_QKV_mfma16_kernelI14__hip_bfloat16S0_LN4vllm18Fp8KVCacheDataTypeE0EhLi16ELi128ELi256ELb1ELi10EEvPKT_PKT0_S8_ifPKiSA_SA_iPKfiiiPfSD_PS3_PT2_iSC_SC_
    .private_segment_fixed_size: 64
    .sgpr_count:     36
    .sgpr_spill_count: 0
    .symbol:         _Z39paged_attention_ll4mi_QKV_mfma16_kernelI14__hip_bfloat16S0_LN4vllm18Fp8KVCacheDataTypeE0EhLi16ELi128ELi256ELb1ELi10EEvPKT_PKT0_S8_ifPKiSA_SA_iPKfiiiPfSD_PS3_PT2_iSC_SC_.kd
    .uniform_work_group_size: 1
    .uses_dynamic_stack: false
    .vgpr_count:     51
    .vgpr_spill_count: 0
    .wavefront_size: 32
  - .args:
      - .actual_access:  read_only
        .address_space:  global
        .offset:         0
        .size:           8
        .value_kind:     global_buffer
      - .actual_access:  read_only
        .address_space:  global
        .offset:         8
        .size:           8
        .value_kind:     global_buffer
      - .actual_access:  read_only
        .address_space:  global
        .offset:         16
        .size:           8
        .value_kind:     global_buffer
      - .offset:         24
        .size:           4
        .value_kind:     by_value
      - .offset:         28
        .size:           4
        .value_kind:     by_value
      - .actual_access:  read_only
        .address_space:  global
        .offset:         32
        .size:           8
        .value_kind:     global_buffer
      - .actual_access:  read_only
        .address_space:  global
        .offset:         40
        .size:           8
        .value_kind:     global_buffer
      - .actual_access:  read_only
        .address_space:  global
        .offset:         48
        .size:           8
        .value_kind:     global_buffer
      - .offset:         56
        .size:           4
        .value_kind:     by_value
      - .actual_access:  read_only
        .address_space:  global
        .offset:         64
        .size:           8
        .value_kind:     global_buffer
      - .offset:         72
        .size:           4
        .value_kind:     by_value
      - .offset:         76
        .size:           4
        .value_kind:     by_value
      - .offset:         80
        .size:           4
        .value_kind:     by_value
      - .actual_access:  read_only
        .address_space:  global
        .offset:         88
        .size:           8
        .value_kind:     global_buffer
      - .actual_access:  read_only
        .address_space:  global
        .offset:         96
        .size:           8
        .value_kind:     global_buffer
      - .actual_access:  read_only
        .address_space:  global
        .offset:         104
        .size:           8
        .value_kind:     global_buffer
      - .actual_access:  read_only
        .address_space:  global
        .offset:         112
        .size:           8
        .value_kind:     global_buffer
      - .offset:         120
        .size:           4
        .value_kind:     by_value
      - .address_space:  global
        .offset:         128
        .size:           8
        .value_kind:     global_buffer
      - .address_space:  global
        .offset:         136
        .size:           8
        .value_kind:     global_buffer
      - .offset:         144
        .size:           4
        .value_kind:     hidden_block_count_x
      - .offset:         148
        .size:           4
        .value_kind:     hidden_block_count_y
      - .offset:         152
        .size:           4
        .value_kind:     hidden_block_count_z
      - .offset:         156
        .size:           2
        .value_kind:     hidden_group_size_x
      - .offset:         158
        .size:           2
        .value_kind:     hidden_group_size_y
      - .offset:         160
        .size:           2
        .value_kind:     hidden_group_size_z
      - .offset:         162
        .size:           2
        .value_kind:     hidden_remainder_x
      - .offset:         164
        .size:           2
        .value_kind:     hidden_remainder_y
      - .offset:         166
        .size:           2
        .value_kind:     hidden_remainder_z
      - .offset:         184
        .size:           8
        .value_kind:     hidden_global_offset_x
      - .offset:         192
        .size:           8
        .value_kind:     hidden_global_offset_y
      - .offset:         200
        .size:           8
        .value_kind:     hidden_global_offset_z
      - .offset:         208
        .size:           2
        .value_kind:     hidden_grid_dims
      - .offset:         224
        .size:           8
        .value_kind:     hidden_hostcall_buffer
    .group_segment_fixed_size: 0
    .kernarg_segment_align: 8
    .kernarg_segment_size: 400
    .language:       OpenCL C
    .language_version:
      - 2
      - 0
    .max_flat_workgroup_size: 256
    .name:           _Z39paged_attention_ll4mi_QKV_mfma16_kernelI14__hip_bfloat16S0_LN4vllm18Fp8KVCacheDataTypeE0EhLi16ELi128ELi256ELb1ELi11EEvPKT_PKT0_S8_ifPKiSA_SA_iPKfiiiPfSD_PS3_PT2_iSC_SC_
    .private_segment_fixed_size: 64
    .sgpr_count:     36
    .sgpr_spill_count: 0
    .symbol:         _Z39paged_attention_ll4mi_QKV_mfma16_kernelI14__hip_bfloat16S0_LN4vllm18Fp8KVCacheDataTypeE0EhLi16ELi128ELi256ELb1ELi11EEvPKT_PKT0_S8_ifPKiSA_SA_iPKfiiiPfSD_PS3_PT2_iSC_SC_.kd
    .uniform_work_group_size: 1
    .uses_dynamic_stack: false
    .vgpr_count:     51
    .vgpr_spill_count: 0
    .wavefront_size: 32
  - .args:
      - .actual_access:  read_only
        .address_space:  global
        .offset:         0
        .size:           8
        .value_kind:     global_buffer
      - .actual_access:  read_only
        .address_space:  global
        .offset:         8
        .size:           8
        .value_kind:     global_buffer
      - .actual_access:  read_only
        .address_space:  global
        .offset:         16
        .size:           8
        .value_kind:     global_buffer
      - .offset:         24
        .size:           4
        .value_kind:     by_value
      - .offset:         28
        .size:           4
        .value_kind:     by_value
      - .actual_access:  read_only
        .address_space:  global
        .offset:         32
        .size:           8
        .value_kind:     global_buffer
      - .actual_access:  read_only
        .address_space:  global
        .offset:         40
        .size:           8
        .value_kind:     global_buffer
      - .actual_access:  read_only
        .address_space:  global
        .offset:         48
        .size:           8
        .value_kind:     global_buffer
      - .offset:         56
        .size:           4
        .value_kind:     by_value
      - .actual_access:  read_only
        .address_space:  global
        .offset:         64
        .size:           8
        .value_kind:     global_buffer
      - .offset:         72
        .size:           4
        .value_kind:     by_value
      - .offset:         76
        .size:           4
        .value_kind:     by_value
      - .offset:         80
        .size:           4
        .value_kind:     by_value
      - .actual_access:  read_only
        .address_space:  global
        .offset:         88
        .size:           8
        .value_kind:     global_buffer
      - .actual_access:  read_only
        .address_space:  global
        .offset:         96
        .size:           8
        .value_kind:     global_buffer
      - .actual_access:  read_only
        .address_space:  global
        .offset:         104
        .size:           8
        .value_kind:     global_buffer
      - .actual_access:  read_only
        .address_space:  global
        .offset:         112
        .size:           8
        .value_kind:     global_buffer
      - .offset:         120
        .size:           4
        .value_kind:     by_value
      - .address_space:  global
        .offset:         128
        .size:           8
        .value_kind:     global_buffer
      - .address_space:  global
        .offset:         136
        .size:           8
        .value_kind:     global_buffer
      - .offset:         144
        .size:           4
        .value_kind:     hidden_block_count_x
      - .offset:         148
        .size:           4
        .value_kind:     hidden_block_count_y
      - .offset:         152
        .size:           4
        .value_kind:     hidden_block_count_z
      - .offset:         156
        .size:           2
        .value_kind:     hidden_group_size_x
      - .offset:         158
        .size:           2
        .value_kind:     hidden_group_size_y
      - .offset:         160
        .size:           2
        .value_kind:     hidden_group_size_z
      - .offset:         162
        .size:           2
        .value_kind:     hidden_remainder_x
      - .offset:         164
        .size:           2
        .value_kind:     hidden_remainder_y
      - .offset:         166
        .size:           2
        .value_kind:     hidden_remainder_z
      - .offset:         184
        .size:           8
        .value_kind:     hidden_global_offset_x
      - .offset:         192
        .size:           8
        .value_kind:     hidden_global_offset_y
      - .offset:         200
        .size:           8
        .value_kind:     hidden_global_offset_z
      - .offset:         208
        .size:           2
        .value_kind:     hidden_grid_dims
      - .offset:         224
        .size:           8
        .value_kind:     hidden_hostcall_buffer
    .group_segment_fixed_size: 0
    .kernarg_segment_align: 8
    .kernarg_segment_size: 400
    .language:       OpenCL C
    .language_version:
      - 2
      - 0
    .max_flat_workgroup_size: 256
    .name:           _Z39paged_attention_ll4mi_QKV_mfma16_kernelI14__hip_bfloat16S0_LN4vllm18Fp8KVCacheDataTypeE0EhLi16ELi128ELi256ELb1ELi12EEvPKT_PKT0_S8_ifPKiSA_SA_iPKfiiiPfSD_PS3_PT2_iSC_SC_
    .private_segment_fixed_size: 64
    .sgpr_count:     36
    .sgpr_spill_count: 0
    .symbol:         _Z39paged_attention_ll4mi_QKV_mfma16_kernelI14__hip_bfloat16S0_LN4vllm18Fp8KVCacheDataTypeE0EhLi16ELi128ELi256ELb1ELi12EEvPKT_PKT0_S8_ifPKiSA_SA_iPKfiiiPfSD_PS3_PT2_iSC_SC_.kd
    .uniform_work_group_size: 1
    .uses_dynamic_stack: false
    .vgpr_count:     51
    .vgpr_spill_count: 0
    .wavefront_size: 32
  - .args:
      - .actual_access:  read_only
        .address_space:  global
        .offset:         0
        .size:           8
        .value_kind:     global_buffer
      - .actual_access:  read_only
        .address_space:  global
        .offset:         8
        .size:           8
        .value_kind:     global_buffer
      - .actual_access:  read_only
        .address_space:  global
        .offset:         16
        .size:           8
        .value_kind:     global_buffer
      - .offset:         24
        .size:           4
        .value_kind:     by_value
      - .offset:         28
        .size:           4
        .value_kind:     by_value
      - .actual_access:  read_only
        .address_space:  global
        .offset:         32
        .size:           8
        .value_kind:     global_buffer
      - .actual_access:  read_only
        .address_space:  global
        .offset:         40
        .size:           8
        .value_kind:     global_buffer
      - .actual_access:  read_only
        .address_space:  global
        .offset:         48
        .size:           8
        .value_kind:     global_buffer
      - .offset:         56
        .size:           4
        .value_kind:     by_value
      - .actual_access:  read_only
        .address_space:  global
        .offset:         64
        .size:           8
        .value_kind:     global_buffer
      - .offset:         72
        .size:           4
        .value_kind:     by_value
      - .offset:         76
        .size:           4
        .value_kind:     by_value
      - .offset:         80
        .size:           4
        .value_kind:     by_value
      - .actual_access:  read_only
        .address_space:  global
        .offset:         88
        .size:           8
        .value_kind:     global_buffer
      - .actual_access:  read_only
        .address_space:  global
        .offset:         96
        .size:           8
        .value_kind:     global_buffer
      - .actual_access:  read_only
        .address_space:  global
        .offset:         104
        .size:           8
        .value_kind:     global_buffer
      - .actual_access:  read_only
        .address_space:  global
        .offset:         112
        .size:           8
        .value_kind:     global_buffer
      - .offset:         120
        .size:           4
        .value_kind:     by_value
      - .address_space:  global
        .offset:         128
        .size:           8
        .value_kind:     global_buffer
      - .address_space:  global
        .offset:         136
        .size:           8
        .value_kind:     global_buffer
      - .offset:         144
        .size:           4
        .value_kind:     hidden_block_count_x
      - .offset:         148
        .size:           4
        .value_kind:     hidden_block_count_y
      - .offset:         152
        .size:           4
        .value_kind:     hidden_block_count_z
      - .offset:         156
        .size:           2
        .value_kind:     hidden_group_size_x
      - .offset:         158
        .size:           2
        .value_kind:     hidden_group_size_y
      - .offset:         160
        .size:           2
        .value_kind:     hidden_group_size_z
      - .offset:         162
        .size:           2
        .value_kind:     hidden_remainder_x
      - .offset:         164
        .size:           2
        .value_kind:     hidden_remainder_y
      - .offset:         166
        .size:           2
        .value_kind:     hidden_remainder_z
      - .offset:         184
        .size:           8
        .value_kind:     hidden_global_offset_x
      - .offset:         192
        .size:           8
        .value_kind:     hidden_global_offset_y
      - .offset:         200
        .size:           8
        .value_kind:     hidden_global_offset_z
      - .offset:         208
        .size:           2
        .value_kind:     hidden_grid_dims
      - .offset:         224
        .size:           8
        .value_kind:     hidden_hostcall_buffer
    .group_segment_fixed_size: 0
    .kernarg_segment_align: 8
    .kernarg_segment_size: 400
    .language:       OpenCL C
    .language_version:
      - 2
      - 0
    .max_flat_workgroup_size: 256
    .name:           _Z39paged_attention_ll4mi_QKV_mfma16_kernelI14__hip_bfloat16S0_LN4vllm18Fp8KVCacheDataTypeE0EhLi16ELi128ELi256ELb1ELi13EEvPKT_PKT0_S8_ifPKiSA_SA_iPKfiiiPfSD_PS3_PT2_iSC_SC_
    .private_segment_fixed_size: 64
    .sgpr_count:     36
    .sgpr_spill_count: 0
    .symbol:         _Z39paged_attention_ll4mi_QKV_mfma16_kernelI14__hip_bfloat16S0_LN4vllm18Fp8KVCacheDataTypeE0EhLi16ELi128ELi256ELb1ELi13EEvPKT_PKT0_S8_ifPKiSA_SA_iPKfiiiPfSD_PS3_PT2_iSC_SC_.kd
    .uniform_work_group_size: 1
    .uses_dynamic_stack: false
    .vgpr_count:     51
    .vgpr_spill_count: 0
    .wavefront_size: 32
  - .args:
      - .actual_access:  read_only
        .address_space:  global
        .offset:         0
        .size:           8
        .value_kind:     global_buffer
      - .actual_access:  read_only
        .address_space:  global
        .offset:         8
        .size:           8
        .value_kind:     global_buffer
      - .actual_access:  read_only
        .address_space:  global
        .offset:         16
        .size:           8
        .value_kind:     global_buffer
      - .offset:         24
        .size:           4
        .value_kind:     by_value
      - .offset:         28
        .size:           4
        .value_kind:     by_value
      - .actual_access:  read_only
        .address_space:  global
        .offset:         32
        .size:           8
        .value_kind:     global_buffer
      - .actual_access:  read_only
        .address_space:  global
        .offset:         40
        .size:           8
        .value_kind:     global_buffer
      - .actual_access:  read_only
        .address_space:  global
        .offset:         48
        .size:           8
        .value_kind:     global_buffer
      - .offset:         56
        .size:           4
        .value_kind:     by_value
      - .actual_access:  read_only
        .address_space:  global
        .offset:         64
        .size:           8
        .value_kind:     global_buffer
      - .offset:         72
        .size:           4
        .value_kind:     by_value
      - .offset:         76
        .size:           4
        .value_kind:     by_value
      - .offset:         80
        .size:           4
        .value_kind:     by_value
      - .actual_access:  read_only
        .address_space:  global
        .offset:         88
        .size:           8
        .value_kind:     global_buffer
      - .actual_access:  read_only
        .address_space:  global
        .offset:         96
        .size:           8
        .value_kind:     global_buffer
      - .actual_access:  read_only
        .address_space:  global
        .offset:         104
        .size:           8
        .value_kind:     global_buffer
      - .actual_access:  read_only
        .address_space:  global
        .offset:         112
        .size:           8
        .value_kind:     global_buffer
      - .offset:         120
        .size:           4
        .value_kind:     by_value
      - .address_space:  global
        .offset:         128
        .size:           8
        .value_kind:     global_buffer
      - .address_space:  global
        .offset:         136
        .size:           8
        .value_kind:     global_buffer
      - .offset:         144
        .size:           4
        .value_kind:     hidden_block_count_x
      - .offset:         148
        .size:           4
        .value_kind:     hidden_block_count_y
      - .offset:         152
        .size:           4
        .value_kind:     hidden_block_count_z
      - .offset:         156
        .size:           2
        .value_kind:     hidden_group_size_x
      - .offset:         158
        .size:           2
        .value_kind:     hidden_group_size_y
      - .offset:         160
        .size:           2
        .value_kind:     hidden_group_size_z
      - .offset:         162
        .size:           2
        .value_kind:     hidden_remainder_x
      - .offset:         164
        .size:           2
        .value_kind:     hidden_remainder_y
      - .offset:         166
        .size:           2
        .value_kind:     hidden_remainder_z
      - .offset:         184
        .size:           8
        .value_kind:     hidden_global_offset_x
      - .offset:         192
        .size:           8
        .value_kind:     hidden_global_offset_y
      - .offset:         200
        .size:           8
        .value_kind:     hidden_global_offset_z
      - .offset:         208
        .size:           2
        .value_kind:     hidden_grid_dims
      - .offset:         224
        .size:           8
        .value_kind:     hidden_hostcall_buffer
    .group_segment_fixed_size: 0
    .kernarg_segment_align: 8
    .kernarg_segment_size: 400
    .language:       OpenCL C
    .language_version:
      - 2
      - 0
    .max_flat_workgroup_size: 256
    .name:           _Z39paged_attention_ll4mi_QKV_mfma16_kernelI14__hip_bfloat16S0_LN4vllm18Fp8KVCacheDataTypeE0EhLi16ELi128ELi256ELb1ELi14EEvPKT_PKT0_S8_ifPKiSA_SA_iPKfiiiPfSD_PS3_PT2_iSC_SC_
    .private_segment_fixed_size: 64
    .sgpr_count:     36
    .sgpr_spill_count: 0
    .symbol:         _Z39paged_attention_ll4mi_QKV_mfma16_kernelI14__hip_bfloat16S0_LN4vllm18Fp8KVCacheDataTypeE0EhLi16ELi128ELi256ELb1ELi14EEvPKT_PKT0_S8_ifPKiSA_SA_iPKfiiiPfSD_PS3_PT2_iSC_SC_.kd
    .uniform_work_group_size: 1
    .uses_dynamic_stack: false
    .vgpr_count:     51
    .vgpr_spill_count: 0
    .wavefront_size: 32
  - .args:
      - .actual_access:  read_only
        .address_space:  global
        .offset:         0
        .size:           8
        .value_kind:     global_buffer
      - .actual_access:  read_only
        .address_space:  global
        .offset:         8
        .size:           8
        .value_kind:     global_buffer
      - .actual_access:  read_only
        .address_space:  global
        .offset:         16
        .size:           8
        .value_kind:     global_buffer
      - .offset:         24
        .size:           4
        .value_kind:     by_value
      - .offset:         28
        .size:           4
        .value_kind:     by_value
      - .actual_access:  read_only
        .address_space:  global
        .offset:         32
        .size:           8
        .value_kind:     global_buffer
      - .actual_access:  read_only
        .address_space:  global
        .offset:         40
        .size:           8
        .value_kind:     global_buffer
      - .actual_access:  read_only
        .address_space:  global
        .offset:         48
        .size:           8
        .value_kind:     global_buffer
      - .offset:         56
        .size:           4
        .value_kind:     by_value
      - .actual_access:  read_only
        .address_space:  global
        .offset:         64
        .size:           8
        .value_kind:     global_buffer
      - .offset:         72
        .size:           4
        .value_kind:     by_value
      - .offset:         76
        .size:           4
        .value_kind:     by_value
      - .offset:         80
        .size:           4
        .value_kind:     by_value
      - .actual_access:  read_only
        .address_space:  global
        .offset:         88
        .size:           8
        .value_kind:     global_buffer
      - .actual_access:  read_only
        .address_space:  global
        .offset:         96
        .size:           8
        .value_kind:     global_buffer
      - .actual_access:  read_only
        .address_space:  global
        .offset:         104
        .size:           8
        .value_kind:     global_buffer
      - .actual_access:  read_only
        .address_space:  global
        .offset:         112
        .size:           8
        .value_kind:     global_buffer
      - .offset:         120
        .size:           4
        .value_kind:     by_value
      - .address_space:  global
        .offset:         128
        .size:           8
        .value_kind:     global_buffer
      - .address_space:  global
        .offset:         136
        .size:           8
        .value_kind:     global_buffer
      - .offset:         144
        .size:           4
        .value_kind:     hidden_block_count_x
      - .offset:         148
        .size:           4
        .value_kind:     hidden_block_count_y
      - .offset:         152
        .size:           4
        .value_kind:     hidden_block_count_z
      - .offset:         156
        .size:           2
        .value_kind:     hidden_group_size_x
      - .offset:         158
        .size:           2
        .value_kind:     hidden_group_size_y
      - .offset:         160
        .size:           2
        .value_kind:     hidden_group_size_z
      - .offset:         162
        .size:           2
        .value_kind:     hidden_remainder_x
      - .offset:         164
        .size:           2
        .value_kind:     hidden_remainder_y
      - .offset:         166
        .size:           2
        .value_kind:     hidden_remainder_z
      - .offset:         184
        .size:           8
        .value_kind:     hidden_global_offset_x
      - .offset:         192
        .size:           8
        .value_kind:     hidden_global_offset_y
      - .offset:         200
        .size:           8
        .value_kind:     hidden_global_offset_z
      - .offset:         208
        .size:           2
        .value_kind:     hidden_grid_dims
      - .offset:         224
        .size:           8
        .value_kind:     hidden_hostcall_buffer
    .group_segment_fixed_size: 0
    .kernarg_segment_align: 8
    .kernarg_segment_size: 400
    .language:       OpenCL C
    .language_version:
      - 2
      - 0
    .max_flat_workgroup_size: 256
    .name:           _Z39paged_attention_ll4mi_QKV_mfma16_kernelI14__hip_bfloat16S0_LN4vllm18Fp8KVCacheDataTypeE0EhLi16ELi128ELi256ELb1ELi15EEvPKT_PKT0_S8_ifPKiSA_SA_iPKfiiiPfSD_PS3_PT2_iSC_SC_
    .private_segment_fixed_size: 64
    .sgpr_count:     36
    .sgpr_spill_count: 0
    .symbol:         _Z39paged_attention_ll4mi_QKV_mfma16_kernelI14__hip_bfloat16S0_LN4vllm18Fp8KVCacheDataTypeE0EhLi16ELi128ELi256ELb1ELi15EEvPKT_PKT0_S8_ifPKiSA_SA_iPKfiiiPfSD_PS3_PT2_iSC_SC_.kd
    .uniform_work_group_size: 1
    .uses_dynamic_stack: false
    .vgpr_count:     51
    .vgpr_spill_count: 0
    .wavefront_size: 32
  - .args:
      - .actual_access:  read_only
        .address_space:  global
        .offset:         0
        .size:           8
        .value_kind:     global_buffer
      - .actual_access:  read_only
        .address_space:  global
        .offset:         8
        .size:           8
        .value_kind:     global_buffer
      - .actual_access:  read_only
        .address_space:  global
        .offset:         16
        .size:           8
        .value_kind:     global_buffer
      - .offset:         24
        .size:           4
        .value_kind:     by_value
      - .offset:         28
        .size:           4
        .value_kind:     by_value
      - .actual_access:  read_only
        .address_space:  global
        .offset:         32
        .size:           8
        .value_kind:     global_buffer
      - .actual_access:  read_only
        .address_space:  global
        .offset:         40
        .size:           8
        .value_kind:     global_buffer
      - .actual_access:  read_only
        .address_space:  global
        .offset:         48
        .size:           8
        .value_kind:     global_buffer
      - .offset:         56
        .size:           4
        .value_kind:     by_value
      - .actual_access:  read_only
        .address_space:  global
        .offset:         64
        .size:           8
        .value_kind:     global_buffer
      - .offset:         72
        .size:           4
        .value_kind:     by_value
      - .offset:         76
        .size:           4
        .value_kind:     by_value
      - .offset:         80
        .size:           4
        .value_kind:     by_value
      - .actual_access:  read_only
        .address_space:  global
        .offset:         88
        .size:           8
        .value_kind:     global_buffer
      - .actual_access:  read_only
        .address_space:  global
        .offset:         96
        .size:           8
        .value_kind:     global_buffer
      - .actual_access:  read_only
        .address_space:  global
        .offset:         104
        .size:           8
        .value_kind:     global_buffer
      - .actual_access:  read_only
        .address_space:  global
        .offset:         112
        .size:           8
        .value_kind:     global_buffer
      - .offset:         120
        .size:           4
        .value_kind:     by_value
      - .address_space:  global
        .offset:         128
        .size:           8
        .value_kind:     global_buffer
      - .address_space:  global
        .offset:         136
        .size:           8
        .value_kind:     global_buffer
      - .offset:         144
        .size:           4
        .value_kind:     hidden_block_count_x
      - .offset:         148
        .size:           4
        .value_kind:     hidden_block_count_y
      - .offset:         152
        .size:           4
        .value_kind:     hidden_block_count_z
      - .offset:         156
        .size:           2
        .value_kind:     hidden_group_size_x
      - .offset:         158
        .size:           2
        .value_kind:     hidden_group_size_y
      - .offset:         160
        .size:           2
        .value_kind:     hidden_group_size_z
      - .offset:         162
        .size:           2
        .value_kind:     hidden_remainder_x
      - .offset:         164
        .size:           2
        .value_kind:     hidden_remainder_y
      - .offset:         166
        .size:           2
        .value_kind:     hidden_remainder_z
      - .offset:         184
        .size:           8
        .value_kind:     hidden_global_offset_x
      - .offset:         192
        .size:           8
        .value_kind:     hidden_global_offset_y
      - .offset:         200
        .size:           8
        .value_kind:     hidden_global_offset_z
      - .offset:         208
        .size:           2
        .value_kind:     hidden_grid_dims
      - .offset:         224
        .size:           8
        .value_kind:     hidden_hostcall_buffer
    .group_segment_fixed_size: 0
    .kernarg_segment_align: 8
    .kernarg_segment_size: 400
    .language:       OpenCL C
    .language_version:
      - 2
      - 0
    .max_flat_workgroup_size: 256
    .name:           _Z39paged_attention_ll4mi_QKV_mfma16_kernelI14__hip_bfloat16S0_LN4vllm18Fp8KVCacheDataTypeE0EhLi16ELi128ELi256ELb1ELi16EEvPKT_PKT0_S8_ifPKiSA_SA_iPKfiiiPfSD_PS3_PT2_iSC_SC_
    .private_segment_fixed_size: 64
    .sgpr_count:     36
    .sgpr_spill_count: 0
    .symbol:         _Z39paged_attention_ll4mi_QKV_mfma16_kernelI14__hip_bfloat16S0_LN4vllm18Fp8KVCacheDataTypeE0EhLi16ELi128ELi256ELb1ELi16EEvPKT_PKT0_S8_ifPKiSA_SA_iPKfiiiPfSD_PS3_PT2_iSC_SC_.kd
    .uniform_work_group_size: 1
    .uses_dynamic_stack: false
    .vgpr_count:     51
    .vgpr_spill_count: 0
    .wavefront_size: 32
  - .args:
      - .actual_access:  read_only
        .address_space:  global
        .offset:         0
        .size:           8
        .value_kind:     global_buffer
      - .actual_access:  read_only
        .address_space:  global
        .offset:         8
        .size:           8
        .value_kind:     global_buffer
      - .actual_access:  read_only
        .address_space:  global
        .offset:         16
        .size:           8
        .value_kind:     global_buffer
      - .actual_access:  read_only
        .address_space:  global
        .offset:         24
        .size:           8
        .value_kind:     global_buffer
      - .actual_access:  read_only
        .address_space:  global
        .offset:         32
        .size:           8
        .value_kind:     global_buffer
      - .actual_access:  read_only
        .address_space:  global
        .offset:         40
        .size:           8
        .value_kind:     global_buffer
      - .offset:         48
        .size:           4
        .value_kind:     by_value
      - .actual_access:  read_only
        .address_space:  global
        .offset:         56
        .size:           8
        .value_kind:     global_buffer
      - .offset:         64
        .size:           4
        .value_kind:     hidden_block_count_x
      - .offset:         68
        .size:           4
        .value_kind:     hidden_block_count_y
      - .offset:         72
        .size:           4
        .value_kind:     hidden_block_count_z
      - .offset:         76
        .size:           2
        .value_kind:     hidden_group_size_x
      - .offset:         78
        .size:           2
        .value_kind:     hidden_group_size_y
      - .offset:         80
        .size:           2
        .value_kind:     hidden_group_size_z
      - .offset:         82
        .size:           2
        .value_kind:     hidden_remainder_x
      - .offset:         84
        .size:           2
        .value_kind:     hidden_remainder_y
      - .offset:         86
        .size:           2
        .value_kind:     hidden_remainder_z
      - .offset:         104
        .size:           8
        .value_kind:     hidden_global_offset_x
      - .offset:         112
        .size:           8
        .value_kind:     hidden_global_offset_y
      - .offset:         120
        .size:           8
        .value_kind:     hidden_global_offset_z
      - .offset:         128
        .size:           2
        .value_kind:     hidden_grid_dims
      - .offset:         144
        .size:           8
        .value_kind:     hidden_hostcall_buffer
    .group_segment_fixed_size: 0
    .kernarg_segment_align: 8
    .kernarg_segment_size: 320
    .language:       OpenCL C
    .language_version:
      - 2
      - 0
    .max_flat_workgroup_size: 128
    .name:           _Z35paged_attention_ll4mi_reduce_kernelI14__hip_bfloat16hLi128ELi128ELi256ELi1EEvPT0_PKfS4_PKT_PKiS9_iS4_
    .private_segment_fixed_size: 64
    .sgpr_count:     36
    .sgpr_spill_count: 0
    .symbol:         _Z35paged_attention_ll4mi_reduce_kernelI14__hip_bfloat16hLi128ELi128ELi256ELi1EEvPT0_PKfS4_PKT_PKiS9_iS4_.kd
    .uniform_work_group_size: 1
    .uses_dynamic_stack: false
    .vgpr_count:     51
    .vgpr_spill_count: 0
    .wavefront_size: 32
  - .args:
      - .actual_access:  read_only
        .address_space:  global
        .offset:         0
        .size:           8
        .value_kind:     global_buffer
      - .actual_access:  read_only
        .address_space:  global
        .offset:         8
        .size:           8
        .value_kind:     global_buffer
      - .actual_access:  read_only
        .address_space:  global
        .offset:         16
        .size:           8
        .value_kind:     global_buffer
      - .actual_access:  read_only
        .address_space:  global
        .offset:         24
        .size:           8
        .value_kind:     global_buffer
      - .actual_access:  read_only
        .address_space:  global
        .offset:         32
        .size:           8
        .value_kind:     global_buffer
      - .actual_access:  read_only
        .address_space:  global
        .offset:         40
        .size:           8
        .value_kind:     global_buffer
      - .offset:         48
        .size:           4
        .value_kind:     by_value
      - .actual_access:  read_only
        .address_space:  global
        .offset:         56
        .size:           8
        .value_kind:     global_buffer
      - .offset:         64
        .size:           4
        .value_kind:     hidden_block_count_x
      - .offset:         68
        .size:           4
        .value_kind:     hidden_block_count_y
      - .offset:         72
        .size:           4
        .value_kind:     hidden_block_count_z
      - .offset:         76
        .size:           2
        .value_kind:     hidden_group_size_x
      - .offset:         78
        .size:           2
        .value_kind:     hidden_group_size_y
      - .offset:         80
        .size:           2
        .value_kind:     hidden_group_size_z
      - .offset:         82
        .size:           2
        .value_kind:     hidden_remainder_x
      - .offset:         84
        .size:           2
        .value_kind:     hidden_remainder_y
      - .offset:         86
        .size:           2
        .value_kind:     hidden_remainder_z
      - .offset:         104
        .size:           8
        .value_kind:     hidden_global_offset_x
      - .offset:         112
        .size:           8
        .value_kind:     hidden_global_offset_y
      - .offset:         120
        .size:           8
        .value_kind:     hidden_global_offset_z
      - .offset:         128
        .size:           2
        .value_kind:     hidden_grid_dims
      - .offset:         144
        .size:           8
        .value_kind:     hidden_hostcall_buffer
    .group_segment_fixed_size: 0
    .kernarg_segment_align: 8
    .kernarg_segment_size: 320
    .language:       OpenCL C
    .language_version:
      - 2
      - 0
    .max_flat_workgroup_size: 128
    .name:           _Z35paged_attention_ll4mi_reduce_kernelI14__hip_bfloat16hLi128ELi128ELi256ELi2EEvPT0_PKfS4_PKT_PKiS9_iS4_
    .private_segment_fixed_size: 64
    .sgpr_count:     36
    .sgpr_spill_count: 0
    .symbol:         _Z35paged_attention_ll4mi_reduce_kernelI14__hip_bfloat16hLi128ELi128ELi256ELi2EEvPT0_PKfS4_PKT_PKiS9_iS4_.kd
    .uniform_work_group_size: 1
    .uses_dynamic_stack: false
    .vgpr_count:     51
    .vgpr_spill_count: 0
    .wavefront_size: 32
  - .args:
      - .actual_access:  read_only
        .address_space:  global
        .offset:         0
        .size:           8
        .value_kind:     global_buffer
      - .actual_access:  read_only
        .address_space:  global
        .offset:         8
        .size:           8
        .value_kind:     global_buffer
      - .actual_access:  read_only
        .address_space:  global
        .offset:         16
        .size:           8
        .value_kind:     global_buffer
      - .actual_access:  read_only
        .address_space:  global
        .offset:         24
        .size:           8
        .value_kind:     global_buffer
      - .actual_access:  read_only
        .address_space:  global
        .offset:         32
        .size:           8
        .value_kind:     global_buffer
      - .actual_access:  read_only
        .address_space:  global
        .offset:         40
        .size:           8
        .value_kind:     global_buffer
      - .offset:         48
        .size:           4
        .value_kind:     by_value
      - .actual_access:  read_only
        .address_space:  global
        .offset:         56
        .size:           8
        .value_kind:     global_buffer
      - .offset:         64
        .size:           4
        .value_kind:     hidden_block_count_x
      - .offset:         68
        .size:           4
        .value_kind:     hidden_block_count_y
      - .offset:         72
        .size:           4
        .value_kind:     hidden_block_count_z
      - .offset:         76
        .size:           2
        .value_kind:     hidden_group_size_x
      - .offset:         78
        .size:           2
        .value_kind:     hidden_group_size_y
      - .offset:         80
        .size:           2
        .value_kind:     hidden_group_size_z
      - .offset:         82
        .size:           2
        .value_kind:     hidden_remainder_x
      - .offset:         84
        .size:           2
        .value_kind:     hidden_remainder_y
      - .offset:         86
        .size:           2
        .value_kind:     hidden_remainder_z
      - .offset:         104
        .size:           8
        .value_kind:     hidden_global_offset_x
      - .offset:         112
        .size:           8
        .value_kind:     hidden_global_offset_y
      - .offset:         120
        .size:           8
        .value_kind:     hidden_global_offset_z
      - .offset:         128
        .size:           2
        .value_kind:     hidden_grid_dims
      - .offset:         144
        .size:           8
        .value_kind:     hidden_hostcall_buffer
    .group_segment_fixed_size: 0
    .kernarg_segment_align: 8
    .kernarg_segment_size: 320
    .language:       OpenCL C
    .language_version:
      - 2
      - 0
    .max_flat_workgroup_size: 128
    .name:           _Z35paged_attention_ll4mi_reduce_kernelI14__hip_bfloat16hLi128ELi128ELi256ELi3EEvPT0_PKfS4_PKT_PKiS9_iS4_
    .private_segment_fixed_size: 64
    .sgpr_count:     36
    .sgpr_spill_count: 0
    .symbol:         _Z35paged_attention_ll4mi_reduce_kernelI14__hip_bfloat16hLi128ELi128ELi256ELi3EEvPT0_PKfS4_PKT_PKiS9_iS4_.kd
    .uniform_work_group_size: 1
    .uses_dynamic_stack: false
    .vgpr_count:     51
    .vgpr_spill_count: 0
    .wavefront_size: 32
  - .args:
      - .actual_access:  read_only
        .address_space:  global
        .offset:         0
        .size:           8
        .value_kind:     global_buffer
      - .actual_access:  read_only
        .address_space:  global
        .offset:         8
        .size:           8
        .value_kind:     global_buffer
      - .actual_access:  read_only
        .address_space:  global
        .offset:         16
        .size:           8
        .value_kind:     global_buffer
      - .actual_access:  read_only
        .address_space:  global
        .offset:         24
        .size:           8
        .value_kind:     global_buffer
      - .actual_access:  read_only
        .address_space:  global
        .offset:         32
        .size:           8
        .value_kind:     global_buffer
      - .actual_access:  read_only
        .address_space:  global
        .offset:         40
        .size:           8
        .value_kind:     global_buffer
      - .offset:         48
        .size:           4
        .value_kind:     by_value
      - .actual_access:  read_only
        .address_space:  global
        .offset:         56
        .size:           8
        .value_kind:     global_buffer
      - .offset:         64
        .size:           4
        .value_kind:     hidden_block_count_x
      - .offset:         68
        .size:           4
        .value_kind:     hidden_block_count_y
      - .offset:         72
        .size:           4
        .value_kind:     hidden_block_count_z
      - .offset:         76
        .size:           2
        .value_kind:     hidden_group_size_x
      - .offset:         78
        .size:           2
        .value_kind:     hidden_group_size_y
      - .offset:         80
        .size:           2
        .value_kind:     hidden_group_size_z
      - .offset:         82
        .size:           2
        .value_kind:     hidden_remainder_x
      - .offset:         84
        .size:           2
        .value_kind:     hidden_remainder_y
      - .offset:         86
        .size:           2
        .value_kind:     hidden_remainder_z
      - .offset:         104
        .size:           8
        .value_kind:     hidden_global_offset_x
      - .offset:         112
        .size:           8
        .value_kind:     hidden_global_offset_y
      - .offset:         120
        .size:           8
        .value_kind:     hidden_global_offset_z
      - .offset:         128
        .size:           2
        .value_kind:     hidden_grid_dims
      - .offset:         144
        .size:           8
        .value_kind:     hidden_hostcall_buffer
    .group_segment_fixed_size: 0
    .kernarg_segment_align: 8
    .kernarg_segment_size: 320
    .language:       OpenCL C
    .language_version:
      - 2
      - 0
    .max_flat_workgroup_size: 128
    .name:           _Z35paged_attention_ll4mi_reduce_kernelI14__hip_bfloat16hLi128ELi128ELi256ELi4EEvPT0_PKfS4_PKT_PKiS9_iS4_
    .private_segment_fixed_size: 64
    .sgpr_count:     36
    .sgpr_spill_count: 0
    .symbol:         _Z35paged_attention_ll4mi_reduce_kernelI14__hip_bfloat16hLi128ELi128ELi256ELi4EEvPT0_PKfS4_PKT_PKiS9_iS4_.kd
    .uniform_work_group_size: 1
    .uses_dynamic_stack: false
    .vgpr_count:     51
    .vgpr_spill_count: 0
    .wavefront_size: 32
  - .args:
      - .actual_access:  read_only
        .address_space:  global
        .offset:         0
        .size:           8
        .value_kind:     global_buffer
      - .actual_access:  read_only
        .address_space:  global
        .offset:         8
        .size:           8
        .value_kind:     global_buffer
      - .actual_access:  read_only
        .address_space:  global
        .offset:         16
        .size:           8
        .value_kind:     global_buffer
      - .actual_access:  read_only
        .address_space:  global
        .offset:         24
        .size:           8
        .value_kind:     global_buffer
      - .actual_access:  read_only
        .address_space:  global
        .offset:         32
        .size:           8
        .value_kind:     global_buffer
      - .actual_access:  read_only
        .address_space:  global
        .offset:         40
        .size:           8
        .value_kind:     global_buffer
      - .offset:         48
        .size:           4
        .value_kind:     by_value
      - .actual_access:  read_only
        .address_space:  global
        .offset:         56
        .size:           8
        .value_kind:     global_buffer
      - .offset:         64
        .size:           4
        .value_kind:     hidden_block_count_x
      - .offset:         68
        .size:           4
        .value_kind:     hidden_block_count_y
      - .offset:         72
        .size:           4
        .value_kind:     hidden_block_count_z
      - .offset:         76
        .size:           2
        .value_kind:     hidden_group_size_x
      - .offset:         78
        .size:           2
        .value_kind:     hidden_group_size_y
      - .offset:         80
        .size:           2
        .value_kind:     hidden_group_size_z
      - .offset:         82
        .size:           2
        .value_kind:     hidden_remainder_x
      - .offset:         84
        .size:           2
        .value_kind:     hidden_remainder_y
      - .offset:         86
        .size:           2
        .value_kind:     hidden_remainder_z
      - .offset:         104
        .size:           8
        .value_kind:     hidden_global_offset_x
      - .offset:         112
        .size:           8
        .value_kind:     hidden_global_offset_y
      - .offset:         120
        .size:           8
        .value_kind:     hidden_global_offset_z
      - .offset:         128
        .size:           2
        .value_kind:     hidden_grid_dims
      - .offset:         144
        .size:           8
        .value_kind:     hidden_hostcall_buffer
    .group_segment_fixed_size: 0
    .kernarg_segment_align: 8
    .kernarg_segment_size: 320
    .language:       OpenCL C
    .language_version:
      - 2
      - 0
    .max_flat_workgroup_size: 128
    .name:           _Z35paged_attention_ll4mi_reduce_kernelI14__hip_bfloat16hLi128ELi128ELi256ELi5EEvPT0_PKfS4_PKT_PKiS9_iS4_
    .private_segment_fixed_size: 64
    .sgpr_count:     36
    .sgpr_spill_count: 0
    .symbol:         _Z35paged_attention_ll4mi_reduce_kernelI14__hip_bfloat16hLi128ELi128ELi256ELi5EEvPT0_PKfS4_PKT_PKiS9_iS4_.kd
    .uniform_work_group_size: 1
    .uses_dynamic_stack: false
    .vgpr_count:     51
    .vgpr_spill_count: 0
    .wavefront_size: 32
  - .args:
      - .actual_access:  read_only
        .address_space:  global
        .offset:         0
        .size:           8
        .value_kind:     global_buffer
      - .actual_access:  read_only
        .address_space:  global
        .offset:         8
        .size:           8
        .value_kind:     global_buffer
      - .actual_access:  read_only
        .address_space:  global
        .offset:         16
        .size:           8
        .value_kind:     global_buffer
      - .actual_access:  read_only
        .address_space:  global
        .offset:         24
        .size:           8
        .value_kind:     global_buffer
      - .actual_access:  read_only
        .address_space:  global
        .offset:         32
        .size:           8
        .value_kind:     global_buffer
      - .actual_access:  read_only
        .address_space:  global
        .offset:         40
        .size:           8
        .value_kind:     global_buffer
      - .offset:         48
        .size:           4
        .value_kind:     by_value
      - .actual_access:  read_only
        .address_space:  global
        .offset:         56
        .size:           8
        .value_kind:     global_buffer
      - .offset:         64
        .size:           4
        .value_kind:     hidden_block_count_x
      - .offset:         68
        .size:           4
        .value_kind:     hidden_block_count_y
      - .offset:         72
        .size:           4
        .value_kind:     hidden_block_count_z
      - .offset:         76
        .size:           2
        .value_kind:     hidden_group_size_x
      - .offset:         78
        .size:           2
        .value_kind:     hidden_group_size_y
      - .offset:         80
        .size:           2
        .value_kind:     hidden_group_size_z
      - .offset:         82
        .size:           2
        .value_kind:     hidden_remainder_x
      - .offset:         84
        .size:           2
        .value_kind:     hidden_remainder_y
      - .offset:         86
        .size:           2
        .value_kind:     hidden_remainder_z
      - .offset:         104
        .size:           8
        .value_kind:     hidden_global_offset_x
      - .offset:         112
        .size:           8
        .value_kind:     hidden_global_offset_y
      - .offset:         120
        .size:           8
        .value_kind:     hidden_global_offset_z
      - .offset:         128
        .size:           2
        .value_kind:     hidden_grid_dims
      - .offset:         144
        .size:           8
        .value_kind:     hidden_hostcall_buffer
    .group_segment_fixed_size: 0
    .kernarg_segment_align: 8
    .kernarg_segment_size: 320
    .language:       OpenCL C
    .language_version:
      - 2
      - 0
    .max_flat_workgroup_size: 128
    .name:           _Z35paged_attention_ll4mi_reduce_kernelI14__hip_bfloat16hLi128ELi128ELi256ELi6EEvPT0_PKfS4_PKT_PKiS9_iS4_
    .private_segment_fixed_size: 64
    .sgpr_count:     36
    .sgpr_spill_count: 0
    .symbol:         _Z35paged_attention_ll4mi_reduce_kernelI14__hip_bfloat16hLi128ELi128ELi256ELi6EEvPT0_PKfS4_PKT_PKiS9_iS4_.kd
    .uniform_work_group_size: 1
    .uses_dynamic_stack: false
    .vgpr_count:     51
    .vgpr_spill_count: 0
    .wavefront_size: 32
  - .args:
      - .actual_access:  read_only
        .address_space:  global
        .offset:         0
        .size:           8
        .value_kind:     global_buffer
      - .actual_access:  read_only
        .address_space:  global
        .offset:         8
        .size:           8
        .value_kind:     global_buffer
      - .actual_access:  read_only
        .address_space:  global
        .offset:         16
        .size:           8
        .value_kind:     global_buffer
      - .actual_access:  read_only
        .address_space:  global
        .offset:         24
        .size:           8
        .value_kind:     global_buffer
      - .actual_access:  read_only
        .address_space:  global
        .offset:         32
        .size:           8
        .value_kind:     global_buffer
      - .actual_access:  read_only
        .address_space:  global
        .offset:         40
        .size:           8
        .value_kind:     global_buffer
      - .offset:         48
        .size:           4
        .value_kind:     by_value
      - .actual_access:  read_only
        .address_space:  global
        .offset:         56
        .size:           8
        .value_kind:     global_buffer
      - .offset:         64
        .size:           4
        .value_kind:     hidden_block_count_x
      - .offset:         68
        .size:           4
        .value_kind:     hidden_block_count_y
      - .offset:         72
        .size:           4
        .value_kind:     hidden_block_count_z
      - .offset:         76
        .size:           2
        .value_kind:     hidden_group_size_x
      - .offset:         78
        .size:           2
        .value_kind:     hidden_group_size_y
      - .offset:         80
        .size:           2
        .value_kind:     hidden_group_size_z
      - .offset:         82
        .size:           2
        .value_kind:     hidden_remainder_x
      - .offset:         84
        .size:           2
        .value_kind:     hidden_remainder_y
      - .offset:         86
        .size:           2
        .value_kind:     hidden_remainder_z
      - .offset:         104
        .size:           8
        .value_kind:     hidden_global_offset_x
      - .offset:         112
        .size:           8
        .value_kind:     hidden_global_offset_y
      - .offset:         120
        .size:           8
        .value_kind:     hidden_global_offset_z
      - .offset:         128
        .size:           2
        .value_kind:     hidden_grid_dims
      - .offset:         144
        .size:           8
        .value_kind:     hidden_hostcall_buffer
    .group_segment_fixed_size: 0
    .kernarg_segment_align: 8
    .kernarg_segment_size: 320
    .language:       OpenCL C
    .language_version:
      - 2
      - 0
    .max_flat_workgroup_size: 128
    .name:           _Z35paged_attention_ll4mi_reduce_kernelI14__hip_bfloat16hLi128ELi128ELi256ELi7EEvPT0_PKfS4_PKT_PKiS9_iS4_
    .private_segment_fixed_size: 64
    .sgpr_count:     36
    .sgpr_spill_count: 0
    .symbol:         _Z35paged_attention_ll4mi_reduce_kernelI14__hip_bfloat16hLi128ELi128ELi256ELi7EEvPT0_PKfS4_PKT_PKiS9_iS4_.kd
    .uniform_work_group_size: 1
    .uses_dynamic_stack: false
    .vgpr_count:     51
    .vgpr_spill_count: 0
    .wavefront_size: 32
  - .args:
      - .actual_access:  read_only
        .address_space:  global
        .offset:         0
        .size:           8
        .value_kind:     global_buffer
      - .actual_access:  read_only
        .address_space:  global
        .offset:         8
        .size:           8
        .value_kind:     global_buffer
      - .actual_access:  read_only
        .address_space:  global
        .offset:         16
        .size:           8
        .value_kind:     global_buffer
      - .actual_access:  read_only
        .address_space:  global
        .offset:         24
        .size:           8
        .value_kind:     global_buffer
      - .actual_access:  read_only
        .address_space:  global
        .offset:         32
        .size:           8
        .value_kind:     global_buffer
      - .actual_access:  read_only
        .address_space:  global
        .offset:         40
        .size:           8
        .value_kind:     global_buffer
      - .offset:         48
        .size:           4
        .value_kind:     by_value
      - .actual_access:  read_only
        .address_space:  global
        .offset:         56
        .size:           8
        .value_kind:     global_buffer
      - .offset:         64
        .size:           4
        .value_kind:     hidden_block_count_x
      - .offset:         68
        .size:           4
        .value_kind:     hidden_block_count_y
      - .offset:         72
        .size:           4
        .value_kind:     hidden_block_count_z
      - .offset:         76
        .size:           2
        .value_kind:     hidden_group_size_x
      - .offset:         78
        .size:           2
        .value_kind:     hidden_group_size_y
      - .offset:         80
        .size:           2
        .value_kind:     hidden_group_size_z
      - .offset:         82
        .size:           2
        .value_kind:     hidden_remainder_x
      - .offset:         84
        .size:           2
        .value_kind:     hidden_remainder_y
      - .offset:         86
        .size:           2
        .value_kind:     hidden_remainder_z
      - .offset:         104
        .size:           8
        .value_kind:     hidden_global_offset_x
      - .offset:         112
        .size:           8
        .value_kind:     hidden_global_offset_y
      - .offset:         120
        .size:           8
        .value_kind:     hidden_global_offset_z
      - .offset:         128
        .size:           2
        .value_kind:     hidden_grid_dims
      - .offset:         144
        .size:           8
        .value_kind:     hidden_hostcall_buffer
    .group_segment_fixed_size: 0
    .kernarg_segment_align: 8
    .kernarg_segment_size: 320
    .language:       OpenCL C
    .language_version:
      - 2
      - 0
    .max_flat_workgroup_size: 128
    .name:           _Z35paged_attention_ll4mi_reduce_kernelI14__hip_bfloat16hLi128ELi128ELi256ELi8EEvPT0_PKfS4_PKT_PKiS9_iS4_
    .private_segment_fixed_size: 64
    .sgpr_count:     36
    .sgpr_spill_count: 0
    .symbol:         _Z35paged_attention_ll4mi_reduce_kernelI14__hip_bfloat16hLi128ELi128ELi256ELi8EEvPT0_PKfS4_PKT_PKiS9_iS4_.kd
    .uniform_work_group_size: 1
    .uses_dynamic_stack: false
    .vgpr_count:     51
    .vgpr_spill_count: 0
    .wavefront_size: 32
  - .args:
      - .actual_access:  read_only
        .address_space:  global
        .offset:         0
        .size:           8
        .value_kind:     global_buffer
      - .actual_access:  read_only
        .address_space:  global
        .offset:         8
        .size:           8
        .value_kind:     global_buffer
      - .actual_access:  read_only
        .address_space:  global
        .offset:         16
        .size:           8
        .value_kind:     global_buffer
      - .offset:         24
        .size:           4
        .value_kind:     by_value
      - .offset:         28
        .size:           4
        .value_kind:     by_value
      - .actual_access:  read_only
        .address_space:  global
        .offset:         32
        .size:           8
        .value_kind:     global_buffer
      - .actual_access:  read_only
        .address_space:  global
        .offset:         40
        .size:           8
        .value_kind:     global_buffer
      - .actual_access:  read_only
        .address_space:  global
        .offset:         48
        .size:           8
        .value_kind:     global_buffer
      - .offset:         56
        .size:           4
        .value_kind:     by_value
      - .actual_access:  read_only
        .address_space:  global
        .offset:         64
        .size:           8
        .value_kind:     global_buffer
      - .offset:         72
        .size:           4
        .value_kind:     by_value
      - .offset:         76
        .size:           4
        .value_kind:     by_value
      - .offset:         80
        .size:           4
        .value_kind:     by_value
      - .actual_access:  read_only
        .address_space:  global
        .offset:         88
        .size:           8
        .value_kind:     global_buffer
      - .actual_access:  read_only
        .address_space:  global
        .offset:         96
        .size:           8
        .value_kind:     global_buffer
      - .actual_access:  read_only
        .address_space:  global
        .offset:         104
        .size:           8
        .value_kind:     global_buffer
      - .actual_access:  read_only
        .address_space:  global
        .offset:         112
        .size:           8
        .value_kind:     global_buffer
      - .offset:         120
        .size:           4
        .value_kind:     by_value
      - .address_space:  global
        .offset:         128
        .size:           8
        .value_kind:     global_buffer
      - .address_space:  global
        .offset:         136
        .size:           8
        .value_kind:     global_buffer
      - .offset:         144
        .size:           4
        .value_kind:     hidden_block_count_x
      - .offset:         148
        .size:           4
        .value_kind:     hidden_block_count_y
      - .offset:         152
        .size:           4
        .value_kind:     hidden_block_count_z
      - .offset:         156
        .size:           2
        .value_kind:     hidden_group_size_x
      - .offset:         158
        .size:           2
        .value_kind:     hidden_group_size_y
      - .offset:         160
        .size:           2
        .value_kind:     hidden_group_size_z
      - .offset:         162
        .size:           2
        .value_kind:     hidden_remainder_x
      - .offset:         164
        .size:           2
        .value_kind:     hidden_remainder_y
      - .offset:         166
        .size:           2
        .value_kind:     hidden_remainder_z
      - .offset:         184
        .size:           8
        .value_kind:     hidden_global_offset_x
      - .offset:         192
        .size:           8
        .value_kind:     hidden_global_offset_y
      - .offset:         200
        .size:           8
        .value_kind:     hidden_global_offset_z
      - .offset:         208
        .size:           2
        .value_kind:     hidden_grid_dims
      - .offset:         224
        .size:           8
        .value_kind:     hidden_hostcall_buffer
    .group_segment_fixed_size: 0
    .kernarg_segment_align: 8
    .kernarg_segment_size: 400
    .language:       OpenCL C
    .language_version:
      - 2
      - 0
    .max_flat_workgroup_size: 256
    .name:           _Z39paged_attention_ll4mi_QKV_mfma16_kernelI14__hip_bfloat16S0_LN4vllm18Fp8KVCacheDataTypeE0EhLi16ELi128ELi256ELb1ELi1EEvPKT_PKT0_S8_ifPKiSA_SA_iPKfiiiPfSD_PS3_PT2_iSC_SC_
    .private_segment_fixed_size: 64
    .sgpr_count:     36
    .sgpr_spill_count: 0
    .symbol:         _Z39paged_attention_ll4mi_QKV_mfma16_kernelI14__hip_bfloat16S0_LN4vllm18Fp8KVCacheDataTypeE0EhLi16ELi128ELi256ELb1ELi1EEvPKT_PKT0_S8_ifPKiSA_SA_iPKfiiiPfSD_PS3_PT2_iSC_SC_.kd
    .uniform_work_group_size: 1
    .uses_dynamic_stack: false
    .vgpr_count:     51
    .vgpr_spill_count: 0
    .wavefront_size: 32
  - .args:
      - .actual_access:  read_only
        .address_space:  global
        .offset:         0
        .size:           8
        .value_kind:     global_buffer
      - .actual_access:  read_only
        .address_space:  global
        .offset:         8
        .size:           8
        .value_kind:     global_buffer
      - .actual_access:  read_only
        .address_space:  global
        .offset:         16
        .size:           8
        .value_kind:     global_buffer
      - .offset:         24
        .size:           4
        .value_kind:     by_value
      - .offset:         28
        .size:           4
        .value_kind:     by_value
      - .actual_access:  read_only
        .address_space:  global
        .offset:         32
        .size:           8
        .value_kind:     global_buffer
      - .actual_access:  read_only
        .address_space:  global
        .offset:         40
        .size:           8
        .value_kind:     global_buffer
      - .actual_access:  read_only
        .address_space:  global
        .offset:         48
        .size:           8
        .value_kind:     global_buffer
      - .offset:         56
        .size:           4
        .value_kind:     by_value
      - .actual_access:  read_only
        .address_space:  global
        .offset:         64
        .size:           8
        .value_kind:     global_buffer
      - .offset:         72
        .size:           4
        .value_kind:     by_value
      - .offset:         76
        .size:           4
        .value_kind:     by_value
      - .offset:         80
        .size:           4
        .value_kind:     by_value
      - .actual_access:  read_only
        .address_space:  global
        .offset:         88
        .size:           8
        .value_kind:     global_buffer
      - .actual_access:  read_only
        .address_space:  global
        .offset:         96
        .size:           8
        .value_kind:     global_buffer
      - .actual_access:  read_only
        .address_space:  global
        .offset:         104
        .size:           8
        .value_kind:     global_buffer
      - .actual_access:  read_only
        .address_space:  global
        .offset:         112
        .size:           8
        .value_kind:     global_buffer
      - .offset:         120
        .size:           4
        .value_kind:     by_value
      - .address_space:  global
        .offset:         128
        .size:           8
        .value_kind:     global_buffer
      - .address_space:  global
        .offset:         136
        .size:           8
        .value_kind:     global_buffer
      - .offset:         144
        .size:           4
        .value_kind:     hidden_block_count_x
      - .offset:         148
        .size:           4
        .value_kind:     hidden_block_count_y
      - .offset:         152
        .size:           4
        .value_kind:     hidden_block_count_z
      - .offset:         156
        .size:           2
        .value_kind:     hidden_group_size_x
      - .offset:         158
        .size:           2
        .value_kind:     hidden_group_size_y
      - .offset:         160
        .size:           2
        .value_kind:     hidden_group_size_z
      - .offset:         162
        .size:           2
        .value_kind:     hidden_remainder_x
      - .offset:         164
        .size:           2
        .value_kind:     hidden_remainder_y
      - .offset:         166
        .size:           2
        .value_kind:     hidden_remainder_z
      - .offset:         184
        .size:           8
        .value_kind:     hidden_global_offset_x
      - .offset:         192
        .size:           8
        .value_kind:     hidden_global_offset_y
      - .offset:         200
        .size:           8
        .value_kind:     hidden_global_offset_z
      - .offset:         208
        .size:           2
        .value_kind:     hidden_grid_dims
      - .offset:         224
        .size:           8
        .value_kind:     hidden_hostcall_buffer
    .group_segment_fixed_size: 0
    .kernarg_segment_align: 8
    .kernarg_segment_size: 400
    .language:       OpenCL C
    .language_version:
      - 2
      - 0
    .max_flat_workgroup_size: 256
    .name:           _Z39paged_attention_ll4mi_QKV_mfma16_kernelI14__hip_bfloat16S0_LN4vllm18Fp8KVCacheDataTypeE0EhLi16ELi128ELi256ELb1ELi2EEvPKT_PKT0_S8_ifPKiSA_SA_iPKfiiiPfSD_PS3_PT2_iSC_SC_
    .private_segment_fixed_size: 64
    .sgpr_count:     36
    .sgpr_spill_count: 0
    .symbol:         _Z39paged_attention_ll4mi_QKV_mfma16_kernelI14__hip_bfloat16S0_LN4vllm18Fp8KVCacheDataTypeE0EhLi16ELi128ELi256ELb1ELi2EEvPKT_PKT0_S8_ifPKiSA_SA_iPKfiiiPfSD_PS3_PT2_iSC_SC_.kd
    .uniform_work_group_size: 1
    .uses_dynamic_stack: false
    .vgpr_count:     51
    .vgpr_spill_count: 0
    .wavefront_size: 32
  - .args:
      - .actual_access:  read_only
        .address_space:  global
        .offset:         0
        .size:           8
        .value_kind:     global_buffer
      - .actual_access:  read_only
        .address_space:  global
        .offset:         8
        .size:           8
        .value_kind:     global_buffer
      - .actual_access:  read_only
        .address_space:  global
        .offset:         16
        .size:           8
        .value_kind:     global_buffer
      - .offset:         24
        .size:           4
        .value_kind:     by_value
      - .offset:         28
        .size:           4
        .value_kind:     by_value
      - .actual_access:  read_only
        .address_space:  global
        .offset:         32
        .size:           8
        .value_kind:     global_buffer
      - .actual_access:  read_only
        .address_space:  global
        .offset:         40
        .size:           8
        .value_kind:     global_buffer
      - .actual_access:  read_only
        .address_space:  global
        .offset:         48
        .size:           8
        .value_kind:     global_buffer
      - .offset:         56
        .size:           4
        .value_kind:     by_value
      - .actual_access:  read_only
        .address_space:  global
        .offset:         64
        .size:           8
        .value_kind:     global_buffer
      - .offset:         72
        .size:           4
        .value_kind:     by_value
      - .offset:         76
        .size:           4
        .value_kind:     by_value
      - .offset:         80
        .size:           4
        .value_kind:     by_value
      - .actual_access:  read_only
        .address_space:  global
        .offset:         88
        .size:           8
        .value_kind:     global_buffer
      - .actual_access:  read_only
        .address_space:  global
        .offset:         96
        .size:           8
        .value_kind:     global_buffer
      - .actual_access:  read_only
        .address_space:  global
        .offset:         104
        .size:           8
        .value_kind:     global_buffer
      - .actual_access:  read_only
        .address_space:  global
        .offset:         112
        .size:           8
        .value_kind:     global_buffer
      - .offset:         120
        .size:           4
        .value_kind:     by_value
      - .address_space:  global
        .offset:         128
        .size:           8
        .value_kind:     global_buffer
      - .address_space:  global
        .offset:         136
        .size:           8
        .value_kind:     global_buffer
      - .offset:         144
        .size:           4
        .value_kind:     hidden_block_count_x
      - .offset:         148
        .size:           4
        .value_kind:     hidden_block_count_y
      - .offset:         152
        .size:           4
        .value_kind:     hidden_block_count_z
      - .offset:         156
        .size:           2
        .value_kind:     hidden_group_size_x
      - .offset:         158
        .size:           2
        .value_kind:     hidden_group_size_y
      - .offset:         160
        .size:           2
        .value_kind:     hidden_group_size_z
      - .offset:         162
        .size:           2
        .value_kind:     hidden_remainder_x
      - .offset:         164
        .size:           2
        .value_kind:     hidden_remainder_y
      - .offset:         166
        .size:           2
        .value_kind:     hidden_remainder_z
      - .offset:         184
        .size:           8
        .value_kind:     hidden_global_offset_x
      - .offset:         192
        .size:           8
        .value_kind:     hidden_global_offset_y
      - .offset:         200
        .size:           8
        .value_kind:     hidden_global_offset_z
      - .offset:         208
        .size:           2
        .value_kind:     hidden_grid_dims
      - .offset:         224
        .size:           8
        .value_kind:     hidden_hostcall_buffer
    .group_segment_fixed_size: 0
    .kernarg_segment_align: 8
    .kernarg_segment_size: 400
    .language:       OpenCL C
    .language_version:
      - 2
      - 0
    .max_flat_workgroup_size: 256
    .name:           _Z39paged_attention_ll4mi_QKV_mfma16_kernelI14__hip_bfloat16S0_LN4vllm18Fp8KVCacheDataTypeE0EhLi16ELi128ELi256ELb1ELi3EEvPKT_PKT0_S8_ifPKiSA_SA_iPKfiiiPfSD_PS3_PT2_iSC_SC_
    .private_segment_fixed_size: 64
    .sgpr_count:     36
    .sgpr_spill_count: 0
    .symbol:         _Z39paged_attention_ll4mi_QKV_mfma16_kernelI14__hip_bfloat16S0_LN4vllm18Fp8KVCacheDataTypeE0EhLi16ELi128ELi256ELb1ELi3EEvPKT_PKT0_S8_ifPKiSA_SA_iPKfiiiPfSD_PS3_PT2_iSC_SC_.kd
    .uniform_work_group_size: 1
    .uses_dynamic_stack: false
    .vgpr_count:     51
    .vgpr_spill_count: 0
    .wavefront_size: 32
  - .args:
      - .actual_access:  read_only
        .address_space:  global
        .offset:         0
        .size:           8
        .value_kind:     global_buffer
      - .actual_access:  read_only
        .address_space:  global
        .offset:         8
        .size:           8
        .value_kind:     global_buffer
      - .actual_access:  read_only
        .address_space:  global
        .offset:         16
        .size:           8
        .value_kind:     global_buffer
      - .offset:         24
        .size:           4
        .value_kind:     by_value
      - .offset:         28
        .size:           4
        .value_kind:     by_value
      - .actual_access:  read_only
        .address_space:  global
        .offset:         32
        .size:           8
        .value_kind:     global_buffer
      - .actual_access:  read_only
        .address_space:  global
        .offset:         40
        .size:           8
        .value_kind:     global_buffer
      - .actual_access:  read_only
        .address_space:  global
        .offset:         48
        .size:           8
        .value_kind:     global_buffer
      - .offset:         56
        .size:           4
        .value_kind:     by_value
      - .actual_access:  read_only
        .address_space:  global
        .offset:         64
        .size:           8
        .value_kind:     global_buffer
      - .offset:         72
        .size:           4
        .value_kind:     by_value
      - .offset:         76
        .size:           4
        .value_kind:     by_value
      - .offset:         80
        .size:           4
        .value_kind:     by_value
      - .actual_access:  read_only
        .address_space:  global
        .offset:         88
        .size:           8
        .value_kind:     global_buffer
      - .actual_access:  read_only
        .address_space:  global
        .offset:         96
        .size:           8
        .value_kind:     global_buffer
      - .actual_access:  read_only
        .address_space:  global
        .offset:         104
        .size:           8
        .value_kind:     global_buffer
      - .actual_access:  read_only
        .address_space:  global
        .offset:         112
        .size:           8
        .value_kind:     global_buffer
      - .offset:         120
        .size:           4
        .value_kind:     by_value
      - .address_space:  global
        .offset:         128
        .size:           8
        .value_kind:     global_buffer
      - .address_space:  global
        .offset:         136
        .size:           8
        .value_kind:     global_buffer
      - .offset:         144
        .size:           4
        .value_kind:     hidden_block_count_x
      - .offset:         148
        .size:           4
        .value_kind:     hidden_block_count_y
      - .offset:         152
        .size:           4
        .value_kind:     hidden_block_count_z
      - .offset:         156
        .size:           2
        .value_kind:     hidden_group_size_x
      - .offset:         158
        .size:           2
        .value_kind:     hidden_group_size_y
      - .offset:         160
        .size:           2
        .value_kind:     hidden_group_size_z
      - .offset:         162
        .size:           2
        .value_kind:     hidden_remainder_x
      - .offset:         164
        .size:           2
        .value_kind:     hidden_remainder_y
      - .offset:         166
        .size:           2
        .value_kind:     hidden_remainder_z
      - .offset:         184
        .size:           8
        .value_kind:     hidden_global_offset_x
      - .offset:         192
        .size:           8
        .value_kind:     hidden_global_offset_y
      - .offset:         200
        .size:           8
        .value_kind:     hidden_global_offset_z
      - .offset:         208
        .size:           2
        .value_kind:     hidden_grid_dims
      - .offset:         224
        .size:           8
        .value_kind:     hidden_hostcall_buffer
    .group_segment_fixed_size: 0
    .kernarg_segment_align: 8
    .kernarg_segment_size: 400
    .language:       OpenCL C
    .language_version:
      - 2
      - 0
    .max_flat_workgroup_size: 256
    .name:           _Z39paged_attention_ll4mi_QKV_mfma16_kernelI14__hip_bfloat16S0_LN4vllm18Fp8KVCacheDataTypeE0EhLi16ELi128ELi256ELb1ELi4EEvPKT_PKT0_S8_ifPKiSA_SA_iPKfiiiPfSD_PS3_PT2_iSC_SC_
    .private_segment_fixed_size: 64
    .sgpr_count:     36
    .sgpr_spill_count: 0
    .symbol:         _Z39paged_attention_ll4mi_QKV_mfma16_kernelI14__hip_bfloat16S0_LN4vllm18Fp8KVCacheDataTypeE0EhLi16ELi128ELi256ELb1ELi4EEvPKT_PKT0_S8_ifPKiSA_SA_iPKfiiiPfSD_PS3_PT2_iSC_SC_.kd
    .uniform_work_group_size: 1
    .uses_dynamic_stack: false
    .vgpr_count:     51
    .vgpr_spill_count: 0
    .wavefront_size: 32
  - .args:
      - .actual_access:  read_only
        .address_space:  global
        .offset:         0
        .size:           8
        .value_kind:     global_buffer
      - .actual_access:  read_only
        .address_space:  global
        .offset:         8
        .size:           8
        .value_kind:     global_buffer
      - .actual_access:  read_only
        .address_space:  global
        .offset:         16
        .size:           8
        .value_kind:     global_buffer
      - .actual_access:  read_only
        .address_space:  global
        .offset:         24
        .size:           8
        .value_kind:     global_buffer
      - .actual_access:  read_only
        .address_space:  global
        .offset:         32
        .size:           8
        .value_kind:     global_buffer
      - .actual_access:  read_only
        .address_space:  global
        .offset:         40
        .size:           8
        .value_kind:     global_buffer
      - .offset:         48
        .size:           4
        .value_kind:     by_value
      - .actual_access:  read_only
        .address_space:  global
        .offset:         56
        .size:           8
        .value_kind:     global_buffer
      - .offset:         64
        .size:           4
        .value_kind:     hidden_block_count_x
      - .offset:         68
        .size:           4
        .value_kind:     hidden_block_count_y
      - .offset:         72
        .size:           4
        .value_kind:     hidden_block_count_z
      - .offset:         76
        .size:           2
        .value_kind:     hidden_group_size_x
      - .offset:         78
        .size:           2
        .value_kind:     hidden_group_size_y
      - .offset:         80
        .size:           2
        .value_kind:     hidden_group_size_z
      - .offset:         82
        .size:           2
        .value_kind:     hidden_remainder_x
      - .offset:         84
        .size:           2
        .value_kind:     hidden_remainder_y
      - .offset:         86
        .size:           2
        .value_kind:     hidden_remainder_z
      - .offset:         104
        .size:           8
        .value_kind:     hidden_global_offset_x
      - .offset:         112
        .size:           8
        .value_kind:     hidden_global_offset_y
      - .offset:         120
        .size:           8
        .value_kind:     hidden_global_offset_z
      - .offset:         128
        .size:           2
        .value_kind:     hidden_grid_dims
      - .offset:         144
        .size:           8
        .value_kind:     hidden_hostcall_buffer
    .group_segment_fixed_size: 0
    .kernarg_segment_align: 8
    .kernarg_segment_size: 320
    .language:       OpenCL C
    .language_version:
      - 2
      - 0
    .max_flat_workgroup_size: 128
    .name:           _Z35paged_attention_ll4mi_reduce_kernelI14__hip_bfloat16hLi128ELi128ELi256ELi9EEvPT0_PKfS4_PKT_PKiS9_iS4_
    .private_segment_fixed_size: 64
    .sgpr_count:     36
    .sgpr_spill_count: 0
    .symbol:         _Z35paged_attention_ll4mi_reduce_kernelI14__hip_bfloat16hLi128ELi128ELi256ELi9EEvPT0_PKfS4_PKT_PKiS9_iS4_.kd
    .uniform_work_group_size: 1
    .uses_dynamic_stack: false
    .vgpr_count:     51
    .vgpr_spill_count: 0
    .wavefront_size: 32
  - .args:
      - .actual_access:  read_only
        .address_space:  global
        .offset:         0
        .size:           8
        .value_kind:     global_buffer
      - .actual_access:  read_only
        .address_space:  global
        .offset:         8
        .size:           8
        .value_kind:     global_buffer
      - .actual_access:  read_only
        .address_space:  global
        .offset:         16
        .size:           8
        .value_kind:     global_buffer
      - .actual_access:  read_only
        .address_space:  global
        .offset:         24
        .size:           8
        .value_kind:     global_buffer
      - .actual_access:  read_only
        .address_space:  global
        .offset:         32
        .size:           8
        .value_kind:     global_buffer
      - .actual_access:  read_only
        .address_space:  global
        .offset:         40
        .size:           8
        .value_kind:     global_buffer
      - .offset:         48
        .size:           4
        .value_kind:     by_value
      - .actual_access:  read_only
        .address_space:  global
        .offset:         56
        .size:           8
        .value_kind:     global_buffer
      - .offset:         64
        .size:           4
        .value_kind:     hidden_block_count_x
      - .offset:         68
        .size:           4
        .value_kind:     hidden_block_count_y
      - .offset:         72
        .size:           4
        .value_kind:     hidden_block_count_z
      - .offset:         76
        .size:           2
        .value_kind:     hidden_group_size_x
      - .offset:         78
        .size:           2
        .value_kind:     hidden_group_size_y
      - .offset:         80
        .size:           2
        .value_kind:     hidden_group_size_z
      - .offset:         82
        .size:           2
        .value_kind:     hidden_remainder_x
      - .offset:         84
        .size:           2
        .value_kind:     hidden_remainder_y
      - .offset:         86
        .size:           2
        .value_kind:     hidden_remainder_z
      - .offset:         104
        .size:           8
        .value_kind:     hidden_global_offset_x
      - .offset:         112
        .size:           8
        .value_kind:     hidden_global_offset_y
      - .offset:         120
        .size:           8
        .value_kind:     hidden_global_offset_z
      - .offset:         128
        .size:           2
        .value_kind:     hidden_grid_dims
      - .offset:         144
        .size:           8
        .value_kind:     hidden_hostcall_buffer
    .group_segment_fixed_size: 0
    .kernarg_segment_align: 8
    .kernarg_segment_size: 320
    .language:       OpenCL C
    .language_version:
      - 2
      - 0
    .max_flat_workgroup_size: 128
    .name:           _Z35paged_attention_ll4mi_reduce_kernelI14__hip_bfloat16hLi128ELi128ELi256ELi10EEvPT0_PKfS4_PKT_PKiS9_iS4_
    .private_segment_fixed_size: 64
    .sgpr_count:     36
    .sgpr_spill_count: 0
    .symbol:         _Z35paged_attention_ll4mi_reduce_kernelI14__hip_bfloat16hLi128ELi128ELi256ELi10EEvPT0_PKfS4_PKT_PKiS9_iS4_.kd
    .uniform_work_group_size: 1
    .uses_dynamic_stack: false
    .vgpr_count:     51
    .vgpr_spill_count: 0
    .wavefront_size: 32
  - .args:
      - .actual_access:  read_only
        .address_space:  global
        .offset:         0
        .size:           8
        .value_kind:     global_buffer
      - .actual_access:  read_only
        .address_space:  global
        .offset:         8
        .size:           8
        .value_kind:     global_buffer
      - .actual_access:  read_only
        .address_space:  global
        .offset:         16
        .size:           8
        .value_kind:     global_buffer
      - .actual_access:  read_only
        .address_space:  global
        .offset:         24
        .size:           8
        .value_kind:     global_buffer
      - .actual_access:  read_only
        .address_space:  global
        .offset:         32
        .size:           8
        .value_kind:     global_buffer
      - .actual_access:  read_only
        .address_space:  global
        .offset:         40
        .size:           8
        .value_kind:     global_buffer
      - .offset:         48
        .size:           4
        .value_kind:     by_value
      - .actual_access:  read_only
        .address_space:  global
        .offset:         56
        .size:           8
        .value_kind:     global_buffer
      - .offset:         64
        .size:           4
        .value_kind:     hidden_block_count_x
      - .offset:         68
        .size:           4
        .value_kind:     hidden_block_count_y
      - .offset:         72
        .size:           4
        .value_kind:     hidden_block_count_z
      - .offset:         76
        .size:           2
        .value_kind:     hidden_group_size_x
      - .offset:         78
        .size:           2
        .value_kind:     hidden_group_size_y
      - .offset:         80
        .size:           2
        .value_kind:     hidden_group_size_z
      - .offset:         82
        .size:           2
        .value_kind:     hidden_remainder_x
      - .offset:         84
        .size:           2
        .value_kind:     hidden_remainder_y
      - .offset:         86
        .size:           2
        .value_kind:     hidden_remainder_z
      - .offset:         104
        .size:           8
        .value_kind:     hidden_global_offset_x
      - .offset:         112
        .size:           8
        .value_kind:     hidden_global_offset_y
      - .offset:         120
        .size:           8
        .value_kind:     hidden_global_offset_z
      - .offset:         128
        .size:           2
        .value_kind:     hidden_grid_dims
      - .offset:         144
        .size:           8
        .value_kind:     hidden_hostcall_buffer
    .group_segment_fixed_size: 0
    .kernarg_segment_align: 8
    .kernarg_segment_size: 320
    .language:       OpenCL C
    .language_version:
      - 2
      - 0
    .max_flat_workgroup_size: 128
    .name:           _Z35paged_attention_ll4mi_reduce_kernelI14__hip_bfloat16hLi128ELi128ELi256ELi11EEvPT0_PKfS4_PKT_PKiS9_iS4_
    .private_segment_fixed_size: 64
    .sgpr_count:     36
    .sgpr_spill_count: 0
    .symbol:         _Z35paged_attention_ll4mi_reduce_kernelI14__hip_bfloat16hLi128ELi128ELi256ELi11EEvPT0_PKfS4_PKT_PKiS9_iS4_.kd
    .uniform_work_group_size: 1
    .uses_dynamic_stack: false
    .vgpr_count:     51
    .vgpr_spill_count: 0
    .wavefront_size: 32
  - .args:
      - .actual_access:  read_only
        .address_space:  global
        .offset:         0
        .size:           8
        .value_kind:     global_buffer
      - .actual_access:  read_only
        .address_space:  global
        .offset:         8
        .size:           8
        .value_kind:     global_buffer
      - .actual_access:  read_only
        .address_space:  global
        .offset:         16
        .size:           8
        .value_kind:     global_buffer
      - .actual_access:  read_only
        .address_space:  global
        .offset:         24
        .size:           8
        .value_kind:     global_buffer
      - .actual_access:  read_only
        .address_space:  global
        .offset:         32
        .size:           8
        .value_kind:     global_buffer
      - .actual_access:  read_only
        .address_space:  global
        .offset:         40
        .size:           8
        .value_kind:     global_buffer
      - .offset:         48
        .size:           4
        .value_kind:     by_value
      - .actual_access:  read_only
        .address_space:  global
        .offset:         56
        .size:           8
        .value_kind:     global_buffer
      - .offset:         64
        .size:           4
        .value_kind:     hidden_block_count_x
      - .offset:         68
        .size:           4
        .value_kind:     hidden_block_count_y
      - .offset:         72
        .size:           4
        .value_kind:     hidden_block_count_z
      - .offset:         76
        .size:           2
        .value_kind:     hidden_group_size_x
      - .offset:         78
        .size:           2
        .value_kind:     hidden_group_size_y
      - .offset:         80
        .size:           2
        .value_kind:     hidden_group_size_z
      - .offset:         82
        .size:           2
        .value_kind:     hidden_remainder_x
      - .offset:         84
        .size:           2
        .value_kind:     hidden_remainder_y
      - .offset:         86
        .size:           2
        .value_kind:     hidden_remainder_z
      - .offset:         104
        .size:           8
        .value_kind:     hidden_global_offset_x
      - .offset:         112
        .size:           8
        .value_kind:     hidden_global_offset_y
      - .offset:         120
        .size:           8
        .value_kind:     hidden_global_offset_z
      - .offset:         128
        .size:           2
        .value_kind:     hidden_grid_dims
      - .offset:         144
        .size:           8
        .value_kind:     hidden_hostcall_buffer
    .group_segment_fixed_size: 0
    .kernarg_segment_align: 8
    .kernarg_segment_size: 320
    .language:       OpenCL C
    .language_version:
      - 2
      - 0
    .max_flat_workgroup_size: 128
    .name:           _Z35paged_attention_ll4mi_reduce_kernelI14__hip_bfloat16hLi128ELi128ELi256ELi12EEvPT0_PKfS4_PKT_PKiS9_iS4_
    .private_segment_fixed_size: 64
    .sgpr_count:     36
    .sgpr_spill_count: 0
    .symbol:         _Z35paged_attention_ll4mi_reduce_kernelI14__hip_bfloat16hLi128ELi128ELi256ELi12EEvPT0_PKfS4_PKT_PKiS9_iS4_.kd
    .uniform_work_group_size: 1
    .uses_dynamic_stack: false
    .vgpr_count:     51
    .vgpr_spill_count: 0
    .wavefront_size: 32
  - .args:
      - .actual_access:  read_only
        .address_space:  global
        .offset:         0
        .size:           8
        .value_kind:     global_buffer
      - .actual_access:  read_only
        .address_space:  global
        .offset:         8
        .size:           8
        .value_kind:     global_buffer
      - .actual_access:  read_only
        .address_space:  global
        .offset:         16
        .size:           8
        .value_kind:     global_buffer
      - .actual_access:  read_only
        .address_space:  global
        .offset:         24
        .size:           8
        .value_kind:     global_buffer
      - .actual_access:  read_only
        .address_space:  global
        .offset:         32
        .size:           8
        .value_kind:     global_buffer
      - .actual_access:  read_only
        .address_space:  global
        .offset:         40
        .size:           8
        .value_kind:     global_buffer
      - .offset:         48
        .size:           4
        .value_kind:     by_value
      - .actual_access:  read_only
        .address_space:  global
        .offset:         56
        .size:           8
        .value_kind:     global_buffer
      - .offset:         64
        .size:           4
        .value_kind:     hidden_block_count_x
      - .offset:         68
        .size:           4
        .value_kind:     hidden_block_count_y
      - .offset:         72
        .size:           4
        .value_kind:     hidden_block_count_z
      - .offset:         76
        .size:           2
        .value_kind:     hidden_group_size_x
      - .offset:         78
        .size:           2
        .value_kind:     hidden_group_size_y
      - .offset:         80
        .size:           2
        .value_kind:     hidden_group_size_z
      - .offset:         82
        .size:           2
        .value_kind:     hidden_remainder_x
      - .offset:         84
        .size:           2
        .value_kind:     hidden_remainder_y
      - .offset:         86
        .size:           2
        .value_kind:     hidden_remainder_z
      - .offset:         104
        .size:           8
        .value_kind:     hidden_global_offset_x
      - .offset:         112
        .size:           8
        .value_kind:     hidden_global_offset_y
      - .offset:         120
        .size:           8
        .value_kind:     hidden_global_offset_z
      - .offset:         128
        .size:           2
        .value_kind:     hidden_grid_dims
      - .offset:         144
        .size:           8
        .value_kind:     hidden_hostcall_buffer
    .group_segment_fixed_size: 0
    .kernarg_segment_align: 8
    .kernarg_segment_size: 320
    .language:       OpenCL C
    .language_version:
      - 2
      - 0
    .max_flat_workgroup_size: 128
    .name:           _Z35paged_attention_ll4mi_reduce_kernelI14__hip_bfloat16hLi128ELi128ELi256ELi13EEvPT0_PKfS4_PKT_PKiS9_iS4_
    .private_segment_fixed_size: 64
    .sgpr_count:     36
    .sgpr_spill_count: 0
    .symbol:         _Z35paged_attention_ll4mi_reduce_kernelI14__hip_bfloat16hLi128ELi128ELi256ELi13EEvPT0_PKfS4_PKT_PKiS9_iS4_.kd
    .uniform_work_group_size: 1
    .uses_dynamic_stack: false
    .vgpr_count:     51
    .vgpr_spill_count: 0
    .wavefront_size: 32
  - .args:
      - .actual_access:  read_only
        .address_space:  global
        .offset:         0
        .size:           8
        .value_kind:     global_buffer
      - .actual_access:  read_only
        .address_space:  global
        .offset:         8
        .size:           8
        .value_kind:     global_buffer
      - .actual_access:  read_only
        .address_space:  global
        .offset:         16
        .size:           8
        .value_kind:     global_buffer
      - .actual_access:  read_only
        .address_space:  global
        .offset:         24
        .size:           8
        .value_kind:     global_buffer
      - .actual_access:  read_only
        .address_space:  global
        .offset:         32
        .size:           8
        .value_kind:     global_buffer
      - .actual_access:  read_only
        .address_space:  global
        .offset:         40
        .size:           8
        .value_kind:     global_buffer
      - .offset:         48
        .size:           4
        .value_kind:     by_value
      - .actual_access:  read_only
        .address_space:  global
        .offset:         56
        .size:           8
        .value_kind:     global_buffer
      - .offset:         64
        .size:           4
        .value_kind:     hidden_block_count_x
      - .offset:         68
        .size:           4
        .value_kind:     hidden_block_count_y
      - .offset:         72
        .size:           4
        .value_kind:     hidden_block_count_z
      - .offset:         76
        .size:           2
        .value_kind:     hidden_group_size_x
      - .offset:         78
        .size:           2
        .value_kind:     hidden_group_size_y
      - .offset:         80
        .size:           2
        .value_kind:     hidden_group_size_z
      - .offset:         82
        .size:           2
        .value_kind:     hidden_remainder_x
      - .offset:         84
        .size:           2
        .value_kind:     hidden_remainder_y
      - .offset:         86
        .size:           2
        .value_kind:     hidden_remainder_z
      - .offset:         104
        .size:           8
        .value_kind:     hidden_global_offset_x
      - .offset:         112
        .size:           8
        .value_kind:     hidden_global_offset_y
      - .offset:         120
        .size:           8
        .value_kind:     hidden_global_offset_z
      - .offset:         128
        .size:           2
        .value_kind:     hidden_grid_dims
      - .offset:         144
        .size:           8
        .value_kind:     hidden_hostcall_buffer
    .group_segment_fixed_size: 0
    .kernarg_segment_align: 8
    .kernarg_segment_size: 320
    .language:       OpenCL C
    .language_version:
      - 2
      - 0
    .max_flat_workgroup_size: 128
    .name:           _Z35paged_attention_ll4mi_reduce_kernelI14__hip_bfloat16hLi128ELi128ELi256ELi14EEvPT0_PKfS4_PKT_PKiS9_iS4_
    .private_segment_fixed_size: 64
    .sgpr_count:     36
    .sgpr_spill_count: 0
    .symbol:         _Z35paged_attention_ll4mi_reduce_kernelI14__hip_bfloat16hLi128ELi128ELi256ELi14EEvPT0_PKfS4_PKT_PKiS9_iS4_.kd
    .uniform_work_group_size: 1
    .uses_dynamic_stack: false
    .vgpr_count:     51
    .vgpr_spill_count: 0
    .wavefront_size: 32
  - .args:
      - .actual_access:  read_only
        .address_space:  global
        .offset:         0
        .size:           8
        .value_kind:     global_buffer
      - .actual_access:  read_only
        .address_space:  global
        .offset:         8
        .size:           8
        .value_kind:     global_buffer
      - .actual_access:  read_only
        .address_space:  global
        .offset:         16
        .size:           8
        .value_kind:     global_buffer
      - .actual_access:  read_only
        .address_space:  global
        .offset:         24
        .size:           8
        .value_kind:     global_buffer
      - .actual_access:  read_only
        .address_space:  global
        .offset:         32
        .size:           8
        .value_kind:     global_buffer
      - .actual_access:  read_only
        .address_space:  global
        .offset:         40
        .size:           8
        .value_kind:     global_buffer
      - .offset:         48
        .size:           4
        .value_kind:     by_value
      - .actual_access:  read_only
        .address_space:  global
        .offset:         56
        .size:           8
        .value_kind:     global_buffer
      - .offset:         64
        .size:           4
        .value_kind:     hidden_block_count_x
      - .offset:         68
        .size:           4
        .value_kind:     hidden_block_count_y
      - .offset:         72
        .size:           4
        .value_kind:     hidden_block_count_z
      - .offset:         76
        .size:           2
        .value_kind:     hidden_group_size_x
      - .offset:         78
        .size:           2
        .value_kind:     hidden_group_size_y
      - .offset:         80
        .size:           2
        .value_kind:     hidden_group_size_z
      - .offset:         82
        .size:           2
        .value_kind:     hidden_remainder_x
      - .offset:         84
        .size:           2
        .value_kind:     hidden_remainder_y
      - .offset:         86
        .size:           2
        .value_kind:     hidden_remainder_z
      - .offset:         104
        .size:           8
        .value_kind:     hidden_global_offset_x
      - .offset:         112
        .size:           8
        .value_kind:     hidden_global_offset_y
      - .offset:         120
        .size:           8
        .value_kind:     hidden_global_offset_z
      - .offset:         128
        .size:           2
        .value_kind:     hidden_grid_dims
      - .offset:         144
        .size:           8
        .value_kind:     hidden_hostcall_buffer
    .group_segment_fixed_size: 0
    .kernarg_segment_align: 8
    .kernarg_segment_size: 320
    .language:       OpenCL C
    .language_version:
      - 2
      - 0
    .max_flat_workgroup_size: 128
    .name:           _Z35paged_attention_ll4mi_reduce_kernelI14__hip_bfloat16hLi128ELi128ELi256ELi15EEvPT0_PKfS4_PKT_PKiS9_iS4_
    .private_segment_fixed_size: 64
    .sgpr_count:     36
    .sgpr_spill_count: 0
    .symbol:         _Z35paged_attention_ll4mi_reduce_kernelI14__hip_bfloat16hLi128ELi128ELi256ELi15EEvPT0_PKfS4_PKT_PKiS9_iS4_.kd
    .uniform_work_group_size: 1
    .uses_dynamic_stack: false
    .vgpr_count:     51
    .vgpr_spill_count: 0
    .wavefront_size: 32
  - .args:
      - .actual_access:  read_only
        .address_space:  global
        .offset:         0
        .size:           8
        .value_kind:     global_buffer
      - .actual_access:  read_only
        .address_space:  global
        .offset:         8
        .size:           8
        .value_kind:     global_buffer
      - .actual_access:  read_only
        .address_space:  global
        .offset:         16
        .size:           8
        .value_kind:     global_buffer
      - .actual_access:  read_only
        .address_space:  global
        .offset:         24
        .size:           8
        .value_kind:     global_buffer
      - .actual_access:  read_only
        .address_space:  global
        .offset:         32
        .size:           8
        .value_kind:     global_buffer
      - .actual_access:  read_only
        .address_space:  global
        .offset:         40
        .size:           8
        .value_kind:     global_buffer
      - .offset:         48
        .size:           4
        .value_kind:     by_value
      - .actual_access:  read_only
        .address_space:  global
        .offset:         56
        .size:           8
        .value_kind:     global_buffer
      - .offset:         64
        .size:           4
        .value_kind:     hidden_block_count_x
      - .offset:         68
        .size:           4
        .value_kind:     hidden_block_count_y
      - .offset:         72
        .size:           4
        .value_kind:     hidden_block_count_z
      - .offset:         76
        .size:           2
        .value_kind:     hidden_group_size_x
      - .offset:         78
        .size:           2
        .value_kind:     hidden_group_size_y
      - .offset:         80
        .size:           2
        .value_kind:     hidden_group_size_z
      - .offset:         82
        .size:           2
        .value_kind:     hidden_remainder_x
      - .offset:         84
        .size:           2
        .value_kind:     hidden_remainder_y
      - .offset:         86
        .size:           2
        .value_kind:     hidden_remainder_z
      - .offset:         104
        .size:           8
        .value_kind:     hidden_global_offset_x
      - .offset:         112
        .size:           8
        .value_kind:     hidden_global_offset_y
      - .offset:         120
        .size:           8
        .value_kind:     hidden_global_offset_z
      - .offset:         128
        .size:           2
        .value_kind:     hidden_grid_dims
      - .offset:         144
        .size:           8
        .value_kind:     hidden_hostcall_buffer
    .group_segment_fixed_size: 0
    .kernarg_segment_align: 8
    .kernarg_segment_size: 320
    .language:       OpenCL C
    .language_version:
      - 2
      - 0
    .max_flat_workgroup_size: 128
    .name:           _Z35paged_attention_ll4mi_reduce_kernelI14__hip_bfloat16hLi128ELi128ELi256ELi16EEvPT0_PKfS4_PKT_PKiS9_iS4_
    .private_segment_fixed_size: 64
    .sgpr_count:     36
    .sgpr_spill_count: 0
    .symbol:         _Z35paged_attention_ll4mi_reduce_kernelI14__hip_bfloat16hLi128ELi128ELi256ELi16EEvPT0_PKfS4_PKT_PKiS9_iS4_.kd
    .uniform_work_group_size: 1
    .uses_dynamic_stack: false
    .vgpr_count:     51
    .vgpr_spill_count: 0
    .wavefront_size: 32
  - .args:
      - .actual_access:  read_only
        .address_space:  global
        .offset:         0
        .size:           8
        .value_kind:     global_buffer
      - .actual_access:  read_only
        .address_space:  global
        .offset:         8
        .size:           8
        .value_kind:     global_buffer
      - .actual_access:  read_only
        .address_space:  global
        .offset:         16
        .size:           8
        .value_kind:     global_buffer
      - .offset:         24
        .size:           4
        .value_kind:     by_value
      - .offset:         28
        .size:           4
        .value_kind:     by_value
      - .actual_access:  read_only
        .address_space:  global
        .offset:         32
        .size:           8
        .value_kind:     global_buffer
      - .actual_access:  read_only
        .address_space:  global
        .offset:         40
        .size:           8
        .value_kind:     global_buffer
      - .actual_access:  read_only
        .address_space:  global
        .offset:         48
        .size:           8
        .value_kind:     global_buffer
      - .offset:         56
        .size:           4
        .value_kind:     by_value
      - .actual_access:  read_only
        .address_space:  global
        .offset:         64
        .size:           8
        .value_kind:     global_buffer
      - .offset:         72
        .size:           4
        .value_kind:     by_value
      - .offset:         76
        .size:           4
        .value_kind:     by_value
      - .offset:         80
        .size:           4
        .value_kind:     by_value
      - .actual_access:  read_only
        .address_space:  global
        .offset:         88
        .size:           8
        .value_kind:     global_buffer
      - .actual_access:  read_only
        .address_space:  global
        .offset:         96
        .size:           8
        .value_kind:     global_buffer
      - .actual_access:  read_only
        .address_space:  global
        .offset:         104
        .size:           8
        .value_kind:     global_buffer
      - .actual_access:  read_only
        .address_space:  global
        .offset:         112
        .size:           8
        .value_kind:     global_buffer
      - .offset:         120
        .size:           4
        .value_kind:     by_value
      - .address_space:  global
        .offset:         128
        .size:           8
        .value_kind:     global_buffer
      - .address_space:  global
        .offset:         136
        .size:           8
        .value_kind:     global_buffer
      - .offset:         144
        .size:           4
        .value_kind:     hidden_block_count_x
      - .offset:         148
        .size:           4
        .value_kind:     hidden_block_count_y
      - .offset:         152
        .size:           4
        .value_kind:     hidden_block_count_z
      - .offset:         156
        .size:           2
        .value_kind:     hidden_group_size_x
      - .offset:         158
        .size:           2
        .value_kind:     hidden_group_size_y
      - .offset:         160
        .size:           2
        .value_kind:     hidden_group_size_z
      - .offset:         162
        .size:           2
        .value_kind:     hidden_remainder_x
      - .offset:         164
        .size:           2
        .value_kind:     hidden_remainder_y
      - .offset:         166
        .size:           2
        .value_kind:     hidden_remainder_z
      - .offset:         184
        .size:           8
        .value_kind:     hidden_global_offset_x
      - .offset:         192
        .size:           8
        .value_kind:     hidden_global_offset_y
      - .offset:         200
        .size:           8
        .value_kind:     hidden_global_offset_z
      - .offset:         208
        .size:           2
        .value_kind:     hidden_grid_dims
      - .offset:         224
        .size:           8
        .value_kind:     hidden_hostcall_buffer
    .group_segment_fixed_size: 0
    .kernarg_segment_align: 8
    .kernarg_segment_size: 400
    .language:       OpenCL C
    .language_version:
      - 2
      - 0
    .max_flat_workgroup_size: 256
    .name:           _Z38paged_attention_ll4mi_QKV_mfma4_kernelI14__hip_bfloat16S0_LN4vllm18Fp8KVCacheDataTypeE0EhLi16ELi128ELi256ELb0ELi1EEvPKT_PKT0_S8_ifPKiSA_SA_iPKfiiiPfSD_PS3_PT2_iSC_SC_
    .private_segment_fixed_size: 64
    .sgpr_count:     36
    .sgpr_spill_count: 0
    .symbol:         _Z38paged_attention_ll4mi_QKV_mfma4_kernelI14__hip_bfloat16S0_LN4vllm18Fp8KVCacheDataTypeE0EhLi16ELi128ELi256ELb0ELi1EEvPKT_PKT0_S8_ifPKiSA_SA_iPKfiiiPfSD_PS3_PT2_iSC_SC_.kd
    .uniform_work_group_size: 1
    .uses_dynamic_stack: false
    .vgpr_count:     51
    .vgpr_spill_count: 0
    .wavefront_size: 32
  - .args:
      - .actual_access:  read_only
        .address_space:  global
        .offset:         0
        .size:           8
        .value_kind:     global_buffer
      - .actual_access:  read_only
        .address_space:  global
        .offset:         8
        .size:           8
        .value_kind:     global_buffer
      - .actual_access:  read_only
        .address_space:  global
        .offset:         16
        .size:           8
        .value_kind:     global_buffer
      - .offset:         24
        .size:           4
        .value_kind:     by_value
      - .offset:         28
        .size:           4
        .value_kind:     by_value
      - .actual_access:  read_only
        .address_space:  global
        .offset:         32
        .size:           8
        .value_kind:     global_buffer
      - .actual_access:  read_only
        .address_space:  global
        .offset:         40
        .size:           8
        .value_kind:     global_buffer
      - .actual_access:  read_only
        .address_space:  global
        .offset:         48
        .size:           8
        .value_kind:     global_buffer
      - .offset:         56
        .size:           4
        .value_kind:     by_value
      - .actual_access:  read_only
        .address_space:  global
        .offset:         64
        .size:           8
        .value_kind:     global_buffer
      - .offset:         72
        .size:           4
        .value_kind:     by_value
      - .offset:         76
        .size:           4
        .value_kind:     by_value
      - .offset:         80
        .size:           4
        .value_kind:     by_value
      - .actual_access:  read_only
        .address_space:  global
        .offset:         88
        .size:           8
        .value_kind:     global_buffer
      - .actual_access:  read_only
        .address_space:  global
        .offset:         96
        .size:           8
        .value_kind:     global_buffer
      - .actual_access:  read_only
        .address_space:  global
        .offset:         104
        .size:           8
        .value_kind:     global_buffer
      - .actual_access:  read_only
        .address_space:  global
        .offset:         112
        .size:           8
        .value_kind:     global_buffer
      - .offset:         120
        .size:           4
        .value_kind:     by_value
      - .address_space:  global
        .offset:         128
        .size:           8
        .value_kind:     global_buffer
      - .address_space:  global
        .offset:         136
        .size:           8
        .value_kind:     global_buffer
      - .offset:         144
        .size:           4
        .value_kind:     hidden_block_count_x
      - .offset:         148
        .size:           4
        .value_kind:     hidden_block_count_y
      - .offset:         152
        .size:           4
        .value_kind:     hidden_block_count_z
      - .offset:         156
        .size:           2
        .value_kind:     hidden_group_size_x
      - .offset:         158
        .size:           2
        .value_kind:     hidden_group_size_y
      - .offset:         160
        .size:           2
        .value_kind:     hidden_group_size_z
      - .offset:         162
        .size:           2
        .value_kind:     hidden_remainder_x
      - .offset:         164
        .size:           2
        .value_kind:     hidden_remainder_y
      - .offset:         166
        .size:           2
        .value_kind:     hidden_remainder_z
      - .offset:         184
        .size:           8
        .value_kind:     hidden_global_offset_x
      - .offset:         192
        .size:           8
        .value_kind:     hidden_global_offset_y
      - .offset:         200
        .size:           8
        .value_kind:     hidden_global_offset_z
      - .offset:         208
        .size:           2
        .value_kind:     hidden_grid_dims
      - .offset:         224
        .size:           8
        .value_kind:     hidden_hostcall_buffer
    .group_segment_fixed_size: 0
    .kernarg_segment_align: 8
    .kernarg_segment_size: 400
    .language:       OpenCL C
    .language_version:
      - 2
      - 0
    .max_flat_workgroup_size: 256
    .name:           _Z38paged_attention_ll4mi_QKV_mfma4_kernelI14__hip_bfloat16S0_LN4vllm18Fp8KVCacheDataTypeE0EhLi16ELi128ELi256ELb0ELi2EEvPKT_PKT0_S8_ifPKiSA_SA_iPKfiiiPfSD_PS3_PT2_iSC_SC_
    .private_segment_fixed_size: 64
    .sgpr_count:     36
    .sgpr_spill_count: 0
    .symbol:         _Z38paged_attention_ll4mi_QKV_mfma4_kernelI14__hip_bfloat16S0_LN4vllm18Fp8KVCacheDataTypeE0EhLi16ELi128ELi256ELb0ELi2EEvPKT_PKT0_S8_ifPKiSA_SA_iPKfiiiPfSD_PS3_PT2_iSC_SC_.kd
    .uniform_work_group_size: 1
    .uses_dynamic_stack: false
    .vgpr_count:     51
    .vgpr_spill_count: 0
    .wavefront_size: 32
  - .args:
      - .actual_access:  read_only
        .address_space:  global
        .offset:         0
        .size:           8
        .value_kind:     global_buffer
      - .actual_access:  read_only
        .address_space:  global
        .offset:         8
        .size:           8
        .value_kind:     global_buffer
      - .actual_access:  read_only
        .address_space:  global
        .offset:         16
        .size:           8
        .value_kind:     global_buffer
      - .offset:         24
        .size:           4
        .value_kind:     by_value
      - .offset:         28
        .size:           4
        .value_kind:     by_value
      - .actual_access:  read_only
        .address_space:  global
        .offset:         32
        .size:           8
        .value_kind:     global_buffer
      - .actual_access:  read_only
        .address_space:  global
        .offset:         40
        .size:           8
        .value_kind:     global_buffer
      - .actual_access:  read_only
        .address_space:  global
        .offset:         48
        .size:           8
        .value_kind:     global_buffer
      - .offset:         56
        .size:           4
        .value_kind:     by_value
      - .actual_access:  read_only
        .address_space:  global
        .offset:         64
        .size:           8
        .value_kind:     global_buffer
      - .offset:         72
        .size:           4
        .value_kind:     by_value
      - .offset:         76
        .size:           4
        .value_kind:     by_value
      - .offset:         80
        .size:           4
        .value_kind:     by_value
      - .actual_access:  read_only
        .address_space:  global
        .offset:         88
        .size:           8
        .value_kind:     global_buffer
      - .actual_access:  read_only
        .address_space:  global
        .offset:         96
        .size:           8
        .value_kind:     global_buffer
      - .actual_access:  read_only
        .address_space:  global
        .offset:         104
        .size:           8
        .value_kind:     global_buffer
      - .actual_access:  read_only
        .address_space:  global
        .offset:         112
        .size:           8
        .value_kind:     global_buffer
      - .offset:         120
        .size:           4
        .value_kind:     by_value
      - .address_space:  global
        .offset:         128
        .size:           8
        .value_kind:     global_buffer
      - .address_space:  global
        .offset:         136
        .size:           8
        .value_kind:     global_buffer
      - .offset:         144
        .size:           4
        .value_kind:     hidden_block_count_x
      - .offset:         148
        .size:           4
        .value_kind:     hidden_block_count_y
      - .offset:         152
        .size:           4
        .value_kind:     hidden_block_count_z
      - .offset:         156
        .size:           2
        .value_kind:     hidden_group_size_x
      - .offset:         158
        .size:           2
        .value_kind:     hidden_group_size_y
      - .offset:         160
        .size:           2
        .value_kind:     hidden_group_size_z
      - .offset:         162
        .size:           2
        .value_kind:     hidden_remainder_x
      - .offset:         164
        .size:           2
        .value_kind:     hidden_remainder_y
      - .offset:         166
        .size:           2
        .value_kind:     hidden_remainder_z
      - .offset:         184
        .size:           8
        .value_kind:     hidden_global_offset_x
      - .offset:         192
        .size:           8
        .value_kind:     hidden_global_offset_y
      - .offset:         200
        .size:           8
        .value_kind:     hidden_global_offset_z
      - .offset:         208
        .size:           2
        .value_kind:     hidden_grid_dims
      - .offset:         224
        .size:           8
        .value_kind:     hidden_hostcall_buffer
    .group_segment_fixed_size: 0
    .kernarg_segment_align: 8
    .kernarg_segment_size: 400
    .language:       OpenCL C
    .language_version:
      - 2
      - 0
    .max_flat_workgroup_size: 256
    .name:           _Z38paged_attention_ll4mi_QKV_mfma4_kernelI14__hip_bfloat16S0_LN4vllm18Fp8KVCacheDataTypeE0EhLi16ELi128ELi256ELb0ELi3EEvPKT_PKT0_S8_ifPKiSA_SA_iPKfiiiPfSD_PS3_PT2_iSC_SC_
    .private_segment_fixed_size: 64
    .sgpr_count:     36
    .sgpr_spill_count: 0
    .symbol:         _Z38paged_attention_ll4mi_QKV_mfma4_kernelI14__hip_bfloat16S0_LN4vllm18Fp8KVCacheDataTypeE0EhLi16ELi128ELi256ELb0ELi3EEvPKT_PKT0_S8_ifPKiSA_SA_iPKfiiiPfSD_PS3_PT2_iSC_SC_.kd
    .uniform_work_group_size: 1
    .uses_dynamic_stack: false
    .vgpr_count:     51
    .vgpr_spill_count: 0
    .wavefront_size: 32
  - .args:
      - .actual_access:  read_only
        .address_space:  global
        .offset:         0
        .size:           8
        .value_kind:     global_buffer
      - .actual_access:  read_only
        .address_space:  global
        .offset:         8
        .size:           8
        .value_kind:     global_buffer
      - .actual_access:  read_only
        .address_space:  global
        .offset:         16
        .size:           8
        .value_kind:     global_buffer
      - .offset:         24
        .size:           4
        .value_kind:     by_value
      - .offset:         28
        .size:           4
        .value_kind:     by_value
      - .actual_access:  read_only
        .address_space:  global
        .offset:         32
        .size:           8
        .value_kind:     global_buffer
      - .actual_access:  read_only
        .address_space:  global
        .offset:         40
        .size:           8
        .value_kind:     global_buffer
      - .actual_access:  read_only
        .address_space:  global
        .offset:         48
        .size:           8
        .value_kind:     global_buffer
      - .offset:         56
        .size:           4
        .value_kind:     by_value
      - .actual_access:  read_only
        .address_space:  global
        .offset:         64
        .size:           8
        .value_kind:     global_buffer
      - .offset:         72
        .size:           4
        .value_kind:     by_value
      - .offset:         76
        .size:           4
        .value_kind:     by_value
      - .offset:         80
        .size:           4
        .value_kind:     by_value
      - .actual_access:  read_only
        .address_space:  global
        .offset:         88
        .size:           8
        .value_kind:     global_buffer
      - .actual_access:  read_only
        .address_space:  global
        .offset:         96
        .size:           8
        .value_kind:     global_buffer
      - .actual_access:  read_only
        .address_space:  global
        .offset:         104
        .size:           8
        .value_kind:     global_buffer
      - .actual_access:  read_only
        .address_space:  global
        .offset:         112
        .size:           8
        .value_kind:     global_buffer
      - .offset:         120
        .size:           4
        .value_kind:     by_value
      - .address_space:  global
        .offset:         128
        .size:           8
        .value_kind:     global_buffer
      - .address_space:  global
        .offset:         136
        .size:           8
        .value_kind:     global_buffer
      - .offset:         144
        .size:           4
        .value_kind:     hidden_block_count_x
      - .offset:         148
        .size:           4
        .value_kind:     hidden_block_count_y
      - .offset:         152
        .size:           4
        .value_kind:     hidden_block_count_z
      - .offset:         156
        .size:           2
        .value_kind:     hidden_group_size_x
      - .offset:         158
        .size:           2
        .value_kind:     hidden_group_size_y
      - .offset:         160
        .size:           2
        .value_kind:     hidden_group_size_z
      - .offset:         162
        .size:           2
        .value_kind:     hidden_remainder_x
      - .offset:         164
        .size:           2
        .value_kind:     hidden_remainder_y
      - .offset:         166
        .size:           2
        .value_kind:     hidden_remainder_z
      - .offset:         184
        .size:           8
        .value_kind:     hidden_global_offset_x
      - .offset:         192
        .size:           8
        .value_kind:     hidden_global_offset_y
      - .offset:         200
        .size:           8
        .value_kind:     hidden_global_offset_z
      - .offset:         208
        .size:           2
        .value_kind:     hidden_grid_dims
      - .offset:         224
        .size:           8
        .value_kind:     hidden_hostcall_buffer
    .group_segment_fixed_size: 0
    .kernarg_segment_align: 8
    .kernarg_segment_size: 400
    .language:       OpenCL C
    .language_version:
      - 2
      - 0
    .max_flat_workgroup_size: 256
    .name:           _Z38paged_attention_ll4mi_QKV_mfma4_kernelI14__hip_bfloat16S0_LN4vllm18Fp8KVCacheDataTypeE0EhLi16ELi128ELi256ELb0ELi4EEvPKT_PKT0_S8_ifPKiSA_SA_iPKfiiiPfSD_PS3_PT2_iSC_SC_
    .private_segment_fixed_size: 64
    .sgpr_count:     36
    .sgpr_spill_count: 0
    .symbol:         _Z38paged_attention_ll4mi_QKV_mfma4_kernelI14__hip_bfloat16S0_LN4vllm18Fp8KVCacheDataTypeE0EhLi16ELi128ELi256ELb0ELi4EEvPKT_PKT0_S8_ifPKiSA_SA_iPKfiiiPfSD_PS3_PT2_iSC_SC_.kd
    .uniform_work_group_size: 1
    .uses_dynamic_stack: false
    .vgpr_count:     51
    .vgpr_spill_count: 0
    .wavefront_size: 32
  - .args:
      - .actual_access:  read_only
        .address_space:  global
        .offset:         0
        .size:           8
        .value_kind:     global_buffer
      - .actual_access:  read_only
        .address_space:  global
        .offset:         8
        .size:           8
        .value_kind:     global_buffer
      - .actual_access:  read_only
        .address_space:  global
        .offset:         16
        .size:           8
        .value_kind:     global_buffer
      - .offset:         24
        .size:           4
        .value_kind:     by_value
      - .offset:         28
        .size:           4
        .value_kind:     by_value
      - .actual_access:  read_only
        .address_space:  global
        .offset:         32
        .size:           8
        .value_kind:     global_buffer
      - .actual_access:  read_only
        .address_space:  global
        .offset:         40
        .size:           8
        .value_kind:     global_buffer
      - .actual_access:  read_only
        .address_space:  global
        .offset:         48
        .size:           8
        .value_kind:     global_buffer
      - .offset:         56
        .size:           4
        .value_kind:     by_value
      - .actual_access:  read_only
        .address_space:  global
        .offset:         64
        .size:           8
        .value_kind:     global_buffer
      - .offset:         72
        .size:           4
        .value_kind:     by_value
      - .offset:         76
        .size:           4
        .value_kind:     by_value
      - .offset:         80
        .size:           4
        .value_kind:     by_value
      - .actual_access:  read_only
        .address_space:  global
        .offset:         88
        .size:           8
        .value_kind:     global_buffer
      - .actual_access:  read_only
        .address_space:  global
        .offset:         96
        .size:           8
        .value_kind:     global_buffer
      - .actual_access:  read_only
        .address_space:  global
        .offset:         104
        .size:           8
        .value_kind:     global_buffer
      - .actual_access:  read_only
        .address_space:  global
        .offset:         112
        .size:           8
        .value_kind:     global_buffer
      - .offset:         120
        .size:           4
        .value_kind:     by_value
      - .address_space:  global
        .offset:         128
        .size:           8
        .value_kind:     global_buffer
      - .address_space:  global
        .offset:         136
        .size:           8
        .value_kind:     global_buffer
      - .offset:         144
        .size:           4
        .value_kind:     hidden_block_count_x
      - .offset:         148
        .size:           4
        .value_kind:     hidden_block_count_y
      - .offset:         152
        .size:           4
        .value_kind:     hidden_block_count_z
      - .offset:         156
        .size:           2
        .value_kind:     hidden_group_size_x
      - .offset:         158
        .size:           2
        .value_kind:     hidden_group_size_y
      - .offset:         160
        .size:           2
        .value_kind:     hidden_group_size_z
      - .offset:         162
        .size:           2
        .value_kind:     hidden_remainder_x
      - .offset:         164
        .size:           2
        .value_kind:     hidden_remainder_y
      - .offset:         166
        .size:           2
        .value_kind:     hidden_remainder_z
      - .offset:         184
        .size:           8
        .value_kind:     hidden_global_offset_x
      - .offset:         192
        .size:           8
        .value_kind:     hidden_global_offset_y
      - .offset:         200
        .size:           8
        .value_kind:     hidden_global_offset_z
      - .offset:         208
        .size:           2
        .value_kind:     hidden_grid_dims
      - .offset:         224
        .size:           8
        .value_kind:     hidden_hostcall_buffer
    .group_segment_fixed_size: 0
    .kernarg_segment_align: 8
    .kernarg_segment_size: 400
    .language:       OpenCL C
    .language_version:
      - 2
      - 0
    .max_flat_workgroup_size: 256
    .name:           _Z39paged_attention_ll4mi_QKV_mfma16_kernelI14__hip_bfloat16S0_LN4vllm18Fp8KVCacheDataTypeE0EhLi16ELi128ELi256ELb0ELi5EEvPKT_PKT0_S8_ifPKiSA_SA_iPKfiiiPfSD_PS3_PT2_iSC_SC_
    .private_segment_fixed_size: 64
    .sgpr_count:     36
    .sgpr_spill_count: 0
    .symbol:         _Z39paged_attention_ll4mi_QKV_mfma16_kernelI14__hip_bfloat16S0_LN4vllm18Fp8KVCacheDataTypeE0EhLi16ELi128ELi256ELb0ELi5EEvPKT_PKT0_S8_ifPKiSA_SA_iPKfiiiPfSD_PS3_PT2_iSC_SC_.kd
    .uniform_work_group_size: 1
    .uses_dynamic_stack: false
    .vgpr_count:     51
    .vgpr_spill_count: 0
    .wavefront_size: 32
  - .args:
      - .actual_access:  read_only
        .address_space:  global
        .offset:         0
        .size:           8
        .value_kind:     global_buffer
      - .actual_access:  read_only
        .address_space:  global
        .offset:         8
        .size:           8
        .value_kind:     global_buffer
      - .actual_access:  read_only
        .address_space:  global
        .offset:         16
        .size:           8
        .value_kind:     global_buffer
      - .offset:         24
        .size:           4
        .value_kind:     by_value
      - .offset:         28
        .size:           4
        .value_kind:     by_value
      - .actual_access:  read_only
        .address_space:  global
        .offset:         32
        .size:           8
        .value_kind:     global_buffer
      - .actual_access:  read_only
        .address_space:  global
        .offset:         40
        .size:           8
        .value_kind:     global_buffer
      - .actual_access:  read_only
        .address_space:  global
        .offset:         48
        .size:           8
        .value_kind:     global_buffer
      - .offset:         56
        .size:           4
        .value_kind:     by_value
      - .actual_access:  read_only
        .address_space:  global
        .offset:         64
        .size:           8
        .value_kind:     global_buffer
      - .offset:         72
        .size:           4
        .value_kind:     by_value
      - .offset:         76
        .size:           4
        .value_kind:     by_value
      - .offset:         80
        .size:           4
        .value_kind:     by_value
      - .actual_access:  read_only
        .address_space:  global
        .offset:         88
        .size:           8
        .value_kind:     global_buffer
      - .actual_access:  read_only
        .address_space:  global
        .offset:         96
        .size:           8
        .value_kind:     global_buffer
      - .actual_access:  read_only
        .address_space:  global
        .offset:         104
        .size:           8
        .value_kind:     global_buffer
      - .actual_access:  read_only
        .address_space:  global
        .offset:         112
        .size:           8
        .value_kind:     global_buffer
      - .offset:         120
        .size:           4
        .value_kind:     by_value
      - .address_space:  global
        .offset:         128
        .size:           8
        .value_kind:     global_buffer
      - .address_space:  global
        .offset:         136
        .size:           8
        .value_kind:     global_buffer
      - .offset:         144
        .size:           4
        .value_kind:     hidden_block_count_x
      - .offset:         148
        .size:           4
        .value_kind:     hidden_block_count_y
      - .offset:         152
        .size:           4
        .value_kind:     hidden_block_count_z
      - .offset:         156
        .size:           2
        .value_kind:     hidden_group_size_x
      - .offset:         158
        .size:           2
        .value_kind:     hidden_group_size_y
      - .offset:         160
        .size:           2
        .value_kind:     hidden_group_size_z
      - .offset:         162
        .size:           2
        .value_kind:     hidden_remainder_x
      - .offset:         164
        .size:           2
        .value_kind:     hidden_remainder_y
      - .offset:         166
        .size:           2
        .value_kind:     hidden_remainder_z
      - .offset:         184
        .size:           8
        .value_kind:     hidden_global_offset_x
      - .offset:         192
        .size:           8
        .value_kind:     hidden_global_offset_y
      - .offset:         200
        .size:           8
        .value_kind:     hidden_global_offset_z
      - .offset:         208
        .size:           2
        .value_kind:     hidden_grid_dims
      - .offset:         224
        .size:           8
        .value_kind:     hidden_hostcall_buffer
    .group_segment_fixed_size: 0
    .kernarg_segment_align: 8
    .kernarg_segment_size: 400
    .language:       OpenCL C
    .language_version:
      - 2
      - 0
    .max_flat_workgroup_size: 256
    .name:           _Z39paged_attention_ll4mi_QKV_mfma16_kernelI14__hip_bfloat16S0_LN4vllm18Fp8KVCacheDataTypeE0EhLi16ELi128ELi256ELb0ELi6EEvPKT_PKT0_S8_ifPKiSA_SA_iPKfiiiPfSD_PS3_PT2_iSC_SC_
    .private_segment_fixed_size: 64
    .sgpr_count:     36
    .sgpr_spill_count: 0
    .symbol:         _Z39paged_attention_ll4mi_QKV_mfma16_kernelI14__hip_bfloat16S0_LN4vllm18Fp8KVCacheDataTypeE0EhLi16ELi128ELi256ELb0ELi6EEvPKT_PKT0_S8_ifPKiSA_SA_iPKfiiiPfSD_PS3_PT2_iSC_SC_.kd
    .uniform_work_group_size: 1
    .uses_dynamic_stack: false
    .vgpr_count:     51
    .vgpr_spill_count: 0
    .wavefront_size: 32
  - .args:
      - .actual_access:  read_only
        .address_space:  global
        .offset:         0
        .size:           8
        .value_kind:     global_buffer
      - .actual_access:  read_only
        .address_space:  global
        .offset:         8
        .size:           8
        .value_kind:     global_buffer
      - .actual_access:  read_only
        .address_space:  global
        .offset:         16
        .size:           8
        .value_kind:     global_buffer
      - .offset:         24
        .size:           4
        .value_kind:     by_value
      - .offset:         28
        .size:           4
        .value_kind:     by_value
      - .actual_access:  read_only
        .address_space:  global
        .offset:         32
        .size:           8
        .value_kind:     global_buffer
      - .actual_access:  read_only
        .address_space:  global
        .offset:         40
        .size:           8
        .value_kind:     global_buffer
      - .actual_access:  read_only
        .address_space:  global
        .offset:         48
        .size:           8
        .value_kind:     global_buffer
      - .offset:         56
        .size:           4
        .value_kind:     by_value
      - .actual_access:  read_only
        .address_space:  global
        .offset:         64
        .size:           8
        .value_kind:     global_buffer
      - .offset:         72
        .size:           4
        .value_kind:     by_value
      - .offset:         76
        .size:           4
        .value_kind:     by_value
      - .offset:         80
        .size:           4
        .value_kind:     by_value
      - .actual_access:  read_only
        .address_space:  global
        .offset:         88
        .size:           8
        .value_kind:     global_buffer
      - .actual_access:  read_only
        .address_space:  global
        .offset:         96
        .size:           8
        .value_kind:     global_buffer
      - .actual_access:  read_only
        .address_space:  global
        .offset:         104
        .size:           8
        .value_kind:     global_buffer
      - .actual_access:  read_only
        .address_space:  global
        .offset:         112
        .size:           8
        .value_kind:     global_buffer
      - .offset:         120
        .size:           4
        .value_kind:     by_value
      - .address_space:  global
        .offset:         128
        .size:           8
        .value_kind:     global_buffer
      - .address_space:  global
        .offset:         136
        .size:           8
        .value_kind:     global_buffer
      - .offset:         144
        .size:           4
        .value_kind:     hidden_block_count_x
      - .offset:         148
        .size:           4
        .value_kind:     hidden_block_count_y
      - .offset:         152
        .size:           4
        .value_kind:     hidden_block_count_z
      - .offset:         156
        .size:           2
        .value_kind:     hidden_group_size_x
      - .offset:         158
        .size:           2
        .value_kind:     hidden_group_size_y
      - .offset:         160
        .size:           2
        .value_kind:     hidden_group_size_z
      - .offset:         162
        .size:           2
        .value_kind:     hidden_remainder_x
      - .offset:         164
        .size:           2
        .value_kind:     hidden_remainder_y
      - .offset:         166
        .size:           2
        .value_kind:     hidden_remainder_z
      - .offset:         184
        .size:           8
        .value_kind:     hidden_global_offset_x
      - .offset:         192
        .size:           8
        .value_kind:     hidden_global_offset_y
      - .offset:         200
        .size:           8
        .value_kind:     hidden_global_offset_z
      - .offset:         208
        .size:           2
        .value_kind:     hidden_grid_dims
      - .offset:         224
        .size:           8
        .value_kind:     hidden_hostcall_buffer
    .group_segment_fixed_size: 0
    .kernarg_segment_align: 8
    .kernarg_segment_size: 400
    .language:       OpenCL C
    .language_version:
      - 2
      - 0
    .max_flat_workgroup_size: 256
    .name:           _Z39paged_attention_ll4mi_QKV_mfma16_kernelI14__hip_bfloat16S0_LN4vllm18Fp8KVCacheDataTypeE0EhLi16ELi128ELi256ELb0ELi7EEvPKT_PKT0_S8_ifPKiSA_SA_iPKfiiiPfSD_PS3_PT2_iSC_SC_
    .private_segment_fixed_size: 64
    .sgpr_count:     36
    .sgpr_spill_count: 0
    .symbol:         _Z39paged_attention_ll4mi_QKV_mfma16_kernelI14__hip_bfloat16S0_LN4vllm18Fp8KVCacheDataTypeE0EhLi16ELi128ELi256ELb0ELi7EEvPKT_PKT0_S8_ifPKiSA_SA_iPKfiiiPfSD_PS3_PT2_iSC_SC_.kd
    .uniform_work_group_size: 1
    .uses_dynamic_stack: false
    .vgpr_count:     51
    .vgpr_spill_count: 0
    .wavefront_size: 32
  - .args:
      - .actual_access:  read_only
        .address_space:  global
        .offset:         0
        .size:           8
        .value_kind:     global_buffer
      - .actual_access:  read_only
        .address_space:  global
        .offset:         8
        .size:           8
        .value_kind:     global_buffer
      - .actual_access:  read_only
        .address_space:  global
        .offset:         16
        .size:           8
        .value_kind:     global_buffer
      - .offset:         24
        .size:           4
        .value_kind:     by_value
      - .offset:         28
        .size:           4
        .value_kind:     by_value
      - .actual_access:  read_only
        .address_space:  global
        .offset:         32
        .size:           8
        .value_kind:     global_buffer
      - .actual_access:  read_only
        .address_space:  global
        .offset:         40
        .size:           8
        .value_kind:     global_buffer
      - .actual_access:  read_only
        .address_space:  global
        .offset:         48
        .size:           8
        .value_kind:     global_buffer
      - .offset:         56
        .size:           4
        .value_kind:     by_value
      - .actual_access:  read_only
        .address_space:  global
        .offset:         64
        .size:           8
        .value_kind:     global_buffer
      - .offset:         72
        .size:           4
        .value_kind:     by_value
      - .offset:         76
        .size:           4
        .value_kind:     by_value
      - .offset:         80
        .size:           4
        .value_kind:     by_value
      - .actual_access:  read_only
        .address_space:  global
        .offset:         88
        .size:           8
        .value_kind:     global_buffer
      - .actual_access:  read_only
        .address_space:  global
        .offset:         96
        .size:           8
        .value_kind:     global_buffer
      - .actual_access:  read_only
        .address_space:  global
        .offset:         104
        .size:           8
        .value_kind:     global_buffer
      - .actual_access:  read_only
        .address_space:  global
        .offset:         112
        .size:           8
        .value_kind:     global_buffer
      - .offset:         120
        .size:           4
        .value_kind:     by_value
      - .address_space:  global
        .offset:         128
        .size:           8
        .value_kind:     global_buffer
      - .address_space:  global
        .offset:         136
        .size:           8
        .value_kind:     global_buffer
      - .offset:         144
        .size:           4
        .value_kind:     hidden_block_count_x
      - .offset:         148
        .size:           4
        .value_kind:     hidden_block_count_y
      - .offset:         152
        .size:           4
        .value_kind:     hidden_block_count_z
      - .offset:         156
        .size:           2
        .value_kind:     hidden_group_size_x
      - .offset:         158
        .size:           2
        .value_kind:     hidden_group_size_y
      - .offset:         160
        .size:           2
        .value_kind:     hidden_group_size_z
      - .offset:         162
        .size:           2
        .value_kind:     hidden_remainder_x
      - .offset:         164
        .size:           2
        .value_kind:     hidden_remainder_y
      - .offset:         166
        .size:           2
        .value_kind:     hidden_remainder_z
      - .offset:         184
        .size:           8
        .value_kind:     hidden_global_offset_x
      - .offset:         192
        .size:           8
        .value_kind:     hidden_global_offset_y
      - .offset:         200
        .size:           8
        .value_kind:     hidden_global_offset_z
      - .offset:         208
        .size:           2
        .value_kind:     hidden_grid_dims
      - .offset:         224
        .size:           8
        .value_kind:     hidden_hostcall_buffer
    .group_segment_fixed_size: 0
    .kernarg_segment_align: 8
    .kernarg_segment_size: 400
    .language:       OpenCL C
    .language_version:
      - 2
      - 0
    .max_flat_workgroup_size: 256
    .name:           _Z39paged_attention_ll4mi_QKV_mfma16_kernelI14__hip_bfloat16S0_LN4vllm18Fp8KVCacheDataTypeE0EhLi16ELi128ELi256ELb0ELi8EEvPKT_PKT0_S8_ifPKiSA_SA_iPKfiiiPfSD_PS3_PT2_iSC_SC_
    .private_segment_fixed_size: 64
    .sgpr_count:     36
    .sgpr_spill_count: 0
    .symbol:         _Z39paged_attention_ll4mi_QKV_mfma16_kernelI14__hip_bfloat16S0_LN4vllm18Fp8KVCacheDataTypeE0EhLi16ELi128ELi256ELb0ELi8EEvPKT_PKT0_S8_ifPKiSA_SA_iPKfiiiPfSD_PS3_PT2_iSC_SC_.kd
    .uniform_work_group_size: 1
    .uses_dynamic_stack: false
    .vgpr_count:     51
    .vgpr_spill_count: 0
    .wavefront_size: 32
  - .args:
      - .actual_access:  read_only
        .address_space:  global
        .offset:         0
        .size:           8
        .value_kind:     global_buffer
      - .actual_access:  read_only
        .address_space:  global
        .offset:         8
        .size:           8
        .value_kind:     global_buffer
      - .actual_access:  read_only
        .address_space:  global
        .offset:         16
        .size:           8
        .value_kind:     global_buffer
      - .offset:         24
        .size:           4
        .value_kind:     by_value
      - .offset:         28
        .size:           4
        .value_kind:     by_value
      - .actual_access:  read_only
        .address_space:  global
        .offset:         32
        .size:           8
        .value_kind:     global_buffer
      - .actual_access:  read_only
        .address_space:  global
        .offset:         40
        .size:           8
        .value_kind:     global_buffer
      - .actual_access:  read_only
        .address_space:  global
        .offset:         48
        .size:           8
        .value_kind:     global_buffer
      - .offset:         56
        .size:           4
        .value_kind:     by_value
      - .actual_access:  read_only
        .address_space:  global
        .offset:         64
        .size:           8
        .value_kind:     global_buffer
      - .offset:         72
        .size:           4
        .value_kind:     by_value
      - .offset:         76
        .size:           4
        .value_kind:     by_value
      - .offset:         80
        .size:           4
        .value_kind:     by_value
      - .actual_access:  read_only
        .address_space:  global
        .offset:         88
        .size:           8
        .value_kind:     global_buffer
      - .actual_access:  read_only
        .address_space:  global
        .offset:         96
        .size:           8
        .value_kind:     global_buffer
      - .actual_access:  read_only
        .address_space:  global
        .offset:         104
        .size:           8
        .value_kind:     global_buffer
      - .actual_access:  read_only
        .address_space:  global
        .offset:         112
        .size:           8
        .value_kind:     global_buffer
      - .offset:         120
        .size:           4
        .value_kind:     by_value
      - .address_space:  global
        .offset:         128
        .size:           8
        .value_kind:     global_buffer
      - .address_space:  global
        .offset:         136
        .size:           8
        .value_kind:     global_buffer
      - .offset:         144
        .size:           4
        .value_kind:     hidden_block_count_x
      - .offset:         148
        .size:           4
        .value_kind:     hidden_block_count_y
      - .offset:         152
        .size:           4
        .value_kind:     hidden_block_count_z
      - .offset:         156
        .size:           2
        .value_kind:     hidden_group_size_x
      - .offset:         158
        .size:           2
        .value_kind:     hidden_group_size_y
      - .offset:         160
        .size:           2
        .value_kind:     hidden_group_size_z
      - .offset:         162
        .size:           2
        .value_kind:     hidden_remainder_x
      - .offset:         164
        .size:           2
        .value_kind:     hidden_remainder_y
      - .offset:         166
        .size:           2
        .value_kind:     hidden_remainder_z
      - .offset:         184
        .size:           8
        .value_kind:     hidden_global_offset_x
      - .offset:         192
        .size:           8
        .value_kind:     hidden_global_offset_y
      - .offset:         200
        .size:           8
        .value_kind:     hidden_global_offset_z
      - .offset:         208
        .size:           2
        .value_kind:     hidden_grid_dims
      - .offset:         224
        .size:           8
        .value_kind:     hidden_hostcall_buffer
    .group_segment_fixed_size: 0
    .kernarg_segment_align: 8
    .kernarg_segment_size: 400
    .language:       OpenCL C
    .language_version:
      - 2
      - 0
    .max_flat_workgroup_size: 256
    .name:           _Z39paged_attention_ll4mi_QKV_mfma16_kernelI14__hip_bfloat16S0_LN4vllm18Fp8KVCacheDataTypeE0EhLi16ELi128ELi256ELb0ELi9EEvPKT_PKT0_S8_ifPKiSA_SA_iPKfiiiPfSD_PS3_PT2_iSC_SC_
    .private_segment_fixed_size: 64
    .sgpr_count:     36
    .sgpr_spill_count: 0
    .symbol:         _Z39paged_attention_ll4mi_QKV_mfma16_kernelI14__hip_bfloat16S0_LN4vllm18Fp8KVCacheDataTypeE0EhLi16ELi128ELi256ELb0ELi9EEvPKT_PKT0_S8_ifPKiSA_SA_iPKfiiiPfSD_PS3_PT2_iSC_SC_.kd
    .uniform_work_group_size: 1
    .uses_dynamic_stack: false
    .vgpr_count:     51
    .vgpr_spill_count: 0
    .wavefront_size: 32
  - .args:
      - .actual_access:  read_only
        .address_space:  global
        .offset:         0
        .size:           8
        .value_kind:     global_buffer
      - .actual_access:  read_only
        .address_space:  global
        .offset:         8
        .size:           8
        .value_kind:     global_buffer
      - .actual_access:  read_only
        .address_space:  global
        .offset:         16
        .size:           8
        .value_kind:     global_buffer
      - .offset:         24
        .size:           4
        .value_kind:     by_value
      - .offset:         28
        .size:           4
        .value_kind:     by_value
      - .actual_access:  read_only
        .address_space:  global
        .offset:         32
        .size:           8
        .value_kind:     global_buffer
      - .actual_access:  read_only
        .address_space:  global
        .offset:         40
        .size:           8
        .value_kind:     global_buffer
      - .actual_access:  read_only
        .address_space:  global
        .offset:         48
        .size:           8
        .value_kind:     global_buffer
      - .offset:         56
        .size:           4
        .value_kind:     by_value
      - .actual_access:  read_only
        .address_space:  global
        .offset:         64
        .size:           8
        .value_kind:     global_buffer
      - .offset:         72
        .size:           4
        .value_kind:     by_value
      - .offset:         76
        .size:           4
        .value_kind:     by_value
      - .offset:         80
        .size:           4
        .value_kind:     by_value
      - .actual_access:  read_only
        .address_space:  global
        .offset:         88
        .size:           8
        .value_kind:     global_buffer
      - .actual_access:  read_only
        .address_space:  global
        .offset:         96
        .size:           8
        .value_kind:     global_buffer
      - .actual_access:  read_only
        .address_space:  global
        .offset:         104
        .size:           8
        .value_kind:     global_buffer
      - .actual_access:  read_only
        .address_space:  global
        .offset:         112
        .size:           8
        .value_kind:     global_buffer
      - .offset:         120
        .size:           4
        .value_kind:     by_value
      - .address_space:  global
        .offset:         128
        .size:           8
        .value_kind:     global_buffer
      - .address_space:  global
        .offset:         136
        .size:           8
        .value_kind:     global_buffer
      - .offset:         144
        .size:           4
        .value_kind:     hidden_block_count_x
      - .offset:         148
        .size:           4
        .value_kind:     hidden_block_count_y
      - .offset:         152
        .size:           4
        .value_kind:     hidden_block_count_z
      - .offset:         156
        .size:           2
        .value_kind:     hidden_group_size_x
      - .offset:         158
        .size:           2
        .value_kind:     hidden_group_size_y
      - .offset:         160
        .size:           2
        .value_kind:     hidden_group_size_z
      - .offset:         162
        .size:           2
        .value_kind:     hidden_remainder_x
      - .offset:         164
        .size:           2
        .value_kind:     hidden_remainder_y
      - .offset:         166
        .size:           2
        .value_kind:     hidden_remainder_z
      - .offset:         184
        .size:           8
        .value_kind:     hidden_global_offset_x
      - .offset:         192
        .size:           8
        .value_kind:     hidden_global_offset_y
      - .offset:         200
        .size:           8
        .value_kind:     hidden_global_offset_z
      - .offset:         208
        .size:           2
        .value_kind:     hidden_grid_dims
      - .offset:         224
        .size:           8
        .value_kind:     hidden_hostcall_buffer
    .group_segment_fixed_size: 0
    .kernarg_segment_align: 8
    .kernarg_segment_size: 400
    .language:       OpenCL C
    .language_version:
      - 2
      - 0
    .max_flat_workgroup_size: 256
    .name:           _Z39paged_attention_ll4mi_QKV_mfma16_kernelI14__hip_bfloat16S0_LN4vllm18Fp8KVCacheDataTypeE0EhLi16ELi128ELi256ELb0ELi10EEvPKT_PKT0_S8_ifPKiSA_SA_iPKfiiiPfSD_PS3_PT2_iSC_SC_
    .private_segment_fixed_size: 64
    .sgpr_count:     36
    .sgpr_spill_count: 0
    .symbol:         _Z39paged_attention_ll4mi_QKV_mfma16_kernelI14__hip_bfloat16S0_LN4vllm18Fp8KVCacheDataTypeE0EhLi16ELi128ELi256ELb0ELi10EEvPKT_PKT0_S8_ifPKiSA_SA_iPKfiiiPfSD_PS3_PT2_iSC_SC_.kd
    .uniform_work_group_size: 1
    .uses_dynamic_stack: false
    .vgpr_count:     51
    .vgpr_spill_count: 0
    .wavefront_size: 32
  - .args:
      - .actual_access:  read_only
        .address_space:  global
        .offset:         0
        .size:           8
        .value_kind:     global_buffer
      - .actual_access:  read_only
        .address_space:  global
        .offset:         8
        .size:           8
        .value_kind:     global_buffer
      - .actual_access:  read_only
        .address_space:  global
        .offset:         16
        .size:           8
        .value_kind:     global_buffer
      - .offset:         24
        .size:           4
        .value_kind:     by_value
      - .offset:         28
        .size:           4
        .value_kind:     by_value
      - .actual_access:  read_only
        .address_space:  global
        .offset:         32
        .size:           8
        .value_kind:     global_buffer
      - .actual_access:  read_only
        .address_space:  global
        .offset:         40
        .size:           8
        .value_kind:     global_buffer
      - .actual_access:  read_only
        .address_space:  global
        .offset:         48
        .size:           8
        .value_kind:     global_buffer
      - .offset:         56
        .size:           4
        .value_kind:     by_value
      - .actual_access:  read_only
        .address_space:  global
        .offset:         64
        .size:           8
        .value_kind:     global_buffer
      - .offset:         72
        .size:           4
        .value_kind:     by_value
      - .offset:         76
        .size:           4
        .value_kind:     by_value
      - .offset:         80
        .size:           4
        .value_kind:     by_value
      - .actual_access:  read_only
        .address_space:  global
        .offset:         88
        .size:           8
        .value_kind:     global_buffer
      - .actual_access:  read_only
        .address_space:  global
        .offset:         96
        .size:           8
        .value_kind:     global_buffer
      - .actual_access:  read_only
        .address_space:  global
        .offset:         104
        .size:           8
        .value_kind:     global_buffer
      - .actual_access:  read_only
        .address_space:  global
        .offset:         112
        .size:           8
        .value_kind:     global_buffer
      - .offset:         120
        .size:           4
        .value_kind:     by_value
      - .address_space:  global
        .offset:         128
        .size:           8
        .value_kind:     global_buffer
      - .address_space:  global
        .offset:         136
        .size:           8
        .value_kind:     global_buffer
      - .offset:         144
        .size:           4
        .value_kind:     hidden_block_count_x
      - .offset:         148
        .size:           4
        .value_kind:     hidden_block_count_y
      - .offset:         152
        .size:           4
        .value_kind:     hidden_block_count_z
      - .offset:         156
        .size:           2
        .value_kind:     hidden_group_size_x
      - .offset:         158
        .size:           2
        .value_kind:     hidden_group_size_y
      - .offset:         160
        .size:           2
        .value_kind:     hidden_group_size_z
      - .offset:         162
        .size:           2
        .value_kind:     hidden_remainder_x
      - .offset:         164
        .size:           2
        .value_kind:     hidden_remainder_y
      - .offset:         166
        .size:           2
        .value_kind:     hidden_remainder_z
      - .offset:         184
        .size:           8
        .value_kind:     hidden_global_offset_x
      - .offset:         192
        .size:           8
        .value_kind:     hidden_global_offset_y
      - .offset:         200
        .size:           8
        .value_kind:     hidden_global_offset_z
      - .offset:         208
        .size:           2
        .value_kind:     hidden_grid_dims
      - .offset:         224
        .size:           8
        .value_kind:     hidden_hostcall_buffer
    .group_segment_fixed_size: 0
    .kernarg_segment_align: 8
    .kernarg_segment_size: 400
    .language:       OpenCL C
    .language_version:
      - 2
      - 0
    .max_flat_workgroup_size: 256
    .name:           _Z39paged_attention_ll4mi_QKV_mfma16_kernelI14__hip_bfloat16S0_LN4vllm18Fp8KVCacheDataTypeE0EhLi16ELi128ELi256ELb0ELi11EEvPKT_PKT0_S8_ifPKiSA_SA_iPKfiiiPfSD_PS3_PT2_iSC_SC_
    .private_segment_fixed_size: 64
    .sgpr_count:     36
    .sgpr_spill_count: 0
    .symbol:         _Z39paged_attention_ll4mi_QKV_mfma16_kernelI14__hip_bfloat16S0_LN4vllm18Fp8KVCacheDataTypeE0EhLi16ELi128ELi256ELb0ELi11EEvPKT_PKT0_S8_ifPKiSA_SA_iPKfiiiPfSD_PS3_PT2_iSC_SC_.kd
    .uniform_work_group_size: 1
    .uses_dynamic_stack: false
    .vgpr_count:     51
    .vgpr_spill_count: 0
    .wavefront_size: 32
  - .args:
      - .actual_access:  read_only
        .address_space:  global
        .offset:         0
        .size:           8
        .value_kind:     global_buffer
      - .actual_access:  read_only
        .address_space:  global
        .offset:         8
        .size:           8
        .value_kind:     global_buffer
      - .actual_access:  read_only
        .address_space:  global
        .offset:         16
        .size:           8
        .value_kind:     global_buffer
      - .offset:         24
        .size:           4
        .value_kind:     by_value
      - .offset:         28
        .size:           4
        .value_kind:     by_value
      - .actual_access:  read_only
        .address_space:  global
        .offset:         32
        .size:           8
        .value_kind:     global_buffer
      - .actual_access:  read_only
        .address_space:  global
        .offset:         40
        .size:           8
        .value_kind:     global_buffer
      - .actual_access:  read_only
        .address_space:  global
        .offset:         48
        .size:           8
        .value_kind:     global_buffer
      - .offset:         56
        .size:           4
        .value_kind:     by_value
      - .actual_access:  read_only
        .address_space:  global
        .offset:         64
        .size:           8
        .value_kind:     global_buffer
      - .offset:         72
        .size:           4
        .value_kind:     by_value
      - .offset:         76
        .size:           4
        .value_kind:     by_value
      - .offset:         80
        .size:           4
        .value_kind:     by_value
      - .actual_access:  read_only
        .address_space:  global
        .offset:         88
        .size:           8
        .value_kind:     global_buffer
      - .actual_access:  read_only
        .address_space:  global
        .offset:         96
        .size:           8
        .value_kind:     global_buffer
      - .actual_access:  read_only
        .address_space:  global
        .offset:         104
        .size:           8
        .value_kind:     global_buffer
      - .actual_access:  read_only
        .address_space:  global
        .offset:         112
        .size:           8
        .value_kind:     global_buffer
      - .offset:         120
        .size:           4
        .value_kind:     by_value
      - .address_space:  global
        .offset:         128
        .size:           8
        .value_kind:     global_buffer
      - .address_space:  global
        .offset:         136
        .size:           8
        .value_kind:     global_buffer
      - .offset:         144
        .size:           4
        .value_kind:     hidden_block_count_x
      - .offset:         148
        .size:           4
        .value_kind:     hidden_block_count_y
      - .offset:         152
        .size:           4
        .value_kind:     hidden_block_count_z
      - .offset:         156
        .size:           2
        .value_kind:     hidden_group_size_x
      - .offset:         158
        .size:           2
        .value_kind:     hidden_group_size_y
      - .offset:         160
        .size:           2
        .value_kind:     hidden_group_size_z
      - .offset:         162
        .size:           2
        .value_kind:     hidden_remainder_x
      - .offset:         164
        .size:           2
        .value_kind:     hidden_remainder_y
      - .offset:         166
        .size:           2
        .value_kind:     hidden_remainder_z
      - .offset:         184
        .size:           8
        .value_kind:     hidden_global_offset_x
      - .offset:         192
        .size:           8
        .value_kind:     hidden_global_offset_y
      - .offset:         200
        .size:           8
        .value_kind:     hidden_global_offset_z
      - .offset:         208
        .size:           2
        .value_kind:     hidden_grid_dims
      - .offset:         224
        .size:           8
        .value_kind:     hidden_hostcall_buffer
    .group_segment_fixed_size: 0
    .kernarg_segment_align: 8
    .kernarg_segment_size: 400
    .language:       OpenCL C
    .language_version:
      - 2
      - 0
    .max_flat_workgroup_size: 256
    .name:           _Z39paged_attention_ll4mi_QKV_mfma16_kernelI14__hip_bfloat16S0_LN4vllm18Fp8KVCacheDataTypeE0EhLi16ELi128ELi256ELb0ELi12EEvPKT_PKT0_S8_ifPKiSA_SA_iPKfiiiPfSD_PS3_PT2_iSC_SC_
    .private_segment_fixed_size: 64
    .sgpr_count:     36
    .sgpr_spill_count: 0
    .symbol:         _Z39paged_attention_ll4mi_QKV_mfma16_kernelI14__hip_bfloat16S0_LN4vllm18Fp8KVCacheDataTypeE0EhLi16ELi128ELi256ELb0ELi12EEvPKT_PKT0_S8_ifPKiSA_SA_iPKfiiiPfSD_PS3_PT2_iSC_SC_.kd
    .uniform_work_group_size: 1
    .uses_dynamic_stack: false
    .vgpr_count:     51
    .vgpr_spill_count: 0
    .wavefront_size: 32
  - .args:
      - .actual_access:  read_only
        .address_space:  global
        .offset:         0
        .size:           8
        .value_kind:     global_buffer
      - .actual_access:  read_only
        .address_space:  global
        .offset:         8
        .size:           8
        .value_kind:     global_buffer
      - .actual_access:  read_only
        .address_space:  global
        .offset:         16
        .size:           8
        .value_kind:     global_buffer
      - .offset:         24
        .size:           4
        .value_kind:     by_value
      - .offset:         28
        .size:           4
        .value_kind:     by_value
      - .actual_access:  read_only
        .address_space:  global
        .offset:         32
        .size:           8
        .value_kind:     global_buffer
      - .actual_access:  read_only
        .address_space:  global
        .offset:         40
        .size:           8
        .value_kind:     global_buffer
      - .actual_access:  read_only
        .address_space:  global
        .offset:         48
        .size:           8
        .value_kind:     global_buffer
      - .offset:         56
        .size:           4
        .value_kind:     by_value
      - .actual_access:  read_only
        .address_space:  global
        .offset:         64
        .size:           8
        .value_kind:     global_buffer
      - .offset:         72
        .size:           4
        .value_kind:     by_value
      - .offset:         76
        .size:           4
        .value_kind:     by_value
      - .offset:         80
        .size:           4
        .value_kind:     by_value
      - .actual_access:  read_only
        .address_space:  global
        .offset:         88
        .size:           8
        .value_kind:     global_buffer
      - .actual_access:  read_only
        .address_space:  global
        .offset:         96
        .size:           8
        .value_kind:     global_buffer
      - .actual_access:  read_only
        .address_space:  global
        .offset:         104
        .size:           8
        .value_kind:     global_buffer
      - .actual_access:  read_only
        .address_space:  global
        .offset:         112
        .size:           8
        .value_kind:     global_buffer
      - .offset:         120
        .size:           4
        .value_kind:     by_value
      - .address_space:  global
        .offset:         128
        .size:           8
        .value_kind:     global_buffer
      - .address_space:  global
        .offset:         136
        .size:           8
        .value_kind:     global_buffer
      - .offset:         144
        .size:           4
        .value_kind:     hidden_block_count_x
      - .offset:         148
        .size:           4
        .value_kind:     hidden_block_count_y
      - .offset:         152
        .size:           4
        .value_kind:     hidden_block_count_z
      - .offset:         156
        .size:           2
        .value_kind:     hidden_group_size_x
      - .offset:         158
        .size:           2
        .value_kind:     hidden_group_size_y
      - .offset:         160
        .size:           2
        .value_kind:     hidden_group_size_z
      - .offset:         162
        .size:           2
        .value_kind:     hidden_remainder_x
      - .offset:         164
        .size:           2
        .value_kind:     hidden_remainder_y
      - .offset:         166
        .size:           2
        .value_kind:     hidden_remainder_z
      - .offset:         184
        .size:           8
        .value_kind:     hidden_global_offset_x
      - .offset:         192
        .size:           8
        .value_kind:     hidden_global_offset_y
      - .offset:         200
        .size:           8
        .value_kind:     hidden_global_offset_z
      - .offset:         208
        .size:           2
        .value_kind:     hidden_grid_dims
      - .offset:         224
        .size:           8
        .value_kind:     hidden_hostcall_buffer
    .group_segment_fixed_size: 0
    .kernarg_segment_align: 8
    .kernarg_segment_size: 400
    .language:       OpenCL C
    .language_version:
      - 2
      - 0
    .max_flat_workgroup_size: 256
    .name:           _Z39paged_attention_ll4mi_QKV_mfma16_kernelI14__hip_bfloat16S0_LN4vllm18Fp8KVCacheDataTypeE0EhLi16ELi128ELi256ELb0ELi13EEvPKT_PKT0_S8_ifPKiSA_SA_iPKfiiiPfSD_PS3_PT2_iSC_SC_
    .private_segment_fixed_size: 64
    .sgpr_count:     36
    .sgpr_spill_count: 0
    .symbol:         _Z39paged_attention_ll4mi_QKV_mfma16_kernelI14__hip_bfloat16S0_LN4vllm18Fp8KVCacheDataTypeE0EhLi16ELi128ELi256ELb0ELi13EEvPKT_PKT0_S8_ifPKiSA_SA_iPKfiiiPfSD_PS3_PT2_iSC_SC_.kd
    .uniform_work_group_size: 1
    .uses_dynamic_stack: false
    .vgpr_count:     51
    .vgpr_spill_count: 0
    .wavefront_size: 32
  - .args:
      - .actual_access:  read_only
        .address_space:  global
        .offset:         0
        .size:           8
        .value_kind:     global_buffer
      - .actual_access:  read_only
        .address_space:  global
        .offset:         8
        .size:           8
        .value_kind:     global_buffer
      - .actual_access:  read_only
        .address_space:  global
        .offset:         16
        .size:           8
        .value_kind:     global_buffer
      - .offset:         24
        .size:           4
        .value_kind:     by_value
      - .offset:         28
        .size:           4
        .value_kind:     by_value
      - .actual_access:  read_only
        .address_space:  global
        .offset:         32
        .size:           8
        .value_kind:     global_buffer
      - .actual_access:  read_only
        .address_space:  global
        .offset:         40
        .size:           8
        .value_kind:     global_buffer
      - .actual_access:  read_only
        .address_space:  global
        .offset:         48
        .size:           8
        .value_kind:     global_buffer
      - .offset:         56
        .size:           4
        .value_kind:     by_value
      - .actual_access:  read_only
        .address_space:  global
        .offset:         64
        .size:           8
        .value_kind:     global_buffer
      - .offset:         72
        .size:           4
        .value_kind:     by_value
      - .offset:         76
        .size:           4
        .value_kind:     by_value
      - .offset:         80
        .size:           4
        .value_kind:     by_value
      - .actual_access:  read_only
        .address_space:  global
        .offset:         88
        .size:           8
        .value_kind:     global_buffer
      - .actual_access:  read_only
        .address_space:  global
        .offset:         96
        .size:           8
        .value_kind:     global_buffer
      - .actual_access:  read_only
        .address_space:  global
        .offset:         104
        .size:           8
        .value_kind:     global_buffer
      - .actual_access:  read_only
        .address_space:  global
        .offset:         112
        .size:           8
        .value_kind:     global_buffer
      - .offset:         120
        .size:           4
        .value_kind:     by_value
      - .address_space:  global
        .offset:         128
        .size:           8
        .value_kind:     global_buffer
      - .address_space:  global
        .offset:         136
        .size:           8
        .value_kind:     global_buffer
      - .offset:         144
        .size:           4
        .value_kind:     hidden_block_count_x
      - .offset:         148
        .size:           4
        .value_kind:     hidden_block_count_y
      - .offset:         152
        .size:           4
        .value_kind:     hidden_block_count_z
      - .offset:         156
        .size:           2
        .value_kind:     hidden_group_size_x
      - .offset:         158
        .size:           2
        .value_kind:     hidden_group_size_y
      - .offset:         160
        .size:           2
        .value_kind:     hidden_group_size_z
      - .offset:         162
        .size:           2
        .value_kind:     hidden_remainder_x
      - .offset:         164
        .size:           2
        .value_kind:     hidden_remainder_y
      - .offset:         166
        .size:           2
        .value_kind:     hidden_remainder_z
      - .offset:         184
        .size:           8
        .value_kind:     hidden_global_offset_x
      - .offset:         192
        .size:           8
        .value_kind:     hidden_global_offset_y
      - .offset:         200
        .size:           8
        .value_kind:     hidden_global_offset_z
      - .offset:         208
        .size:           2
        .value_kind:     hidden_grid_dims
      - .offset:         224
        .size:           8
        .value_kind:     hidden_hostcall_buffer
    .group_segment_fixed_size: 0
    .kernarg_segment_align: 8
    .kernarg_segment_size: 400
    .language:       OpenCL C
    .language_version:
      - 2
      - 0
    .max_flat_workgroup_size: 256
    .name:           _Z39paged_attention_ll4mi_QKV_mfma16_kernelI14__hip_bfloat16S0_LN4vllm18Fp8KVCacheDataTypeE0EhLi16ELi128ELi256ELb0ELi14EEvPKT_PKT0_S8_ifPKiSA_SA_iPKfiiiPfSD_PS3_PT2_iSC_SC_
    .private_segment_fixed_size: 64
    .sgpr_count:     36
    .sgpr_spill_count: 0
    .symbol:         _Z39paged_attention_ll4mi_QKV_mfma16_kernelI14__hip_bfloat16S0_LN4vllm18Fp8KVCacheDataTypeE0EhLi16ELi128ELi256ELb0ELi14EEvPKT_PKT0_S8_ifPKiSA_SA_iPKfiiiPfSD_PS3_PT2_iSC_SC_.kd
    .uniform_work_group_size: 1
    .uses_dynamic_stack: false
    .vgpr_count:     51
    .vgpr_spill_count: 0
    .wavefront_size: 32
  - .args:
      - .actual_access:  read_only
        .address_space:  global
        .offset:         0
        .size:           8
        .value_kind:     global_buffer
      - .actual_access:  read_only
        .address_space:  global
        .offset:         8
        .size:           8
        .value_kind:     global_buffer
      - .actual_access:  read_only
        .address_space:  global
        .offset:         16
        .size:           8
        .value_kind:     global_buffer
      - .offset:         24
        .size:           4
        .value_kind:     by_value
      - .offset:         28
        .size:           4
        .value_kind:     by_value
      - .actual_access:  read_only
        .address_space:  global
        .offset:         32
        .size:           8
        .value_kind:     global_buffer
      - .actual_access:  read_only
        .address_space:  global
        .offset:         40
        .size:           8
        .value_kind:     global_buffer
      - .actual_access:  read_only
        .address_space:  global
        .offset:         48
        .size:           8
        .value_kind:     global_buffer
      - .offset:         56
        .size:           4
        .value_kind:     by_value
      - .actual_access:  read_only
        .address_space:  global
        .offset:         64
        .size:           8
        .value_kind:     global_buffer
      - .offset:         72
        .size:           4
        .value_kind:     by_value
      - .offset:         76
        .size:           4
        .value_kind:     by_value
      - .offset:         80
        .size:           4
        .value_kind:     by_value
      - .actual_access:  read_only
        .address_space:  global
        .offset:         88
        .size:           8
        .value_kind:     global_buffer
      - .actual_access:  read_only
        .address_space:  global
        .offset:         96
        .size:           8
        .value_kind:     global_buffer
      - .actual_access:  read_only
        .address_space:  global
        .offset:         104
        .size:           8
        .value_kind:     global_buffer
      - .actual_access:  read_only
        .address_space:  global
        .offset:         112
        .size:           8
        .value_kind:     global_buffer
      - .offset:         120
        .size:           4
        .value_kind:     by_value
      - .address_space:  global
        .offset:         128
        .size:           8
        .value_kind:     global_buffer
      - .address_space:  global
        .offset:         136
        .size:           8
        .value_kind:     global_buffer
      - .offset:         144
        .size:           4
        .value_kind:     hidden_block_count_x
      - .offset:         148
        .size:           4
        .value_kind:     hidden_block_count_y
      - .offset:         152
        .size:           4
        .value_kind:     hidden_block_count_z
      - .offset:         156
        .size:           2
        .value_kind:     hidden_group_size_x
      - .offset:         158
        .size:           2
        .value_kind:     hidden_group_size_y
      - .offset:         160
        .size:           2
        .value_kind:     hidden_group_size_z
      - .offset:         162
        .size:           2
        .value_kind:     hidden_remainder_x
      - .offset:         164
        .size:           2
        .value_kind:     hidden_remainder_y
      - .offset:         166
        .size:           2
        .value_kind:     hidden_remainder_z
      - .offset:         184
        .size:           8
        .value_kind:     hidden_global_offset_x
      - .offset:         192
        .size:           8
        .value_kind:     hidden_global_offset_y
      - .offset:         200
        .size:           8
        .value_kind:     hidden_global_offset_z
      - .offset:         208
        .size:           2
        .value_kind:     hidden_grid_dims
      - .offset:         224
        .size:           8
        .value_kind:     hidden_hostcall_buffer
    .group_segment_fixed_size: 0
    .kernarg_segment_align: 8
    .kernarg_segment_size: 400
    .language:       OpenCL C
    .language_version:
      - 2
      - 0
    .max_flat_workgroup_size: 256
    .name:           _Z39paged_attention_ll4mi_QKV_mfma16_kernelI14__hip_bfloat16S0_LN4vllm18Fp8KVCacheDataTypeE0EhLi16ELi128ELi256ELb0ELi15EEvPKT_PKT0_S8_ifPKiSA_SA_iPKfiiiPfSD_PS3_PT2_iSC_SC_
    .private_segment_fixed_size: 64
    .sgpr_count:     36
    .sgpr_spill_count: 0
    .symbol:         _Z39paged_attention_ll4mi_QKV_mfma16_kernelI14__hip_bfloat16S0_LN4vllm18Fp8KVCacheDataTypeE0EhLi16ELi128ELi256ELb0ELi15EEvPKT_PKT0_S8_ifPKiSA_SA_iPKfiiiPfSD_PS3_PT2_iSC_SC_.kd
    .uniform_work_group_size: 1
    .uses_dynamic_stack: false
    .vgpr_count:     51
    .vgpr_spill_count: 0
    .wavefront_size: 32
  - .args:
      - .actual_access:  read_only
        .address_space:  global
        .offset:         0
        .size:           8
        .value_kind:     global_buffer
      - .actual_access:  read_only
        .address_space:  global
        .offset:         8
        .size:           8
        .value_kind:     global_buffer
      - .actual_access:  read_only
        .address_space:  global
        .offset:         16
        .size:           8
        .value_kind:     global_buffer
      - .offset:         24
        .size:           4
        .value_kind:     by_value
      - .offset:         28
        .size:           4
        .value_kind:     by_value
      - .actual_access:  read_only
        .address_space:  global
        .offset:         32
        .size:           8
        .value_kind:     global_buffer
      - .actual_access:  read_only
        .address_space:  global
        .offset:         40
        .size:           8
        .value_kind:     global_buffer
      - .actual_access:  read_only
        .address_space:  global
        .offset:         48
        .size:           8
        .value_kind:     global_buffer
      - .offset:         56
        .size:           4
        .value_kind:     by_value
      - .actual_access:  read_only
        .address_space:  global
        .offset:         64
        .size:           8
        .value_kind:     global_buffer
      - .offset:         72
        .size:           4
        .value_kind:     by_value
      - .offset:         76
        .size:           4
        .value_kind:     by_value
      - .offset:         80
        .size:           4
        .value_kind:     by_value
      - .actual_access:  read_only
        .address_space:  global
        .offset:         88
        .size:           8
        .value_kind:     global_buffer
      - .actual_access:  read_only
        .address_space:  global
        .offset:         96
        .size:           8
        .value_kind:     global_buffer
      - .actual_access:  read_only
        .address_space:  global
        .offset:         104
        .size:           8
        .value_kind:     global_buffer
      - .actual_access:  read_only
        .address_space:  global
        .offset:         112
        .size:           8
        .value_kind:     global_buffer
      - .offset:         120
        .size:           4
        .value_kind:     by_value
      - .address_space:  global
        .offset:         128
        .size:           8
        .value_kind:     global_buffer
      - .address_space:  global
        .offset:         136
        .size:           8
        .value_kind:     global_buffer
      - .offset:         144
        .size:           4
        .value_kind:     hidden_block_count_x
      - .offset:         148
        .size:           4
        .value_kind:     hidden_block_count_y
      - .offset:         152
        .size:           4
        .value_kind:     hidden_block_count_z
      - .offset:         156
        .size:           2
        .value_kind:     hidden_group_size_x
      - .offset:         158
        .size:           2
        .value_kind:     hidden_group_size_y
      - .offset:         160
        .size:           2
        .value_kind:     hidden_group_size_z
      - .offset:         162
        .size:           2
        .value_kind:     hidden_remainder_x
      - .offset:         164
        .size:           2
        .value_kind:     hidden_remainder_y
      - .offset:         166
        .size:           2
        .value_kind:     hidden_remainder_z
      - .offset:         184
        .size:           8
        .value_kind:     hidden_global_offset_x
      - .offset:         192
        .size:           8
        .value_kind:     hidden_global_offset_y
      - .offset:         200
        .size:           8
        .value_kind:     hidden_global_offset_z
      - .offset:         208
        .size:           2
        .value_kind:     hidden_grid_dims
      - .offset:         224
        .size:           8
        .value_kind:     hidden_hostcall_buffer
    .group_segment_fixed_size: 0
    .kernarg_segment_align: 8
    .kernarg_segment_size: 400
    .language:       OpenCL C
    .language_version:
      - 2
      - 0
    .max_flat_workgroup_size: 256
    .name:           _Z39paged_attention_ll4mi_QKV_mfma16_kernelI14__hip_bfloat16S0_LN4vllm18Fp8KVCacheDataTypeE0EhLi16ELi128ELi256ELb0ELi16EEvPKT_PKT0_S8_ifPKiSA_SA_iPKfiiiPfSD_PS3_PT2_iSC_SC_
    .private_segment_fixed_size: 64
    .sgpr_count:     36
    .sgpr_spill_count: 0
    .symbol:         _Z39paged_attention_ll4mi_QKV_mfma16_kernelI14__hip_bfloat16S0_LN4vllm18Fp8KVCacheDataTypeE0EhLi16ELi128ELi256ELb0ELi16EEvPKT_PKT0_S8_ifPKiSA_SA_iPKfiiiPfSD_PS3_PT2_iSC_SC_.kd
    .uniform_work_group_size: 1
    .uses_dynamic_stack: false
    .vgpr_count:     51
    .vgpr_spill_count: 0
    .wavefront_size: 32
  - .args:
      - .actual_access:  read_only
        .address_space:  global
        .offset:         0
        .size:           8
        .value_kind:     global_buffer
      - .actual_access:  read_only
        .address_space:  global
        .offset:         8
        .size:           8
        .value_kind:     global_buffer
      - .actual_access:  read_only
        .address_space:  global
        .offset:         16
        .size:           8
        .value_kind:     global_buffer
      - .offset:         24
        .size:           4
        .value_kind:     by_value
      - .offset:         28
        .size:           4
        .value_kind:     by_value
      - .actual_access:  read_only
        .address_space:  global
        .offset:         32
        .size:           8
        .value_kind:     global_buffer
      - .actual_access:  read_only
        .address_space:  global
        .offset:         40
        .size:           8
        .value_kind:     global_buffer
      - .actual_access:  read_only
        .address_space:  global
        .offset:         48
        .size:           8
        .value_kind:     global_buffer
      - .offset:         56
        .size:           4
        .value_kind:     by_value
      - .actual_access:  read_only
        .address_space:  global
        .offset:         64
        .size:           8
        .value_kind:     global_buffer
      - .offset:         72
        .size:           4
        .value_kind:     by_value
      - .offset:         76
        .size:           4
        .value_kind:     by_value
      - .offset:         80
        .size:           4
        .value_kind:     by_value
      - .actual_access:  read_only
        .address_space:  global
        .offset:         88
        .size:           8
        .value_kind:     global_buffer
      - .actual_access:  read_only
        .address_space:  global
        .offset:         96
        .size:           8
        .value_kind:     global_buffer
      - .actual_access:  read_only
        .address_space:  global
        .offset:         104
        .size:           8
        .value_kind:     global_buffer
      - .actual_access:  read_only
        .address_space:  global
        .offset:         112
        .size:           8
        .value_kind:     global_buffer
      - .offset:         120
        .size:           4
        .value_kind:     by_value
      - .address_space:  global
        .offset:         128
        .size:           8
        .value_kind:     global_buffer
      - .address_space:  global
        .offset:         136
        .size:           8
        .value_kind:     global_buffer
      - .offset:         144
        .size:           4
        .value_kind:     hidden_block_count_x
      - .offset:         148
        .size:           4
        .value_kind:     hidden_block_count_y
      - .offset:         152
        .size:           4
        .value_kind:     hidden_block_count_z
      - .offset:         156
        .size:           2
        .value_kind:     hidden_group_size_x
      - .offset:         158
        .size:           2
        .value_kind:     hidden_group_size_y
      - .offset:         160
        .size:           2
        .value_kind:     hidden_group_size_z
      - .offset:         162
        .size:           2
        .value_kind:     hidden_remainder_x
      - .offset:         164
        .size:           2
        .value_kind:     hidden_remainder_y
      - .offset:         166
        .size:           2
        .value_kind:     hidden_remainder_z
      - .offset:         184
        .size:           8
        .value_kind:     hidden_global_offset_x
      - .offset:         192
        .size:           8
        .value_kind:     hidden_global_offset_y
      - .offset:         200
        .size:           8
        .value_kind:     hidden_global_offset_z
      - .offset:         208
        .size:           2
        .value_kind:     hidden_grid_dims
      - .offset:         224
        .size:           8
        .value_kind:     hidden_hostcall_buffer
    .group_segment_fixed_size: 0
    .kernarg_segment_align: 8
    .kernarg_segment_size: 400
    .language:       OpenCL C
    .language_version:
      - 2
      - 0
    .max_flat_workgroup_size: 256
    .name:           _Z39paged_attention_ll4mi_QKV_mfma16_kernelI14__hip_bfloat16S0_LN4vllm18Fp8KVCacheDataTypeE0EhLi16ELi128ELi256ELb0ELi1EEvPKT_PKT0_S8_ifPKiSA_SA_iPKfiiiPfSD_PS3_PT2_iSC_SC_
    .private_segment_fixed_size: 64
    .sgpr_count:     36
    .sgpr_spill_count: 0
    .symbol:         _Z39paged_attention_ll4mi_QKV_mfma16_kernelI14__hip_bfloat16S0_LN4vllm18Fp8KVCacheDataTypeE0EhLi16ELi128ELi256ELb0ELi1EEvPKT_PKT0_S8_ifPKiSA_SA_iPKfiiiPfSD_PS3_PT2_iSC_SC_.kd
    .uniform_work_group_size: 1
    .uses_dynamic_stack: false
    .vgpr_count:     51
    .vgpr_spill_count: 0
    .wavefront_size: 32
  - .args:
      - .actual_access:  read_only
        .address_space:  global
        .offset:         0
        .size:           8
        .value_kind:     global_buffer
      - .actual_access:  read_only
        .address_space:  global
        .offset:         8
        .size:           8
        .value_kind:     global_buffer
      - .actual_access:  read_only
        .address_space:  global
        .offset:         16
        .size:           8
        .value_kind:     global_buffer
      - .offset:         24
        .size:           4
        .value_kind:     by_value
      - .offset:         28
        .size:           4
        .value_kind:     by_value
      - .actual_access:  read_only
        .address_space:  global
        .offset:         32
        .size:           8
        .value_kind:     global_buffer
      - .actual_access:  read_only
        .address_space:  global
        .offset:         40
        .size:           8
        .value_kind:     global_buffer
      - .actual_access:  read_only
        .address_space:  global
        .offset:         48
        .size:           8
        .value_kind:     global_buffer
      - .offset:         56
        .size:           4
        .value_kind:     by_value
      - .actual_access:  read_only
        .address_space:  global
        .offset:         64
        .size:           8
        .value_kind:     global_buffer
      - .offset:         72
        .size:           4
        .value_kind:     by_value
      - .offset:         76
        .size:           4
        .value_kind:     by_value
      - .offset:         80
        .size:           4
        .value_kind:     by_value
      - .actual_access:  read_only
        .address_space:  global
        .offset:         88
        .size:           8
        .value_kind:     global_buffer
      - .actual_access:  read_only
        .address_space:  global
        .offset:         96
        .size:           8
        .value_kind:     global_buffer
      - .actual_access:  read_only
        .address_space:  global
        .offset:         104
        .size:           8
        .value_kind:     global_buffer
      - .actual_access:  read_only
        .address_space:  global
        .offset:         112
        .size:           8
        .value_kind:     global_buffer
      - .offset:         120
        .size:           4
        .value_kind:     by_value
      - .address_space:  global
        .offset:         128
        .size:           8
        .value_kind:     global_buffer
      - .address_space:  global
        .offset:         136
        .size:           8
        .value_kind:     global_buffer
      - .offset:         144
        .size:           4
        .value_kind:     hidden_block_count_x
      - .offset:         148
        .size:           4
        .value_kind:     hidden_block_count_y
      - .offset:         152
        .size:           4
        .value_kind:     hidden_block_count_z
      - .offset:         156
        .size:           2
        .value_kind:     hidden_group_size_x
      - .offset:         158
        .size:           2
        .value_kind:     hidden_group_size_y
      - .offset:         160
        .size:           2
        .value_kind:     hidden_group_size_z
      - .offset:         162
        .size:           2
        .value_kind:     hidden_remainder_x
      - .offset:         164
        .size:           2
        .value_kind:     hidden_remainder_y
      - .offset:         166
        .size:           2
        .value_kind:     hidden_remainder_z
      - .offset:         184
        .size:           8
        .value_kind:     hidden_global_offset_x
      - .offset:         192
        .size:           8
        .value_kind:     hidden_global_offset_y
      - .offset:         200
        .size:           8
        .value_kind:     hidden_global_offset_z
      - .offset:         208
        .size:           2
        .value_kind:     hidden_grid_dims
      - .offset:         224
        .size:           8
        .value_kind:     hidden_hostcall_buffer
    .group_segment_fixed_size: 0
    .kernarg_segment_align: 8
    .kernarg_segment_size: 400
    .language:       OpenCL C
    .language_version:
      - 2
      - 0
    .max_flat_workgroup_size: 256
    .name:           _Z39paged_attention_ll4mi_QKV_mfma16_kernelI14__hip_bfloat16S0_LN4vllm18Fp8KVCacheDataTypeE0EhLi16ELi128ELi256ELb0ELi2EEvPKT_PKT0_S8_ifPKiSA_SA_iPKfiiiPfSD_PS3_PT2_iSC_SC_
    .private_segment_fixed_size: 64
    .sgpr_count:     36
    .sgpr_spill_count: 0
    .symbol:         _Z39paged_attention_ll4mi_QKV_mfma16_kernelI14__hip_bfloat16S0_LN4vllm18Fp8KVCacheDataTypeE0EhLi16ELi128ELi256ELb0ELi2EEvPKT_PKT0_S8_ifPKiSA_SA_iPKfiiiPfSD_PS3_PT2_iSC_SC_.kd
    .uniform_work_group_size: 1
    .uses_dynamic_stack: false
    .vgpr_count:     51
    .vgpr_spill_count: 0
    .wavefront_size: 32
  - .args:
      - .actual_access:  read_only
        .address_space:  global
        .offset:         0
        .size:           8
        .value_kind:     global_buffer
      - .actual_access:  read_only
        .address_space:  global
        .offset:         8
        .size:           8
        .value_kind:     global_buffer
      - .actual_access:  read_only
        .address_space:  global
        .offset:         16
        .size:           8
        .value_kind:     global_buffer
      - .offset:         24
        .size:           4
        .value_kind:     by_value
      - .offset:         28
        .size:           4
        .value_kind:     by_value
      - .actual_access:  read_only
        .address_space:  global
        .offset:         32
        .size:           8
        .value_kind:     global_buffer
      - .actual_access:  read_only
        .address_space:  global
        .offset:         40
        .size:           8
        .value_kind:     global_buffer
      - .actual_access:  read_only
        .address_space:  global
        .offset:         48
        .size:           8
        .value_kind:     global_buffer
      - .offset:         56
        .size:           4
        .value_kind:     by_value
      - .actual_access:  read_only
        .address_space:  global
        .offset:         64
        .size:           8
        .value_kind:     global_buffer
      - .offset:         72
        .size:           4
        .value_kind:     by_value
      - .offset:         76
        .size:           4
        .value_kind:     by_value
      - .offset:         80
        .size:           4
        .value_kind:     by_value
      - .actual_access:  read_only
        .address_space:  global
        .offset:         88
        .size:           8
        .value_kind:     global_buffer
      - .actual_access:  read_only
        .address_space:  global
        .offset:         96
        .size:           8
        .value_kind:     global_buffer
      - .actual_access:  read_only
        .address_space:  global
        .offset:         104
        .size:           8
        .value_kind:     global_buffer
      - .actual_access:  read_only
        .address_space:  global
        .offset:         112
        .size:           8
        .value_kind:     global_buffer
      - .offset:         120
        .size:           4
        .value_kind:     by_value
      - .address_space:  global
        .offset:         128
        .size:           8
        .value_kind:     global_buffer
      - .address_space:  global
        .offset:         136
        .size:           8
        .value_kind:     global_buffer
      - .offset:         144
        .size:           4
        .value_kind:     hidden_block_count_x
      - .offset:         148
        .size:           4
        .value_kind:     hidden_block_count_y
      - .offset:         152
        .size:           4
        .value_kind:     hidden_block_count_z
      - .offset:         156
        .size:           2
        .value_kind:     hidden_group_size_x
      - .offset:         158
        .size:           2
        .value_kind:     hidden_group_size_y
      - .offset:         160
        .size:           2
        .value_kind:     hidden_group_size_z
      - .offset:         162
        .size:           2
        .value_kind:     hidden_remainder_x
      - .offset:         164
        .size:           2
        .value_kind:     hidden_remainder_y
      - .offset:         166
        .size:           2
        .value_kind:     hidden_remainder_z
      - .offset:         184
        .size:           8
        .value_kind:     hidden_global_offset_x
      - .offset:         192
        .size:           8
        .value_kind:     hidden_global_offset_y
      - .offset:         200
        .size:           8
        .value_kind:     hidden_global_offset_z
      - .offset:         208
        .size:           2
        .value_kind:     hidden_grid_dims
      - .offset:         224
        .size:           8
        .value_kind:     hidden_hostcall_buffer
    .group_segment_fixed_size: 0
    .kernarg_segment_align: 8
    .kernarg_segment_size: 400
    .language:       OpenCL C
    .language_version:
      - 2
      - 0
    .max_flat_workgroup_size: 256
    .name:           _Z39paged_attention_ll4mi_QKV_mfma16_kernelI14__hip_bfloat16S0_LN4vllm18Fp8KVCacheDataTypeE0EhLi16ELi128ELi256ELb0ELi3EEvPKT_PKT0_S8_ifPKiSA_SA_iPKfiiiPfSD_PS3_PT2_iSC_SC_
    .private_segment_fixed_size: 64
    .sgpr_count:     36
    .sgpr_spill_count: 0
    .symbol:         _Z39paged_attention_ll4mi_QKV_mfma16_kernelI14__hip_bfloat16S0_LN4vllm18Fp8KVCacheDataTypeE0EhLi16ELi128ELi256ELb0ELi3EEvPKT_PKT0_S8_ifPKiSA_SA_iPKfiiiPfSD_PS3_PT2_iSC_SC_.kd
    .uniform_work_group_size: 1
    .uses_dynamic_stack: false
    .vgpr_count:     51
    .vgpr_spill_count: 0
    .wavefront_size: 32
  - .args:
      - .actual_access:  read_only
        .address_space:  global
        .offset:         0
        .size:           8
        .value_kind:     global_buffer
      - .actual_access:  read_only
        .address_space:  global
        .offset:         8
        .size:           8
        .value_kind:     global_buffer
      - .actual_access:  read_only
        .address_space:  global
        .offset:         16
        .size:           8
        .value_kind:     global_buffer
      - .offset:         24
        .size:           4
        .value_kind:     by_value
      - .offset:         28
        .size:           4
        .value_kind:     by_value
      - .actual_access:  read_only
        .address_space:  global
        .offset:         32
        .size:           8
        .value_kind:     global_buffer
      - .actual_access:  read_only
        .address_space:  global
        .offset:         40
        .size:           8
        .value_kind:     global_buffer
      - .actual_access:  read_only
        .address_space:  global
        .offset:         48
        .size:           8
        .value_kind:     global_buffer
      - .offset:         56
        .size:           4
        .value_kind:     by_value
      - .actual_access:  read_only
        .address_space:  global
        .offset:         64
        .size:           8
        .value_kind:     global_buffer
      - .offset:         72
        .size:           4
        .value_kind:     by_value
      - .offset:         76
        .size:           4
        .value_kind:     by_value
      - .offset:         80
        .size:           4
        .value_kind:     by_value
      - .actual_access:  read_only
        .address_space:  global
        .offset:         88
        .size:           8
        .value_kind:     global_buffer
      - .actual_access:  read_only
        .address_space:  global
        .offset:         96
        .size:           8
        .value_kind:     global_buffer
      - .actual_access:  read_only
        .address_space:  global
        .offset:         104
        .size:           8
        .value_kind:     global_buffer
      - .actual_access:  read_only
        .address_space:  global
        .offset:         112
        .size:           8
        .value_kind:     global_buffer
      - .offset:         120
        .size:           4
        .value_kind:     by_value
      - .address_space:  global
        .offset:         128
        .size:           8
        .value_kind:     global_buffer
      - .address_space:  global
        .offset:         136
        .size:           8
        .value_kind:     global_buffer
      - .offset:         144
        .size:           4
        .value_kind:     hidden_block_count_x
      - .offset:         148
        .size:           4
        .value_kind:     hidden_block_count_y
      - .offset:         152
        .size:           4
        .value_kind:     hidden_block_count_z
      - .offset:         156
        .size:           2
        .value_kind:     hidden_group_size_x
      - .offset:         158
        .size:           2
        .value_kind:     hidden_group_size_y
      - .offset:         160
        .size:           2
        .value_kind:     hidden_group_size_z
      - .offset:         162
        .size:           2
        .value_kind:     hidden_remainder_x
      - .offset:         164
        .size:           2
        .value_kind:     hidden_remainder_y
      - .offset:         166
        .size:           2
        .value_kind:     hidden_remainder_z
      - .offset:         184
        .size:           8
        .value_kind:     hidden_global_offset_x
      - .offset:         192
        .size:           8
        .value_kind:     hidden_global_offset_y
      - .offset:         200
        .size:           8
        .value_kind:     hidden_global_offset_z
      - .offset:         208
        .size:           2
        .value_kind:     hidden_grid_dims
      - .offset:         224
        .size:           8
        .value_kind:     hidden_hostcall_buffer
    .group_segment_fixed_size: 0
    .kernarg_segment_align: 8
    .kernarg_segment_size: 400
    .language:       OpenCL C
    .language_version:
      - 2
      - 0
    .max_flat_workgroup_size: 256
    .name:           _Z39paged_attention_ll4mi_QKV_mfma16_kernelI14__hip_bfloat16S0_LN4vllm18Fp8KVCacheDataTypeE0EhLi16ELi128ELi256ELb0ELi4EEvPKT_PKT0_S8_ifPKiSA_SA_iPKfiiiPfSD_PS3_PT2_iSC_SC_
    .private_segment_fixed_size: 64
    .sgpr_count:     36
    .sgpr_spill_count: 0
    .symbol:         _Z39paged_attention_ll4mi_QKV_mfma16_kernelI14__hip_bfloat16S0_LN4vllm18Fp8KVCacheDataTypeE0EhLi16ELi128ELi256ELb0ELi4EEvPKT_PKT0_S8_ifPKiSA_SA_iPKfiiiPfSD_PS3_PT2_iSC_SC_.kd
    .uniform_work_group_size: 1
    .uses_dynamic_stack: false
    .vgpr_count:     51
    .vgpr_spill_count: 0
    .wavefront_size: 32
  - .args:
      - .actual_access:  read_only
        .address_space:  global
        .offset:         0
        .size:           8
        .value_kind:     global_buffer
      - .actual_access:  read_only
        .address_space:  global
        .offset:         8
        .size:           8
        .value_kind:     global_buffer
      - .actual_access:  read_only
        .address_space:  global
        .offset:         16
        .size:           8
        .value_kind:     global_buffer
      - .offset:         24
        .size:           4
        .value_kind:     by_value
      - .offset:         28
        .size:           4
        .value_kind:     by_value
      - .actual_access:  read_only
        .address_space:  global
        .offset:         32
        .size:           8
        .value_kind:     global_buffer
      - .actual_access:  read_only
        .address_space:  global
        .offset:         40
        .size:           8
        .value_kind:     global_buffer
      - .actual_access:  read_only
        .address_space:  global
        .offset:         48
        .size:           8
        .value_kind:     global_buffer
      - .offset:         56
        .size:           4
        .value_kind:     by_value
      - .actual_access:  read_only
        .address_space:  global
        .offset:         64
        .size:           8
        .value_kind:     global_buffer
      - .offset:         72
        .size:           4
        .value_kind:     by_value
      - .offset:         76
        .size:           4
        .value_kind:     by_value
      - .offset:         80
        .size:           4
        .value_kind:     by_value
      - .actual_access:  read_only
        .address_space:  global
        .offset:         88
        .size:           8
        .value_kind:     global_buffer
      - .actual_access:  read_only
        .address_space:  global
        .offset:         96
        .size:           8
        .value_kind:     global_buffer
      - .actual_access:  read_only
        .address_space:  global
        .offset:         104
        .size:           8
        .value_kind:     global_buffer
      - .actual_access:  read_only
        .address_space:  global
        .offset:         112
        .size:           8
        .value_kind:     global_buffer
      - .offset:         120
        .size:           4
        .value_kind:     by_value
      - .address_space:  global
        .offset:         128
        .size:           8
        .value_kind:     global_buffer
      - .address_space:  global
        .offset:         136
        .size:           8
        .value_kind:     global_buffer
      - .offset:         144
        .size:           4
        .value_kind:     hidden_block_count_x
      - .offset:         148
        .size:           4
        .value_kind:     hidden_block_count_y
      - .offset:         152
        .size:           4
        .value_kind:     hidden_block_count_z
      - .offset:         156
        .size:           2
        .value_kind:     hidden_group_size_x
      - .offset:         158
        .size:           2
        .value_kind:     hidden_group_size_y
      - .offset:         160
        .size:           2
        .value_kind:     hidden_group_size_z
      - .offset:         162
        .size:           2
        .value_kind:     hidden_remainder_x
      - .offset:         164
        .size:           2
        .value_kind:     hidden_remainder_y
      - .offset:         166
        .size:           2
        .value_kind:     hidden_remainder_z
      - .offset:         184
        .size:           8
        .value_kind:     hidden_global_offset_x
      - .offset:         192
        .size:           8
        .value_kind:     hidden_global_offset_y
      - .offset:         200
        .size:           8
        .value_kind:     hidden_global_offset_z
      - .offset:         208
        .size:           2
        .value_kind:     hidden_grid_dims
      - .offset:         224
        .size:           8
        .value_kind:     hidden_hostcall_buffer
    .group_segment_fixed_size: 0
    .kernarg_segment_align: 8
    .kernarg_segment_size: 400
    .language:       OpenCL C
    .language_version:
      - 2
      - 0
    .max_flat_workgroup_size: 256
    .name:           _Z38paged_attention_ll4mi_QKV_mfma4_kernelI14__hip_bfloat16S0_LN4vllm18Fp8KVCacheDataTypeE0ES0_Li16ELi128ELi256ELb1ELi1EEvPKT_PKT0_S8_ifPKiSA_SA_iPKfiiiPfSD_PS3_PT2_iSC_SC_
    .private_segment_fixed_size: 64
    .sgpr_count:     36
    .sgpr_spill_count: 0
    .symbol:         _Z38paged_attention_ll4mi_QKV_mfma4_kernelI14__hip_bfloat16S0_LN4vllm18Fp8KVCacheDataTypeE0ES0_Li16ELi128ELi256ELb1ELi1EEvPKT_PKT0_S8_ifPKiSA_SA_iPKfiiiPfSD_PS3_PT2_iSC_SC_.kd
    .uniform_work_group_size: 1
    .uses_dynamic_stack: false
    .vgpr_count:     51
    .vgpr_spill_count: 0
    .wavefront_size: 32
  - .args:
      - .actual_access:  read_only
        .address_space:  global
        .offset:         0
        .size:           8
        .value_kind:     global_buffer
      - .actual_access:  read_only
        .address_space:  global
        .offset:         8
        .size:           8
        .value_kind:     global_buffer
      - .actual_access:  read_only
        .address_space:  global
        .offset:         16
        .size:           8
        .value_kind:     global_buffer
      - .offset:         24
        .size:           4
        .value_kind:     by_value
      - .offset:         28
        .size:           4
        .value_kind:     by_value
      - .actual_access:  read_only
        .address_space:  global
        .offset:         32
        .size:           8
        .value_kind:     global_buffer
      - .actual_access:  read_only
        .address_space:  global
        .offset:         40
        .size:           8
        .value_kind:     global_buffer
      - .actual_access:  read_only
        .address_space:  global
        .offset:         48
        .size:           8
        .value_kind:     global_buffer
      - .offset:         56
        .size:           4
        .value_kind:     by_value
      - .actual_access:  read_only
        .address_space:  global
        .offset:         64
        .size:           8
        .value_kind:     global_buffer
      - .offset:         72
        .size:           4
        .value_kind:     by_value
      - .offset:         76
        .size:           4
        .value_kind:     by_value
      - .offset:         80
        .size:           4
        .value_kind:     by_value
      - .actual_access:  read_only
        .address_space:  global
        .offset:         88
        .size:           8
        .value_kind:     global_buffer
      - .actual_access:  read_only
        .address_space:  global
        .offset:         96
        .size:           8
        .value_kind:     global_buffer
      - .actual_access:  read_only
        .address_space:  global
        .offset:         104
        .size:           8
        .value_kind:     global_buffer
      - .actual_access:  read_only
        .address_space:  global
        .offset:         112
        .size:           8
        .value_kind:     global_buffer
      - .offset:         120
        .size:           4
        .value_kind:     by_value
      - .address_space:  global
        .offset:         128
        .size:           8
        .value_kind:     global_buffer
      - .address_space:  global
        .offset:         136
        .size:           8
        .value_kind:     global_buffer
      - .offset:         144
        .size:           4
        .value_kind:     hidden_block_count_x
      - .offset:         148
        .size:           4
        .value_kind:     hidden_block_count_y
      - .offset:         152
        .size:           4
        .value_kind:     hidden_block_count_z
      - .offset:         156
        .size:           2
        .value_kind:     hidden_group_size_x
      - .offset:         158
        .size:           2
        .value_kind:     hidden_group_size_y
      - .offset:         160
        .size:           2
        .value_kind:     hidden_group_size_z
      - .offset:         162
        .size:           2
        .value_kind:     hidden_remainder_x
      - .offset:         164
        .size:           2
        .value_kind:     hidden_remainder_y
      - .offset:         166
        .size:           2
        .value_kind:     hidden_remainder_z
      - .offset:         184
        .size:           8
        .value_kind:     hidden_global_offset_x
      - .offset:         192
        .size:           8
        .value_kind:     hidden_global_offset_y
      - .offset:         200
        .size:           8
        .value_kind:     hidden_global_offset_z
      - .offset:         208
        .size:           2
        .value_kind:     hidden_grid_dims
      - .offset:         224
        .size:           8
        .value_kind:     hidden_hostcall_buffer
    .group_segment_fixed_size: 0
    .kernarg_segment_align: 8
    .kernarg_segment_size: 400
    .language:       OpenCL C
    .language_version:
      - 2
      - 0
    .max_flat_workgroup_size: 256
    .name:           _Z38paged_attention_ll4mi_QKV_mfma4_kernelI14__hip_bfloat16S0_LN4vllm18Fp8KVCacheDataTypeE0ES0_Li16ELi128ELi256ELb1ELi2EEvPKT_PKT0_S8_ifPKiSA_SA_iPKfiiiPfSD_PS3_PT2_iSC_SC_
    .private_segment_fixed_size: 64
    .sgpr_count:     36
    .sgpr_spill_count: 0
    .symbol:         _Z38paged_attention_ll4mi_QKV_mfma4_kernelI14__hip_bfloat16S0_LN4vllm18Fp8KVCacheDataTypeE0ES0_Li16ELi128ELi256ELb1ELi2EEvPKT_PKT0_S8_ifPKiSA_SA_iPKfiiiPfSD_PS3_PT2_iSC_SC_.kd
    .uniform_work_group_size: 1
    .uses_dynamic_stack: false
    .vgpr_count:     51
    .vgpr_spill_count: 0
    .wavefront_size: 32
  - .args:
      - .actual_access:  read_only
        .address_space:  global
        .offset:         0
        .size:           8
        .value_kind:     global_buffer
      - .actual_access:  read_only
        .address_space:  global
        .offset:         8
        .size:           8
        .value_kind:     global_buffer
      - .actual_access:  read_only
        .address_space:  global
        .offset:         16
        .size:           8
        .value_kind:     global_buffer
      - .offset:         24
        .size:           4
        .value_kind:     by_value
      - .offset:         28
        .size:           4
        .value_kind:     by_value
      - .actual_access:  read_only
        .address_space:  global
        .offset:         32
        .size:           8
        .value_kind:     global_buffer
      - .actual_access:  read_only
        .address_space:  global
        .offset:         40
        .size:           8
        .value_kind:     global_buffer
      - .actual_access:  read_only
        .address_space:  global
        .offset:         48
        .size:           8
        .value_kind:     global_buffer
      - .offset:         56
        .size:           4
        .value_kind:     by_value
      - .actual_access:  read_only
        .address_space:  global
        .offset:         64
        .size:           8
        .value_kind:     global_buffer
      - .offset:         72
        .size:           4
        .value_kind:     by_value
      - .offset:         76
        .size:           4
        .value_kind:     by_value
      - .offset:         80
        .size:           4
        .value_kind:     by_value
      - .actual_access:  read_only
        .address_space:  global
        .offset:         88
        .size:           8
        .value_kind:     global_buffer
      - .actual_access:  read_only
        .address_space:  global
        .offset:         96
        .size:           8
        .value_kind:     global_buffer
      - .actual_access:  read_only
        .address_space:  global
        .offset:         104
        .size:           8
        .value_kind:     global_buffer
      - .actual_access:  read_only
        .address_space:  global
        .offset:         112
        .size:           8
        .value_kind:     global_buffer
      - .offset:         120
        .size:           4
        .value_kind:     by_value
      - .address_space:  global
        .offset:         128
        .size:           8
        .value_kind:     global_buffer
      - .address_space:  global
        .offset:         136
        .size:           8
        .value_kind:     global_buffer
      - .offset:         144
        .size:           4
        .value_kind:     hidden_block_count_x
      - .offset:         148
        .size:           4
        .value_kind:     hidden_block_count_y
      - .offset:         152
        .size:           4
        .value_kind:     hidden_block_count_z
      - .offset:         156
        .size:           2
        .value_kind:     hidden_group_size_x
      - .offset:         158
        .size:           2
        .value_kind:     hidden_group_size_y
      - .offset:         160
        .size:           2
        .value_kind:     hidden_group_size_z
      - .offset:         162
        .size:           2
        .value_kind:     hidden_remainder_x
      - .offset:         164
        .size:           2
        .value_kind:     hidden_remainder_y
      - .offset:         166
        .size:           2
        .value_kind:     hidden_remainder_z
      - .offset:         184
        .size:           8
        .value_kind:     hidden_global_offset_x
      - .offset:         192
        .size:           8
        .value_kind:     hidden_global_offset_y
      - .offset:         200
        .size:           8
        .value_kind:     hidden_global_offset_z
      - .offset:         208
        .size:           2
        .value_kind:     hidden_grid_dims
      - .offset:         224
        .size:           8
        .value_kind:     hidden_hostcall_buffer
    .group_segment_fixed_size: 0
    .kernarg_segment_align: 8
    .kernarg_segment_size: 400
    .language:       OpenCL C
    .language_version:
      - 2
      - 0
    .max_flat_workgroup_size: 256
    .name:           _Z38paged_attention_ll4mi_QKV_mfma4_kernelI14__hip_bfloat16S0_LN4vllm18Fp8KVCacheDataTypeE0ES0_Li16ELi128ELi256ELb1ELi3EEvPKT_PKT0_S8_ifPKiSA_SA_iPKfiiiPfSD_PS3_PT2_iSC_SC_
    .private_segment_fixed_size: 64
    .sgpr_count:     36
    .sgpr_spill_count: 0
    .symbol:         _Z38paged_attention_ll4mi_QKV_mfma4_kernelI14__hip_bfloat16S0_LN4vllm18Fp8KVCacheDataTypeE0ES0_Li16ELi128ELi256ELb1ELi3EEvPKT_PKT0_S8_ifPKiSA_SA_iPKfiiiPfSD_PS3_PT2_iSC_SC_.kd
    .uniform_work_group_size: 1
    .uses_dynamic_stack: false
    .vgpr_count:     51
    .vgpr_spill_count: 0
    .wavefront_size: 32
  - .args:
      - .actual_access:  read_only
        .address_space:  global
        .offset:         0
        .size:           8
        .value_kind:     global_buffer
      - .actual_access:  read_only
        .address_space:  global
        .offset:         8
        .size:           8
        .value_kind:     global_buffer
      - .actual_access:  read_only
        .address_space:  global
        .offset:         16
        .size:           8
        .value_kind:     global_buffer
      - .offset:         24
        .size:           4
        .value_kind:     by_value
      - .offset:         28
        .size:           4
        .value_kind:     by_value
      - .actual_access:  read_only
        .address_space:  global
        .offset:         32
        .size:           8
        .value_kind:     global_buffer
      - .actual_access:  read_only
        .address_space:  global
        .offset:         40
        .size:           8
        .value_kind:     global_buffer
      - .actual_access:  read_only
        .address_space:  global
        .offset:         48
        .size:           8
        .value_kind:     global_buffer
      - .offset:         56
        .size:           4
        .value_kind:     by_value
      - .actual_access:  read_only
        .address_space:  global
        .offset:         64
        .size:           8
        .value_kind:     global_buffer
      - .offset:         72
        .size:           4
        .value_kind:     by_value
      - .offset:         76
        .size:           4
        .value_kind:     by_value
      - .offset:         80
        .size:           4
        .value_kind:     by_value
      - .actual_access:  read_only
        .address_space:  global
        .offset:         88
        .size:           8
        .value_kind:     global_buffer
      - .actual_access:  read_only
        .address_space:  global
        .offset:         96
        .size:           8
        .value_kind:     global_buffer
      - .actual_access:  read_only
        .address_space:  global
        .offset:         104
        .size:           8
        .value_kind:     global_buffer
      - .actual_access:  read_only
        .address_space:  global
        .offset:         112
        .size:           8
        .value_kind:     global_buffer
      - .offset:         120
        .size:           4
        .value_kind:     by_value
      - .address_space:  global
        .offset:         128
        .size:           8
        .value_kind:     global_buffer
      - .address_space:  global
        .offset:         136
        .size:           8
        .value_kind:     global_buffer
      - .offset:         144
        .size:           4
        .value_kind:     hidden_block_count_x
      - .offset:         148
        .size:           4
        .value_kind:     hidden_block_count_y
      - .offset:         152
        .size:           4
        .value_kind:     hidden_block_count_z
      - .offset:         156
        .size:           2
        .value_kind:     hidden_group_size_x
      - .offset:         158
        .size:           2
        .value_kind:     hidden_group_size_y
      - .offset:         160
        .size:           2
        .value_kind:     hidden_group_size_z
      - .offset:         162
        .size:           2
        .value_kind:     hidden_remainder_x
      - .offset:         164
        .size:           2
        .value_kind:     hidden_remainder_y
      - .offset:         166
        .size:           2
        .value_kind:     hidden_remainder_z
      - .offset:         184
        .size:           8
        .value_kind:     hidden_global_offset_x
      - .offset:         192
        .size:           8
        .value_kind:     hidden_global_offset_y
      - .offset:         200
        .size:           8
        .value_kind:     hidden_global_offset_z
      - .offset:         208
        .size:           2
        .value_kind:     hidden_grid_dims
      - .offset:         224
        .size:           8
        .value_kind:     hidden_hostcall_buffer
    .group_segment_fixed_size: 0
    .kernarg_segment_align: 8
    .kernarg_segment_size: 400
    .language:       OpenCL C
    .language_version:
      - 2
      - 0
    .max_flat_workgroup_size: 256
    .name:           _Z38paged_attention_ll4mi_QKV_mfma4_kernelI14__hip_bfloat16S0_LN4vllm18Fp8KVCacheDataTypeE0ES0_Li16ELi128ELi256ELb1ELi4EEvPKT_PKT0_S8_ifPKiSA_SA_iPKfiiiPfSD_PS3_PT2_iSC_SC_
    .private_segment_fixed_size: 64
    .sgpr_count:     36
    .sgpr_spill_count: 0
    .symbol:         _Z38paged_attention_ll4mi_QKV_mfma4_kernelI14__hip_bfloat16S0_LN4vllm18Fp8KVCacheDataTypeE0ES0_Li16ELi128ELi256ELb1ELi4EEvPKT_PKT0_S8_ifPKiSA_SA_iPKfiiiPfSD_PS3_PT2_iSC_SC_.kd
    .uniform_work_group_size: 1
    .uses_dynamic_stack: false
    .vgpr_count:     51
    .vgpr_spill_count: 0
    .wavefront_size: 32
  - .args:
      - .actual_access:  read_only
        .address_space:  global
        .offset:         0
        .size:           8
        .value_kind:     global_buffer
      - .actual_access:  read_only
        .address_space:  global
        .offset:         8
        .size:           8
        .value_kind:     global_buffer
      - .actual_access:  read_only
        .address_space:  global
        .offset:         16
        .size:           8
        .value_kind:     global_buffer
      - .offset:         24
        .size:           4
        .value_kind:     by_value
      - .offset:         28
        .size:           4
        .value_kind:     by_value
      - .actual_access:  read_only
        .address_space:  global
        .offset:         32
        .size:           8
        .value_kind:     global_buffer
      - .actual_access:  read_only
        .address_space:  global
        .offset:         40
        .size:           8
        .value_kind:     global_buffer
      - .actual_access:  read_only
        .address_space:  global
        .offset:         48
        .size:           8
        .value_kind:     global_buffer
      - .offset:         56
        .size:           4
        .value_kind:     by_value
      - .actual_access:  read_only
        .address_space:  global
        .offset:         64
        .size:           8
        .value_kind:     global_buffer
      - .offset:         72
        .size:           4
        .value_kind:     by_value
      - .offset:         76
        .size:           4
        .value_kind:     by_value
      - .offset:         80
        .size:           4
        .value_kind:     by_value
      - .actual_access:  read_only
        .address_space:  global
        .offset:         88
        .size:           8
        .value_kind:     global_buffer
      - .actual_access:  read_only
        .address_space:  global
        .offset:         96
        .size:           8
        .value_kind:     global_buffer
      - .actual_access:  read_only
        .address_space:  global
        .offset:         104
        .size:           8
        .value_kind:     global_buffer
      - .actual_access:  read_only
        .address_space:  global
        .offset:         112
        .size:           8
        .value_kind:     global_buffer
      - .offset:         120
        .size:           4
        .value_kind:     by_value
      - .address_space:  global
        .offset:         128
        .size:           8
        .value_kind:     global_buffer
      - .address_space:  global
        .offset:         136
        .size:           8
        .value_kind:     global_buffer
      - .offset:         144
        .size:           4
        .value_kind:     hidden_block_count_x
      - .offset:         148
        .size:           4
        .value_kind:     hidden_block_count_y
      - .offset:         152
        .size:           4
        .value_kind:     hidden_block_count_z
      - .offset:         156
        .size:           2
        .value_kind:     hidden_group_size_x
      - .offset:         158
        .size:           2
        .value_kind:     hidden_group_size_y
      - .offset:         160
        .size:           2
        .value_kind:     hidden_group_size_z
      - .offset:         162
        .size:           2
        .value_kind:     hidden_remainder_x
      - .offset:         164
        .size:           2
        .value_kind:     hidden_remainder_y
      - .offset:         166
        .size:           2
        .value_kind:     hidden_remainder_z
      - .offset:         184
        .size:           8
        .value_kind:     hidden_global_offset_x
      - .offset:         192
        .size:           8
        .value_kind:     hidden_global_offset_y
      - .offset:         200
        .size:           8
        .value_kind:     hidden_global_offset_z
      - .offset:         208
        .size:           2
        .value_kind:     hidden_grid_dims
      - .offset:         224
        .size:           8
        .value_kind:     hidden_hostcall_buffer
    .group_segment_fixed_size: 0
    .kernarg_segment_align: 8
    .kernarg_segment_size: 400
    .language:       OpenCL C
    .language_version:
      - 2
      - 0
    .max_flat_workgroup_size: 256
    .name:           _Z39paged_attention_ll4mi_QKV_mfma16_kernelI14__hip_bfloat16S0_LN4vllm18Fp8KVCacheDataTypeE0ES0_Li16ELi128ELi256ELb1ELi5EEvPKT_PKT0_S8_ifPKiSA_SA_iPKfiiiPfSD_PS3_PT2_iSC_SC_
    .private_segment_fixed_size: 64
    .sgpr_count:     36
    .sgpr_spill_count: 0
    .symbol:         _Z39paged_attention_ll4mi_QKV_mfma16_kernelI14__hip_bfloat16S0_LN4vllm18Fp8KVCacheDataTypeE0ES0_Li16ELi128ELi256ELb1ELi5EEvPKT_PKT0_S8_ifPKiSA_SA_iPKfiiiPfSD_PS3_PT2_iSC_SC_.kd
    .uniform_work_group_size: 1
    .uses_dynamic_stack: false
    .vgpr_count:     51
    .vgpr_spill_count: 0
    .wavefront_size: 32
  - .args:
      - .actual_access:  read_only
        .address_space:  global
        .offset:         0
        .size:           8
        .value_kind:     global_buffer
      - .actual_access:  read_only
        .address_space:  global
        .offset:         8
        .size:           8
        .value_kind:     global_buffer
      - .actual_access:  read_only
        .address_space:  global
        .offset:         16
        .size:           8
        .value_kind:     global_buffer
      - .offset:         24
        .size:           4
        .value_kind:     by_value
      - .offset:         28
        .size:           4
        .value_kind:     by_value
      - .actual_access:  read_only
        .address_space:  global
        .offset:         32
        .size:           8
        .value_kind:     global_buffer
      - .actual_access:  read_only
        .address_space:  global
        .offset:         40
        .size:           8
        .value_kind:     global_buffer
      - .actual_access:  read_only
        .address_space:  global
        .offset:         48
        .size:           8
        .value_kind:     global_buffer
      - .offset:         56
        .size:           4
        .value_kind:     by_value
      - .actual_access:  read_only
        .address_space:  global
        .offset:         64
        .size:           8
        .value_kind:     global_buffer
      - .offset:         72
        .size:           4
        .value_kind:     by_value
      - .offset:         76
        .size:           4
        .value_kind:     by_value
      - .offset:         80
        .size:           4
        .value_kind:     by_value
      - .actual_access:  read_only
        .address_space:  global
        .offset:         88
        .size:           8
        .value_kind:     global_buffer
      - .actual_access:  read_only
        .address_space:  global
        .offset:         96
        .size:           8
        .value_kind:     global_buffer
      - .actual_access:  read_only
        .address_space:  global
        .offset:         104
        .size:           8
        .value_kind:     global_buffer
      - .actual_access:  read_only
        .address_space:  global
        .offset:         112
        .size:           8
        .value_kind:     global_buffer
      - .offset:         120
        .size:           4
        .value_kind:     by_value
      - .address_space:  global
        .offset:         128
        .size:           8
        .value_kind:     global_buffer
      - .address_space:  global
        .offset:         136
        .size:           8
        .value_kind:     global_buffer
      - .offset:         144
        .size:           4
        .value_kind:     hidden_block_count_x
      - .offset:         148
        .size:           4
        .value_kind:     hidden_block_count_y
      - .offset:         152
        .size:           4
        .value_kind:     hidden_block_count_z
      - .offset:         156
        .size:           2
        .value_kind:     hidden_group_size_x
      - .offset:         158
        .size:           2
        .value_kind:     hidden_group_size_y
      - .offset:         160
        .size:           2
        .value_kind:     hidden_group_size_z
      - .offset:         162
        .size:           2
        .value_kind:     hidden_remainder_x
      - .offset:         164
        .size:           2
        .value_kind:     hidden_remainder_y
      - .offset:         166
        .size:           2
        .value_kind:     hidden_remainder_z
      - .offset:         184
        .size:           8
        .value_kind:     hidden_global_offset_x
      - .offset:         192
        .size:           8
        .value_kind:     hidden_global_offset_y
      - .offset:         200
        .size:           8
        .value_kind:     hidden_global_offset_z
      - .offset:         208
        .size:           2
        .value_kind:     hidden_grid_dims
      - .offset:         224
        .size:           8
        .value_kind:     hidden_hostcall_buffer
    .group_segment_fixed_size: 0
    .kernarg_segment_align: 8
    .kernarg_segment_size: 400
    .language:       OpenCL C
    .language_version:
      - 2
      - 0
    .max_flat_workgroup_size: 256
    .name:           _Z39paged_attention_ll4mi_QKV_mfma16_kernelI14__hip_bfloat16S0_LN4vllm18Fp8KVCacheDataTypeE0ES0_Li16ELi128ELi256ELb1ELi6EEvPKT_PKT0_S8_ifPKiSA_SA_iPKfiiiPfSD_PS3_PT2_iSC_SC_
    .private_segment_fixed_size: 64
    .sgpr_count:     36
    .sgpr_spill_count: 0
    .symbol:         _Z39paged_attention_ll4mi_QKV_mfma16_kernelI14__hip_bfloat16S0_LN4vllm18Fp8KVCacheDataTypeE0ES0_Li16ELi128ELi256ELb1ELi6EEvPKT_PKT0_S8_ifPKiSA_SA_iPKfiiiPfSD_PS3_PT2_iSC_SC_.kd
    .uniform_work_group_size: 1
    .uses_dynamic_stack: false
    .vgpr_count:     51
    .vgpr_spill_count: 0
    .wavefront_size: 32
  - .args:
      - .actual_access:  read_only
        .address_space:  global
        .offset:         0
        .size:           8
        .value_kind:     global_buffer
      - .actual_access:  read_only
        .address_space:  global
        .offset:         8
        .size:           8
        .value_kind:     global_buffer
      - .actual_access:  read_only
        .address_space:  global
        .offset:         16
        .size:           8
        .value_kind:     global_buffer
      - .offset:         24
        .size:           4
        .value_kind:     by_value
      - .offset:         28
        .size:           4
        .value_kind:     by_value
      - .actual_access:  read_only
        .address_space:  global
        .offset:         32
        .size:           8
        .value_kind:     global_buffer
      - .actual_access:  read_only
        .address_space:  global
        .offset:         40
        .size:           8
        .value_kind:     global_buffer
      - .actual_access:  read_only
        .address_space:  global
        .offset:         48
        .size:           8
        .value_kind:     global_buffer
      - .offset:         56
        .size:           4
        .value_kind:     by_value
      - .actual_access:  read_only
        .address_space:  global
        .offset:         64
        .size:           8
        .value_kind:     global_buffer
      - .offset:         72
        .size:           4
        .value_kind:     by_value
      - .offset:         76
        .size:           4
        .value_kind:     by_value
      - .offset:         80
        .size:           4
        .value_kind:     by_value
      - .actual_access:  read_only
        .address_space:  global
        .offset:         88
        .size:           8
        .value_kind:     global_buffer
      - .actual_access:  read_only
        .address_space:  global
        .offset:         96
        .size:           8
        .value_kind:     global_buffer
      - .actual_access:  read_only
        .address_space:  global
        .offset:         104
        .size:           8
        .value_kind:     global_buffer
      - .actual_access:  read_only
        .address_space:  global
        .offset:         112
        .size:           8
        .value_kind:     global_buffer
      - .offset:         120
        .size:           4
        .value_kind:     by_value
      - .address_space:  global
        .offset:         128
        .size:           8
        .value_kind:     global_buffer
      - .address_space:  global
        .offset:         136
        .size:           8
        .value_kind:     global_buffer
      - .offset:         144
        .size:           4
        .value_kind:     hidden_block_count_x
      - .offset:         148
        .size:           4
        .value_kind:     hidden_block_count_y
      - .offset:         152
        .size:           4
        .value_kind:     hidden_block_count_z
      - .offset:         156
        .size:           2
        .value_kind:     hidden_group_size_x
      - .offset:         158
        .size:           2
        .value_kind:     hidden_group_size_y
      - .offset:         160
        .size:           2
        .value_kind:     hidden_group_size_z
      - .offset:         162
        .size:           2
        .value_kind:     hidden_remainder_x
      - .offset:         164
        .size:           2
        .value_kind:     hidden_remainder_y
      - .offset:         166
        .size:           2
        .value_kind:     hidden_remainder_z
      - .offset:         184
        .size:           8
        .value_kind:     hidden_global_offset_x
      - .offset:         192
        .size:           8
        .value_kind:     hidden_global_offset_y
      - .offset:         200
        .size:           8
        .value_kind:     hidden_global_offset_z
      - .offset:         208
        .size:           2
        .value_kind:     hidden_grid_dims
      - .offset:         224
        .size:           8
        .value_kind:     hidden_hostcall_buffer
    .group_segment_fixed_size: 0
    .kernarg_segment_align: 8
    .kernarg_segment_size: 400
    .language:       OpenCL C
    .language_version:
      - 2
      - 0
    .max_flat_workgroup_size: 256
    .name:           _Z39paged_attention_ll4mi_QKV_mfma16_kernelI14__hip_bfloat16S0_LN4vllm18Fp8KVCacheDataTypeE0ES0_Li16ELi128ELi256ELb1ELi7EEvPKT_PKT0_S8_ifPKiSA_SA_iPKfiiiPfSD_PS3_PT2_iSC_SC_
    .private_segment_fixed_size: 64
    .sgpr_count:     36
    .sgpr_spill_count: 0
    .symbol:         _Z39paged_attention_ll4mi_QKV_mfma16_kernelI14__hip_bfloat16S0_LN4vllm18Fp8KVCacheDataTypeE0ES0_Li16ELi128ELi256ELb1ELi7EEvPKT_PKT0_S8_ifPKiSA_SA_iPKfiiiPfSD_PS3_PT2_iSC_SC_.kd
    .uniform_work_group_size: 1
    .uses_dynamic_stack: false
    .vgpr_count:     51
    .vgpr_spill_count: 0
    .wavefront_size: 32
  - .args:
      - .actual_access:  read_only
        .address_space:  global
        .offset:         0
        .size:           8
        .value_kind:     global_buffer
      - .actual_access:  read_only
        .address_space:  global
        .offset:         8
        .size:           8
        .value_kind:     global_buffer
      - .actual_access:  read_only
        .address_space:  global
        .offset:         16
        .size:           8
        .value_kind:     global_buffer
      - .offset:         24
        .size:           4
        .value_kind:     by_value
      - .offset:         28
        .size:           4
        .value_kind:     by_value
      - .actual_access:  read_only
        .address_space:  global
        .offset:         32
        .size:           8
        .value_kind:     global_buffer
      - .actual_access:  read_only
        .address_space:  global
        .offset:         40
        .size:           8
        .value_kind:     global_buffer
      - .actual_access:  read_only
        .address_space:  global
        .offset:         48
        .size:           8
        .value_kind:     global_buffer
      - .offset:         56
        .size:           4
        .value_kind:     by_value
      - .actual_access:  read_only
        .address_space:  global
        .offset:         64
        .size:           8
        .value_kind:     global_buffer
      - .offset:         72
        .size:           4
        .value_kind:     by_value
      - .offset:         76
        .size:           4
        .value_kind:     by_value
      - .offset:         80
        .size:           4
        .value_kind:     by_value
      - .actual_access:  read_only
        .address_space:  global
        .offset:         88
        .size:           8
        .value_kind:     global_buffer
      - .actual_access:  read_only
        .address_space:  global
        .offset:         96
        .size:           8
        .value_kind:     global_buffer
      - .actual_access:  read_only
        .address_space:  global
        .offset:         104
        .size:           8
        .value_kind:     global_buffer
      - .actual_access:  read_only
        .address_space:  global
        .offset:         112
        .size:           8
        .value_kind:     global_buffer
      - .offset:         120
        .size:           4
        .value_kind:     by_value
      - .address_space:  global
        .offset:         128
        .size:           8
        .value_kind:     global_buffer
      - .address_space:  global
        .offset:         136
        .size:           8
        .value_kind:     global_buffer
      - .offset:         144
        .size:           4
        .value_kind:     hidden_block_count_x
      - .offset:         148
        .size:           4
        .value_kind:     hidden_block_count_y
      - .offset:         152
        .size:           4
        .value_kind:     hidden_block_count_z
      - .offset:         156
        .size:           2
        .value_kind:     hidden_group_size_x
      - .offset:         158
        .size:           2
        .value_kind:     hidden_group_size_y
      - .offset:         160
        .size:           2
        .value_kind:     hidden_group_size_z
      - .offset:         162
        .size:           2
        .value_kind:     hidden_remainder_x
      - .offset:         164
        .size:           2
        .value_kind:     hidden_remainder_y
      - .offset:         166
        .size:           2
        .value_kind:     hidden_remainder_z
      - .offset:         184
        .size:           8
        .value_kind:     hidden_global_offset_x
      - .offset:         192
        .size:           8
        .value_kind:     hidden_global_offset_y
      - .offset:         200
        .size:           8
        .value_kind:     hidden_global_offset_z
      - .offset:         208
        .size:           2
        .value_kind:     hidden_grid_dims
      - .offset:         224
        .size:           8
        .value_kind:     hidden_hostcall_buffer
    .group_segment_fixed_size: 0
    .kernarg_segment_align: 8
    .kernarg_segment_size: 400
    .language:       OpenCL C
    .language_version:
      - 2
      - 0
    .max_flat_workgroup_size: 256
    .name:           _Z39paged_attention_ll4mi_QKV_mfma16_kernelI14__hip_bfloat16S0_LN4vllm18Fp8KVCacheDataTypeE0ES0_Li16ELi128ELi256ELb1ELi8EEvPKT_PKT0_S8_ifPKiSA_SA_iPKfiiiPfSD_PS3_PT2_iSC_SC_
    .private_segment_fixed_size: 64
    .sgpr_count:     36
    .sgpr_spill_count: 0
    .symbol:         _Z39paged_attention_ll4mi_QKV_mfma16_kernelI14__hip_bfloat16S0_LN4vllm18Fp8KVCacheDataTypeE0ES0_Li16ELi128ELi256ELb1ELi8EEvPKT_PKT0_S8_ifPKiSA_SA_iPKfiiiPfSD_PS3_PT2_iSC_SC_.kd
    .uniform_work_group_size: 1
    .uses_dynamic_stack: false
    .vgpr_count:     51
    .vgpr_spill_count: 0
    .wavefront_size: 32
  - .args:
      - .actual_access:  read_only
        .address_space:  global
        .offset:         0
        .size:           8
        .value_kind:     global_buffer
      - .actual_access:  read_only
        .address_space:  global
        .offset:         8
        .size:           8
        .value_kind:     global_buffer
      - .actual_access:  read_only
        .address_space:  global
        .offset:         16
        .size:           8
        .value_kind:     global_buffer
      - .offset:         24
        .size:           4
        .value_kind:     by_value
      - .offset:         28
        .size:           4
        .value_kind:     by_value
      - .actual_access:  read_only
        .address_space:  global
        .offset:         32
        .size:           8
        .value_kind:     global_buffer
      - .actual_access:  read_only
        .address_space:  global
        .offset:         40
        .size:           8
        .value_kind:     global_buffer
      - .actual_access:  read_only
        .address_space:  global
        .offset:         48
        .size:           8
        .value_kind:     global_buffer
      - .offset:         56
        .size:           4
        .value_kind:     by_value
      - .actual_access:  read_only
        .address_space:  global
        .offset:         64
        .size:           8
        .value_kind:     global_buffer
      - .offset:         72
        .size:           4
        .value_kind:     by_value
      - .offset:         76
        .size:           4
        .value_kind:     by_value
      - .offset:         80
        .size:           4
        .value_kind:     by_value
      - .actual_access:  read_only
        .address_space:  global
        .offset:         88
        .size:           8
        .value_kind:     global_buffer
      - .actual_access:  read_only
        .address_space:  global
        .offset:         96
        .size:           8
        .value_kind:     global_buffer
      - .actual_access:  read_only
        .address_space:  global
        .offset:         104
        .size:           8
        .value_kind:     global_buffer
      - .actual_access:  read_only
        .address_space:  global
        .offset:         112
        .size:           8
        .value_kind:     global_buffer
      - .offset:         120
        .size:           4
        .value_kind:     by_value
      - .address_space:  global
        .offset:         128
        .size:           8
        .value_kind:     global_buffer
      - .address_space:  global
        .offset:         136
        .size:           8
        .value_kind:     global_buffer
      - .offset:         144
        .size:           4
        .value_kind:     hidden_block_count_x
      - .offset:         148
        .size:           4
        .value_kind:     hidden_block_count_y
      - .offset:         152
        .size:           4
        .value_kind:     hidden_block_count_z
      - .offset:         156
        .size:           2
        .value_kind:     hidden_group_size_x
      - .offset:         158
        .size:           2
        .value_kind:     hidden_group_size_y
      - .offset:         160
        .size:           2
        .value_kind:     hidden_group_size_z
      - .offset:         162
        .size:           2
        .value_kind:     hidden_remainder_x
      - .offset:         164
        .size:           2
        .value_kind:     hidden_remainder_y
      - .offset:         166
        .size:           2
        .value_kind:     hidden_remainder_z
      - .offset:         184
        .size:           8
        .value_kind:     hidden_global_offset_x
      - .offset:         192
        .size:           8
        .value_kind:     hidden_global_offset_y
      - .offset:         200
        .size:           8
        .value_kind:     hidden_global_offset_z
      - .offset:         208
        .size:           2
        .value_kind:     hidden_grid_dims
      - .offset:         224
        .size:           8
        .value_kind:     hidden_hostcall_buffer
    .group_segment_fixed_size: 0
    .kernarg_segment_align: 8
    .kernarg_segment_size: 400
    .language:       OpenCL C
    .language_version:
      - 2
      - 0
    .max_flat_workgroup_size: 256
    .name:           _Z39paged_attention_ll4mi_QKV_mfma16_kernelI14__hip_bfloat16S0_LN4vllm18Fp8KVCacheDataTypeE0ES0_Li16ELi128ELi256ELb1ELi9EEvPKT_PKT0_S8_ifPKiSA_SA_iPKfiiiPfSD_PS3_PT2_iSC_SC_
    .private_segment_fixed_size: 64
    .sgpr_count:     36
    .sgpr_spill_count: 0
    .symbol:         _Z39paged_attention_ll4mi_QKV_mfma16_kernelI14__hip_bfloat16S0_LN4vllm18Fp8KVCacheDataTypeE0ES0_Li16ELi128ELi256ELb1ELi9EEvPKT_PKT0_S8_ifPKiSA_SA_iPKfiiiPfSD_PS3_PT2_iSC_SC_.kd
    .uniform_work_group_size: 1
    .uses_dynamic_stack: false
    .vgpr_count:     51
    .vgpr_spill_count: 0
    .wavefront_size: 32
  - .args:
      - .actual_access:  read_only
        .address_space:  global
        .offset:         0
        .size:           8
        .value_kind:     global_buffer
      - .actual_access:  read_only
        .address_space:  global
        .offset:         8
        .size:           8
        .value_kind:     global_buffer
      - .actual_access:  read_only
        .address_space:  global
        .offset:         16
        .size:           8
        .value_kind:     global_buffer
      - .offset:         24
        .size:           4
        .value_kind:     by_value
      - .offset:         28
        .size:           4
        .value_kind:     by_value
      - .actual_access:  read_only
        .address_space:  global
        .offset:         32
        .size:           8
        .value_kind:     global_buffer
      - .actual_access:  read_only
        .address_space:  global
        .offset:         40
        .size:           8
        .value_kind:     global_buffer
      - .actual_access:  read_only
        .address_space:  global
        .offset:         48
        .size:           8
        .value_kind:     global_buffer
      - .offset:         56
        .size:           4
        .value_kind:     by_value
      - .actual_access:  read_only
        .address_space:  global
        .offset:         64
        .size:           8
        .value_kind:     global_buffer
      - .offset:         72
        .size:           4
        .value_kind:     by_value
      - .offset:         76
        .size:           4
        .value_kind:     by_value
      - .offset:         80
        .size:           4
        .value_kind:     by_value
      - .actual_access:  read_only
        .address_space:  global
        .offset:         88
        .size:           8
        .value_kind:     global_buffer
      - .actual_access:  read_only
        .address_space:  global
        .offset:         96
        .size:           8
        .value_kind:     global_buffer
      - .actual_access:  read_only
        .address_space:  global
        .offset:         104
        .size:           8
        .value_kind:     global_buffer
      - .actual_access:  read_only
        .address_space:  global
        .offset:         112
        .size:           8
        .value_kind:     global_buffer
      - .offset:         120
        .size:           4
        .value_kind:     by_value
      - .address_space:  global
        .offset:         128
        .size:           8
        .value_kind:     global_buffer
      - .address_space:  global
        .offset:         136
        .size:           8
        .value_kind:     global_buffer
      - .offset:         144
        .size:           4
        .value_kind:     hidden_block_count_x
      - .offset:         148
        .size:           4
        .value_kind:     hidden_block_count_y
      - .offset:         152
        .size:           4
        .value_kind:     hidden_block_count_z
      - .offset:         156
        .size:           2
        .value_kind:     hidden_group_size_x
      - .offset:         158
        .size:           2
        .value_kind:     hidden_group_size_y
      - .offset:         160
        .size:           2
        .value_kind:     hidden_group_size_z
      - .offset:         162
        .size:           2
        .value_kind:     hidden_remainder_x
      - .offset:         164
        .size:           2
        .value_kind:     hidden_remainder_y
      - .offset:         166
        .size:           2
        .value_kind:     hidden_remainder_z
      - .offset:         184
        .size:           8
        .value_kind:     hidden_global_offset_x
      - .offset:         192
        .size:           8
        .value_kind:     hidden_global_offset_y
      - .offset:         200
        .size:           8
        .value_kind:     hidden_global_offset_z
      - .offset:         208
        .size:           2
        .value_kind:     hidden_grid_dims
      - .offset:         224
        .size:           8
        .value_kind:     hidden_hostcall_buffer
    .group_segment_fixed_size: 0
    .kernarg_segment_align: 8
    .kernarg_segment_size: 400
    .language:       OpenCL C
    .language_version:
      - 2
      - 0
    .max_flat_workgroup_size: 256
    .name:           _Z39paged_attention_ll4mi_QKV_mfma16_kernelI14__hip_bfloat16S0_LN4vllm18Fp8KVCacheDataTypeE0ES0_Li16ELi128ELi256ELb1ELi10EEvPKT_PKT0_S8_ifPKiSA_SA_iPKfiiiPfSD_PS3_PT2_iSC_SC_
    .private_segment_fixed_size: 64
    .sgpr_count:     36
    .sgpr_spill_count: 0
    .symbol:         _Z39paged_attention_ll4mi_QKV_mfma16_kernelI14__hip_bfloat16S0_LN4vllm18Fp8KVCacheDataTypeE0ES0_Li16ELi128ELi256ELb1ELi10EEvPKT_PKT0_S8_ifPKiSA_SA_iPKfiiiPfSD_PS3_PT2_iSC_SC_.kd
    .uniform_work_group_size: 1
    .uses_dynamic_stack: false
    .vgpr_count:     51
    .vgpr_spill_count: 0
    .wavefront_size: 32
  - .args:
      - .actual_access:  read_only
        .address_space:  global
        .offset:         0
        .size:           8
        .value_kind:     global_buffer
      - .actual_access:  read_only
        .address_space:  global
        .offset:         8
        .size:           8
        .value_kind:     global_buffer
      - .actual_access:  read_only
        .address_space:  global
        .offset:         16
        .size:           8
        .value_kind:     global_buffer
      - .offset:         24
        .size:           4
        .value_kind:     by_value
      - .offset:         28
        .size:           4
        .value_kind:     by_value
      - .actual_access:  read_only
        .address_space:  global
        .offset:         32
        .size:           8
        .value_kind:     global_buffer
      - .actual_access:  read_only
        .address_space:  global
        .offset:         40
        .size:           8
        .value_kind:     global_buffer
      - .actual_access:  read_only
        .address_space:  global
        .offset:         48
        .size:           8
        .value_kind:     global_buffer
      - .offset:         56
        .size:           4
        .value_kind:     by_value
      - .actual_access:  read_only
        .address_space:  global
        .offset:         64
        .size:           8
        .value_kind:     global_buffer
      - .offset:         72
        .size:           4
        .value_kind:     by_value
      - .offset:         76
        .size:           4
        .value_kind:     by_value
      - .offset:         80
        .size:           4
        .value_kind:     by_value
      - .actual_access:  read_only
        .address_space:  global
        .offset:         88
        .size:           8
        .value_kind:     global_buffer
      - .actual_access:  read_only
        .address_space:  global
        .offset:         96
        .size:           8
        .value_kind:     global_buffer
      - .actual_access:  read_only
        .address_space:  global
        .offset:         104
        .size:           8
        .value_kind:     global_buffer
      - .actual_access:  read_only
        .address_space:  global
        .offset:         112
        .size:           8
        .value_kind:     global_buffer
      - .offset:         120
        .size:           4
        .value_kind:     by_value
      - .address_space:  global
        .offset:         128
        .size:           8
        .value_kind:     global_buffer
      - .address_space:  global
        .offset:         136
        .size:           8
        .value_kind:     global_buffer
      - .offset:         144
        .size:           4
        .value_kind:     hidden_block_count_x
      - .offset:         148
        .size:           4
        .value_kind:     hidden_block_count_y
      - .offset:         152
        .size:           4
        .value_kind:     hidden_block_count_z
      - .offset:         156
        .size:           2
        .value_kind:     hidden_group_size_x
      - .offset:         158
        .size:           2
        .value_kind:     hidden_group_size_y
      - .offset:         160
        .size:           2
        .value_kind:     hidden_group_size_z
      - .offset:         162
        .size:           2
        .value_kind:     hidden_remainder_x
      - .offset:         164
        .size:           2
        .value_kind:     hidden_remainder_y
      - .offset:         166
        .size:           2
        .value_kind:     hidden_remainder_z
      - .offset:         184
        .size:           8
        .value_kind:     hidden_global_offset_x
      - .offset:         192
        .size:           8
        .value_kind:     hidden_global_offset_y
      - .offset:         200
        .size:           8
        .value_kind:     hidden_global_offset_z
      - .offset:         208
        .size:           2
        .value_kind:     hidden_grid_dims
      - .offset:         224
        .size:           8
        .value_kind:     hidden_hostcall_buffer
    .group_segment_fixed_size: 0
    .kernarg_segment_align: 8
    .kernarg_segment_size: 400
    .language:       OpenCL C
    .language_version:
      - 2
      - 0
    .max_flat_workgroup_size: 256
    .name:           _Z39paged_attention_ll4mi_QKV_mfma16_kernelI14__hip_bfloat16S0_LN4vllm18Fp8KVCacheDataTypeE0ES0_Li16ELi128ELi256ELb1ELi11EEvPKT_PKT0_S8_ifPKiSA_SA_iPKfiiiPfSD_PS3_PT2_iSC_SC_
    .private_segment_fixed_size: 64
    .sgpr_count:     36
    .sgpr_spill_count: 0
    .symbol:         _Z39paged_attention_ll4mi_QKV_mfma16_kernelI14__hip_bfloat16S0_LN4vllm18Fp8KVCacheDataTypeE0ES0_Li16ELi128ELi256ELb1ELi11EEvPKT_PKT0_S8_ifPKiSA_SA_iPKfiiiPfSD_PS3_PT2_iSC_SC_.kd
    .uniform_work_group_size: 1
    .uses_dynamic_stack: false
    .vgpr_count:     51
    .vgpr_spill_count: 0
    .wavefront_size: 32
  - .args:
      - .actual_access:  read_only
        .address_space:  global
        .offset:         0
        .size:           8
        .value_kind:     global_buffer
      - .actual_access:  read_only
        .address_space:  global
        .offset:         8
        .size:           8
        .value_kind:     global_buffer
      - .actual_access:  read_only
        .address_space:  global
        .offset:         16
        .size:           8
        .value_kind:     global_buffer
      - .offset:         24
        .size:           4
        .value_kind:     by_value
      - .offset:         28
        .size:           4
        .value_kind:     by_value
      - .actual_access:  read_only
        .address_space:  global
        .offset:         32
        .size:           8
        .value_kind:     global_buffer
      - .actual_access:  read_only
        .address_space:  global
        .offset:         40
        .size:           8
        .value_kind:     global_buffer
      - .actual_access:  read_only
        .address_space:  global
        .offset:         48
        .size:           8
        .value_kind:     global_buffer
      - .offset:         56
        .size:           4
        .value_kind:     by_value
      - .actual_access:  read_only
        .address_space:  global
        .offset:         64
        .size:           8
        .value_kind:     global_buffer
      - .offset:         72
        .size:           4
        .value_kind:     by_value
      - .offset:         76
        .size:           4
        .value_kind:     by_value
      - .offset:         80
        .size:           4
        .value_kind:     by_value
      - .actual_access:  read_only
        .address_space:  global
        .offset:         88
        .size:           8
        .value_kind:     global_buffer
      - .actual_access:  read_only
        .address_space:  global
        .offset:         96
        .size:           8
        .value_kind:     global_buffer
      - .actual_access:  read_only
        .address_space:  global
        .offset:         104
        .size:           8
        .value_kind:     global_buffer
      - .actual_access:  read_only
        .address_space:  global
        .offset:         112
        .size:           8
        .value_kind:     global_buffer
      - .offset:         120
        .size:           4
        .value_kind:     by_value
      - .address_space:  global
        .offset:         128
        .size:           8
        .value_kind:     global_buffer
      - .address_space:  global
        .offset:         136
        .size:           8
        .value_kind:     global_buffer
      - .offset:         144
        .size:           4
        .value_kind:     hidden_block_count_x
      - .offset:         148
        .size:           4
        .value_kind:     hidden_block_count_y
      - .offset:         152
        .size:           4
        .value_kind:     hidden_block_count_z
      - .offset:         156
        .size:           2
        .value_kind:     hidden_group_size_x
      - .offset:         158
        .size:           2
        .value_kind:     hidden_group_size_y
      - .offset:         160
        .size:           2
        .value_kind:     hidden_group_size_z
      - .offset:         162
        .size:           2
        .value_kind:     hidden_remainder_x
      - .offset:         164
        .size:           2
        .value_kind:     hidden_remainder_y
      - .offset:         166
        .size:           2
        .value_kind:     hidden_remainder_z
      - .offset:         184
        .size:           8
        .value_kind:     hidden_global_offset_x
      - .offset:         192
        .size:           8
        .value_kind:     hidden_global_offset_y
      - .offset:         200
        .size:           8
        .value_kind:     hidden_global_offset_z
      - .offset:         208
        .size:           2
        .value_kind:     hidden_grid_dims
      - .offset:         224
        .size:           8
        .value_kind:     hidden_hostcall_buffer
    .group_segment_fixed_size: 0
    .kernarg_segment_align: 8
    .kernarg_segment_size: 400
    .language:       OpenCL C
    .language_version:
      - 2
      - 0
    .max_flat_workgroup_size: 256
    .name:           _Z39paged_attention_ll4mi_QKV_mfma16_kernelI14__hip_bfloat16S0_LN4vllm18Fp8KVCacheDataTypeE0ES0_Li16ELi128ELi256ELb1ELi12EEvPKT_PKT0_S8_ifPKiSA_SA_iPKfiiiPfSD_PS3_PT2_iSC_SC_
    .private_segment_fixed_size: 64
    .sgpr_count:     36
    .sgpr_spill_count: 0
    .symbol:         _Z39paged_attention_ll4mi_QKV_mfma16_kernelI14__hip_bfloat16S0_LN4vllm18Fp8KVCacheDataTypeE0ES0_Li16ELi128ELi256ELb1ELi12EEvPKT_PKT0_S8_ifPKiSA_SA_iPKfiiiPfSD_PS3_PT2_iSC_SC_.kd
    .uniform_work_group_size: 1
    .uses_dynamic_stack: false
    .vgpr_count:     51
    .vgpr_spill_count: 0
    .wavefront_size: 32
  - .args:
      - .actual_access:  read_only
        .address_space:  global
        .offset:         0
        .size:           8
        .value_kind:     global_buffer
      - .actual_access:  read_only
        .address_space:  global
        .offset:         8
        .size:           8
        .value_kind:     global_buffer
      - .actual_access:  read_only
        .address_space:  global
        .offset:         16
        .size:           8
        .value_kind:     global_buffer
      - .offset:         24
        .size:           4
        .value_kind:     by_value
      - .offset:         28
        .size:           4
        .value_kind:     by_value
      - .actual_access:  read_only
        .address_space:  global
        .offset:         32
        .size:           8
        .value_kind:     global_buffer
      - .actual_access:  read_only
        .address_space:  global
        .offset:         40
        .size:           8
        .value_kind:     global_buffer
      - .actual_access:  read_only
        .address_space:  global
        .offset:         48
        .size:           8
        .value_kind:     global_buffer
      - .offset:         56
        .size:           4
        .value_kind:     by_value
      - .actual_access:  read_only
        .address_space:  global
        .offset:         64
        .size:           8
        .value_kind:     global_buffer
      - .offset:         72
        .size:           4
        .value_kind:     by_value
      - .offset:         76
        .size:           4
        .value_kind:     by_value
      - .offset:         80
        .size:           4
        .value_kind:     by_value
      - .actual_access:  read_only
        .address_space:  global
        .offset:         88
        .size:           8
        .value_kind:     global_buffer
      - .actual_access:  read_only
        .address_space:  global
        .offset:         96
        .size:           8
        .value_kind:     global_buffer
      - .actual_access:  read_only
        .address_space:  global
        .offset:         104
        .size:           8
        .value_kind:     global_buffer
      - .actual_access:  read_only
        .address_space:  global
        .offset:         112
        .size:           8
        .value_kind:     global_buffer
      - .offset:         120
        .size:           4
        .value_kind:     by_value
      - .address_space:  global
        .offset:         128
        .size:           8
        .value_kind:     global_buffer
      - .address_space:  global
        .offset:         136
        .size:           8
        .value_kind:     global_buffer
      - .offset:         144
        .size:           4
        .value_kind:     hidden_block_count_x
      - .offset:         148
        .size:           4
        .value_kind:     hidden_block_count_y
      - .offset:         152
        .size:           4
        .value_kind:     hidden_block_count_z
      - .offset:         156
        .size:           2
        .value_kind:     hidden_group_size_x
      - .offset:         158
        .size:           2
        .value_kind:     hidden_group_size_y
      - .offset:         160
        .size:           2
        .value_kind:     hidden_group_size_z
      - .offset:         162
        .size:           2
        .value_kind:     hidden_remainder_x
      - .offset:         164
        .size:           2
        .value_kind:     hidden_remainder_y
      - .offset:         166
        .size:           2
        .value_kind:     hidden_remainder_z
      - .offset:         184
        .size:           8
        .value_kind:     hidden_global_offset_x
      - .offset:         192
        .size:           8
        .value_kind:     hidden_global_offset_y
      - .offset:         200
        .size:           8
        .value_kind:     hidden_global_offset_z
      - .offset:         208
        .size:           2
        .value_kind:     hidden_grid_dims
      - .offset:         224
        .size:           8
        .value_kind:     hidden_hostcall_buffer
    .group_segment_fixed_size: 0
    .kernarg_segment_align: 8
    .kernarg_segment_size: 400
    .language:       OpenCL C
    .language_version:
      - 2
      - 0
    .max_flat_workgroup_size: 256
    .name:           _Z39paged_attention_ll4mi_QKV_mfma16_kernelI14__hip_bfloat16S0_LN4vllm18Fp8KVCacheDataTypeE0ES0_Li16ELi128ELi256ELb1ELi13EEvPKT_PKT0_S8_ifPKiSA_SA_iPKfiiiPfSD_PS3_PT2_iSC_SC_
    .private_segment_fixed_size: 64
    .sgpr_count:     36
    .sgpr_spill_count: 0
    .symbol:         _Z39paged_attention_ll4mi_QKV_mfma16_kernelI14__hip_bfloat16S0_LN4vllm18Fp8KVCacheDataTypeE0ES0_Li16ELi128ELi256ELb1ELi13EEvPKT_PKT0_S8_ifPKiSA_SA_iPKfiiiPfSD_PS3_PT2_iSC_SC_.kd
    .uniform_work_group_size: 1
    .uses_dynamic_stack: false
    .vgpr_count:     51
    .vgpr_spill_count: 0
    .wavefront_size: 32
  - .args:
      - .actual_access:  read_only
        .address_space:  global
        .offset:         0
        .size:           8
        .value_kind:     global_buffer
      - .actual_access:  read_only
        .address_space:  global
        .offset:         8
        .size:           8
        .value_kind:     global_buffer
      - .actual_access:  read_only
        .address_space:  global
        .offset:         16
        .size:           8
        .value_kind:     global_buffer
      - .offset:         24
        .size:           4
        .value_kind:     by_value
      - .offset:         28
        .size:           4
        .value_kind:     by_value
      - .actual_access:  read_only
        .address_space:  global
        .offset:         32
        .size:           8
        .value_kind:     global_buffer
      - .actual_access:  read_only
        .address_space:  global
        .offset:         40
        .size:           8
        .value_kind:     global_buffer
      - .actual_access:  read_only
        .address_space:  global
        .offset:         48
        .size:           8
        .value_kind:     global_buffer
      - .offset:         56
        .size:           4
        .value_kind:     by_value
      - .actual_access:  read_only
        .address_space:  global
        .offset:         64
        .size:           8
        .value_kind:     global_buffer
      - .offset:         72
        .size:           4
        .value_kind:     by_value
      - .offset:         76
        .size:           4
        .value_kind:     by_value
      - .offset:         80
        .size:           4
        .value_kind:     by_value
      - .actual_access:  read_only
        .address_space:  global
        .offset:         88
        .size:           8
        .value_kind:     global_buffer
      - .actual_access:  read_only
        .address_space:  global
        .offset:         96
        .size:           8
        .value_kind:     global_buffer
      - .actual_access:  read_only
        .address_space:  global
        .offset:         104
        .size:           8
        .value_kind:     global_buffer
      - .actual_access:  read_only
        .address_space:  global
        .offset:         112
        .size:           8
        .value_kind:     global_buffer
      - .offset:         120
        .size:           4
        .value_kind:     by_value
      - .address_space:  global
        .offset:         128
        .size:           8
        .value_kind:     global_buffer
      - .address_space:  global
        .offset:         136
        .size:           8
        .value_kind:     global_buffer
      - .offset:         144
        .size:           4
        .value_kind:     hidden_block_count_x
      - .offset:         148
        .size:           4
        .value_kind:     hidden_block_count_y
      - .offset:         152
        .size:           4
        .value_kind:     hidden_block_count_z
      - .offset:         156
        .size:           2
        .value_kind:     hidden_group_size_x
      - .offset:         158
        .size:           2
        .value_kind:     hidden_group_size_y
      - .offset:         160
        .size:           2
        .value_kind:     hidden_group_size_z
      - .offset:         162
        .size:           2
        .value_kind:     hidden_remainder_x
      - .offset:         164
        .size:           2
        .value_kind:     hidden_remainder_y
      - .offset:         166
        .size:           2
        .value_kind:     hidden_remainder_z
      - .offset:         184
        .size:           8
        .value_kind:     hidden_global_offset_x
      - .offset:         192
        .size:           8
        .value_kind:     hidden_global_offset_y
      - .offset:         200
        .size:           8
        .value_kind:     hidden_global_offset_z
      - .offset:         208
        .size:           2
        .value_kind:     hidden_grid_dims
      - .offset:         224
        .size:           8
        .value_kind:     hidden_hostcall_buffer
    .group_segment_fixed_size: 0
    .kernarg_segment_align: 8
    .kernarg_segment_size: 400
    .language:       OpenCL C
    .language_version:
      - 2
      - 0
    .max_flat_workgroup_size: 256
    .name:           _Z39paged_attention_ll4mi_QKV_mfma16_kernelI14__hip_bfloat16S0_LN4vllm18Fp8KVCacheDataTypeE0ES0_Li16ELi128ELi256ELb1ELi14EEvPKT_PKT0_S8_ifPKiSA_SA_iPKfiiiPfSD_PS3_PT2_iSC_SC_
    .private_segment_fixed_size: 64
    .sgpr_count:     36
    .sgpr_spill_count: 0
    .symbol:         _Z39paged_attention_ll4mi_QKV_mfma16_kernelI14__hip_bfloat16S0_LN4vllm18Fp8KVCacheDataTypeE0ES0_Li16ELi128ELi256ELb1ELi14EEvPKT_PKT0_S8_ifPKiSA_SA_iPKfiiiPfSD_PS3_PT2_iSC_SC_.kd
    .uniform_work_group_size: 1
    .uses_dynamic_stack: false
    .vgpr_count:     51
    .vgpr_spill_count: 0
    .wavefront_size: 32
  - .args:
      - .actual_access:  read_only
        .address_space:  global
        .offset:         0
        .size:           8
        .value_kind:     global_buffer
      - .actual_access:  read_only
        .address_space:  global
        .offset:         8
        .size:           8
        .value_kind:     global_buffer
      - .actual_access:  read_only
        .address_space:  global
        .offset:         16
        .size:           8
        .value_kind:     global_buffer
      - .offset:         24
        .size:           4
        .value_kind:     by_value
      - .offset:         28
        .size:           4
        .value_kind:     by_value
      - .actual_access:  read_only
        .address_space:  global
        .offset:         32
        .size:           8
        .value_kind:     global_buffer
      - .actual_access:  read_only
        .address_space:  global
        .offset:         40
        .size:           8
        .value_kind:     global_buffer
      - .actual_access:  read_only
        .address_space:  global
        .offset:         48
        .size:           8
        .value_kind:     global_buffer
      - .offset:         56
        .size:           4
        .value_kind:     by_value
      - .actual_access:  read_only
        .address_space:  global
        .offset:         64
        .size:           8
        .value_kind:     global_buffer
      - .offset:         72
        .size:           4
        .value_kind:     by_value
      - .offset:         76
        .size:           4
        .value_kind:     by_value
      - .offset:         80
        .size:           4
        .value_kind:     by_value
      - .actual_access:  read_only
        .address_space:  global
        .offset:         88
        .size:           8
        .value_kind:     global_buffer
      - .actual_access:  read_only
        .address_space:  global
        .offset:         96
        .size:           8
        .value_kind:     global_buffer
      - .actual_access:  read_only
        .address_space:  global
        .offset:         104
        .size:           8
        .value_kind:     global_buffer
      - .actual_access:  read_only
        .address_space:  global
        .offset:         112
        .size:           8
        .value_kind:     global_buffer
      - .offset:         120
        .size:           4
        .value_kind:     by_value
      - .address_space:  global
        .offset:         128
        .size:           8
        .value_kind:     global_buffer
      - .address_space:  global
        .offset:         136
        .size:           8
        .value_kind:     global_buffer
      - .offset:         144
        .size:           4
        .value_kind:     hidden_block_count_x
      - .offset:         148
        .size:           4
        .value_kind:     hidden_block_count_y
      - .offset:         152
        .size:           4
        .value_kind:     hidden_block_count_z
      - .offset:         156
        .size:           2
        .value_kind:     hidden_group_size_x
      - .offset:         158
        .size:           2
        .value_kind:     hidden_group_size_y
      - .offset:         160
        .size:           2
        .value_kind:     hidden_group_size_z
      - .offset:         162
        .size:           2
        .value_kind:     hidden_remainder_x
      - .offset:         164
        .size:           2
        .value_kind:     hidden_remainder_y
      - .offset:         166
        .size:           2
        .value_kind:     hidden_remainder_z
      - .offset:         184
        .size:           8
        .value_kind:     hidden_global_offset_x
      - .offset:         192
        .size:           8
        .value_kind:     hidden_global_offset_y
      - .offset:         200
        .size:           8
        .value_kind:     hidden_global_offset_z
      - .offset:         208
        .size:           2
        .value_kind:     hidden_grid_dims
      - .offset:         224
        .size:           8
        .value_kind:     hidden_hostcall_buffer
    .group_segment_fixed_size: 0
    .kernarg_segment_align: 8
    .kernarg_segment_size: 400
    .language:       OpenCL C
    .language_version:
      - 2
      - 0
    .max_flat_workgroup_size: 256
    .name:           _Z39paged_attention_ll4mi_QKV_mfma16_kernelI14__hip_bfloat16S0_LN4vllm18Fp8KVCacheDataTypeE0ES0_Li16ELi128ELi256ELb1ELi15EEvPKT_PKT0_S8_ifPKiSA_SA_iPKfiiiPfSD_PS3_PT2_iSC_SC_
    .private_segment_fixed_size: 64
    .sgpr_count:     36
    .sgpr_spill_count: 0
    .symbol:         _Z39paged_attention_ll4mi_QKV_mfma16_kernelI14__hip_bfloat16S0_LN4vllm18Fp8KVCacheDataTypeE0ES0_Li16ELi128ELi256ELb1ELi15EEvPKT_PKT0_S8_ifPKiSA_SA_iPKfiiiPfSD_PS3_PT2_iSC_SC_.kd
    .uniform_work_group_size: 1
    .uses_dynamic_stack: false
    .vgpr_count:     51
    .vgpr_spill_count: 0
    .wavefront_size: 32
  - .args:
      - .actual_access:  read_only
        .address_space:  global
        .offset:         0
        .size:           8
        .value_kind:     global_buffer
      - .actual_access:  read_only
        .address_space:  global
        .offset:         8
        .size:           8
        .value_kind:     global_buffer
      - .actual_access:  read_only
        .address_space:  global
        .offset:         16
        .size:           8
        .value_kind:     global_buffer
      - .offset:         24
        .size:           4
        .value_kind:     by_value
      - .offset:         28
        .size:           4
        .value_kind:     by_value
      - .actual_access:  read_only
        .address_space:  global
        .offset:         32
        .size:           8
        .value_kind:     global_buffer
      - .actual_access:  read_only
        .address_space:  global
        .offset:         40
        .size:           8
        .value_kind:     global_buffer
      - .actual_access:  read_only
        .address_space:  global
        .offset:         48
        .size:           8
        .value_kind:     global_buffer
      - .offset:         56
        .size:           4
        .value_kind:     by_value
      - .actual_access:  read_only
        .address_space:  global
        .offset:         64
        .size:           8
        .value_kind:     global_buffer
      - .offset:         72
        .size:           4
        .value_kind:     by_value
      - .offset:         76
        .size:           4
        .value_kind:     by_value
      - .offset:         80
        .size:           4
        .value_kind:     by_value
      - .actual_access:  read_only
        .address_space:  global
        .offset:         88
        .size:           8
        .value_kind:     global_buffer
      - .actual_access:  read_only
        .address_space:  global
        .offset:         96
        .size:           8
        .value_kind:     global_buffer
      - .actual_access:  read_only
        .address_space:  global
        .offset:         104
        .size:           8
        .value_kind:     global_buffer
      - .actual_access:  read_only
        .address_space:  global
        .offset:         112
        .size:           8
        .value_kind:     global_buffer
      - .offset:         120
        .size:           4
        .value_kind:     by_value
      - .address_space:  global
        .offset:         128
        .size:           8
        .value_kind:     global_buffer
      - .address_space:  global
        .offset:         136
        .size:           8
        .value_kind:     global_buffer
      - .offset:         144
        .size:           4
        .value_kind:     hidden_block_count_x
      - .offset:         148
        .size:           4
        .value_kind:     hidden_block_count_y
      - .offset:         152
        .size:           4
        .value_kind:     hidden_block_count_z
      - .offset:         156
        .size:           2
        .value_kind:     hidden_group_size_x
      - .offset:         158
        .size:           2
        .value_kind:     hidden_group_size_y
      - .offset:         160
        .size:           2
        .value_kind:     hidden_group_size_z
      - .offset:         162
        .size:           2
        .value_kind:     hidden_remainder_x
      - .offset:         164
        .size:           2
        .value_kind:     hidden_remainder_y
      - .offset:         166
        .size:           2
        .value_kind:     hidden_remainder_z
      - .offset:         184
        .size:           8
        .value_kind:     hidden_global_offset_x
      - .offset:         192
        .size:           8
        .value_kind:     hidden_global_offset_y
      - .offset:         200
        .size:           8
        .value_kind:     hidden_global_offset_z
      - .offset:         208
        .size:           2
        .value_kind:     hidden_grid_dims
      - .offset:         224
        .size:           8
        .value_kind:     hidden_hostcall_buffer
    .group_segment_fixed_size: 0
    .kernarg_segment_align: 8
    .kernarg_segment_size: 400
    .language:       OpenCL C
    .language_version:
      - 2
      - 0
    .max_flat_workgroup_size: 256
    .name:           _Z39paged_attention_ll4mi_QKV_mfma16_kernelI14__hip_bfloat16S0_LN4vllm18Fp8KVCacheDataTypeE0ES0_Li16ELi128ELi256ELb1ELi16EEvPKT_PKT0_S8_ifPKiSA_SA_iPKfiiiPfSD_PS3_PT2_iSC_SC_
    .private_segment_fixed_size: 64
    .sgpr_count:     36
    .sgpr_spill_count: 0
    .symbol:         _Z39paged_attention_ll4mi_QKV_mfma16_kernelI14__hip_bfloat16S0_LN4vllm18Fp8KVCacheDataTypeE0ES0_Li16ELi128ELi256ELb1ELi16EEvPKT_PKT0_S8_ifPKiSA_SA_iPKfiiiPfSD_PS3_PT2_iSC_SC_.kd
    .uniform_work_group_size: 1
    .uses_dynamic_stack: false
    .vgpr_count:     51
    .vgpr_spill_count: 0
    .wavefront_size: 32
  - .args:
      - .actual_access:  read_only
        .address_space:  global
        .offset:         0
        .size:           8
        .value_kind:     global_buffer
      - .actual_access:  read_only
        .address_space:  global
        .offset:         8
        .size:           8
        .value_kind:     global_buffer
      - .actual_access:  read_only
        .address_space:  global
        .offset:         16
        .size:           8
        .value_kind:     global_buffer
      - .actual_access:  read_only
        .address_space:  global
        .offset:         24
        .size:           8
        .value_kind:     global_buffer
      - .actual_access:  read_only
        .address_space:  global
        .offset:         32
        .size:           8
        .value_kind:     global_buffer
      - .actual_access:  read_only
        .address_space:  global
        .offset:         40
        .size:           8
        .value_kind:     global_buffer
      - .offset:         48
        .size:           4
        .value_kind:     by_value
      - .actual_access:  read_only
        .address_space:  global
        .offset:         56
        .size:           8
        .value_kind:     global_buffer
      - .offset:         64
        .size:           4
        .value_kind:     hidden_block_count_x
      - .offset:         68
        .size:           4
        .value_kind:     hidden_block_count_y
      - .offset:         72
        .size:           4
        .value_kind:     hidden_block_count_z
      - .offset:         76
        .size:           2
        .value_kind:     hidden_group_size_x
      - .offset:         78
        .size:           2
        .value_kind:     hidden_group_size_y
      - .offset:         80
        .size:           2
        .value_kind:     hidden_group_size_z
      - .offset:         82
        .size:           2
        .value_kind:     hidden_remainder_x
      - .offset:         84
        .size:           2
        .value_kind:     hidden_remainder_y
      - .offset:         86
        .size:           2
        .value_kind:     hidden_remainder_z
      - .offset:         104
        .size:           8
        .value_kind:     hidden_global_offset_x
      - .offset:         112
        .size:           8
        .value_kind:     hidden_global_offset_y
      - .offset:         120
        .size:           8
        .value_kind:     hidden_global_offset_z
      - .offset:         128
        .size:           2
        .value_kind:     hidden_grid_dims
      - .offset:         144
        .size:           8
        .value_kind:     hidden_hostcall_buffer
    .group_segment_fixed_size: 0
    .kernarg_segment_align: 8
    .kernarg_segment_size: 320
    .language:       OpenCL C
    .language_version:
      - 2
      - 0
    .max_flat_workgroup_size: 128
    .name:           _Z35paged_attention_ll4mi_reduce_kernelI14__hip_bfloat16S0_Li128ELi128ELi256ELi1EEvPT0_PKfS4_PKT_PKiS9_iS4_
    .private_segment_fixed_size: 64
    .sgpr_count:     36
    .sgpr_spill_count: 0
    .symbol:         _Z35paged_attention_ll4mi_reduce_kernelI14__hip_bfloat16S0_Li128ELi128ELi256ELi1EEvPT0_PKfS4_PKT_PKiS9_iS4_.kd
    .uniform_work_group_size: 1
    .uses_dynamic_stack: false
    .vgpr_count:     51
    .vgpr_spill_count: 0
    .wavefront_size: 32
  - .args:
      - .actual_access:  read_only
        .address_space:  global
        .offset:         0
        .size:           8
        .value_kind:     global_buffer
      - .actual_access:  read_only
        .address_space:  global
        .offset:         8
        .size:           8
        .value_kind:     global_buffer
      - .actual_access:  read_only
        .address_space:  global
        .offset:         16
        .size:           8
        .value_kind:     global_buffer
      - .actual_access:  read_only
        .address_space:  global
        .offset:         24
        .size:           8
        .value_kind:     global_buffer
      - .actual_access:  read_only
        .address_space:  global
        .offset:         32
        .size:           8
        .value_kind:     global_buffer
      - .actual_access:  read_only
        .address_space:  global
        .offset:         40
        .size:           8
        .value_kind:     global_buffer
      - .offset:         48
        .size:           4
        .value_kind:     by_value
      - .actual_access:  read_only
        .address_space:  global
        .offset:         56
        .size:           8
        .value_kind:     global_buffer
      - .offset:         64
        .size:           4
        .value_kind:     hidden_block_count_x
      - .offset:         68
        .size:           4
        .value_kind:     hidden_block_count_y
      - .offset:         72
        .size:           4
        .value_kind:     hidden_block_count_z
      - .offset:         76
        .size:           2
        .value_kind:     hidden_group_size_x
      - .offset:         78
        .size:           2
        .value_kind:     hidden_group_size_y
      - .offset:         80
        .size:           2
        .value_kind:     hidden_group_size_z
      - .offset:         82
        .size:           2
        .value_kind:     hidden_remainder_x
      - .offset:         84
        .size:           2
        .value_kind:     hidden_remainder_y
      - .offset:         86
        .size:           2
        .value_kind:     hidden_remainder_z
      - .offset:         104
        .size:           8
        .value_kind:     hidden_global_offset_x
      - .offset:         112
        .size:           8
        .value_kind:     hidden_global_offset_y
      - .offset:         120
        .size:           8
        .value_kind:     hidden_global_offset_z
      - .offset:         128
        .size:           2
        .value_kind:     hidden_grid_dims
      - .offset:         144
        .size:           8
        .value_kind:     hidden_hostcall_buffer
    .group_segment_fixed_size: 0
    .kernarg_segment_align: 8
    .kernarg_segment_size: 320
    .language:       OpenCL C
    .language_version:
      - 2
      - 0
    .max_flat_workgroup_size: 128
    .name:           _Z35paged_attention_ll4mi_reduce_kernelI14__hip_bfloat16S0_Li128ELi128ELi256ELi2EEvPT0_PKfS4_PKT_PKiS9_iS4_
    .private_segment_fixed_size: 64
    .sgpr_count:     36
    .sgpr_spill_count: 0
    .symbol:         _Z35paged_attention_ll4mi_reduce_kernelI14__hip_bfloat16S0_Li128ELi128ELi256ELi2EEvPT0_PKfS4_PKT_PKiS9_iS4_.kd
    .uniform_work_group_size: 1
    .uses_dynamic_stack: false
    .vgpr_count:     51
    .vgpr_spill_count: 0
    .wavefront_size: 32
  - .args:
      - .actual_access:  read_only
        .address_space:  global
        .offset:         0
        .size:           8
        .value_kind:     global_buffer
      - .actual_access:  read_only
        .address_space:  global
        .offset:         8
        .size:           8
        .value_kind:     global_buffer
      - .actual_access:  read_only
        .address_space:  global
        .offset:         16
        .size:           8
        .value_kind:     global_buffer
      - .actual_access:  read_only
        .address_space:  global
        .offset:         24
        .size:           8
        .value_kind:     global_buffer
      - .actual_access:  read_only
        .address_space:  global
        .offset:         32
        .size:           8
        .value_kind:     global_buffer
      - .actual_access:  read_only
        .address_space:  global
        .offset:         40
        .size:           8
        .value_kind:     global_buffer
      - .offset:         48
        .size:           4
        .value_kind:     by_value
      - .actual_access:  read_only
        .address_space:  global
        .offset:         56
        .size:           8
        .value_kind:     global_buffer
      - .offset:         64
        .size:           4
        .value_kind:     hidden_block_count_x
      - .offset:         68
        .size:           4
        .value_kind:     hidden_block_count_y
      - .offset:         72
        .size:           4
        .value_kind:     hidden_block_count_z
      - .offset:         76
        .size:           2
        .value_kind:     hidden_group_size_x
      - .offset:         78
        .size:           2
        .value_kind:     hidden_group_size_y
      - .offset:         80
        .size:           2
        .value_kind:     hidden_group_size_z
      - .offset:         82
        .size:           2
        .value_kind:     hidden_remainder_x
      - .offset:         84
        .size:           2
        .value_kind:     hidden_remainder_y
      - .offset:         86
        .size:           2
        .value_kind:     hidden_remainder_z
      - .offset:         104
        .size:           8
        .value_kind:     hidden_global_offset_x
      - .offset:         112
        .size:           8
        .value_kind:     hidden_global_offset_y
      - .offset:         120
        .size:           8
        .value_kind:     hidden_global_offset_z
      - .offset:         128
        .size:           2
        .value_kind:     hidden_grid_dims
      - .offset:         144
        .size:           8
        .value_kind:     hidden_hostcall_buffer
    .group_segment_fixed_size: 0
    .kernarg_segment_align: 8
    .kernarg_segment_size: 320
    .language:       OpenCL C
    .language_version:
      - 2
      - 0
    .max_flat_workgroup_size: 128
    .name:           _Z35paged_attention_ll4mi_reduce_kernelI14__hip_bfloat16S0_Li128ELi128ELi256ELi3EEvPT0_PKfS4_PKT_PKiS9_iS4_
    .private_segment_fixed_size: 64
    .sgpr_count:     36
    .sgpr_spill_count: 0
    .symbol:         _Z35paged_attention_ll4mi_reduce_kernelI14__hip_bfloat16S0_Li128ELi128ELi256ELi3EEvPT0_PKfS4_PKT_PKiS9_iS4_.kd
    .uniform_work_group_size: 1
    .uses_dynamic_stack: false
    .vgpr_count:     51
    .vgpr_spill_count: 0
    .wavefront_size: 32
  - .args:
      - .actual_access:  read_only
        .address_space:  global
        .offset:         0
        .size:           8
        .value_kind:     global_buffer
      - .actual_access:  read_only
        .address_space:  global
        .offset:         8
        .size:           8
        .value_kind:     global_buffer
      - .actual_access:  read_only
        .address_space:  global
        .offset:         16
        .size:           8
        .value_kind:     global_buffer
      - .actual_access:  read_only
        .address_space:  global
        .offset:         24
        .size:           8
        .value_kind:     global_buffer
      - .actual_access:  read_only
        .address_space:  global
        .offset:         32
        .size:           8
        .value_kind:     global_buffer
      - .actual_access:  read_only
        .address_space:  global
        .offset:         40
        .size:           8
        .value_kind:     global_buffer
      - .offset:         48
        .size:           4
        .value_kind:     by_value
      - .actual_access:  read_only
        .address_space:  global
        .offset:         56
        .size:           8
        .value_kind:     global_buffer
      - .offset:         64
        .size:           4
        .value_kind:     hidden_block_count_x
      - .offset:         68
        .size:           4
        .value_kind:     hidden_block_count_y
      - .offset:         72
        .size:           4
        .value_kind:     hidden_block_count_z
      - .offset:         76
        .size:           2
        .value_kind:     hidden_group_size_x
      - .offset:         78
        .size:           2
        .value_kind:     hidden_group_size_y
      - .offset:         80
        .size:           2
        .value_kind:     hidden_group_size_z
      - .offset:         82
        .size:           2
        .value_kind:     hidden_remainder_x
      - .offset:         84
        .size:           2
        .value_kind:     hidden_remainder_y
      - .offset:         86
        .size:           2
        .value_kind:     hidden_remainder_z
      - .offset:         104
        .size:           8
        .value_kind:     hidden_global_offset_x
      - .offset:         112
        .size:           8
        .value_kind:     hidden_global_offset_y
      - .offset:         120
        .size:           8
        .value_kind:     hidden_global_offset_z
      - .offset:         128
        .size:           2
        .value_kind:     hidden_grid_dims
      - .offset:         144
        .size:           8
        .value_kind:     hidden_hostcall_buffer
    .group_segment_fixed_size: 0
    .kernarg_segment_align: 8
    .kernarg_segment_size: 320
    .language:       OpenCL C
    .language_version:
      - 2
      - 0
    .max_flat_workgroup_size: 128
    .name:           _Z35paged_attention_ll4mi_reduce_kernelI14__hip_bfloat16S0_Li128ELi128ELi256ELi4EEvPT0_PKfS4_PKT_PKiS9_iS4_
    .private_segment_fixed_size: 64
    .sgpr_count:     36
    .sgpr_spill_count: 0
    .symbol:         _Z35paged_attention_ll4mi_reduce_kernelI14__hip_bfloat16S0_Li128ELi128ELi256ELi4EEvPT0_PKfS4_PKT_PKiS9_iS4_.kd
    .uniform_work_group_size: 1
    .uses_dynamic_stack: false
    .vgpr_count:     51
    .vgpr_spill_count: 0
    .wavefront_size: 32
  - .args:
      - .actual_access:  read_only
        .address_space:  global
        .offset:         0
        .size:           8
        .value_kind:     global_buffer
      - .actual_access:  read_only
        .address_space:  global
        .offset:         8
        .size:           8
        .value_kind:     global_buffer
      - .actual_access:  read_only
        .address_space:  global
        .offset:         16
        .size:           8
        .value_kind:     global_buffer
      - .actual_access:  read_only
        .address_space:  global
        .offset:         24
        .size:           8
        .value_kind:     global_buffer
      - .actual_access:  read_only
        .address_space:  global
        .offset:         32
        .size:           8
        .value_kind:     global_buffer
      - .actual_access:  read_only
        .address_space:  global
        .offset:         40
        .size:           8
        .value_kind:     global_buffer
      - .offset:         48
        .size:           4
        .value_kind:     by_value
      - .actual_access:  read_only
        .address_space:  global
        .offset:         56
        .size:           8
        .value_kind:     global_buffer
      - .offset:         64
        .size:           4
        .value_kind:     hidden_block_count_x
      - .offset:         68
        .size:           4
        .value_kind:     hidden_block_count_y
      - .offset:         72
        .size:           4
        .value_kind:     hidden_block_count_z
      - .offset:         76
        .size:           2
        .value_kind:     hidden_group_size_x
      - .offset:         78
        .size:           2
        .value_kind:     hidden_group_size_y
      - .offset:         80
        .size:           2
        .value_kind:     hidden_group_size_z
      - .offset:         82
        .size:           2
        .value_kind:     hidden_remainder_x
      - .offset:         84
        .size:           2
        .value_kind:     hidden_remainder_y
      - .offset:         86
        .size:           2
        .value_kind:     hidden_remainder_z
      - .offset:         104
        .size:           8
        .value_kind:     hidden_global_offset_x
      - .offset:         112
        .size:           8
        .value_kind:     hidden_global_offset_y
      - .offset:         120
        .size:           8
        .value_kind:     hidden_global_offset_z
      - .offset:         128
        .size:           2
        .value_kind:     hidden_grid_dims
      - .offset:         144
        .size:           8
        .value_kind:     hidden_hostcall_buffer
    .group_segment_fixed_size: 0
    .kernarg_segment_align: 8
    .kernarg_segment_size: 320
    .language:       OpenCL C
    .language_version:
      - 2
      - 0
    .max_flat_workgroup_size: 128
    .name:           _Z35paged_attention_ll4mi_reduce_kernelI14__hip_bfloat16S0_Li128ELi128ELi256ELi5EEvPT0_PKfS4_PKT_PKiS9_iS4_
    .private_segment_fixed_size: 64
    .sgpr_count:     36
    .sgpr_spill_count: 0
    .symbol:         _Z35paged_attention_ll4mi_reduce_kernelI14__hip_bfloat16S0_Li128ELi128ELi256ELi5EEvPT0_PKfS4_PKT_PKiS9_iS4_.kd
    .uniform_work_group_size: 1
    .uses_dynamic_stack: false
    .vgpr_count:     51
    .vgpr_spill_count: 0
    .wavefront_size: 32
  - .args:
      - .actual_access:  read_only
        .address_space:  global
        .offset:         0
        .size:           8
        .value_kind:     global_buffer
      - .actual_access:  read_only
        .address_space:  global
        .offset:         8
        .size:           8
        .value_kind:     global_buffer
      - .actual_access:  read_only
        .address_space:  global
        .offset:         16
        .size:           8
        .value_kind:     global_buffer
      - .actual_access:  read_only
        .address_space:  global
        .offset:         24
        .size:           8
        .value_kind:     global_buffer
      - .actual_access:  read_only
        .address_space:  global
        .offset:         32
        .size:           8
        .value_kind:     global_buffer
      - .actual_access:  read_only
        .address_space:  global
        .offset:         40
        .size:           8
        .value_kind:     global_buffer
      - .offset:         48
        .size:           4
        .value_kind:     by_value
      - .actual_access:  read_only
        .address_space:  global
        .offset:         56
        .size:           8
        .value_kind:     global_buffer
      - .offset:         64
        .size:           4
        .value_kind:     hidden_block_count_x
      - .offset:         68
        .size:           4
        .value_kind:     hidden_block_count_y
      - .offset:         72
        .size:           4
        .value_kind:     hidden_block_count_z
      - .offset:         76
        .size:           2
        .value_kind:     hidden_group_size_x
      - .offset:         78
        .size:           2
        .value_kind:     hidden_group_size_y
      - .offset:         80
        .size:           2
        .value_kind:     hidden_group_size_z
      - .offset:         82
        .size:           2
        .value_kind:     hidden_remainder_x
      - .offset:         84
        .size:           2
        .value_kind:     hidden_remainder_y
      - .offset:         86
        .size:           2
        .value_kind:     hidden_remainder_z
      - .offset:         104
        .size:           8
        .value_kind:     hidden_global_offset_x
      - .offset:         112
        .size:           8
        .value_kind:     hidden_global_offset_y
      - .offset:         120
        .size:           8
        .value_kind:     hidden_global_offset_z
      - .offset:         128
        .size:           2
        .value_kind:     hidden_grid_dims
      - .offset:         144
        .size:           8
        .value_kind:     hidden_hostcall_buffer
    .group_segment_fixed_size: 0
    .kernarg_segment_align: 8
    .kernarg_segment_size: 320
    .language:       OpenCL C
    .language_version:
      - 2
      - 0
    .max_flat_workgroup_size: 128
    .name:           _Z35paged_attention_ll4mi_reduce_kernelI14__hip_bfloat16S0_Li128ELi128ELi256ELi6EEvPT0_PKfS4_PKT_PKiS9_iS4_
    .private_segment_fixed_size: 64
    .sgpr_count:     36
    .sgpr_spill_count: 0
    .symbol:         _Z35paged_attention_ll4mi_reduce_kernelI14__hip_bfloat16S0_Li128ELi128ELi256ELi6EEvPT0_PKfS4_PKT_PKiS9_iS4_.kd
    .uniform_work_group_size: 1
    .uses_dynamic_stack: false
    .vgpr_count:     51
    .vgpr_spill_count: 0
    .wavefront_size: 32
  - .args:
      - .actual_access:  read_only
        .address_space:  global
        .offset:         0
        .size:           8
        .value_kind:     global_buffer
      - .actual_access:  read_only
        .address_space:  global
        .offset:         8
        .size:           8
        .value_kind:     global_buffer
      - .actual_access:  read_only
        .address_space:  global
        .offset:         16
        .size:           8
        .value_kind:     global_buffer
      - .actual_access:  read_only
        .address_space:  global
        .offset:         24
        .size:           8
        .value_kind:     global_buffer
      - .actual_access:  read_only
        .address_space:  global
        .offset:         32
        .size:           8
        .value_kind:     global_buffer
      - .actual_access:  read_only
        .address_space:  global
        .offset:         40
        .size:           8
        .value_kind:     global_buffer
      - .offset:         48
        .size:           4
        .value_kind:     by_value
      - .actual_access:  read_only
        .address_space:  global
        .offset:         56
        .size:           8
        .value_kind:     global_buffer
      - .offset:         64
        .size:           4
        .value_kind:     hidden_block_count_x
      - .offset:         68
        .size:           4
        .value_kind:     hidden_block_count_y
      - .offset:         72
        .size:           4
        .value_kind:     hidden_block_count_z
      - .offset:         76
        .size:           2
        .value_kind:     hidden_group_size_x
      - .offset:         78
        .size:           2
        .value_kind:     hidden_group_size_y
      - .offset:         80
        .size:           2
        .value_kind:     hidden_group_size_z
      - .offset:         82
        .size:           2
        .value_kind:     hidden_remainder_x
      - .offset:         84
        .size:           2
        .value_kind:     hidden_remainder_y
      - .offset:         86
        .size:           2
        .value_kind:     hidden_remainder_z
      - .offset:         104
        .size:           8
        .value_kind:     hidden_global_offset_x
      - .offset:         112
        .size:           8
        .value_kind:     hidden_global_offset_y
      - .offset:         120
        .size:           8
        .value_kind:     hidden_global_offset_z
      - .offset:         128
        .size:           2
        .value_kind:     hidden_grid_dims
      - .offset:         144
        .size:           8
        .value_kind:     hidden_hostcall_buffer
    .group_segment_fixed_size: 0
    .kernarg_segment_align: 8
    .kernarg_segment_size: 320
    .language:       OpenCL C
    .language_version:
      - 2
      - 0
    .max_flat_workgroup_size: 128
    .name:           _Z35paged_attention_ll4mi_reduce_kernelI14__hip_bfloat16S0_Li128ELi128ELi256ELi7EEvPT0_PKfS4_PKT_PKiS9_iS4_
    .private_segment_fixed_size: 64
    .sgpr_count:     36
    .sgpr_spill_count: 0
    .symbol:         _Z35paged_attention_ll4mi_reduce_kernelI14__hip_bfloat16S0_Li128ELi128ELi256ELi7EEvPT0_PKfS4_PKT_PKiS9_iS4_.kd
    .uniform_work_group_size: 1
    .uses_dynamic_stack: false
    .vgpr_count:     51
    .vgpr_spill_count: 0
    .wavefront_size: 32
  - .args:
      - .actual_access:  read_only
        .address_space:  global
        .offset:         0
        .size:           8
        .value_kind:     global_buffer
      - .actual_access:  read_only
        .address_space:  global
        .offset:         8
        .size:           8
        .value_kind:     global_buffer
      - .actual_access:  read_only
        .address_space:  global
        .offset:         16
        .size:           8
        .value_kind:     global_buffer
      - .actual_access:  read_only
        .address_space:  global
        .offset:         24
        .size:           8
        .value_kind:     global_buffer
      - .actual_access:  read_only
        .address_space:  global
        .offset:         32
        .size:           8
        .value_kind:     global_buffer
      - .actual_access:  read_only
        .address_space:  global
        .offset:         40
        .size:           8
        .value_kind:     global_buffer
      - .offset:         48
        .size:           4
        .value_kind:     by_value
      - .actual_access:  read_only
        .address_space:  global
        .offset:         56
        .size:           8
        .value_kind:     global_buffer
      - .offset:         64
        .size:           4
        .value_kind:     hidden_block_count_x
      - .offset:         68
        .size:           4
        .value_kind:     hidden_block_count_y
      - .offset:         72
        .size:           4
        .value_kind:     hidden_block_count_z
      - .offset:         76
        .size:           2
        .value_kind:     hidden_group_size_x
      - .offset:         78
        .size:           2
        .value_kind:     hidden_group_size_y
      - .offset:         80
        .size:           2
        .value_kind:     hidden_group_size_z
      - .offset:         82
        .size:           2
        .value_kind:     hidden_remainder_x
      - .offset:         84
        .size:           2
        .value_kind:     hidden_remainder_y
      - .offset:         86
        .size:           2
        .value_kind:     hidden_remainder_z
      - .offset:         104
        .size:           8
        .value_kind:     hidden_global_offset_x
      - .offset:         112
        .size:           8
        .value_kind:     hidden_global_offset_y
      - .offset:         120
        .size:           8
        .value_kind:     hidden_global_offset_z
      - .offset:         128
        .size:           2
        .value_kind:     hidden_grid_dims
      - .offset:         144
        .size:           8
        .value_kind:     hidden_hostcall_buffer
    .group_segment_fixed_size: 0
    .kernarg_segment_align: 8
    .kernarg_segment_size: 320
    .language:       OpenCL C
    .language_version:
      - 2
      - 0
    .max_flat_workgroup_size: 128
    .name:           _Z35paged_attention_ll4mi_reduce_kernelI14__hip_bfloat16S0_Li128ELi128ELi256ELi8EEvPT0_PKfS4_PKT_PKiS9_iS4_
    .private_segment_fixed_size: 64
    .sgpr_count:     36
    .sgpr_spill_count: 0
    .symbol:         _Z35paged_attention_ll4mi_reduce_kernelI14__hip_bfloat16S0_Li128ELi128ELi256ELi8EEvPT0_PKfS4_PKT_PKiS9_iS4_.kd
    .uniform_work_group_size: 1
    .uses_dynamic_stack: false
    .vgpr_count:     51
    .vgpr_spill_count: 0
    .wavefront_size: 32
  - .args:
      - .actual_access:  read_only
        .address_space:  global
        .offset:         0
        .size:           8
        .value_kind:     global_buffer
      - .actual_access:  read_only
        .address_space:  global
        .offset:         8
        .size:           8
        .value_kind:     global_buffer
      - .actual_access:  read_only
        .address_space:  global
        .offset:         16
        .size:           8
        .value_kind:     global_buffer
      - .offset:         24
        .size:           4
        .value_kind:     by_value
      - .offset:         28
        .size:           4
        .value_kind:     by_value
      - .actual_access:  read_only
        .address_space:  global
        .offset:         32
        .size:           8
        .value_kind:     global_buffer
      - .actual_access:  read_only
        .address_space:  global
        .offset:         40
        .size:           8
        .value_kind:     global_buffer
      - .actual_access:  read_only
        .address_space:  global
        .offset:         48
        .size:           8
        .value_kind:     global_buffer
      - .offset:         56
        .size:           4
        .value_kind:     by_value
      - .actual_access:  read_only
        .address_space:  global
        .offset:         64
        .size:           8
        .value_kind:     global_buffer
      - .offset:         72
        .size:           4
        .value_kind:     by_value
      - .offset:         76
        .size:           4
        .value_kind:     by_value
      - .offset:         80
        .size:           4
        .value_kind:     by_value
      - .actual_access:  read_only
        .address_space:  global
        .offset:         88
        .size:           8
        .value_kind:     global_buffer
      - .actual_access:  read_only
        .address_space:  global
        .offset:         96
        .size:           8
        .value_kind:     global_buffer
      - .actual_access:  read_only
        .address_space:  global
        .offset:         104
        .size:           8
        .value_kind:     global_buffer
      - .actual_access:  read_only
        .address_space:  global
        .offset:         112
        .size:           8
        .value_kind:     global_buffer
      - .offset:         120
        .size:           4
        .value_kind:     by_value
      - .address_space:  global
        .offset:         128
        .size:           8
        .value_kind:     global_buffer
      - .address_space:  global
        .offset:         136
        .size:           8
        .value_kind:     global_buffer
      - .offset:         144
        .size:           4
        .value_kind:     hidden_block_count_x
      - .offset:         148
        .size:           4
        .value_kind:     hidden_block_count_y
      - .offset:         152
        .size:           4
        .value_kind:     hidden_block_count_z
      - .offset:         156
        .size:           2
        .value_kind:     hidden_group_size_x
      - .offset:         158
        .size:           2
        .value_kind:     hidden_group_size_y
      - .offset:         160
        .size:           2
        .value_kind:     hidden_group_size_z
      - .offset:         162
        .size:           2
        .value_kind:     hidden_remainder_x
      - .offset:         164
        .size:           2
        .value_kind:     hidden_remainder_y
      - .offset:         166
        .size:           2
        .value_kind:     hidden_remainder_z
      - .offset:         184
        .size:           8
        .value_kind:     hidden_global_offset_x
      - .offset:         192
        .size:           8
        .value_kind:     hidden_global_offset_y
      - .offset:         200
        .size:           8
        .value_kind:     hidden_global_offset_z
      - .offset:         208
        .size:           2
        .value_kind:     hidden_grid_dims
      - .offset:         224
        .size:           8
        .value_kind:     hidden_hostcall_buffer
    .group_segment_fixed_size: 0
    .kernarg_segment_align: 8
    .kernarg_segment_size: 400
    .language:       OpenCL C
    .language_version:
      - 2
      - 0
    .max_flat_workgroup_size: 256
    .name:           _Z39paged_attention_ll4mi_QKV_mfma16_kernelI14__hip_bfloat16S0_LN4vllm18Fp8KVCacheDataTypeE0ES0_Li16ELi128ELi256ELb1ELi1EEvPKT_PKT0_S8_ifPKiSA_SA_iPKfiiiPfSD_PS3_PT2_iSC_SC_
    .private_segment_fixed_size: 64
    .sgpr_count:     36
    .sgpr_spill_count: 0
    .symbol:         _Z39paged_attention_ll4mi_QKV_mfma16_kernelI14__hip_bfloat16S0_LN4vllm18Fp8KVCacheDataTypeE0ES0_Li16ELi128ELi256ELb1ELi1EEvPKT_PKT0_S8_ifPKiSA_SA_iPKfiiiPfSD_PS3_PT2_iSC_SC_.kd
    .uniform_work_group_size: 1
    .uses_dynamic_stack: false
    .vgpr_count:     51
    .vgpr_spill_count: 0
    .wavefront_size: 32
  - .args:
      - .actual_access:  read_only
        .address_space:  global
        .offset:         0
        .size:           8
        .value_kind:     global_buffer
      - .actual_access:  read_only
        .address_space:  global
        .offset:         8
        .size:           8
        .value_kind:     global_buffer
      - .actual_access:  read_only
        .address_space:  global
        .offset:         16
        .size:           8
        .value_kind:     global_buffer
      - .offset:         24
        .size:           4
        .value_kind:     by_value
      - .offset:         28
        .size:           4
        .value_kind:     by_value
      - .actual_access:  read_only
        .address_space:  global
        .offset:         32
        .size:           8
        .value_kind:     global_buffer
      - .actual_access:  read_only
        .address_space:  global
        .offset:         40
        .size:           8
        .value_kind:     global_buffer
      - .actual_access:  read_only
        .address_space:  global
        .offset:         48
        .size:           8
        .value_kind:     global_buffer
      - .offset:         56
        .size:           4
        .value_kind:     by_value
      - .actual_access:  read_only
        .address_space:  global
        .offset:         64
        .size:           8
        .value_kind:     global_buffer
      - .offset:         72
        .size:           4
        .value_kind:     by_value
      - .offset:         76
        .size:           4
        .value_kind:     by_value
      - .offset:         80
        .size:           4
        .value_kind:     by_value
      - .actual_access:  read_only
        .address_space:  global
        .offset:         88
        .size:           8
        .value_kind:     global_buffer
      - .actual_access:  read_only
        .address_space:  global
        .offset:         96
        .size:           8
        .value_kind:     global_buffer
      - .actual_access:  read_only
        .address_space:  global
        .offset:         104
        .size:           8
        .value_kind:     global_buffer
      - .actual_access:  read_only
        .address_space:  global
        .offset:         112
        .size:           8
        .value_kind:     global_buffer
      - .offset:         120
        .size:           4
        .value_kind:     by_value
      - .address_space:  global
        .offset:         128
        .size:           8
        .value_kind:     global_buffer
      - .address_space:  global
        .offset:         136
        .size:           8
        .value_kind:     global_buffer
      - .offset:         144
        .size:           4
        .value_kind:     hidden_block_count_x
      - .offset:         148
        .size:           4
        .value_kind:     hidden_block_count_y
      - .offset:         152
        .size:           4
        .value_kind:     hidden_block_count_z
      - .offset:         156
        .size:           2
        .value_kind:     hidden_group_size_x
      - .offset:         158
        .size:           2
        .value_kind:     hidden_group_size_y
      - .offset:         160
        .size:           2
        .value_kind:     hidden_group_size_z
      - .offset:         162
        .size:           2
        .value_kind:     hidden_remainder_x
      - .offset:         164
        .size:           2
        .value_kind:     hidden_remainder_y
      - .offset:         166
        .size:           2
        .value_kind:     hidden_remainder_z
      - .offset:         184
        .size:           8
        .value_kind:     hidden_global_offset_x
      - .offset:         192
        .size:           8
        .value_kind:     hidden_global_offset_y
      - .offset:         200
        .size:           8
        .value_kind:     hidden_global_offset_z
      - .offset:         208
        .size:           2
        .value_kind:     hidden_grid_dims
      - .offset:         224
        .size:           8
        .value_kind:     hidden_hostcall_buffer
    .group_segment_fixed_size: 0
    .kernarg_segment_align: 8
    .kernarg_segment_size: 400
    .language:       OpenCL C
    .language_version:
      - 2
      - 0
    .max_flat_workgroup_size: 256
    .name:           _Z39paged_attention_ll4mi_QKV_mfma16_kernelI14__hip_bfloat16S0_LN4vllm18Fp8KVCacheDataTypeE0ES0_Li16ELi128ELi256ELb1ELi2EEvPKT_PKT0_S8_ifPKiSA_SA_iPKfiiiPfSD_PS3_PT2_iSC_SC_
    .private_segment_fixed_size: 64
    .sgpr_count:     36
    .sgpr_spill_count: 0
    .symbol:         _Z39paged_attention_ll4mi_QKV_mfma16_kernelI14__hip_bfloat16S0_LN4vllm18Fp8KVCacheDataTypeE0ES0_Li16ELi128ELi256ELb1ELi2EEvPKT_PKT0_S8_ifPKiSA_SA_iPKfiiiPfSD_PS3_PT2_iSC_SC_.kd
    .uniform_work_group_size: 1
    .uses_dynamic_stack: false
    .vgpr_count:     51
    .vgpr_spill_count: 0
    .wavefront_size: 32
  - .args:
      - .actual_access:  read_only
        .address_space:  global
        .offset:         0
        .size:           8
        .value_kind:     global_buffer
      - .actual_access:  read_only
        .address_space:  global
        .offset:         8
        .size:           8
        .value_kind:     global_buffer
      - .actual_access:  read_only
        .address_space:  global
        .offset:         16
        .size:           8
        .value_kind:     global_buffer
      - .offset:         24
        .size:           4
        .value_kind:     by_value
      - .offset:         28
        .size:           4
        .value_kind:     by_value
      - .actual_access:  read_only
        .address_space:  global
        .offset:         32
        .size:           8
        .value_kind:     global_buffer
      - .actual_access:  read_only
        .address_space:  global
        .offset:         40
        .size:           8
        .value_kind:     global_buffer
      - .actual_access:  read_only
        .address_space:  global
        .offset:         48
        .size:           8
        .value_kind:     global_buffer
      - .offset:         56
        .size:           4
        .value_kind:     by_value
      - .actual_access:  read_only
        .address_space:  global
        .offset:         64
        .size:           8
        .value_kind:     global_buffer
      - .offset:         72
        .size:           4
        .value_kind:     by_value
      - .offset:         76
        .size:           4
        .value_kind:     by_value
      - .offset:         80
        .size:           4
        .value_kind:     by_value
      - .actual_access:  read_only
        .address_space:  global
        .offset:         88
        .size:           8
        .value_kind:     global_buffer
      - .actual_access:  read_only
        .address_space:  global
        .offset:         96
        .size:           8
        .value_kind:     global_buffer
      - .actual_access:  read_only
        .address_space:  global
        .offset:         104
        .size:           8
        .value_kind:     global_buffer
      - .actual_access:  read_only
        .address_space:  global
        .offset:         112
        .size:           8
        .value_kind:     global_buffer
      - .offset:         120
        .size:           4
        .value_kind:     by_value
      - .address_space:  global
        .offset:         128
        .size:           8
        .value_kind:     global_buffer
      - .address_space:  global
        .offset:         136
        .size:           8
        .value_kind:     global_buffer
      - .offset:         144
        .size:           4
        .value_kind:     hidden_block_count_x
      - .offset:         148
        .size:           4
        .value_kind:     hidden_block_count_y
      - .offset:         152
        .size:           4
        .value_kind:     hidden_block_count_z
      - .offset:         156
        .size:           2
        .value_kind:     hidden_group_size_x
      - .offset:         158
        .size:           2
        .value_kind:     hidden_group_size_y
      - .offset:         160
        .size:           2
        .value_kind:     hidden_group_size_z
      - .offset:         162
        .size:           2
        .value_kind:     hidden_remainder_x
      - .offset:         164
        .size:           2
        .value_kind:     hidden_remainder_y
      - .offset:         166
        .size:           2
        .value_kind:     hidden_remainder_z
      - .offset:         184
        .size:           8
        .value_kind:     hidden_global_offset_x
      - .offset:         192
        .size:           8
        .value_kind:     hidden_global_offset_y
      - .offset:         200
        .size:           8
        .value_kind:     hidden_global_offset_z
      - .offset:         208
        .size:           2
        .value_kind:     hidden_grid_dims
      - .offset:         224
        .size:           8
        .value_kind:     hidden_hostcall_buffer
    .group_segment_fixed_size: 0
    .kernarg_segment_align: 8
    .kernarg_segment_size: 400
    .language:       OpenCL C
    .language_version:
      - 2
      - 0
    .max_flat_workgroup_size: 256
    .name:           _Z39paged_attention_ll4mi_QKV_mfma16_kernelI14__hip_bfloat16S0_LN4vllm18Fp8KVCacheDataTypeE0ES0_Li16ELi128ELi256ELb1ELi3EEvPKT_PKT0_S8_ifPKiSA_SA_iPKfiiiPfSD_PS3_PT2_iSC_SC_
    .private_segment_fixed_size: 64
    .sgpr_count:     36
    .sgpr_spill_count: 0
    .symbol:         _Z39paged_attention_ll4mi_QKV_mfma16_kernelI14__hip_bfloat16S0_LN4vllm18Fp8KVCacheDataTypeE0ES0_Li16ELi128ELi256ELb1ELi3EEvPKT_PKT0_S8_ifPKiSA_SA_iPKfiiiPfSD_PS3_PT2_iSC_SC_.kd
    .uniform_work_group_size: 1
    .uses_dynamic_stack: false
    .vgpr_count:     51
    .vgpr_spill_count: 0
    .wavefront_size: 32
  - .args:
      - .actual_access:  read_only
        .address_space:  global
        .offset:         0
        .size:           8
        .value_kind:     global_buffer
      - .actual_access:  read_only
        .address_space:  global
        .offset:         8
        .size:           8
        .value_kind:     global_buffer
      - .actual_access:  read_only
        .address_space:  global
        .offset:         16
        .size:           8
        .value_kind:     global_buffer
      - .offset:         24
        .size:           4
        .value_kind:     by_value
      - .offset:         28
        .size:           4
        .value_kind:     by_value
      - .actual_access:  read_only
        .address_space:  global
        .offset:         32
        .size:           8
        .value_kind:     global_buffer
      - .actual_access:  read_only
        .address_space:  global
        .offset:         40
        .size:           8
        .value_kind:     global_buffer
      - .actual_access:  read_only
        .address_space:  global
        .offset:         48
        .size:           8
        .value_kind:     global_buffer
      - .offset:         56
        .size:           4
        .value_kind:     by_value
      - .actual_access:  read_only
        .address_space:  global
        .offset:         64
        .size:           8
        .value_kind:     global_buffer
      - .offset:         72
        .size:           4
        .value_kind:     by_value
      - .offset:         76
        .size:           4
        .value_kind:     by_value
      - .offset:         80
        .size:           4
        .value_kind:     by_value
      - .actual_access:  read_only
        .address_space:  global
        .offset:         88
        .size:           8
        .value_kind:     global_buffer
      - .actual_access:  read_only
        .address_space:  global
        .offset:         96
        .size:           8
        .value_kind:     global_buffer
      - .actual_access:  read_only
        .address_space:  global
        .offset:         104
        .size:           8
        .value_kind:     global_buffer
      - .actual_access:  read_only
        .address_space:  global
        .offset:         112
        .size:           8
        .value_kind:     global_buffer
      - .offset:         120
        .size:           4
        .value_kind:     by_value
      - .address_space:  global
        .offset:         128
        .size:           8
        .value_kind:     global_buffer
      - .address_space:  global
        .offset:         136
        .size:           8
        .value_kind:     global_buffer
      - .offset:         144
        .size:           4
        .value_kind:     hidden_block_count_x
      - .offset:         148
        .size:           4
        .value_kind:     hidden_block_count_y
      - .offset:         152
        .size:           4
        .value_kind:     hidden_block_count_z
      - .offset:         156
        .size:           2
        .value_kind:     hidden_group_size_x
      - .offset:         158
        .size:           2
        .value_kind:     hidden_group_size_y
      - .offset:         160
        .size:           2
        .value_kind:     hidden_group_size_z
      - .offset:         162
        .size:           2
        .value_kind:     hidden_remainder_x
      - .offset:         164
        .size:           2
        .value_kind:     hidden_remainder_y
      - .offset:         166
        .size:           2
        .value_kind:     hidden_remainder_z
      - .offset:         184
        .size:           8
        .value_kind:     hidden_global_offset_x
      - .offset:         192
        .size:           8
        .value_kind:     hidden_global_offset_y
      - .offset:         200
        .size:           8
        .value_kind:     hidden_global_offset_z
      - .offset:         208
        .size:           2
        .value_kind:     hidden_grid_dims
      - .offset:         224
        .size:           8
        .value_kind:     hidden_hostcall_buffer
    .group_segment_fixed_size: 0
    .kernarg_segment_align: 8
    .kernarg_segment_size: 400
    .language:       OpenCL C
    .language_version:
      - 2
      - 0
    .max_flat_workgroup_size: 256
    .name:           _Z39paged_attention_ll4mi_QKV_mfma16_kernelI14__hip_bfloat16S0_LN4vllm18Fp8KVCacheDataTypeE0ES0_Li16ELi128ELi256ELb1ELi4EEvPKT_PKT0_S8_ifPKiSA_SA_iPKfiiiPfSD_PS3_PT2_iSC_SC_
    .private_segment_fixed_size: 64
    .sgpr_count:     36
    .sgpr_spill_count: 0
    .symbol:         _Z39paged_attention_ll4mi_QKV_mfma16_kernelI14__hip_bfloat16S0_LN4vllm18Fp8KVCacheDataTypeE0ES0_Li16ELi128ELi256ELb1ELi4EEvPKT_PKT0_S8_ifPKiSA_SA_iPKfiiiPfSD_PS3_PT2_iSC_SC_.kd
    .uniform_work_group_size: 1
    .uses_dynamic_stack: false
    .vgpr_count:     51
    .vgpr_spill_count: 0
    .wavefront_size: 32
  - .args:
      - .actual_access:  read_only
        .address_space:  global
        .offset:         0
        .size:           8
        .value_kind:     global_buffer
      - .actual_access:  read_only
        .address_space:  global
        .offset:         8
        .size:           8
        .value_kind:     global_buffer
      - .actual_access:  read_only
        .address_space:  global
        .offset:         16
        .size:           8
        .value_kind:     global_buffer
      - .actual_access:  read_only
        .address_space:  global
        .offset:         24
        .size:           8
        .value_kind:     global_buffer
      - .actual_access:  read_only
        .address_space:  global
        .offset:         32
        .size:           8
        .value_kind:     global_buffer
      - .actual_access:  read_only
        .address_space:  global
        .offset:         40
        .size:           8
        .value_kind:     global_buffer
      - .offset:         48
        .size:           4
        .value_kind:     by_value
      - .actual_access:  read_only
        .address_space:  global
        .offset:         56
        .size:           8
        .value_kind:     global_buffer
      - .offset:         64
        .size:           4
        .value_kind:     hidden_block_count_x
      - .offset:         68
        .size:           4
        .value_kind:     hidden_block_count_y
      - .offset:         72
        .size:           4
        .value_kind:     hidden_block_count_z
      - .offset:         76
        .size:           2
        .value_kind:     hidden_group_size_x
      - .offset:         78
        .size:           2
        .value_kind:     hidden_group_size_y
      - .offset:         80
        .size:           2
        .value_kind:     hidden_group_size_z
      - .offset:         82
        .size:           2
        .value_kind:     hidden_remainder_x
      - .offset:         84
        .size:           2
        .value_kind:     hidden_remainder_y
      - .offset:         86
        .size:           2
        .value_kind:     hidden_remainder_z
      - .offset:         104
        .size:           8
        .value_kind:     hidden_global_offset_x
      - .offset:         112
        .size:           8
        .value_kind:     hidden_global_offset_y
      - .offset:         120
        .size:           8
        .value_kind:     hidden_global_offset_z
      - .offset:         128
        .size:           2
        .value_kind:     hidden_grid_dims
      - .offset:         144
        .size:           8
        .value_kind:     hidden_hostcall_buffer
    .group_segment_fixed_size: 0
    .kernarg_segment_align: 8
    .kernarg_segment_size: 320
    .language:       OpenCL C
    .language_version:
      - 2
      - 0
    .max_flat_workgroup_size: 128
    .name:           _Z35paged_attention_ll4mi_reduce_kernelI14__hip_bfloat16S0_Li128ELi128ELi256ELi9EEvPT0_PKfS4_PKT_PKiS9_iS4_
    .private_segment_fixed_size: 64
    .sgpr_count:     36
    .sgpr_spill_count: 0
    .symbol:         _Z35paged_attention_ll4mi_reduce_kernelI14__hip_bfloat16S0_Li128ELi128ELi256ELi9EEvPT0_PKfS4_PKT_PKiS9_iS4_.kd
    .uniform_work_group_size: 1
    .uses_dynamic_stack: false
    .vgpr_count:     51
    .vgpr_spill_count: 0
    .wavefront_size: 32
  - .args:
      - .actual_access:  read_only
        .address_space:  global
        .offset:         0
        .size:           8
        .value_kind:     global_buffer
      - .actual_access:  read_only
        .address_space:  global
        .offset:         8
        .size:           8
        .value_kind:     global_buffer
      - .actual_access:  read_only
        .address_space:  global
        .offset:         16
        .size:           8
        .value_kind:     global_buffer
      - .actual_access:  read_only
        .address_space:  global
        .offset:         24
        .size:           8
        .value_kind:     global_buffer
      - .actual_access:  read_only
        .address_space:  global
        .offset:         32
        .size:           8
        .value_kind:     global_buffer
      - .actual_access:  read_only
        .address_space:  global
        .offset:         40
        .size:           8
        .value_kind:     global_buffer
      - .offset:         48
        .size:           4
        .value_kind:     by_value
      - .actual_access:  read_only
        .address_space:  global
        .offset:         56
        .size:           8
        .value_kind:     global_buffer
      - .offset:         64
        .size:           4
        .value_kind:     hidden_block_count_x
      - .offset:         68
        .size:           4
        .value_kind:     hidden_block_count_y
      - .offset:         72
        .size:           4
        .value_kind:     hidden_block_count_z
      - .offset:         76
        .size:           2
        .value_kind:     hidden_group_size_x
      - .offset:         78
        .size:           2
        .value_kind:     hidden_group_size_y
      - .offset:         80
        .size:           2
        .value_kind:     hidden_group_size_z
      - .offset:         82
        .size:           2
        .value_kind:     hidden_remainder_x
      - .offset:         84
        .size:           2
        .value_kind:     hidden_remainder_y
      - .offset:         86
        .size:           2
        .value_kind:     hidden_remainder_z
      - .offset:         104
        .size:           8
        .value_kind:     hidden_global_offset_x
      - .offset:         112
        .size:           8
        .value_kind:     hidden_global_offset_y
      - .offset:         120
        .size:           8
        .value_kind:     hidden_global_offset_z
      - .offset:         128
        .size:           2
        .value_kind:     hidden_grid_dims
      - .offset:         144
        .size:           8
        .value_kind:     hidden_hostcall_buffer
    .group_segment_fixed_size: 0
    .kernarg_segment_align: 8
    .kernarg_segment_size: 320
    .language:       OpenCL C
    .language_version:
      - 2
      - 0
    .max_flat_workgroup_size: 128
    .name:           _Z35paged_attention_ll4mi_reduce_kernelI14__hip_bfloat16S0_Li128ELi128ELi256ELi10EEvPT0_PKfS4_PKT_PKiS9_iS4_
    .private_segment_fixed_size: 64
    .sgpr_count:     36
    .sgpr_spill_count: 0
    .symbol:         _Z35paged_attention_ll4mi_reduce_kernelI14__hip_bfloat16S0_Li128ELi128ELi256ELi10EEvPT0_PKfS4_PKT_PKiS9_iS4_.kd
    .uniform_work_group_size: 1
    .uses_dynamic_stack: false
    .vgpr_count:     51
    .vgpr_spill_count: 0
    .wavefront_size: 32
  - .args:
      - .actual_access:  read_only
        .address_space:  global
        .offset:         0
        .size:           8
        .value_kind:     global_buffer
      - .actual_access:  read_only
        .address_space:  global
        .offset:         8
        .size:           8
        .value_kind:     global_buffer
      - .actual_access:  read_only
        .address_space:  global
        .offset:         16
        .size:           8
        .value_kind:     global_buffer
      - .actual_access:  read_only
        .address_space:  global
        .offset:         24
        .size:           8
        .value_kind:     global_buffer
      - .actual_access:  read_only
        .address_space:  global
        .offset:         32
        .size:           8
        .value_kind:     global_buffer
      - .actual_access:  read_only
        .address_space:  global
        .offset:         40
        .size:           8
        .value_kind:     global_buffer
      - .offset:         48
        .size:           4
        .value_kind:     by_value
      - .actual_access:  read_only
        .address_space:  global
        .offset:         56
        .size:           8
        .value_kind:     global_buffer
      - .offset:         64
        .size:           4
        .value_kind:     hidden_block_count_x
      - .offset:         68
        .size:           4
        .value_kind:     hidden_block_count_y
      - .offset:         72
        .size:           4
        .value_kind:     hidden_block_count_z
      - .offset:         76
        .size:           2
        .value_kind:     hidden_group_size_x
      - .offset:         78
        .size:           2
        .value_kind:     hidden_group_size_y
      - .offset:         80
        .size:           2
        .value_kind:     hidden_group_size_z
      - .offset:         82
        .size:           2
        .value_kind:     hidden_remainder_x
      - .offset:         84
        .size:           2
        .value_kind:     hidden_remainder_y
      - .offset:         86
        .size:           2
        .value_kind:     hidden_remainder_z
      - .offset:         104
        .size:           8
        .value_kind:     hidden_global_offset_x
      - .offset:         112
        .size:           8
        .value_kind:     hidden_global_offset_y
      - .offset:         120
        .size:           8
        .value_kind:     hidden_global_offset_z
      - .offset:         128
        .size:           2
        .value_kind:     hidden_grid_dims
      - .offset:         144
        .size:           8
        .value_kind:     hidden_hostcall_buffer
    .group_segment_fixed_size: 0
    .kernarg_segment_align: 8
    .kernarg_segment_size: 320
    .language:       OpenCL C
    .language_version:
      - 2
      - 0
    .max_flat_workgroup_size: 128
    .name:           _Z35paged_attention_ll4mi_reduce_kernelI14__hip_bfloat16S0_Li128ELi128ELi256ELi11EEvPT0_PKfS4_PKT_PKiS9_iS4_
    .private_segment_fixed_size: 64
    .sgpr_count:     36
    .sgpr_spill_count: 0
    .symbol:         _Z35paged_attention_ll4mi_reduce_kernelI14__hip_bfloat16S0_Li128ELi128ELi256ELi11EEvPT0_PKfS4_PKT_PKiS9_iS4_.kd
    .uniform_work_group_size: 1
    .uses_dynamic_stack: false
    .vgpr_count:     51
    .vgpr_spill_count: 0
    .wavefront_size: 32
  - .args:
      - .actual_access:  read_only
        .address_space:  global
        .offset:         0
        .size:           8
        .value_kind:     global_buffer
      - .actual_access:  read_only
        .address_space:  global
        .offset:         8
        .size:           8
        .value_kind:     global_buffer
      - .actual_access:  read_only
        .address_space:  global
        .offset:         16
        .size:           8
        .value_kind:     global_buffer
      - .actual_access:  read_only
        .address_space:  global
        .offset:         24
        .size:           8
        .value_kind:     global_buffer
      - .actual_access:  read_only
        .address_space:  global
        .offset:         32
        .size:           8
        .value_kind:     global_buffer
      - .actual_access:  read_only
        .address_space:  global
        .offset:         40
        .size:           8
        .value_kind:     global_buffer
      - .offset:         48
        .size:           4
        .value_kind:     by_value
      - .actual_access:  read_only
        .address_space:  global
        .offset:         56
        .size:           8
        .value_kind:     global_buffer
      - .offset:         64
        .size:           4
        .value_kind:     hidden_block_count_x
      - .offset:         68
        .size:           4
        .value_kind:     hidden_block_count_y
      - .offset:         72
        .size:           4
        .value_kind:     hidden_block_count_z
      - .offset:         76
        .size:           2
        .value_kind:     hidden_group_size_x
      - .offset:         78
        .size:           2
        .value_kind:     hidden_group_size_y
      - .offset:         80
        .size:           2
        .value_kind:     hidden_group_size_z
      - .offset:         82
        .size:           2
        .value_kind:     hidden_remainder_x
      - .offset:         84
        .size:           2
        .value_kind:     hidden_remainder_y
      - .offset:         86
        .size:           2
        .value_kind:     hidden_remainder_z
      - .offset:         104
        .size:           8
        .value_kind:     hidden_global_offset_x
      - .offset:         112
        .size:           8
        .value_kind:     hidden_global_offset_y
      - .offset:         120
        .size:           8
        .value_kind:     hidden_global_offset_z
      - .offset:         128
        .size:           2
        .value_kind:     hidden_grid_dims
      - .offset:         144
        .size:           8
        .value_kind:     hidden_hostcall_buffer
    .group_segment_fixed_size: 0
    .kernarg_segment_align: 8
    .kernarg_segment_size: 320
    .language:       OpenCL C
    .language_version:
      - 2
      - 0
    .max_flat_workgroup_size: 128
    .name:           _Z35paged_attention_ll4mi_reduce_kernelI14__hip_bfloat16S0_Li128ELi128ELi256ELi12EEvPT0_PKfS4_PKT_PKiS9_iS4_
    .private_segment_fixed_size: 64
    .sgpr_count:     36
    .sgpr_spill_count: 0
    .symbol:         _Z35paged_attention_ll4mi_reduce_kernelI14__hip_bfloat16S0_Li128ELi128ELi256ELi12EEvPT0_PKfS4_PKT_PKiS9_iS4_.kd
    .uniform_work_group_size: 1
    .uses_dynamic_stack: false
    .vgpr_count:     51
    .vgpr_spill_count: 0
    .wavefront_size: 32
  - .args:
      - .actual_access:  read_only
        .address_space:  global
        .offset:         0
        .size:           8
        .value_kind:     global_buffer
      - .actual_access:  read_only
        .address_space:  global
        .offset:         8
        .size:           8
        .value_kind:     global_buffer
      - .actual_access:  read_only
        .address_space:  global
        .offset:         16
        .size:           8
        .value_kind:     global_buffer
      - .actual_access:  read_only
        .address_space:  global
        .offset:         24
        .size:           8
        .value_kind:     global_buffer
      - .actual_access:  read_only
        .address_space:  global
        .offset:         32
        .size:           8
        .value_kind:     global_buffer
      - .actual_access:  read_only
        .address_space:  global
        .offset:         40
        .size:           8
        .value_kind:     global_buffer
      - .offset:         48
        .size:           4
        .value_kind:     by_value
      - .actual_access:  read_only
        .address_space:  global
        .offset:         56
        .size:           8
        .value_kind:     global_buffer
      - .offset:         64
        .size:           4
        .value_kind:     hidden_block_count_x
      - .offset:         68
        .size:           4
        .value_kind:     hidden_block_count_y
      - .offset:         72
        .size:           4
        .value_kind:     hidden_block_count_z
      - .offset:         76
        .size:           2
        .value_kind:     hidden_group_size_x
      - .offset:         78
        .size:           2
        .value_kind:     hidden_group_size_y
      - .offset:         80
        .size:           2
        .value_kind:     hidden_group_size_z
      - .offset:         82
        .size:           2
        .value_kind:     hidden_remainder_x
      - .offset:         84
        .size:           2
        .value_kind:     hidden_remainder_y
      - .offset:         86
        .size:           2
        .value_kind:     hidden_remainder_z
      - .offset:         104
        .size:           8
        .value_kind:     hidden_global_offset_x
      - .offset:         112
        .size:           8
        .value_kind:     hidden_global_offset_y
      - .offset:         120
        .size:           8
        .value_kind:     hidden_global_offset_z
      - .offset:         128
        .size:           2
        .value_kind:     hidden_grid_dims
      - .offset:         144
        .size:           8
        .value_kind:     hidden_hostcall_buffer
    .group_segment_fixed_size: 0
    .kernarg_segment_align: 8
    .kernarg_segment_size: 320
    .language:       OpenCL C
    .language_version:
      - 2
      - 0
    .max_flat_workgroup_size: 128
    .name:           _Z35paged_attention_ll4mi_reduce_kernelI14__hip_bfloat16S0_Li128ELi128ELi256ELi13EEvPT0_PKfS4_PKT_PKiS9_iS4_
    .private_segment_fixed_size: 64
    .sgpr_count:     36
    .sgpr_spill_count: 0
    .symbol:         _Z35paged_attention_ll4mi_reduce_kernelI14__hip_bfloat16S0_Li128ELi128ELi256ELi13EEvPT0_PKfS4_PKT_PKiS9_iS4_.kd
    .uniform_work_group_size: 1
    .uses_dynamic_stack: false
    .vgpr_count:     51
    .vgpr_spill_count: 0
    .wavefront_size: 32
  - .args:
      - .actual_access:  read_only
        .address_space:  global
        .offset:         0
        .size:           8
        .value_kind:     global_buffer
      - .actual_access:  read_only
        .address_space:  global
        .offset:         8
        .size:           8
        .value_kind:     global_buffer
      - .actual_access:  read_only
        .address_space:  global
        .offset:         16
        .size:           8
        .value_kind:     global_buffer
      - .actual_access:  read_only
        .address_space:  global
        .offset:         24
        .size:           8
        .value_kind:     global_buffer
      - .actual_access:  read_only
        .address_space:  global
        .offset:         32
        .size:           8
        .value_kind:     global_buffer
      - .actual_access:  read_only
        .address_space:  global
        .offset:         40
        .size:           8
        .value_kind:     global_buffer
      - .offset:         48
        .size:           4
        .value_kind:     by_value
      - .actual_access:  read_only
        .address_space:  global
        .offset:         56
        .size:           8
        .value_kind:     global_buffer
      - .offset:         64
        .size:           4
        .value_kind:     hidden_block_count_x
      - .offset:         68
        .size:           4
        .value_kind:     hidden_block_count_y
      - .offset:         72
        .size:           4
        .value_kind:     hidden_block_count_z
      - .offset:         76
        .size:           2
        .value_kind:     hidden_group_size_x
      - .offset:         78
        .size:           2
        .value_kind:     hidden_group_size_y
      - .offset:         80
        .size:           2
        .value_kind:     hidden_group_size_z
      - .offset:         82
        .size:           2
        .value_kind:     hidden_remainder_x
      - .offset:         84
        .size:           2
        .value_kind:     hidden_remainder_y
      - .offset:         86
        .size:           2
        .value_kind:     hidden_remainder_z
      - .offset:         104
        .size:           8
        .value_kind:     hidden_global_offset_x
      - .offset:         112
        .size:           8
        .value_kind:     hidden_global_offset_y
      - .offset:         120
        .size:           8
        .value_kind:     hidden_global_offset_z
      - .offset:         128
        .size:           2
        .value_kind:     hidden_grid_dims
      - .offset:         144
        .size:           8
        .value_kind:     hidden_hostcall_buffer
    .group_segment_fixed_size: 0
    .kernarg_segment_align: 8
    .kernarg_segment_size: 320
    .language:       OpenCL C
    .language_version:
      - 2
      - 0
    .max_flat_workgroup_size: 128
    .name:           _Z35paged_attention_ll4mi_reduce_kernelI14__hip_bfloat16S0_Li128ELi128ELi256ELi14EEvPT0_PKfS4_PKT_PKiS9_iS4_
    .private_segment_fixed_size: 64
    .sgpr_count:     36
    .sgpr_spill_count: 0
    .symbol:         _Z35paged_attention_ll4mi_reduce_kernelI14__hip_bfloat16S0_Li128ELi128ELi256ELi14EEvPT0_PKfS4_PKT_PKiS9_iS4_.kd
    .uniform_work_group_size: 1
    .uses_dynamic_stack: false
    .vgpr_count:     51
    .vgpr_spill_count: 0
    .wavefront_size: 32
  - .args:
      - .actual_access:  read_only
        .address_space:  global
        .offset:         0
        .size:           8
        .value_kind:     global_buffer
      - .actual_access:  read_only
        .address_space:  global
        .offset:         8
        .size:           8
        .value_kind:     global_buffer
      - .actual_access:  read_only
        .address_space:  global
        .offset:         16
        .size:           8
        .value_kind:     global_buffer
      - .actual_access:  read_only
        .address_space:  global
        .offset:         24
        .size:           8
        .value_kind:     global_buffer
      - .actual_access:  read_only
        .address_space:  global
        .offset:         32
        .size:           8
        .value_kind:     global_buffer
      - .actual_access:  read_only
        .address_space:  global
        .offset:         40
        .size:           8
        .value_kind:     global_buffer
      - .offset:         48
        .size:           4
        .value_kind:     by_value
      - .actual_access:  read_only
        .address_space:  global
        .offset:         56
        .size:           8
        .value_kind:     global_buffer
      - .offset:         64
        .size:           4
        .value_kind:     hidden_block_count_x
      - .offset:         68
        .size:           4
        .value_kind:     hidden_block_count_y
      - .offset:         72
        .size:           4
        .value_kind:     hidden_block_count_z
      - .offset:         76
        .size:           2
        .value_kind:     hidden_group_size_x
      - .offset:         78
        .size:           2
        .value_kind:     hidden_group_size_y
      - .offset:         80
        .size:           2
        .value_kind:     hidden_group_size_z
      - .offset:         82
        .size:           2
        .value_kind:     hidden_remainder_x
      - .offset:         84
        .size:           2
        .value_kind:     hidden_remainder_y
      - .offset:         86
        .size:           2
        .value_kind:     hidden_remainder_z
      - .offset:         104
        .size:           8
        .value_kind:     hidden_global_offset_x
      - .offset:         112
        .size:           8
        .value_kind:     hidden_global_offset_y
      - .offset:         120
        .size:           8
        .value_kind:     hidden_global_offset_z
      - .offset:         128
        .size:           2
        .value_kind:     hidden_grid_dims
      - .offset:         144
        .size:           8
        .value_kind:     hidden_hostcall_buffer
    .group_segment_fixed_size: 0
    .kernarg_segment_align: 8
    .kernarg_segment_size: 320
    .language:       OpenCL C
    .language_version:
      - 2
      - 0
    .max_flat_workgroup_size: 128
    .name:           _Z35paged_attention_ll4mi_reduce_kernelI14__hip_bfloat16S0_Li128ELi128ELi256ELi15EEvPT0_PKfS4_PKT_PKiS9_iS4_
    .private_segment_fixed_size: 64
    .sgpr_count:     36
    .sgpr_spill_count: 0
    .symbol:         _Z35paged_attention_ll4mi_reduce_kernelI14__hip_bfloat16S0_Li128ELi128ELi256ELi15EEvPT0_PKfS4_PKT_PKiS9_iS4_.kd
    .uniform_work_group_size: 1
    .uses_dynamic_stack: false
    .vgpr_count:     51
    .vgpr_spill_count: 0
    .wavefront_size: 32
  - .args:
      - .actual_access:  read_only
        .address_space:  global
        .offset:         0
        .size:           8
        .value_kind:     global_buffer
      - .actual_access:  read_only
        .address_space:  global
        .offset:         8
        .size:           8
        .value_kind:     global_buffer
      - .actual_access:  read_only
        .address_space:  global
        .offset:         16
        .size:           8
        .value_kind:     global_buffer
      - .actual_access:  read_only
        .address_space:  global
        .offset:         24
        .size:           8
        .value_kind:     global_buffer
      - .actual_access:  read_only
        .address_space:  global
        .offset:         32
        .size:           8
        .value_kind:     global_buffer
      - .actual_access:  read_only
        .address_space:  global
        .offset:         40
        .size:           8
        .value_kind:     global_buffer
      - .offset:         48
        .size:           4
        .value_kind:     by_value
      - .actual_access:  read_only
        .address_space:  global
        .offset:         56
        .size:           8
        .value_kind:     global_buffer
      - .offset:         64
        .size:           4
        .value_kind:     hidden_block_count_x
      - .offset:         68
        .size:           4
        .value_kind:     hidden_block_count_y
      - .offset:         72
        .size:           4
        .value_kind:     hidden_block_count_z
      - .offset:         76
        .size:           2
        .value_kind:     hidden_group_size_x
      - .offset:         78
        .size:           2
        .value_kind:     hidden_group_size_y
      - .offset:         80
        .size:           2
        .value_kind:     hidden_group_size_z
      - .offset:         82
        .size:           2
        .value_kind:     hidden_remainder_x
      - .offset:         84
        .size:           2
        .value_kind:     hidden_remainder_y
      - .offset:         86
        .size:           2
        .value_kind:     hidden_remainder_z
      - .offset:         104
        .size:           8
        .value_kind:     hidden_global_offset_x
      - .offset:         112
        .size:           8
        .value_kind:     hidden_global_offset_y
      - .offset:         120
        .size:           8
        .value_kind:     hidden_global_offset_z
      - .offset:         128
        .size:           2
        .value_kind:     hidden_grid_dims
      - .offset:         144
        .size:           8
        .value_kind:     hidden_hostcall_buffer
    .group_segment_fixed_size: 0
    .kernarg_segment_align: 8
    .kernarg_segment_size: 320
    .language:       OpenCL C
    .language_version:
      - 2
      - 0
    .max_flat_workgroup_size: 128
    .name:           _Z35paged_attention_ll4mi_reduce_kernelI14__hip_bfloat16S0_Li128ELi128ELi256ELi16EEvPT0_PKfS4_PKT_PKiS9_iS4_
    .private_segment_fixed_size: 64
    .sgpr_count:     36
    .sgpr_spill_count: 0
    .symbol:         _Z35paged_attention_ll4mi_reduce_kernelI14__hip_bfloat16S0_Li128ELi128ELi256ELi16EEvPT0_PKfS4_PKT_PKiS9_iS4_.kd
    .uniform_work_group_size: 1
    .uses_dynamic_stack: false
    .vgpr_count:     51
    .vgpr_spill_count: 0
    .wavefront_size: 32
  - .args:
      - .actual_access:  read_only
        .address_space:  global
        .offset:         0
        .size:           8
        .value_kind:     global_buffer
      - .actual_access:  read_only
        .address_space:  global
        .offset:         8
        .size:           8
        .value_kind:     global_buffer
      - .actual_access:  read_only
        .address_space:  global
        .offset:         16
        .size:           8
        .value_kind:     global_buffer
      - .offset:         24
        .size:           4
        .value_kind:     by_value
      - .offset:         28
        .size:           4
        .value_kind:     by_value
      - .actual_access:  read_only
        .address_space:  global
        .offset:         32
        .size:           8
        .value_kind:     global_buffer
      - .actual_access:  read_only
        .address_space:  global
        .offset:         40
        .size:           8
        .value_kind:     global_buffer
      - .actual_access:  read_only
        .address_space:  global
        .offset:         48
        .size:           8
        .value_kind:     global_buffer
      - .offset:         56
        .size:           4
        .value_kind:     by_value
      - .actual_access:  read_only
        .address_space:  global
        .offset:         64
        .size:           8
        .value_kind:     global_buffer
      - .offset:         72
        .size:           4
        .value_kind:     by_value
      - .offset:         76
        .size:           4
        .value_kind:     by_value
      - .offset:         80
        .size:           4
        .value_kind:     by_value
      - .actual_access:  read_only
        .address_space:  global
        .offset:         88
        .size:           8
        .value_kind:     global_buffer
      - .actual_access:  read_only
        .address_space:  global
        .offset:         96
        .size:           8
        .value_kind:     global_buffer
      - .actual_access:  read_only
        .address_space:  global
        .offset:         104
        .size:           8
        .value_kind:     global_buffer
      - .actual_access:  read_only
        .address_space:  global
        .offset:         112
        .size:           8
        .value_kind:     global_buffer
      - .offset:         120
        .size:           4
        .value_kind:     by_value
      - .address_space:  global
        .offset:         128
        .size:           8
        .value_kind:     global_buffer
      - .address_space:  global
        .offset:         136
        .size:           8
        .value_kind:     global_buffer
      - .offset:         144
        .size:           4
        .value_kind:     hidden_block_count_x
      - .offset:         148
        .size:           4
        .value_kind:     hidden_block_count_y
      - .offset:         152
        .size:           4
        .value_kind:     hidden_block_count_z
      - .offset:         156
        .size:           2
        .value_kind:     hidden_group_size_x
      - .offset:         158
        .size:           2
        .value_kind:     hidden_group_size_y
      - .offset:         160
        .size:           2
        .value_kind:     hidden_group_size_z
      - .offset:         162
        .size:           2
        .value_kind:     hidden_remainder_x
      - .offset:         164
        .size:           2
        .value_kind:     hidden_remainder_y
      - .offset:         166
        .size:           2
        .value_kind:     hidden_remainder_z
      - .offset:         184
        .size:           8
        .value_kind:     hidden_global_offset_x
      - .offset:         192
        .size:           8
        .value_kind:     hidden_global_offset_y
      - .offset:         200
        .size:           8
        .value_kind:     hidden_global_offset_z
      - .offset:         208
        .size:           2
        .value_kind:     hidden_grid_dims
      - .offset:         224
        .size:           8
        .value_kind:     hidden_hostcall_buffer
    .group_segment_fixed_size: 0
    .kernarg_segment_align: 8
    .kernarg_segment_size: 400
    .language:       OpenCL C
    .language_version:
      - 2
      - 0
    .max_flat_workgroup_size: 256
    .name:           _Z38paged_attention_ll4mi_QKV_mfma4_kernelI14__hip_bfloat16S0_LN4vllm18Fp8KVCacheDataTypeE0ES0_Li16ELi128ELi256ELb0ELi1EEvPKT_PKT0_S8_ifPKiSA_SA_iPKfiiiPfSD_PS3_PT2_iSC_SC_
    .private_segment_fixed_size: 64
    .sgpr_count:     36
    .sgpr_spill_count: 0
    .symbol:         _Z38paged_attention_ll4mi_QKV_mfma4_kernelI14__hip_bfloat16S0_LN4vllm18Fp8KVCacheDataTypeE0ES0_Li16ELi128ELi256ELb0ELi1EEvPKT_PKT0_S8_ifPKiSA_SA_iPKfiiiPfSD_PS3_PT2_iSC_SC_.kd
    .uniform_work_group_size: 1
    .uses_dynamic_stack: false
    .vgpr_count:     51
    .vgpr_spill_count: 0
    .wavefront_size: 32
  - .args:
      - .actual_access:  read_only
        .address_space:  global
        .offset:         0
        .size:           8
        .value_kind:     global_buffer
      - .actual_access:  read_only
        .address_space:  global
        .offset:         8
        .size:           8
        .value_kind:     global_buffer
      - .actual_access:  read_only
        .address_space:  global
        .offset:         16
        .size:           8
        .value_kind:     global_buffer
      - .offset:         24
        .size:           4
        .value_kind:     by_value
      - .offset:         28
        .size:           4
        .value_kind:     by_value
      - .actual_access:  read_only
        .address_space:  global
        .offset:         32
        .size:           8
        .value_kind:     global_buffer
      - .actual_access:  read_only
        .address_space:  global
        .offset:         40
        .size:           8
        .value_kind:     global_buffer
      - .actual_access:  read_only
        .address_space:  global
        .offset:         48
        .size:           8
        .value_kind:     global_buffer
      - .offset:         56
        .size:           4
        .value_kind:     by_value
      - .actual_access:  read_only
        .address_space:  global
        .offset:         64
        .size:           8
        .value_kind:     global_buffer
      - .offset:         72
        .size:           4
        .value_kind:     by_value
      - .offset:         76
        .size:           4
        .value_kind:     by_value
      - .offset:         80
        .size:           4
        .value_kind:     by_value
      - .actual_access:  read_only
        .address_space:  global
        .offset:         88
        .size:           8
        .value_kind:     global_buffer
      - .actual_access:  read_only
        .address_space:  global
        .offset:         96
        .size:           8
        .value_kind:     global_buffer
      - .actual_access:  read_only
        .address_space:  global
        .offset:         104
        .size:           8
        .value_kind:     global_buffer
      - .actual_access:  read_only
        .address_space:  global
        .offset:         112
        .size:           8
        .value_kind:     global_buffer
      - .offset:         120
        .size:           4
        .value_kind:     by_value
      - .address_space:  global
        .offset:         128
        .size:           8
        .value_kind:     global_buffer
      - .address_space:  global
        .offset:         136
        .size:           8
        .value_kind:     global_buffer
      - .offset:         144
        .size:           4
        .value_kind:     hidden_block_count_x
      - .offset:         148
        .size:           4
        .value_kind:     hidden_block_count_y
      - .offset:         152
        .size:           4
        .value_kind:     hidden_block_count_z
      - .offset:         156
        .size:           2
        .value_kind:     hidden_group_size_x
      - .offset:         158
        .size:           2
        .value_kind:     hidden_group_size_y
      - .offset:         160
        .size:           2
        .value_kind:     hidden_group_size_z
      - .offset:         162
        .size:           2
        .value_kind:     hidden_remainder_x
      - .offset:         164
        .size:           2
        .value_kind:     hidden_remainder_y
      - .offset:         166
        .size:           2
        .value_kind:     hidden_remainder_z
      - .offset:         184
        .size:           8
        .value_kind:     hidden_global_offset_x
      - .offset:         192
        .size:           8
        .value_kind:     hidden_global_offset_y
      - .offset:         200
        .size:           8
        .value_kind:     hidden_global_offset_z
      - .offset:         208
        .size:           2
        .value_kind:     hidden_grid_dims
      - .offset:         224
        .size:           8
        .value_kind:     hidden_hostcall_buffer
    .group_segment_fixed_size: 0
    .kernarg_segment_align: 8
    .kernarg_segment_size: 400
    .language:       OpenCL C
    .language_version:
      - 2
      - 0
    .max_flat_workgroup_size: 256
    .name:           _Z38paged_attention_ll4mi_QKV_mfma4_kernelI14__hip_bfloat16S0_LN4vllm18Fp8KVCacheDataTypeE0ES0_Li16ELi128ELi256ELb0ELi2EEvPKT_PKT0_S8_ifPKiSA_SA_iPKfiiiPfSD_PS3_PT2_iSC_SC_
    .private_segment_fixed_size: 64
    .sgpr_count:     36
    .sgpr_spill_count: 0
    .symbol:         _Z38paged_attention_ll4mi_QKV_mfma4_kernelI14__hip_bfloat16S0_LN4vllm18Fp8KVCacheDataTypeE0ES0_Li16ELi128ELi256ELb0ELi2EEvPKT_PKT0_S8_ifPKiSA_SA_iPKfiiiPfSD_PS3_PT2_iSC_SC_.kd
    .uniform_work_group_size: 1
    .uses_dynamic_stack: false
    .vgpr_count:     51
    .vgpr_spill_count: 0
    .wavefront_size: 32
  - .args:
      - .actual_access:  read_only
        .address_space:  global
        .offset:         0
        .size:           8
        .value_kind:     global_buffer
      - .actual_access:  read_only
        .address_space:  global
        .offset:         8
        .size:           8
        .value_kind:     global_buffer
      - .actual_access:  read_only
        .address_space:  global
        .offset:         16
        .size:           8
        .value_kind:     global_buffer
      - .offset:         24
        .size:           4
        .value_kind:     by_value
      - .offset:         28
        .size:           4
        .value_kind:     by_value
      - .actual_access:  read_only
        .address_space:  global
        .offset:         32
        .size:           8
        .value_kind:     global_buffer
      - .actual_access:  read_only
        .address_space:  global
        .offset:         40
        .size:           8
        .value_kind:     global_buffer
      - .actual_access:  read_only
        .address_space:  global
        .offset:         48
        .size:           8
        .value_kind:     global_buffer
      - .offset:         56
        .size:           4
        .value_kind:     by_value
      - .actual_access:  read_only
        .address_space:  global
        .offset:         64
        .size:           8
        .value_kind:     global_buffer
      - .offset:         72
        .size:           4
        .value_kind:     by_value
      - .offset:         76
        .size:           4
        .value_kind:     by_value
      - .offset:         80
        .size:           4
        .value_kind:     by_value
      - .actual_access:  read_only
        .address_space:  global
        .offset:         88
        .size:           8
        .value_kind:     global_buffer
      - .actual_access:  read_only
        .address_space:  global
        .offset:         96
        .size:           8
        .value_kind:     global_buffer
      - .actual_access:  read_only
        .address_space:  global
        .offset:         104
        .size:           8
        .value_kind:     global_buffer
      - .actual_access:  read_only
        .address_space:  global
        .offset:         112
        .size:           8
        .value_kind:     global_buffer
      - .offset:         120
        .size:           4
        .value_kind:     by_value
      - .address_space:  global
        .offset:         128
        .size:           8
        .value_kind:     global_buffer
      - .address_space:  global
        .offset:         136
        .size:           8
        .value_kind:     global_buffer
      - .offset:         144
        .size:           4
        .value_kind:     hidden_block_count_x
      - .offset:         148
        .size:           4
        .value_kind:     hidden_block_count_y
      - .offset:         152
        .size:           4
        .value_kind:     hidden_block_count_z
      - .offset:         156
        .size:           2
        .value_kind:     hidden_group_size_x
      - .offset:         158
        .size:           2
        .value_kind:     hidden_group_size_y
      - .offset:         160
        .size:           2
        .value_kind:     hidden_group_size_z
      - .offset:         162
        .size:           2
        .value_kind:     hidden_remainder_x
      - .offset:         164
        .size:           2
        .value_kind:     hidden_remainder_y
      - .offset:         166
        .size:           2
        .value_kind:     hidden_remainder_z
      - .offset:         184
        .size:           8
        .value_kind:     hidden_global_offset_x
      - .offset:         192
        .size:           8
        .value_kind:     hidden_global_offset_y
      - .offset:         200
        .size:           8
        .value_kind:     hidden_global_offset_z
      - .offset:         208
        .size:           2
        .value_kind:     hidden_grid_dims
      - .offset:         224
        .size:           8
        .value_kind:     hidden_hostcall_buffer
    .group_segment_fixed_size: 0
    .kernarg_segment_align: 8
    .kernarg_segment_size: 400
    .language:       OpenCL C
    .language_version:
      - 2
      - 0
    .max_flat_workgroup_size: 256
    .name:           _Z38paged_attention_ll4mi_QKV_mfma4_kernelI14__hip_bfloat16S0_LN4vllm18Fp8KVCacheDataTypeE0ES0_Li16ELi128ELi256ELb0ELi3EEvPKT_PKT0_S8_ifPKiSA_SA_iPKfiiiPfSD_PS3_PT2_iSC_SC_
    .private_segment_fixed_size: 64
    .sgpr_count:     36
    .sgpr_spill_count: 0
    .symbol:         _Z38paged_attention_ll4mi_QKV_mfma4_kernelI14__hip_bfloat16S0_LN4vllm18Fp8KVCacheDataTypeE0ES0_Li16ELi128ELi256ELb0ELi3EEvPKT_PKT0_S8_ifPKiSA_SA_iPKfiiiPfSD_PS3_PT2_iSC_SC_.kd
    .uniform_work_group_size: 1
    .uses_dynamic_stack: false
    .vgpr_count:     51
    .vgpr_spill_count: 0
    .wavefront_size: 32
  - .args:
      - .actual_access:  read_only
        .address_space:  global
        .offset:         0
        .size:           8
        .value_kind:     global_buffer
      - .actual_access:  read_only
        .address_space:  global
        .offset:         8
        .size:           8
        .value_kind:     global_buffer
      - .actual_access:  read_only
        .address_space:  global
        .offset:         16
        .size:           8
        .value_kind:     global_buffer
      - .offset:         24
        .size:           4
        .value_kind:     by_value
      - .offset:         28
        .size:           4
        .value_kind:     by_value
      - .actual_access:  read_only
        .address_space:  global
        .offset:         32
        .size:           8
        .value_kind:     global_buffer
      - .actual_access:  read_only
        .address_space:  global
        .offset:         40
        .size:           8
        .value_kind:     global_buffer
      - .actual_access:  read_only
        .address_space:  global
        .offset:         48
        .size:           8
        .value_kind:     global_buffer
      - .offset:         56
        .size:           4
        .value_kind:     by_value
      - .actual_access:  read_only
        .address_space:  global
        .offset:         64
        .size:           8
        .value_kind:     global_buffer
      - .offset:         72
        .size:           4
        .value_kind:     by_value
      - .offset:         76
        .size:           4
        .value_kind:     by_value
      - .offset:         80
        .size:           4
        .value_kind:     by_value
      - .actual_access:  read_only
        .address_space:  global
        .offset:         88
        .size:           8
        .value_kind:     global_buffer
      - .actual_access:  read_only
        .address_space:  global
        .offset:         96
        .size:           8
        .value_kind:     global_buffer
      - .actual_access:  read_only
        .address_space:  global
        .offset:         104
        .size:           8
        .value_kind:     global_buffer
      - .actual_access:  read_only
        .address_space:  global
        .offset:         112
        .size:           8
        .value_kind:     global_buffer
      - .offset:         120
        .size:           4
        .value_kind:     by_value
      - .address_space:  global
        .offset:         128
        .size:           8
        .value_kind:     global_buffer
      - .address_space:  global
        .offset:         136
        .size:           8
        .value_kind:     global_buffer
      - .offset:         144
        .size:           4
        .value_kind:     hidden_block_count_x
      - .offset:         148
        .size:           4
        .value_kind:     hidden_block_count_y
      - .offset:         152
        .size:           4
        .value_kind:     hidden_block_count_z
      - .offset:         156
        .size:           2
        .value_kind:     hidden_group_size_x
      - .offset:         158
        .size:           2
        .value_kind:     hidden_group_size_y
      - .offset:         160
        .size:           2
        .value_kind:     hidden_group_size_z
      - .offset:         162
        .size:           2
        .value_kind:     hidden_remainder_x
      - .offset:         164
        .size:           2
        .value_kind:     hidden_remainder_y
      - .offset:         166
        .size:           2
        .value_kind:     hidden_remainder_z
      - .offset:         184
        .size:           8
        .value_kind:     hidden_global_offset_x
      - .offset:         192
        .size:           8
        .value_kind:     hidden_global_offset_y
      - .offset:         200
        .size:           8
        .value_kind:     hidden_global_offset_z
      - .offset:         208
        .size:           2
        .value_kind:     hidden_grid_dims
      - .offset:         224
        .size:           8
        .value_kind:     hidden_hostcall_buffer
    .group_segment_fixed_size: 0
    .kernarg_segment_align: 8
    .kernarg_segment_size: 400
    .language:       OpenCL C
    .language_version:
      - 2
      - 0
    .max_flat_workgroup_size: 256
    .name:           _Z38paged_attention_ll4mi_QKV_mfma4_kernelI14__hip_bfloat16S0_LN4vllm18Fp8KVCacheDataTypeE0ES0_Li16ELi128ELi256ELb0ELi4EEvPKT_PKT0_S8_ifPKiSA_SA_iPKfiiiPfSD_PS3_PT2_iSC_SC_
    .private_segment_fixed_size: 64
    .sgpr_count:     36
    .sgpr_spill_count: 0
    .symbol:         _Z38paged_attention_ll4mi_QKV_mfma4_kernelI14__hip_bfloat16S0_LN4vllm18Fp8KVCacheDataTypeE0ES0_Li16ELi128ELi256ELb0ELi4EEvPKT_PKT0_S8_ifPKiSA_SA_iPKfiiiPfSD_PS3_PT2_iSC_SC_.kd
    .uniform_work_group_size: 1
    .uses_dynamic_stack: false
    .vgpr_count:     51
    .vgpr_spill_count: 0
    .wavefront_size: 32
  - .args:
      - .actual_access:  read_only
        .address_space:  global
        .offset:         0
        .size:           8
        .value_kind:     global_buffer
      - .actual_access:  read_only
        .address_space:  global
        .offset:         8
        .size:           8
        .value_kind:     global_buffer
      - .actual_access:  read_only
        .address_space:  global
        .offset:         16
        .size:           8
        .value_kind:     global_buffer
      - .offset:         24
        .size:           4
        .value_kind:     by_value
      - .offset:         28
        .size:           4
        .value_kind:     by_value
      - .actual_access:  read_only
        .address_space:  global
        .offset:         32
        .size:           8
        .value_kind:     global_buffer
      - .actual_access:  read_only
        .address_space:  global
        .offset:         40
        .size:           8
        .value_kind:     global_buffer
      - .actual_access:  read_only
        .address_space:  global
        .offset:         48
        .size:           8
        .value_kind:     global_buffer
      - .offset:         56
        .size:           4
        .value_kind:     by_value
      - .actual_access:  read_only
        .address_space:  global
        .offset:         64
        .size:           8
        .value_kind:     global_buffer
      - .offset:         72
        .size:           4
        .value_kind:     by_value
      - .offset:         76
        .size:           4
        .value_kind:     by_value
      - .offset:         80
        .size:           4
        .value_kind:     by_value
      - .actual_access:  read_only
        .address_space:  global
        .offset:         88
        .size:           8
        .value_kind:     global_buffer
      - .actual_access:  read_only
        .address_space:  global
        .offset:         96
        .size:           8
        .value_kind:     global_buffer
      - .actual_access:  read_only
        .address_space:  global
        .offset:         104
        .size:           8
        .value_kind:     global_buffer
      - .actual_access:  read_only
        .address_space:  global
        .offset:         112
        .size:           8
        .value_kind:     global_buffer
      - .offset:         120
        .size:           4
        .value_kind:     by_value
      - .address_space:  global
        .offset:         128
        .size:           8
        .value_kind:     global_buffer
      - .address_space:  global
        .offset:         136
        .size:           8
        .value_kind:     global_buffer
      - .offset:         144
        .size:           4
        .value_kind:     hidden_block_count_x
      - .offset:         148
        .size:           4
        .value_kind:     hidden_block_count_y
      - .offset:         152
        .size:           4
        .value_kind:     hidden_block_count_z
      - .offset:         156
        .size:           2
        .value_kind:     hidden_group_size_x
      - .offset:         158
        .size:           2
        .value_kind:     hidden_group_size_y
      - .offset:         160
        .size:           2
        .value_kind:     hidden_group_size_z
      - .offset:         162
        .size:           2
        .value_kind:     hidden_remainder_x
      - .offset:         164
        .size:           2
        .value_kind:     hidden_remainder_y
      - .offset:         166
        .size:           2
        .value_kind:     hidden_remainder_z
      - .offset:         184
        .size:           8
        .value_kind:     hidden_global_offset_x
      - .offset:         192
        .size:           8
        .value_kind:     hidden_global_offset_y
      - .offset:         200
        .size:           8
        .value_kind:     hidden_global_offset_z
      - .offset:         208
        .size:           2
        .value_kind:     hidden_grid_dims
      - .offset:         224
        .size:           8
        .value_kind:     hidden_hostcall_buffer
    .group_segment_fixed_size: 0
    .kernarg_segment_align: 8
    .kernarg_segment_size: 400
    .language:       OpenCL C
    .language_version:
      - 2
      - 0
    .max_flat_workgroup_size: 256
    .name:           _Z39paged_attention_ll4mi_QKV_mfma16_kernelI14__hip_bfloat16S0_LN4vllm18Fp8KVCacheDataTypeE0ES0_Li16ELi128ELi256ELb0ELi5EEvPKT_PKT0_S8_ifPKiSA_SA_iPKfiiiPfSD_PS3_PT2_iSC_SC_
    .private_segment_fixed_size: 64
    .sgpr_count:     36
    .sgpr_spill_count: 0
    .symbol:         _Z39paged_attention_ll4mi_QKV_mfma16_kernelI14__hip_bfloat16S0_LN4vllm18Fp8KVCacheDataTypeE0ES0_Li16ELi128ELi256ELb0ELi5EEvPKT_PKT0_S8_ifPKiSA_SA_iPKfiiiPfSD_PS3_PT2_iSC_SC_.kd
    .uniform_work_group_size: 1
    .uses_dynamic_stack: false
    .vgpr_count:     51
    .vgpr_spill_count: 0
    .wavefront_size: 32
  - .args:
      - .actual_access:  read_only
        .address_space:  global
        .offset:         0
        .size:           8
        .value_kind:     global_buffer
      - .actual_access:  read_only
        .address_space:  global
        .offset:         8
        .size:           8
        .value_kind:     global_buffer
      - .actual_access:  read_only
        .address_space:  global
        .offset:         16
        .size:           8
        .value_kind:     global_buffer
      - .offset:         24
        .size:           4
        .value_kind:     by_value
      - .offset:         28
        .size:           4
        .value_kind:     by_value
      - .actual_access:  read_only
        .address_space:  global
        .offset:         32
        .size:           8
        .value_kind:     global_buffer
      - .actual_access:  read_only
        .address_space:  global
        .offset:         40
        .size:           8
        .value_kind:     global_buffer
      - .actual_access:  read_only
        .address_space:  global
        .offset:         48
        .size:           8
        .value_kind:     global_buffer
      - .offset:         56
        .size:           4
        .value_kind:     by_value
      - .actual_access:  read_only
        .address_space:  global
        .offset:         64
        .size:           8
        .value_kind:     global_buffer
      - .offset:         72
        .size:           4
        .value_kind:     by_value
      - .offset:         76
        .size:           4
        .value_kind:     by_value
      - .offset:         80
        .size:           4
        .value_kind:     by_value
      - .actual_access:  read_only
        .address_space:  global
        .offset:         88
        .size:           8
        .value_kind:     global_buffer
      - .actual_access:  read_only
        .address_space:  global
        .offset:         96
        .size:           8
        .value_kind:     global_buffer
      - .actual_access:  read_only
        .address_space:  global
        .offset:         104
        .size:           8
        .value_kind:     global_buffer
      - .actual_access:  read_only
        .address_space:  global
        .offset:         112
        .size:           8
        .value_kind:     global_buffer
      - .offset:         120
        .size:           4
        .value_kind:     by_value
      - .address_space:  global
        .offset:         128
        .size:           8
        .value_kind:     global_buffer
      - .address_space:  global
        .offset:         136
        .size:           8
        .value_kind:     global_buffer
      - .offset:         144
        .size:           4
        .value_kind:     hidden_block_count_x
      - .offset:         148
        .size:           4
        .value_kind:     hidden_block_count_y
      - .offset:         152
        .size:           4
        .value_kind:     hidden_block_count_z
      - .offset:         156
        .size:           2
        .value_kind:     hidden_group_size_x
      - .offset:         158
        .size:           2
        .value_kind:     hidden_group_size_y
      - .offset:         160
        .size:           2
        .value_kind:     hidden_group_size_z
      - .offset:         162
        .size:           2
        .value_kind:     hidden_remainder_x
      - .offset:         164
        .size:           2
        .value_kind:     hidden_remainder_y
      - .offset:         166
        .size:           2
        .value_kind:     hidden_remainder_z
      - .offset:         184
        .size:           8
        .value_kind:     hidden_global_offset_x
      - .offset:         192
        .size:           8
        .value_kind:     hidden_global_offset_y
      - .offset:         200
        .size:           8
        .value_kind:     hidden_global_offset_z
      - .offset:         208
        .size:           2
        .value_kind:     hidden_grid_dims
      - .offset:         224
        .size:           8
        .value_kind:     hidden_hostcall_buffer
    .group_segment_fixed_size: 0
    .kernarg_segment_align: 8
    .kernarg_segment_size: 400
    .language:       OpenCL C
    .language_version:
      - 2
      - 0
    .max_flat_workgroup_size: 256
    .name:           _Z39paged_attention_ll4mi_QKV_mfma16_kernelI14__hip_bfloat16S0_LN4vllm18Fp8KVCacheDataTypeE0ES0_Li16ELi128ELi256ELb0ELi6EEvPKT_PKT0_S8_ifPKiSA_SA_iPKfiiiPfSD_PS3_PT2_iSC_SC_
    .private_segment_fixed_size: 64
    .sgpr_count:     36
    .sgpr_spill_count: 0
    .symbol:         _Z39paged_attention_ll4mi_QKV_mfma16_kernelI14__hip_bfloat16S0_LN4vllm18Fp8KVCacheDataTypeE0ES0_Li16ELi128ELi256ELb0ELi6EEvPKT_PKT0_S8_ifPKiSA_SA_iPKfiiiPfSD_PS3_PT2_iSC_SC_.kd
    .uniform_work_group_size: 1
    .uses_dynamic_stack: false
    .vgpr_count:     51
    .vgpr_spill_count: 0
    .wavefront_size: 32
  - .args:
      - .actual_access:  read_only
        .address_space:  global
        .offset:         0
        .size:           8
        .value_kind:     global_buffer
      - .actual_access:  read_only
        .address_space:  global
        .offset:         8
        .size:           8
        .value_kind:     global_buffer
      - .actual_access:  read_only
        .address_space:  global
        .offset:         16
        .size:           8
        .value_kind:     global_buffer
      - .offset:         24
        .size:           4
        .value_kind:     by_value
      - .offset:         28
        .size:           4
        .value_kind:     by_value
      - .actual_access:  read_only
        .address_space:  global
        .offset:         32
        .size:           8
        .value_kind:     global_buffer
      - .actual_access:  read_only
        .address_space:  global
        .offset:         40
        .size:           8
        .value_kind:     global_buffer
      - .actual_access:  read_only
        .address_space:  global
        .offset:         48
        .size:           8
        .value_kind:     global_buffer
      - .offset:         56
        .size:           4
        .value_kind:     by_value
      - .actual_access:  read_only
        .address_space:  global
        .offset:         64
        .size:           8
        .value_kind:     global_buffer
      - .offset:         72
        .size:           4
        .value_kind:     by_value
      - .offset:         76
        .size:           4
        .value_kind:     by_value
      - .offset:         80
        .size:           4
        .value_kind:     by_value
      - .actual_access:  read_only
        .address_space:  global
        .offset:         88
        .size:           8
        .value_kind:     global_buffer
      - .actual_access:  read_only
        .address_space:  global
        .offset:         96
        .size:           8
        .value_kind:     global_buffer
      - .actual_access:  read_only
        .address_space:  global
        .offset:         104
        .size:           8
        .value_kind:     global_buffer
      - .actual_access:  read_only
        .address_space:  global
        .offset:         112
        .size:           8
        .value_kind:     global_buffer
      - .offset:         120
        .size:           4
        .value_kind:     by_value
      - .address_space:  global
        .offset:         128
        .size:           8
        .value_kind:     global_buffer
      - .address_space:  global
        .offset:         136
        .size:           8
        .value_kind:     global_buffer
      - .offset:         144
        .size:           4
        .value_kind:     hidden_block_count_x
      - .offset:         148
        .size:           4
        .value_kind:     hidden_block_count_y
      - .offset:         152
        .size:           4
        .value_kind:     hidden_block_count_z
      - .offset:         156
        .size:           2
        .value_kind:     hidden_group_size_x
      - .offset:         158
        .size:           2
        .value_kind:     hidden_group_size_y
      - .offset:         160
        .size:           2
        .value_kind:     hidden_group_size_z
      - .offset:         162
        .size:           2
        .value_kind:     hidden_remainder_x
      - .offset:         164
        .size:           2
        .value_kind:     hidden_remainder_y
      - .offset:         166
        .size:           2
        .value_kind:     hidden_remainder_z
      - .offset:         184
        .size:           8
        .value_kind:     hidden_global_offset_x
      - .offset:         192
        .size:           8
        .value_kind:     hidden_global_offset_y
      - .offset:         200
        .size:           8
        .value_kind:     hidden_global_offset_z
      - .offset:         208
        .size:           2
        .value_kind:     hidden_grid_dims
      - .offset:         224
        .size:           8
        .value_kind:     hidden_hostcall_buffer
    .group_segment_fixed_size: 0
    .kernarg_segment_align: 8
    .kernarg_segment_size: 400
    .language:       OpenCL C
    .language_version:
      - 2
      - 0
    .max_flat_workgroup_size: 256
    .name:           _Z39paged_attention_ll4mi_QKV_mfma16_kernelI14__hip_bfloat16S0_LN4vllm18Fp8KVCacheDataTypeE0ES0_Li16ELi128ELi256ELb0ELi7EEvPKT_PKT0_S8_ifPKiSA_SA_iPKfiiiPfSD_PS3_PT2_iSC_SC_
    .private_segment_fixed_size: 64
    .sgpr_count:     36
    .sgpr_spill_count: 0
    .symbol:         _Z39paged_attention_ll4mi_QKV_mfma16_kernelI14__hip_bfloat16S0_LN4vllm18Fp8KVCacheDataTypeE0ES0_Li16ELi128ELi256ELb0ELi7EEvPKT_PKT0_S8_ifPKiSA_SA_iPKfiiiPfSD_PS3_PT2_iSC_SC_.kd
    .uniform_work_group_size: 1
    .uses_dynamic_stack: false
    .vgpr_count:     51
    .vgpr_spill_count: 0
    .wavefront_size: 32
  - .args:
      - .actual_access:  read_only
        .address_space:  global
        .offset:         0
        .size:           8
        .value_kind:     global_buffer
      - .actual_access:  read_only
        .address_space:  global
        .offset:         8
        .size:           8
        .value_kind:     global_buffer
      - .actual_access:  read_only
        .address_space:  global
        .offset:         16
        .size:           8
        .value_kind:     global_buffer
      - .offset:         24
        .size:           4
        .value_kind:     by_value
      - .offset:         28
        .size:           4
        .value_kind:     by_value
      - .actual_access:  read_only
        .address_space:  global
        .offset:         32
        .size:           8
        .value_kind:     global_buffer
      - .actual_access:  read_only
        .address_space:  global
        .offset:         40
        .size:           8
        .value_kind:     global_buffer
      - .actual_access:  read_only
        .address_space:  global
        .offset:         48
        .size:           8
        .value_kind:     global_buffer
      - .offset:         56
        .size:           4
        .value_kind:     by_value
      - .actual_access:  read_only
        .address_space:  global
        .offset:         64
        .size:           8
        .value_kind:     global_buffer
      - .offset:         72
        .size:           4
        .value_kind:     by_value
      - .offset:         76
        .size:           4
        .value_kind:     by_value
      - .offset:         80
        .size:           4
        .value_kind:     by_value
      - .actual_access:  read_only
        .address_space:  global
        .offset:         88
        .size:           8
        .value_kind:     global_buffer
      - .actual_access:  read_only
        .address_space:  global
        .offset:         96
        .size:           8
        .value_kind:     global_buffer
      - .actual_access:  read_only
        .address_space:  global
        .offset:         104
        .size:           8
        .value_kind:     global_buffer
      - .actual_access:  read_only
        .address_space:  global
        .offset:         112
        .size:           8
        .value_kind:     global_buffer
      - .offset:         120
        .size:           4
        .value_kind:     by_value
      - .address_space:  global
        .offset:         128
        .size:           8
        .value_kind:     global_buffer
      - .address_space:  global
        .offset:         136
        .size:           8
        .value_kind:     global_buffer
      - .offset:         144
        .size:           4
        .value_kind:     hidden_block_count_x
      - .offset:         148
        .size:           4
        .value_kind:     hidden_block_count_y
      - .offset:         152
        .size:           4
        .value_kind:     hidden_block_count_z
      - .offset:         156
        .size:           2
        .value_kind:     hidden_group_size_x
      - .offset:         158
        .size:           2
        .value_kind:     hidden_group_size_y
      - .offset:         160
        .size:           2
        .value_kind:     hidden_group_size_z
      - .offset:         162
        .size:           2
        .value_kind:     hidden_remainder_x
      - .offset:         164
        .size:           2
        .value_kind:     hidden_remainder_y
      - .offset:         166
        .size:           2
        .value_kind:     hidden_remainder_z
      - .offset:         184
        .size:           8
        .value_kind:     hidden_global_offset_x
      - .offset:         192
        .size:           8
        .value_kind:     hidden_global_offset_y
      - .offset:         200
        .size:           8
        .value_kind:     hidden_global_offset_z
      - .offset:         208
        .size:           2
        .value_kind:     hidden_grid_dims
      - .offset:         224
        .size:           8
        .value_kind:     hidden_hostcall_buffer
    .group_segment_fixed_size: 0
    .kernarg_segment_align: 8
    .kernarg_segment_size: 400
    .language:       OpenCL C
    .language_version:
      - 2
      - 0
    .max_flat_workgroup_size: 256
    .name:           _Z39paged_attention_ll4mi_QKV_mfma16_kernelI14__hip_bfloat16S0_LN4vllm18Fp8KVCacheDataTypeE0ES0_Li16ELi128ELi256ELb0ELi8EEvPKT_PKT0_S8_ifPKiSA_SA_iPKfiiiPfSD_PS3_PT2_iSC_SC_
    .private_segment_fixed_size: 64
    .sgpr_count:     36
    .sgpr_spill_count: 0
    .symbol:         _Z39paged_attention_ll4mi_QKV_mfma16_kernelI14__hip_bfloat16S0_LN4vllm18Fp8KVCacheDataTypeE0ES0_Li16ELi128ELi256ELb0ELi8EEvPKT_PKT0_S8_ifPKiSA_SA_iPKfiiiPfSD_PS3_PT2_iSC_SC_.kd
    .uniform_work_group_size: 1
    .uses_dynamic_stack: false
    .vgpr_count:     51
    .vgpr_spill_count: 0
    .wavefront_size: 32
  - .args:
      - .actual_access:  read_only
        .address_space:  global
        .offset:         0
        .size:           8
        .value_kind:     global_buffer
      - .actual_access:  read_only
        .address_space:  global
        .offset:         8
        .size:           8
        .value_kind:     global_buffer
      - .actual_access:  read_only
        .address_space:  global
        .offset:         16
        .size:           8
        .value_kind:     global_buffer
      - .offset:         24
        .size:           4
        .value_kind:     by_value
      - .offset:         28
        .size:           4
        .value_kind:     by_value
      - .actual_access:  read_only
        .address_space:  global
        .offset:         32
        .size:           8
        .value_kind:     global_buffer
      - .actual_access:  read_only
        .address_space:  global
        .offset:         40
        .size:           8
        .value_kind:     global_buffer
      - .actual_access:  read_only
        .address_space:  global
        .offset:         48
        .size:           8
        .value_kind:     global_buffer
      - .offset:         56
        .size:           4
        .value_kind:     by_value
      - .actual_access:  read_only
        .address_space:  global
        .offset:         64
        .size:           8
        .value_kind:     global_buffer
      - .offset:         72
        .size:           4
        .value_kind:     by_value
      - .offset:         76
        .size:           4
        .value_kind:     by_value
      - .offset:         80
        .size:           4
        .value_kind:     by_value
      - .actual_access:  read_only
        .address_space:  global
        .offset:         88
        .size:           8
        .value_kind:     global_buffer
      - .actual_access:  read_only
        .address_space:  global
        .offset:         96
        .size:           8
        .value_kind:     global_buffer
      - .actual_access:  read_only
        .address_space:  global
        .offset:         104
        .size:           8
        .value_kind:     global_buffer
      - .actual_access:  read_only
        .address_space:  global
        .offset:         112
        .size:           8
        .value_kind:     global_buffer
      - .offset:         120
        .size:           4
        .value_kind:     by_value
      - .address_space:  global
        .offset:         128
        .size:           8
        .value_kind:     global_buffer
      - .address_space:  global
        .offset:         136
        .size:           8
        .value_kind:     global_buffer
      - .offset:         144
        .size:           4
        .value_kind:     hidden_block_count_x
      - .offset:         148
        .size:           4
        .value_kind:     hidden_block_count_y
      - .offset:         152
        .size:           4
        .value_kind:     hidden_block_count_z
      - .offset:         156
        .size:           2
        .value_kind:     hidden_group_size_x
      - .offset:         158
        .size:           2
        .value_kind:     hidden_group_size_y
      - .offset:         160
        .size:           2
        .value_kind:     hidden_group_size_z
      - .offset:         162
        .size:           2
        .value_kind:     hidden_remainder_x
      - .offset:         164
        .size:           2
        .value_kind:     hidden_remainder_y
      - .offset:         166
        .size:           2
        .value_kind:     hidden_remainder_z
      - .offset:         184
        .size:           8
        .value_kind:     hidden_global_offset_x
      - .offset:         192
        .size:           8
        .value_kind:     hidden_global_offset_y
      - .offset:         200
        .size:           8
        .value_kind:     hidden_global_offset_z
      - .offset:         208
        .size:           2
        .value_kind:     hidden_grid_dims
      - .offset:         224
        .size:           8
        .value_kind:     hidden_hostcall_buffer
    .group_segment_fixed_size: 0
    .kernarg_segment_align: 8
    .kernarg_segment_size: 400
    .language:       OpenCL C
    .language_version:
      - 2
      - 0
    .max_flat_workgroup_size: 256
    .name:           _Z39paged_attention_ll4mi_QKV_mfma16_kernelI14__hip_bfloat16S0_LN4vllm18Fp8KVCacheDataTypeE0ES0_Li16ELi128ELi256ELb0ELi9EEvPKT_PKT0_S8_ifPKiSA_SA_iPKfiiiPfSD_PS3_PT2_iSC_SC_
    .private_segment_fixed_size: 64
    .sgpr_count:     36
    .sgpr_spill_count: 0
    .symbol:         _Z39paged_attention_ll4mi_QKV_mfma16_kernelI14__hip_bfloat16S0_LN4vllm18Fp8KVCacheDataTypeE0ES0_Li16ELi128ELi256ELb0ELi9EEvPKT_PKT0_S8_ifPKiSA_SA_iPKfiiiPfSD_PS3_PT2_iSC_SC_.kd
    .uniform_work_group_size: 1
    .uses_dynamic_stack: false
    .vgpr_count:     51
    .vgpr_spill_count: 0
    .wavefront_size: 32
  - .args:
      - .actual_access:  read_only
        .address_space:  global
        .offset:         0
        .size:           8
        .value_kind:     global_buffer
      - .actual_access:  read_only
        .address_space:  global
        .offset:         8
        .size:           8
        .value_kind:     global_buffer
      - .actual_access:  read_only
        .address_space:  global
        .offset:         16
        .size:           8
        .value_kind:     global_buffer
      - .offset:         24
        .size:           4
        .value_kind:     by_value
      - .offset:         28
        .size:           4
        .value_kind:     by_value
      - .actual_access:  read_only
        .address_space:  global
        .offset:         32
        .size:           8
        .value_kind:     global_buffer
      - .actual_access:  read_only
        .address_space:  global
        .offset:         40
        .size:           8
        .value_kind:     global_buffer
      - .actual_access:  read_only
        .address_space:  global
        .offset:         48
        .size:           8
        .value_kind:     global_buffer
      - .offset:         56
        .size:           4
        .value_kind:     by_value
      - .actual_access:  read_only
        .address_space:  global
        .offset:         64
        .size:           8
        .value_kind:     global_buffer
      - .offset:         72
        .size:           4
        .value_kind:     by_value
      - .offset:         76
        .size:           4
        .value_kind:     by_value
      - .offset:         80
        .size:           4
        .value_kind:     by_value
      - .actual_access:  read_only
        .address_space:  global
        .offset:         88
        .size:           8
        .value_kind:     global_buffer
      - .actual_access:  read_only
        .address_space:  global
        .offset:         96
        .size:           8
        .value_kind:     global_buffer
      - .actual_access:  read_only
        .address_space:  global
        .offset:         104
        .size:           8
        .value_kind:     global_buffer
      - .actual_access:  read_only
        .address_space:  global
        .offset:         112
        .size:           8
        .value_kind:     global_buffer
      - .offset:         120
        .size:           4
        .value_kind:     by_value
      - .address_space:  global
        .offset:         128
        .size:           8
        .value_kind:     global_buffer
      - .address_space:  global
        .offset:         136
        .size:           8
        .value_kind:     global_buffer
      - .offset:         144
        .size:           4
        .value_kind:     hidden_block_count_x
      - .offset:         148
        .size:           4
        .value_kind:     hidden_block_count_y
      - .offset:         152
        .size:           4
        .value_kind:     hidden_block_count_z
      - .offset:         156
        .size:           2
        .value_kind:     hidden_group_size_x
      - .offset:         158
        .size:           2
        .value_kind:     hidden_group_size_y
      - .offset:         160
        .size:           2
        .value_kind:     hidden_group_size_z
      - .offset:         162
        .size:           2
        .value_kind:     hidden_remainder_x
      - .offset:         164
        .size:           2
        .value_kind:     hidden_remainder_y
      - .offset:         166
        .size:           2
        .value_kind:     hidden_remainder_z
      - .offset:         184
        .size:           8
        .value_kind:     hidden_global_offset_x
      - .offset:         192
        .size:           8
        .value_kind:     hidden_global_offset_y
      - .offset:         200
        .size:           8
        .value_kind:     hidden_global_offset_z
      - .offset:         208
        .size:           2
        .value_kind:     hidden_grid_dims
      - .offset:         224
        .size:           8
        .value_kind:     hidden_hostcall_buffer
    .group_segment_fixed_size: 0
    .kernarg_segment_align: 8
    .kernarg_segment_size: 400
    .language:       OpenCL C
    .language_version:
      - 2
      - 0
    .max_flat_workgroup_size: 256
    .name:           _Z39paged_attention_ll4mi_QKV_mfma16_kernelI14__hip_bfloat16S0_LN4vllm18Fp8KVCacheDataTypeE0ES0_Li16ELi128ELi256ELb0ELi10EEvPKT_PKT0_S8_ifPKiSA_SA_iPKfiiiPfSD_PS3_PT2_iSC_SC_
    .private_segment_fixed_size: 64
    .sgpr_count:     36
    .sgpr_spill_count: 0
    .symbol:         _Z39paged_attention_ll4mi_QKV_mfma16_kernelI14__hip_bfloat16S0_LN4vllm18Fp8KVCacheDataTypeE0ES0_Li16ELi128ELi256ELb0ELi10EEvPKT_PKT0_S8_ifPKiSA_SA_iPKfiiiPfSD_PS3_PT2_iSC_SC_.kd
    .uniform_work_group_size: 1
    .uses_dynamic_stack: false
    .vgpr_count:     51
    .vgpr_spill_count: 0
    .wavefront_size: 32
  - .args:
      - .actual_access:  read_only
        .address_space:  global
        .offset:         0
        .size:           8
        .value_kind:     global_buffer
      - .actual_access:  read_only
        .address_space:  global
        .offset:         8
        .size:           8
        .value_kind:     global_buffer
      - .actual_access:  read_only
        .address_space:  global
        .offset:         16
        .size:           8
        .value_kind:     global_buffer
      - .offset:         24
        .size:           4
        .value_kind:     by_value
      - .offset:         28
        .size:           4
        .value_kind:     by_value
      - .actual_access:  read_only
        .address_space:  global
        .offset:         32
        .size:           8
        .value_kind:     global_buffer
      - .actual_access:  read_only
        .address_space:  global
        .offset:         40
        .size:           8
        .value_kind:     global_buffer
      - .actual_access:  read_only
        .address_space:  global
        .offset:         48
        .size:           8
        .value_kind:     global_buffer
      - .offset:         56
        .size:           4
        .value_kind:     by_value
      - .actual_access:  read_only
        .address_space:  global
        .offset:         64
        .size:           8
        .value_kind:     global_buffer
      - .offset:         72
        .size:           4
        .value_kind:     by_value
      - .offset:         76
        .size:           4
        .value_kind:     by_value
      - .offset:         80
        .size:           4
        .value_kind:     by_value
      - .actual_access:  read_only
        .address_space:  global
        .offset:         88
        .size:           8
        .value_kind:     global_buffer
      - .actual_access:  read_only
        .address_space:  global
        .offset:         96
        .size:           8
        .value_kind:     global_buffer
      - .actual_access:  read_only
        .address_space:  global
        .offset:         104
        .size:           8
        .value_kind:     global_buffer
      - .actual_access:  read_only
        .address_space:  global
        .offset:         112
        .size:           8
        .value_kind:     global_buffer
      - .offset:         120
        .size:           4
        .value_kind:     by_value
      - .address_space:  global
        .offset:         128
        .size:           8
        .value_kind:     global_buffer
      - .address_space:  global
        .offset:         136
        .size:           8
        .value_kind:     global_buffer
      - .offset:         144
        .size:           4
        .value_kind:     hidden_block_count_x
      - .offset:         148
        .size:           4
        .value_kind:     hidden_block_count_y
      - .offset:         152
        .size:           4
        .value_kind:     hidden_block_count_z
      - .offset:         156
        .size:           2
        .value_kind:     hidden_group_size_x
      - .offset:         158
        .size:           2
        .value_kind:     hidden_group_size_y
      - .offset:         160
        .size:           2
        .value_kind:     hidden_group_size_z
      - .offset:         162
        .size:           2
        .value_kind:     hidden_remainder_x
      - .offset:         164
        .size:           2
        .value_kind:     hidden_remainder_y
      - .offset:         166
        .size:           2
        .value_kind:     hidden_remainder_z
      - .offset:         184
        .size:           8
        .value_kind:     hidden_global_offset_x
      - .offset:         192
        .size:           8
        .value_kind:     hidden_global_offset_y
      - .offset:         200
        .size:           8
        .value_kind:     hidden_global_offset_z
      - .offset:         208
        .size:           2
        .value_kind:     hidden_grid_dims
      - .offset:         224
        .size:           8
        .value_kind:     hidden_hostcall_buffer
    .group_segment_fixed_size: 0
    .kernarg_segment_align: 8
    .kernarg_segment_size: 400
    .language:       OpenCL C
    .language_version:
      - 2
      - 0
    .max_flat_workgroup_size: 256
    .name:           _Z39paged_attention_ll4mi_QKV_mfma16_kernelI14__hip_bfloat16S0_LN4vllm18Fp8KVCacheDataTypeE0ES0_Li16ELi128ELi256ELb0ELi11EEvPKT_PKT0_S8_ifPKiSA_SA_iPKfiiiPfSD_PS3_PT2_iSC_SC_
    .private_segment_fixed_size: 64
    .sgpr_count:     36
    .sgpr_spill_count: 0
    .symbol:         _Z39paged_attention_ll4mi_QKV_mfma16_kernelI14__hip_bfloat16S0_LN4vllm18Fp8KVCacheDataTypeE0ES0_Li16ELi128ELi256ELb0ELi11EEvPKT_PKT0_S8_ifPKiSA_SA_iPKfiiiPfSD_PS3_PT2_iSC_SC_.kd
    .uniform_work_group_size: 1
    .uses_dynamic_stack: false
    .vgpr_count:     51
    .vgpr_spill_count: 0
    .wavefront_size: 32
  - .args:
      - .actual_access:  read_only
        .address_space:  global
        .offset:         0
        .size:           8
        .value_kind:     global_buffer
      - .actual_access:  read_only
        .address_space:  global
        .offset:         8
        .size:           8
        .value_kind:     global_buffer
      - .actual_access:  read_only
        .address_space:  global
        .offset:         16
        .size:           8
        .value_kind:     global_buffer
      - .offset:         24
        .size:           4
        .value_kind:     by_value
      - .offset:         28
        .size:           4
        .value_kind:     by_value
      - .actual_access:  read_only
        .address_space:  global
        .offset:         32
        .size:           8
        .value_kind:     global_buffer
      - .actual_access:  read_only
        .address_space:  global
        .offset:         40
        .size:           8
        .value_kind:     global_buffer
      - .actual_access:  read_only
        .address_space:  global
        .offset:         48
        .size:           8
        .value_kind:     global_buffer
      - .offset:         56
        .size:           4
        .value_kind:     by_value
      - .actual_access:  read_only
        .address_space:  global
        .offset:         64
        .size:           8
        .value_kind:     global_buffer
      - .offset:         72
        .size:           4
        .value_kind:     by_value
      - .offset:         76
        .size:           4
        .value_kind:     by_value
      - .offset:         80
        .size:           4
        .value_kind:     by_value
      - .actual_access:  read_only
        .address_space:  global
        .offset:         88
        .size:           8
        .value_kind:     global_buffer
      - .actual_access:  read_only
        .address_space:  global
        .offset:         96
        .size:           8
        .value_kind:     global_buffer
      - .actual_access:  read_only
        .address_space:  global
        .offset:         104
        .size:           8
        .value_kind:     global_buffer
      - .actual_access:  read_only
        .address_space:  global
        .offset:         112
        .size:           8
        .value_kind:     global_buffer
      - .offset:         120
        .size:           4
        .value_kind:     by_value
      - .address_space:  global
        .offset:         128
        .size:           8
        .value_kind:     global_buffer
      - .address_space:  global
        .offset:         136
        .size:           8
        .value_kind:     global_buffer
      - .offset:         144
        .size:           4
        .value_kind:     hidden_block_count_x
      - .offset:         148
        .size:           4
        .value_kind:     hidden_block_count_y
      - .offset:         152
        .size:           4
        .value_kind:     hidden_block_count_z
      - .offset:         156
        .size:           2
        .value_kind:     hidden_group_size_x
      - .offset:         158
        .size:           2
        .value_kind:     hidden_group_size_y
      - .offset:         160
        .size:           2
        .value_kind:     hidden_group_size_z
      - .offset:         162
        .size:           2
        .value_kind:     hidden_remainder_x
      - .offset:         164
        .size:           2
        .value_kind:     hidden_remainder_y
      - .offset:         166
        .size:           2
        .value_kind:     hidden_remainder_z
      - .offset:         184
        .size:           8
        .value_kind:     hidden_global_offset_x
      - .offset:         192
        .size:           8
        .value_kind:     hidden_global_offset_y
      - .offset:         200
        .size:           8
        .value_kind:     hidden_global_offset_z
      - .offset:         208
        .size:           2
        .value_kind:     hidden_grid_dims
      - .offset:         224
        .size:           8
        .value_kind:     hidden_hostcall_buffer
    .group_segment_fixed_size: 0
    .kernarg_segment_align: 8
    .kernarg_segment_size: 400
    .language:       OpenCL C
    .language_version:
      - 2
      - 0
    .max_flat_workgroup_size: 256
    .name:           _Z39paged_attention_ll4mi_QKV_mfma16_kernelI14__hip_bfloat16S0_LN4vllm18Fp8KVCacheDataTypeE0ES0_Li16ELi128ELi256ELb0ELi12EEvPKT_PKT0_S8_ifPKiSA_SA_iPKfiiiPfSD_PS3_PT2_iSC_SC_
    .private_segment_fixed_size: 64
    .sgpr_count:     36
    .sgpr_spill_count: 0
    .symbol:         _Z39paged_attention_ll4mi_QKV_mfma16_kernelI14__hip_bfloat16S0_LN4vllm18Fp8KVCacheDataTypeE0ES0_Li16ELi128ELi256ELb0ELi12EEvPKT_PKT0_S8_ifPKiSA_SA_iPKfiiiPfSD_PS3_PT2_iSC_SC_.kd
    .uniform_work_group_size: 1
    .uses_dynamic_stack: false
    .vgpr_count:     51
    .vgpr_spill_count: 0
    .wavefront_size: 32
  - .args:
      - .actual_access:  read_only
        .address_space:  global
        .offset:         0
        .size:           8
        .value_kind:     global_buffer
      - .actual_access:  read_only
        .address_space:  global
        .offset:         8
        .size:           8
        .value_kind:     global_buffer
      - .actual_access:  read_only
        .address_space:  global
        .offset:         16
        .size:           8
        .value_kind:     global_buffer
      - .offset:         24
        .size:           4
        .value_kind:     by_value
      - .offset:         28
        .size:           4
        .value_kind:     by_value
      - .actual_access:  read_only
        .address_space:  global
        .offset:         32
        .size:           8
        .value_kind:     global_buffer
      - .actual_access:  read_only
        .address_space:  global
        .offset:         40
        .size:           8
        .value_kind:     global_buffer
      - .actual_access:  read_only
        .address_space:  global
        .offset:         48
        .size:           8
        .value_kind:     global_buffer
      - .offset:         56
        .size:           4
        .value_kind:     by_value
      - .actual_access:  read_only
        .address_space:  global
        .offset:         64
        .size:           8
        .value_kind:     global_buffer
      - .offset:         72
        .size:           4
        .value_kind:     by_value
      - .offset:         76
        .size:           4
        .value_kind:     by_value
      - .offset:         80
        .size:           4
        .value_kind:     by_value
      - .actual_access:  read_only
        .address_space:  global
        .offset:         88
        .size:           8
        .value_kind:     global_buffer
      - .actual_access:  read_only
        .address_space:  global
        .offset:         96
        .size:           8
        .value_kind:     global_buffer
      - .actual_access:  read_only
        .address_space:  global
        .offset:         104
        .size:           8
        .value_kind:     global_buffer
      - .actual_access:  read_only
        .address_space:  global
        .offset:         112
        .size:           8
        .value_kind:     global_buffer
      - .offset:         120
        .size:           4
        .value_kind:     by_value
      - .address_space:  global
        .offset:         128
        .size:           8
        .value_kind:     global_buffer
      - .address_space:  global
        .offset:         136
        .size:           8
        .value_kind:     global_buffer
      - .offset:         144
        .size:           4
        .value_kind:     hidden_block_count_x
      - .offset:         148
        .size:           4
        .value_kind:     hidden_block_count_y
      - .offset:         152
        .size:           4
        .value_kind:     hidden_block_count_z
      - .offset:         156
        .size:           2
        .value_kind:     hidden_group_size_x
      - .offset:         158
        .size:           2
        .value_kind:     hidden_group_size_y
      - .offset:         160
        .size:           2
        .value_kind:     hidden_group_size_z
      - .offset:         162
        .size:           2
        .value_kind:     hidden_remainder_x
      - .offset:         164
        .size:           2
        .value_kind:     hidden_remainder_y
      - .offset:         166
        .size:           2
        .value_kind:     hidden_remainder_z
      - .offset:         184
        .size:           8
        .value_kind:     hidden_global_offset_x
      - .offset:         192
        .size:           8
        .value_kind:     hidden_global_offset_y
      - .offset:         200
        .size:           8
        .value_kind:     hidden_global_offset_z
      - .offset:         208
        .size:           2
        .value_kind:     hidden_grid_dims
      - .offset:         224
        .size:           8
        .value_kind:     hidden_hostcall_buffer
    .group_segment_fixed_size: 0
    .kernarg_segment_align: 8
    .kernarg_segment_size: 400
    .language:       OpenCL C
    .language_version:
      - 2
      - 0
    .max_flat_workgroup_size: 256
    .name:           _Z39paged_attention_ll4mi_QKV_mfma16_kernelI14__hip_bfloat16S0_LN4vllm18Fp8KVCacheDataTypeE0ES0_Li16ELi128ELi256ELb0ELi13EEvPKT_PKT0_S8_ifPKiSA_SA_iPKfiiiPfSD_PS3_PT2_iSC_SC_
    .private_segment_fixed_size: 64
    .sgpr_count:     36
    .sgpr_spill_count: 0
    .symbol:         _Z39paged_attention_ll4mi_QKV_mfma16_kernelI14__hip_bfloat16S0_LN4vllm18Fp8KVCacheDataTypeE0ES0_Li16ELi128ELi256ELb0ELi13EEvPKT_PKT0_S8_ifPKiSA_SA_iPKfiiiPfSD_PS3_PT2_iSC_SC_.kd
    .uniform_work_group_size: 1
    .uses_dynamic_stack: false
    .vgpr_count:     51
    .vgpr_spill_count: 0
    .wavefront_size: 32
  - .args:
      - .actual_access:  read_only
        .address_space:  global
        .offset:         0
        .size:           8
        .value_kind:     global_buffer
      - .actual_access:  read_only
        .address_space:  global
        .offset:         8
        .size:           8
        .value_kind:     global_buffer
      - .actual_access:  read_only
        .address_space:  global
        .offset:         16
        .size:           8
        .value_kind:     global_buffer
      - .offset:         24
        .size:           4
        .value_kind:     by_value
      - .offset:         28
        .size:           4
        .value_kind:     by_value
      - .actual_access:  read_only
        .address_space:  global
        .offset:         32
        .size:           8
        .value_kind:     global_buffer
      - .actual_access:  read_only
        .address_space:  global
        .offset:         40
        .size:           8
        .value_kind:     global_buffer
      - .actual_access:  read_only
        .address_space:  global
        .offset:         48
        .size:           8
        .value_kind:     global_buffer
      - .offset:         56
        .size:           4
        .value_kind:     by_value
      - .actual_access:  read_only
        .address_space:  global
        .offset:         64
        .size:           8
        .value_kind:     global_buffer
      - .offset:         72
        .size:           4
        .value_kind:     by_value
      - .offset:         76
        .size:           4
        .value_kind:     by_value
      - .offset:         80
        .size:           4
        .value_kind:     by_value
      - .actual_access:  read_only
        .address_space:  global
        .offset:         88
        .size:           8
        .value_kind:     global_buffer
      - .actual_access:  read_only
        .address_space:  global
        .offset:         96
        .size:           8
        .value_kind:     global_buffer
      - .actual_access:  read_only
        .address_space:  global
        .offset:         104
        .size:           8
        .value_kind:     global_buffer
      - .actual_access:  read_only
        .address_space:  global
        .offset:         112
        .size:           8
        .value_kind:     global_buffer
      - .offset:         120
        .size:           4
        .value_kind:     by_value
      - .address_space:  global
        .offset:         128
        .size:           8
        .value_kind:     global_buffer
      - .address_space:  global
        .offset:         136
        .size:           8
        .value_kind:     global_buffer
      - .offset:         144
        .size:           4
        .value_kind:     hidden_block_count_x
      - .offset:         148
        .size:           4
        .value_kind:     hidden_block_count_y
      - .offset:         152
        .size:           4
        .value_kind:     hidden_block_count_z
      - .offset:         156
        .size:           2
        .value_kind:     hidden_group_size_x
      - .offset:         158
        .size:           2
        .value_kind:     hidden_group_size_y
      - .offset:         160
        .size:           2
        .value_kind:     hidden_group_size_z
      - .offset:         162
        .size:           2
        .value_kind:     hidden_remainder_x
      - .offset:         164
        .size:           2
        .value_kind:     hidden_remainder_y
      - .offset:         166
        .size:           2
        .value_kind:     hidden_remainder_z
      - .offset:         184
        .size:           8
        .value_kind:     hidden_global_offset_x
      - .offset:         192
        .size:           8
        .value_kind:     hidden_global_offset_y
      - .offset:         200
        .size:           8
        .value_kind:     hidden_global_offset_z
      - .offset:         208
        .size:           2
        .value_kind:     hidden_grid_dims
      - .offset:         224
        .size:           8
        .value_kind:     hidden_hostcall_buffer
    .group_segment_fixed_size: 0
    .kernarg_segment_align: 8
    .kernarg_segment_size: 400
    .language:       OpenCL C
    .language_version:
      - 2
      - 0
    .max_flat_workgroup_size: 256
    .name:           _Z39paged_attention_ll4mi_QKV_mfma16_kernelI14__hip_bfloat16S0_LN4vllm18Fp8KVCacheDataTypeE0ES0_Li16ELi128ELi256ELb0ELi14EEvPKT_PKT0_S8_ifPKiSA_SA_iPKfiiiPfSD_PS3_PT2_iSC_SC_
    .private_segment_fixed_size: 64
    .sgpr_count:     36
    .sgpr_spill_count: 0
    .symbol:         _Z39paged_attention_ll4mi_QKV_mfma16_kernelI14__hip_bfloat16S0_LN4vllm18Fp8KVCacheDataTypeE0ES0_Li16ELi128ELi256ELb0ELi14EEvPKT_PKT0_S8_ifPKiSA_SA_iPKfiiiPfSD_PS3_PT2_iSC_SC_.kd
    .uniform_work_group_size: 1
    .uses_dynamic_stack: false
    .vgpr_count:     51
    .vgpr_spill_count: 0
    .wavefront_size: 32
  - .args:
      - .actual_access:  read_only
        .address_space:  global
        .offset:         0
        .size:           8
        .value_kind:     global_buffer
      - .actual_access:  read_only
        .address_space:  global
        .offset:         8
        .size:           8
        .value_kind:     global_buffer
      - .actual_access:  read_only
        .address_space:  global
        .offset:         16
        .size:           8
        .value_kind:     global_buffer
      - .offset:         24
        .size:           4
        .value_kind:     by_value
      - .offset:         28
        .size:           4
        .value_kind:     by_value
      - .actual_access:  read_only
        .address_space:  global
        .offset:         32
        .size:           8
        .value_kind:     global_buffer
      - .actual_access:  read_only
        .address_space:  global
        .offset:         40
        .size:           8
        .value_kind:     global_buffer
      - .actual_access:  read_only
        .address_space:  global
        .offset:         48
        .size:           8
        .value_kind:     global_buffer
      - .offset:         56
        .size:           4
        .value_kind:     by_value
      - .actual_access:  read_only
        .address_space:  global
        .offset:         64
        .size:           8
        .value_kind:     global_buffer
      - .offset:         72
        .size:           4
        .value_kind:     by_value
      - .offset:         76
        .size:           4
        .value_kind:     by_value
      - .offset:         80
        .size:           4
        .value_kind:     by_value
      - .actual_access:  read_only
        .address_space:  global
        .offset:         88
        .size:           8
        .value_kind:     global_buffer
      - .actual_access:  read_only
        .address_space:  global
        .offset:         96
        .size:           8
        .value_kind:     global_buffer
      - .actual_access:  read_only
        .address_space:  global
        .offset:         104
        .size:           8
        .value_kind:     global_buffer
      - .actual_access:  read_only
        .address_space:  global
        .offset:         112
        .size:           8
        .value_kind:     global_buffer
      - .offset:         120
        .size:           4
        .value_kind:     by_value
      - .address_space:  global
        .offset:         128
        .size:           8
        .value_kind:     global_buffer
      - .address_space:  global
        .offset:         136
        .size:           8
        .value_kind:     global_buffer
      - .offset:         144
        .size:           4
        .value_kind:     hidden_block_count_x
      - .offset:         148
        .size:           4
        .value_kind:     hidden_block_count_y
      - .offset:         152
        .size:           4
        .value_kind:     hidden_block_count_z
      - .offset:         156
        .size:           2
        .value_kind:     hidden_group_size_x
      - .offset:         158
        .size:           2
        .value_kind:     hidden_group_size_y
      - .offset:         160
        .size:           2
        .value_kind:     hidden_group_size_z
      - .offset:         162
        .size:           2
        .value_kind:     hidden_remainder_x
      - .offset:         164
        .size:           2
        .value_kind:     hidden_remainder_y
      - .offset:         166
        .size:           2
        .value_kind:     hidden_remainder_z
      - .offset:         184
        .size:           8
        .value_kind:     hidden_global_offset_x
      - .offset:         192
        .size:           8
        .value_kind:     hidden_global_offset_y
      - .offset:         200
        .size:           8
        .value_kind:     hidden_global_offset_z
      - .offset:         208
        .size:           2
        .value_kind:     hidden_grid_dims
      - .offset:         224
        .size:           8
        .value_kind:     hidden_hostcall_buffer
    .group_segment_fixed_size: 0
    .kernarg_segment_align: 8
    .kernarg_segment_size: 400
    .language:       OpenCL C
    .language_version:
      - 2
      - 0
    .max_flat_workgroup_size: 256
    .name:           _Z39paged_attention_ll4mi_QKV_mfma16_kernelI14__hip_bfloat16S0_LN4vllm18Fp8KVCacheDataTypeE0ES0_Li16ELi128ELi256ELb0ELi15EEvPKT_PKT0_S8_ifPKiSA_SA_iPKfiiiPfSD_PS3_PT2_iSC_SC_
    .private_segment_fixed_size: 64
    .sgpr_count:     36
    .sgpr_spill_count: 0
    .symbol:         _Z39paged_attention_ll4mi_QKV_mfma16_kernelI14__hip_bfloat16S0_LN4vllm18Fp8KVCacheDataTypeE0ES0_Li16ELi128ELi256ELb0ELi15EEvPKT_PKT0_S8_ifPKiSA_SA_iPKfiiiPfSD_PS3_PT2_iSC_SC_.kd
    .uniform_work_group_size: 1
    .uses_dynamic_stack: false
    .vgpr_count:     51
    .vgpr_spill_count: 0
    .wavefront_size: 32
  - .args:
      - .actual_access:  read_only
        .address_space:  global
        .offset:         0
        .size:           8
        .value_kind:     global_buffer
      - .actual_access:  read_only
        .address_space:  global
        .offset:         8
        .size:           8
        .value_kind:     global_buffer
      - .actual_access:  read_only
        .address_space:  global
        .offset:         16
        .size:           8
        .value_kind:     global_buffer
      - .offset:         24
        .size:           4
        .value_kind:     by_value
      - .offset:         28
        .size:           4
        .value_kind:     by_value
      - .actual_access:  read_only
        .address_space:  global
        .offset:         32
        .size:           8
        .value_kind:     global_buffer
      - .actual_access:  read_only
        .address_space:  global
        .offset:         40
        .size:           8
        .value_kind:     global_buffer
      - .actual_access:  read_only
        .address_space:  global
        .offset:         48
        .size:           8
        .value_kind:     global_buffer
      - .offset:         56
        .size:           4
        .value_kind:     by_value
      - .actual_access:  read_only
        .address_space:  global
        .offset:         64
        .size:           8
        .value_kind:     global_buffer
      - .offset:         72
        .size:           4
        .value_kind:     by_value
      - .offset:         76
        .size:           4
        .value_kind:     by_value
      - .offset:         80
        .size:           4
        .value_kind:     by_value
      - .actual_access:  read_only
        .address_space:  global
        .offset:         88
        .size:           8
        .value_kind:     global_buffer
      - .actual_access:  read_only
        .address_space:  global
        .offset:         96
        .size:           8
        .value_kind:     global_buffer
      - .actual_access:  read_only
        .address_space:  global
        .offset:         104
        .size:           8
        .value_kind:     global_buffer
      - .actual_access:  read_only
        .address_space:  global
        .offset:         112
        .size:           8
        .value_kind:     global_buffer
      - .offset:         120
        .size:           4
        .value_kind:     by_value
      - .address_space:  global
        .offset:         128
        .size:           8
        .value_kind:     global_buffer
      - .address_space:  global
        .offset:         136
        .size:           8
        .value_kind:     global_buffer
      - .offset:         144
        .size:           4
        .value_kind:     hidden_block_count_x
      - .offset:         148
        .size:           4
        .value_kind:     hidden_block_count_y
      - .offset:         152
        .size:           4
        .value_kind:     hidden_block_count_z
      - .offset:         156
        .size:           2
        .value_kind:     hidden_group_size_x
      - .offset:         158
        .size:           2
        .value_kind:     hidden_group_size_y
      - .offset:         160
        .size:           2
        .value_kind:     hidden_group_size_z
      - .offset:         162
        .size:           2
        .value_kind:     hidden_remainder_x
      - .offset:         164
        .size:           2
        .value_kind:     hidden_remainder_y
      - .offset:         166
        .size:           2
        .value_kind:     hidden_remainder_z
      - .offset:         184
        .size:           8
        .value_kind:     hidden_global_offset_x
      - .offset:         192
        .size:           8
        .value_kind:     hidden_global_offset_y
      - .offset:         200
        .size:           8
        .value_kind:     hidden_global_offset_z
      - .offset:         208
        .size:           2
        .value_kind:     hidden_grid_dims
      - .offset:         224
        .size:           8
        .value_kind:     hidden_hostcall_buffer
    .group_segment_fixed_size: 0
    .kernarg_segment_align: 8
    .kernarg_segment_size: 400
    .language:       OpenCL C
    .language_version:
      - 2
      - 0
    .max_flat_workgroup_size: 256
    .name:           _Z39paged_attention_ll4mi_QKV_mfma16_kernelI14__hip_bfloat16S0_LN4vllm18Fp8KVCacheDataTypeE0ES0_Li16ELi128ELi256ELb0ELi16EEvPKT_PKT0_S8_ifPKiSA_SA_iPKfiiiPfSD_PS3_PT2_iSC_SC_
    .private_segment_fixed_size: 64
    .sgpr_count:     36
    .sgpr_spill_count: 0
    .symbol:         _Z39paged_attention_ll4mi_QKV_mfma16_kernelI14__hip_bfloat16S0_LN4vllm18Fp8KVCacheDataTypeE0ES0_Li16ELi128ELi256ELb0ELi16EEvPKT_PKT0_S8_ifPKiSA_SA_iPKfiiiPfSD_PS3_PT2_iSC_SC_.kd
    .uniform_work_group_size: 1
    .uses_dynamic_stack: false
    .vgpr_count:     51
    .vgpr_spill_count: 0
    .wavefront_size: 32
  - .args:
      - .actual_access:  read_only
        .address_space:  global
        .offset:         0
        .size:           8
        .value_kind:     global_buffer
      - .actual_access:  read_only
        .address_space:  global
        .offset:         8
        .size:           8
        .value_kind:     global_buffer
      - .actual_access:  read_only
        .address_space:  global
        .offset:         16
        .size:           8
        .value_kind:     global_buffer
      - .offset:         24
        .size:           4
        .value_kind:     by_value
      - .offset:         28
        .size:           4
        .value_kind:     by_value
      - .actual_access:  read_only
        .address_space:  global
        .offset:         32
        .size:           8
        .value_kind:     global_buffer
      - .actual_access:  read_only
        .address_space:  global
        .offset:         40
        .size:           8
        .value_kind:     global_buffer
      - .actual_access:  read_only
        .address_space:  global
        .offset:         48
        .size:           8
        .value_kind:     global_buffer
      - .offset:         56
        .size:           4
        .value_kind:     by_value
      - .actual_access:  read_only
        .address_space:  global
        .offset:         64
        .size:           8
        .value_kind:     global_buffer
      - .offset:         72
        .size:           4
        .value_kind:     by_value
      - .offset:         76
        .size:           4
        .value_kind:     by_value
      - .offset:         80
        .size:           4
        .value_kind:     by_value
      - .actual_access:  read_only
        .address_space:  global
        .offset:         88
        .size:           8
        .value_kind:     global_buffer
      - .actual_access:  read_only
        .address_space:  global
        .offset:         96
        .size:           8
        .value_kind:     global_buffer
      - .actual_access:  read_only
        .address_space:  global
        .offset:         104
        .size:           8
        .value_kind:     global_buffer
      - .actual_access:  read_only
        .address_space:  global
        .offset:         112
        .size:           8
        .value_kind:     global_buffer
      - .offset:         120
        .size:           4
        .value_kind:     by_value
      - .address_space:  global
        .offset:         128
        .size:           8
        .value_kind:     global_buffer
      - .address_space:  global
        .offset:         136
        .size:           8
        .value_kind:     global_buffer
      - .offset:         144
        .size:           4
        .value_kind:     hidden_block_count_x
      - .offset:         148
        .size:           4
        .value_kind:     hidden_block_count_y
      - .offset:         152
        .size:           4
        .value_kind:     hidden_block_count_z
      - .offset:         156
        .size:           2
        .value_kind:     hidden_group_size_x
      - .offset:         158
        .size:           2
        .value_kind:     hidden_group_size_y
      - .offset:         160
        .size:           2
        .value_kind:     hidden_group_size_z
      - .offset:         162
        .size:           2
        .value_kind:     hidden_remainder_x
      - .offset:         164
        .size:           2
        .value_kind:     hidden_remainder_y
      - .offset:         166
        .size:           2
        .value_kind:     hidden_remainder_z
      - .offset:         184
        .size:           8
        .value_kind:     hidden_global_offset_x
      - .offset:         192
        .size:           8
        .value_kind:     hidden_global_offset_y
      - .offset:         200
        .size:           8
        .value_kind:     hidden_global_offset_z
      - .offset:         208
        .size:           2
        .value_kind:     hidden_grid_dims
      - .offset:         224
        .size:           8
        .value_kind:     hidden_hostcall_buffer
    .group_segment_fixed_size: 0
    .kernarg_segment_align: 8
    .kernarg_segment_size: 400
    .language:       OpenCL C
    .language_version:
      - 2
      - 0
    .max_flat_workgroup_size: 256
    .name:           _Z39paged_attention_ll4mi_QKV_mfma16_kernelI14__hip_bfloat16S0_LN4vllm18Fp8KVCacheDataTypeE0ES0_Li16ELi128ELi256ELb0ELi1EEvPKT_PKT0_S8_ifPKiSA_SA_iPKfiiiPfSD_PS3_PT2_iSC_SC_
    .private_segment_fixed_size: 64
    .sgpr_count:     36
    .sgpr_spill_count: 0
    .symbol:         _Z39paged_attention_ll4mi_QKV_mfma16_kernelI14__hip_bfloat16S0_LN4vllm18Fp8KVCacheDataTypeE0ES0_Li16ELi128ELi256ELb0ELi1EEvPKT_PKT0_S8_ifPKiSA_SA_iPKfiiiPfSD_PS3_PT2_iSC_SC_.kd
    .uniform_work_group_size: 1
    .uses_dynamic_stack: false
    .vgpr_count:     51
    .vgpr_spill_count: 0
    .wavefront_size: 32
  - .args:
      - .actual_access:  read_only
        .address_space:  global
        .offset:         0
        .size:           8
        .value_kind:     global_buffer
      - .actual_access:  read_only
        .address_space:  global
        .offset:         8
        .size:           8
        .value_kind:     global_buffer
      - .actual_access:  read_only
        .address_space:  global
        .offset:         16
        .size:           8
        .value_kind:     global_buffer
      - .offset:         24
        .size:           4
        .value_kind:     by_value
      - .offset:         28
        .size:           4
        .value_kind:     by_value
      - .actual_access:  read_only
        .address_space:  global
        .offset:         32
        .size:           8
        .value_kind:     global_buffer
      - .actual_access:  read_only
        .address_space:  global
        .offset:         40
        .size:           8
        .value_kind:     global_buffer
      - .actual_access:  read_only
        .address_space:  global
        .offset:         48
        .size:           8
        .value_kind:     global_buffer
      - .offset:         56
        .size:           4
        .value_kind:     by_value
      - .actual_access:  read_only
        .address_space:  global
        .offset:         64
        .size:           8
        .value_kind:     global_buffer
      - .offset:         72
        .size:           4
        .value_kind:     by_value
      - .offset:         76
        .size:           4
        .value_kind:     by_value
      - .offset:         80
        .size:           4
        .value_kind:     by_value
      - .actual_access:  read_only
        .address_space:  global
        .offset:         88
        .size:           8
        .value_kind:     global_buffer
      - .actual_access:  read_only
        .address_space:  global
        .offset:         96
        .size:           8
        .value_kind:     global_buffer
      - .actual_access:  read_only
        .address_space:  global
        .offset:         104
        .size:           8
        .value_kind:     global_buffer
      - .actual_access:  read_only
        .address_space:  global
        .offset:         112
        .size:           8
        .value_kind:     global_buffer
      - .offset:         120
        .size:           4
        .value_kind:     by_value
      - .address_space:  global
        .offset:         128
        .size:           8
        .value_kind:     global_buffer
      - .address_space:  global
        .offset:         136
        .size:           8
        .value_kind:     global_buffer
      - .offset:         144
        .size:           4
        .value_kind:     hidden_block_count_x
      - .offset:         148
        .size:           4
        .value_kind:     hidden_block_count_y
      - .offset:         152
        .size:           4
        .value_kind:     hidden_block_count_z
      - .offset:         156
        .size:           2
        .value_kind:     hidden_group_size_x
      - .offset:         158
        .size:           2
        .value_kind:     hidden_group_size_y
      - .offset:         160
        .size:           2
        .value_kind:     hidden_group_size_z
      - .offset:         162
        .size:           2
        .value_kind:     hidden_remainder_x
      - .offset:         164
        .size:           2
        .value_kind:     hidden_remainder_y
      - .offset:         166
        .size:           2
        .value_kind:     hidden_remainder_z
      - .offset:         184
        .size:           8
        .value_kind:     hidden_global_offset_x
      - .offset:         192
        .size:           8
        .value_kind:     hidden_global_offset_y
      - .offset:         200
        .size:           8
        .value_kind:     hidden_global_offset_z
      - .offset:         208
        .size:           2
        .value_kind:     hidden_grid_dims
      - .offset:         224
        .size:           8
        .value_kind:     hidden_hostcall_buffer
    .group_segment_fixed_size: 0
    .kernarg_segment_align: 8
    .kernarg_segment_size: 400
    .language:       OpenCL C
    .language_version:
      - 2
      - 0
    .max_flat_workgroup_size: 256
    .name:           _Z39paged_attention_ll4mi_QKV_mfma16_kernelI14__hip_bfloat16S0_LN4vllm18Fp8KVCacheDataTypeE0ES0_Li16ELi128ELi256ELb0ELi2EEvPKT_PKT0_S8_ifPKiSA_SA_iPKfiiiPfSD_PS3_PT2_iSC_SC_
    .private_segment_fixed_size: 64
    .sgpr_count:     36
    .sgpr_spill_count: 0
    .symbol:         _Z39paged_attention_ll4mi_QKV_mfma16_kernelI14__hip_bfloat16S0_LN4vllm18Fp8KVCacheDataTypeE0ES0_Li16ELi128ELi256ELb0ELi2EEvPKT_PKT0_S8_ifPKiSA_SA_iPKfiiiPfSD_PS3_PT2_iSC_SC_.kd
    .uniform_work_group_size: 1
    .uses_dynamic_stack: false
    .vgpr_count:     51
    .vgpr_spill_count: 0
    .wavefront_size: 32
  - .args:
      - .actual_access:  read_only
        .address_space:  global
        .offset:         0
        .size:           8
        .value_kind:     global_buffer
      - .actual_access:  read_only
        .address_space:  global
        .offset:         8
        .size:           8
        .value_kind:     global_buffer
      - .actual_access:  read_only
        .address_space:  global
        .offset:         16
        .size:           8
        .value_kind:     global_buffer
      - .offset:         24
        .size:           4
        .value_kind:     by_value
      - .offset:         28
        .size:           4
        .value_kind:     by_value
      - .actual_access:  read_only
        .address_space:  global
        .offset:         32
        .size:           8
        .value_kind:     global_buffer
      - .actual_access:  read_only
        .address_space:  global
        .offset:         40
        .size:           8
        .value_kind:     global_buffer
      - .actual_access:  read_only
        .address_space:  global
        .offset:         48
        .size:           8
        .value_kind:     global_buffer
      - .offset:         56
        .size:           4
        .value_kind:     by_value
      - .actual_access:  read_only
        .address_space:  global
        .offset:         64
        .size:           8
        .value_kind:     global_buffer
      - .offset:         72
        .size:           4
        .value_kind:     by_value
      - .offset:         76
        .size:           4
        .value_kind:     by_value
      - .offset:         80
        .size:           4
        .value_kind:     by_value
      - .actual_access:  read_only
        .address_space:  global
        .offset:         88
        .size:           8
        .value_kind:     global_buffer
      - .actual_access:  read_only
        .address_space:  global
        .offset:         96
        .size:           8
        .value_kind:     global_buffer
      - .actual_access:  read_only
        .address_space:  global
        .offset:         104
        .size:           8
        .value_kind:     global_buffer
      - .actual_access:  read_only
        .address_space:  global
        .offset:         112
        .size:           8
        .value_kind:     global_buffer
      - .offset:         120
        .size:           4
        .value_kind:     by_value
      - .address_space:  global
        .offset:         128
        .size:           8
        .value_kind:     global_buffer
      - .address_space:  global
        .offset:         136
        .size:           8
        .value_kind:     global_buffer
      - .offset:         144
        .size:           4
        .value_kind:     hidden_block_count_x
      - .offset:         148
        .size:           4
        .value_kind:     hidden_block_count_y
      - .offset:         152
        .size:           4
        .value_kind:     hidden_block_count_z
      - .offset:         156
        .size:           2
        .value_kind:     hidden_group_size_x
      - .offset:         158
        .size:           2
        .value_kind:     hidden_group_size_y
      - .offset:         160
        .size:           2
        .value_kind:     hidden_group_size_z
      - .offset:         162
        .size:           2
        .value_kind:     hidden_remainder_x
      - .offset:         164
        .size:           2
        .value_kind:     hidden_remainder_y
      - .offset:         166
        .size:           2
        .value_kind:     hidden_remainder_z
      - .offset:         184
        .size:           8
        .value_kind:     hidden_global_offset_x
      - .offset:         192
        .size:           8
        .value_kind:     hidden_global_offset_y
      - .offset:         200
        .size:           8
        .value_kind:     hidden_global_offset_z
      - .offset:         208
        .size:           2
        .value_kind:     hidden_grid_dims
      - .offset:         224
        .size:           8
        .value_kind:     hidden_hostcall_buffer
    .group_segment_fixed_size: 0
    .kernarg_segment_align: 8
    .kernarg_segment_size: 400
    .language:       OpenCL C
    .language_version:
      - 2
      - 0
    .max_flat_workgroup_size: 256
    .name:           _Z39paged_attention_ll4mi_QKV_mfma16_kernelI14__hip_bfloat16S0_LN4vllm18Fp8KVCacheDataTypeE0ES0_Li16ELi128ELi256ELb0ELi3EEvPKT_PKT0_S8_ifPKiSA_SA_iPKfiiiPfSD_PS3_PT2_iSC_SC_
    .private_segment_fixed_size: 64
    .sgpr_count:     36
    .sgpr_spill_count: 0
    .symbol:         _Z39paged_attention_ll4mi_QKV_mfma16_kernelI14__hip_bfloat16S0_LN4vllm18Fp8KVCacheDataTypeE0ES0_Li16ELi128ELi256ELb0ELi3EEvPKT_PKT0_S8_ifPKiSA_SA_iPKfiiiPfSD_PS3_PT2_iSC_SC_.kd
    .uniform_work_group_size: 1
    .uses_dynamic_stack: false
    .vgpr_count:     51
    .vgpr_spill_count: 0
    .wavefront_size: 32
  - .args:
      - .actual_access:  read_only
        .address_space:  global
        .offset:         0
        .size:           8
        .value_kind:     global_buffer
      - .actual_access:  read_only
        .address_space:  global
        .offset:         8
        .size:           8
        .value_kind:     global_buffer
      - .actual_access:  read_only
        .address_space:  global
        .offset:         16
        .size:           8
        .value_kind:     global_buffer
      - .offset:         24
        .size:           4
        .value_kind:     by_value
      - .offset:         28
        .size:           4
        .value_kind:     by_value
      - .actual_access:  read_only
        .address_space:  global
        .offset:         32
        .size:           8
        .value_kind:     global_buffer
      - .actual_access:  read_only
        .address_space:  global
        .offset:         40
        .size:           8
        .value_kind:     global_buffer
      - .actual_access:  read_only
        .address_space:  global
        .offset:         48
        .size:           8
        .value_kind:     global_buffer
      - .offset:         56
        .size:           4
        .value_kind:     by_value
      - .actual_access:  read_only
        .address_space:  global
        .offset:         64
        .size:           8
        .value_kind:     global_buffer
      - .offset:         72
        .size:           4
        .value_kind:     by_value
      - .offset:         76
        .size:           4
        .value_kind:     by_value
      - .offset:         80
        .size:           4
        .value_kind:     by_value
      - .actual_access:  read_only
        .address_space:  global
        .offset:         88
        .size:           8
        .value_kind:     global_buffer
      - .actual_access:  read_only
        .address_space:  global
        .offset:         96
        .size:           8
        .value_kind:     global_buffer
      - .actual_access:  read_only
        .address_space:  global
        .offset:         104
        .size:           8
        .value_kind:     global_buffer
      - .actual_access:  read_only
        .address_space:  global
        .offset:         112
        .size:           8
        .value_kind:     global_buffer
      - .offset:         120
        .size:           4
        .value_kind:     by_value
      - .address_space:  global
        .offset:         128
        .size:           8
        .value_kind:     global_buffer
      - .address_space:  global
        .offset:         136
        .size:           8
        .value_kind:     global_buffer
      - .offset:         144
        .size:           4
        .value_kind:     hidden_block_count_x
      - .offset:         148
        .size:           4
        .value_kind:     hidden_block_count_y
      - .offset:         152
        .size:           4
        .value_kind:     hidden_block_count_z
      - .offset:         156
        .size:           2
        .value_kind:     hidden_group_size_x
      - .offset:         158
        .size:           2
        .value_kind:     hidden_group_size_y
      - .offset:         160
        .size:           2
        .value_kind:     hidden_group_size_z
      - .offset:         162
        .size:           2
        .value_kind:     hidden_remainder_x
      - .offset:         164
        .size:           2
        .value_kind:     hidden_remainder_y
      - .offset:         166
        .size:           2
        .value_kind:     hidden_remainder_z
      - .offset:         184
        .size:           8
        .value_kind:     hidden_global_offset_x
      - .offset:         192
        .size:           8
        .value_kind:     hidden_global_offset_y
      - .offset:         200
        .size:           8
        .value_kind:     hidden_global_offset_z
      - .offset:         208
        .size:           2
        .value_kind:     hidden_grid_dims
      - .offset:         224
        .size:           8
        .value_kind:     hidden_hostcall_buffer
    .group_segment_fixed_size: 0
    .kernarg_segment_align: 8
    .kernarg_segment_size: 400
    .language:       OpenCL C
    .language_version:
      - 2
      - 0
    .max_flat_workgroup_size: 256
    .name:           _Z39paged_attention_ll4mi_QKV_mfma16_kernelI14__hip_bfloat16S0_LN4vllm18Fp8KVCacheDataTypeE0ES0_Li16ELi128ELi256ELb0ELi4EEvPKT_PKT0_S8_ifPKiSA_SA_iPKfiiiPfSD_PS3_PT2_iSC_SC_
    .private_segment_fixed_size: 64
    .sgpr_count:     36
    .sgpr_spill_count: 0
    .symbol:         _Z39paged_attention_ll4mi_QKV_mfma16_kernelI14__hip_bfloat16S0_LN4vllm18Fp8KVCacheDataTypeE0ES0_Li16ELi128ELi256ELb0ELi4EEvPKT_PKT0_S8_ifPKiSA_SA_iPKfiiiPfSD_PS3_PT2_iSC_SC_.kd
    .uniform_work_group_size: 1
    .uses_dynamic_stack: false
    .vgpr_count:     51
    .vgpr_spill_count: 0
    .wavefront_size: 32
  - .args:
      - .actual_access:  read_only
        .address_space:  global
        .offset:         0
        .size:           8
        .value_kind:     global_buffer
      - .actual_access:  read_only
        .address_space:  global
        .offset:         8
        .size:           8
        .value_kind:     global_buffer
      - .actual_access:  read_only
        .address_space:  global
        .offset:         16
        .size:           8
        .value_kind:     global_buffer
      - .offset:         24
        .size:           4
        .value_kind:     by_value
      - .offset:         28
        .size:           4
        .value_kind:     by_value
      - .actual_access:  read_only
        .address_space:  global
        .offset:         32
        .size:           8
        .value_kind:     global_buffer
      - .actual_access:  read_only
        .address_space:  global
        .offset:         40
        .size:           8
        .value_kind:     global_buffer
      - .actual_access:  read_only
        .address_space:  global
        .offset:         48
        .size:           8
        .value_kind:     global_buffer
      - .offset:         56
        .size:           4
        .value_kind:     by_value
      - .actual_access:  read_only
        .address_space:  global
        .offset:         64
        .size:           8
        .value_kind:     global_buffer
      - .offset:         72
        .size:           4
        .value_kind:     by_value
      - .offset:         76
        .size:           4
        .value_kind:     by_value
      - .offset:         80
        .size:           4
        .value_kind:     by_value
      - .actual_access:  read_only
        .address_space:  global
        .offset:         88
        .size:           8
        .value_kind:     global_buffer
      - .actual_access:  read_only
        .address_space:  global
        .offset:         96
        .size:           8
        .value_kind:     global_buffer
      - .actual_access:  read_only
        .address_space:  global
        .offset:         104
        .size:           8
        .value_kind:     global_buffer
      - .actual_access:  read_only
        .address_space:  global
        .offset:         112
        .size:           8
        .value_kind:     global_buffer
      - .offset:         120
        .size:           4
        .value_kind:     by_value
      - .address_space:  global
        .offset:         128
        .size:           8
        .value_kind:     global_buffer
      - .address_space:  global
        .offset:         136
        .size:           8
        .value_kind:     global_buffer
      - .offset:         144
        .size:           4
        .value_kind:     hidden_block_count_x
      - .offset:         148
        .size:           4
        .value_kind:     hidden_block_count_y
      - .offset:         152
        .size:           4
        .value_kind:     hidden_block_count_z
      - .offset:         156
        .size:           2
        .value_kind:     hidden_group_size_x
      - .offset:         158
        .size:           2
        .value_kind:     hidden_group_size_y
      - .offset:         160
        .size:           2
        .value_kind:     hidden_group_size_z
      - .offset:         162
        .size:           2
        .value_kind:     hidden_remainder_x
      - .offset:         164
        .size:           2
        .value_kind:     hidden_remainder_y
      - .offset:         166
        .size:           2
        .value_kind:     hidden_remainder_z
      - .offset:         184
        .size:           8
        .value_kind:     hidden_global_offset_x
      - .offset:         192
        .size:           8
        .value_kind:     hidden_global_offset_y
      - .offset:         200
        .size:           8
        .value_kind:     hidden_global_offset_z
      - .offset:         208
        .size:           2
        .value_kind:     hidden_grid_dims
      - .offset:         224
        .size:           8
        .value_kind:     hidden_hostcall_buffer
    .group_segment_fixed_size: 0
    .kernarg_segment_align: 8
    .kernarg_segment_size: 400
    .language:       OpenCL C
    .language_version:
      - 2
      - 0
    .max_flat_workgroup_size: 256
    .name:           _Z38paged_attention_ll4mi_QKV_mfma4_kernelI14__hip_bfloat16S0_LN4vllm18Fp8KVCacheDataTypeE0EhLi32ELi128ELi256ELb1ELi1EEvPKT_PKT0_S8_ifPKiSA_SA_iPKfiiiPfSD_PS3_PT2_iSC_SC_
    .private_segment_fixed_size: 64
    .sgpr_count:     36
    .sgpr_spill_count: 0
    .symbol:         _Z38paged_attention_ll4mi_QKV_mfma4_kernelI14__hip_bfloat16S0_LN4vllm18Fp8KVCacheDataTypeE0EhLi32ELi128ELi256ELb1ELi1EEvPKT_PKT0_S8_ifPKiSA_SA_iPKfiiiPfSD_PS3_PT2_iSC_SC_.kd
    .uniform_work_group_size: 1
    .uses_dynamic_stack: false
    .vgpr_count:     51
    .vgpr_spill_count: 0
    .wavefront_size: 32
  - .args:
      - .actual_access:  read_only
        .address_space:  global
        .offset:         0
        .size:           8
        .value_kind:     global_buffer
      - .actual_access:  read_only
        .address_space:  global
        .offset:         8
        .size:           8
        .value_kind:     global_buffer
      - .actual_access:  read_only
        .address_space:  global
        .offset:         16
        .size:           8
        .value_kind:     global_buffer
      - .offset:         24
        .size:           4
        .value_kind:     by_value
      - .offset:         28
        .size:           4
        .value_kind:     by_value
      - .actual_access:  read_only
        .address_space:  global
        .offset:         32
        .size:           8
        .value_kind:     global_buffer
      - .actual_access:  read_only
        .address_space:  global
        .offset:         40
        .size:           8
        .value_kind:     global_buffer
      - .actual_access:  read_only
        .address_space:  global
        .offset:         48
        .size:           8
        .value_kind:     global_buffer
      - .offset:         56
        .size:           4
        .value_kind:     by_value
      - .actual_access:  read_only
        .address_space:  global
        .offset:         64
        .size:           8
        .value_kind:     global_buffer
      - .offset:         72
        .size:           4
        .value_kind:     by_value
      - .offset:         76
        .size:           4
        .value_kind:     by_value
      - .offset:         80
        .size:           4
        .value_kind:     by_value
      - .actual_access:  read_only
        .address_space:  global
        .offset:         88
        .size:           8
        .value_kind:     global_buffer
      - .actual_access:  read_only
        .address_space:  global
        .offset:         96
        .size:           8
        .value_kind:     global_buffer
      - .actual_access:  read_only
        .address_space:  global
        .offset:         104
        .size:           8
        .value_kind:     global_buffer
      - .actual_access:  read_only
        .address_space:  global
        .offset:         112
        .size:           8
        .value_kind:     global_buffer
      - .offset:         120
        .size:           4
        .value_kind:     by_value
      - .address_space:  global
        .offset:         128
        .size:           8
        .value_kind:     global_buffer
      - .address_space:  global
        .offset:         136
        .size:           8
        .value_kind:     global_buffer
      - .offset:         144
        .size:           4
        .value_kind:     hidden_block_count_x
      - .offset:         148
        .size:           4
        .value_kind:     hidden_block_count_y
      - .offset:         152
        .size:           4
        .value_kind:     hidden_block_count_z
      - .offset:         156
        .size:           2
        .value_kind:     hidden_group_size_x
      - .offset:         158
        .size:           2
        .value_kind:     hidden_group_size_y
      - .offset:         160
        .size:           2
        .value_kind:     hidden_group_size_z
      - .offset:         162
        .size:           2
        .value_kind:     hidden_remainder_x
      - .offset:         164
        .size:           2
        .value_kind:     hidden_remainder_y
      - .offset:         166
        .size:           2
        .value_kind:     hidden_remainder_z
      - .offset:         184
        .size:           8
        .value_kind:     hidden_global_offset_x
      - .offset:         192
        .size:           8
        .value_kind:     hidden_global_offset_y
      - .offset:         200
        .size:           8
        .value_kind:     hidden_global_offset_z
      - .offset:         208
        .size:           2
        .value_kind:     hidden_grid_dims
      - .offset:         224
        .size:           8
        .value_kind:     hidden_hostcall_buffer
    .group_segment_fixed_size: 0
    .kernarg_segment_align: 8
    .kernarg_segment_size: 400
    .language:       OpenCL C
    .language_version:
      - 2
      - 0
    .max_flat_workgroup_size: 256
    .name:           _Z38paged_attention_ll4mi_QKV_mfma4_kernelI14__hip_bfloat16S0_LN4vllm18Fp8KVCacheDataTypeE0EhLi32ELi128ELi256ELb1ELi2EEvPKT_PKT0_S8_ifPKiSA_SA_iPKfiiiPfSD_PS3_PT2_iSC_SC_
    .private_segment_fixed_size: 64
    .sgpr_count:     36
    .sgpr_spill_count: 0
    .symbol:         _Z38paged_attention_ll4mi_QKV_mfma4_kernelI14__hip_bfloat16S0_LN4vllm18Fp8KVCacheDataTypeE0EhLi32ELi128ELi256ELb1ELi2EEvPKT_PKT0_S8_ifPKiSA_SA_iPKfiiiPfSD_PS3_PT2_iSC_SC_.kd
    .uniform_work_group_size: 1
    .uses_dynamic_stack: false
    .vgpr_count:     51
    .vgpr_spill_count: 0
    .wavefront_size: 32
  - .args:
      - .actual_access:  read_only
        .address_space:  global
        .offset:         0
        .size:           8
        .value_kind:     global_buffer
      - .actual_access:  read_only
        .address_space:  global
        .offset:         8
        .size:           8
        .value_kind:     global_buffer
      - .actual_access:  read_only
        .address_space:  global
        .offset:         16
        .size:           8
        .value_kind:     global_buffer
      - .offset:         24
        .size:           4
        .value_kind:     by_value
      - .offset:         28
        .size:           4
        .value_kind:     by_value
      - .actual_access:  read_only
        .address_space:  global
        .offset:         32
        .size:           8
        .value_kind:     global_buffer
      - .actual_access:  read_only
        .address_space:  global
        .offset:         40
        .size:           8
        .value_kind:     global_buffer
      - .actual_access:  read_only
        .address_space:  global
        .offset:         48
        .size:           8
        .value_kind:     global_buffer
      - .offset:         56
        .size:           4
        .value_kind:     by_value
      - .actual_access:  read_only
        .address_space:  global
        .offset:         64
        .size:           8
        .value_kind:     global_buffer
      - .offset:         72
        .size:           4
        .value_kind:     by_value
      - .offset:         76
        .size:           4
        .value_kind:     by_value
      - .offset:         80
        .size:           4
        .value_kind:     by_value
      - .actual_access:  read_only
        .address_space:  global
        .offset:         88
        .size:           8
        .value_kind:     global_buffer
      - .actual_access:  read_only
        .address_space:  global
        .offset:         96
        .size:           8
        .value_kind:     global_buffer
      - .actual_access:  read_only
        .address_space:  global
        .offset:         104
        .size:           8
        .value_kind:     global_buffer
      - .actual_access:  read_only
        .address_space:  global
        .offset:         112
        .size:           8
        .value_kind:     global_buffer
      - .offset:         120
        .size:           4
        .value_kind:     by_value
      - .address_space:  global
        .offset:         128
        .size:           8
        .value_kind:     global_buffer
      - .address_space:  global
        .offset:         136
        .size:           8
        .value_kind:     global_buffer
      - .offset:         144
        .size:           4
        .value_kind:     hidden_block_count_x
      - .offset:         148
        .size:           4
        .value_kind:     hidden_block_count_y
      - .offset:         152
        .size:           4
        .value_kind:     hidden_block_count_z
      - .offset:         156
        .size:           2
        .value_kind:     hidden_group_size_x
      - .offset:         158
        .size:           2
        .value_kind:     hidden_group_size_y
      - .offset:         160
        .size:           2
        .value_kind:     hidden_group_size_z
      - .offset:         162
        .size:           2
        .value_kind:     hidden_remainder_x
      - .offset:         164
        .size:           2
        .value_kind:     hidden_remainder_y
      - .offset:         166
        .size:           2
        .value_kind:     hidden_remainder_z
      - .offset:         184
        .size:           8
        .value_kind:     hidden_global_offset_x
      - .offset:         192
        .size:           8
        .value_kind:     hidden_global_offset_y
      - .offset:         200
        .size:           8
        .value_kind:     hidden_global_offset_z
      - .offset:         208
        .size:           2
        .value_kind:     hidden_grid_dims
      - .offset:         224
        .size:           8
        .value_kind:     hidden_hostcall_buffer
    .group_segment_fixed_size: 0
    .kernarg_segment_align: 8
    .kernarg_segment_size: 400
    .language:       OpenCL C
    .language_version:
      - 2
      - 0
    .max_flat_workgroup_size: 256
    .name:           _Z38paged_attention_ll4mi_QKV_mfma4_kernelI14__hip_bfloat16S0_LN4vllm18Fp8KVCacheDataTypeE0EhLi32ELi128ELi256ELb1ELi3EEvPKT_PKT0_S8_ifPKiSA_SA_iPKfiiiPfSD_PS3_PT2_iSC_SC_
    .private_segment_fixed_size: 64
    .sgpr_count:     36
    .sgpr_spill_count: 0
    .symbol:         _Z38paged_attention_ll4mi_QKV_mfma4_kernelI14__hip_bfloat16S0_LN4vllm18Fp8KVCacheDataTypeE0EhLi32ELi128ELi256ELb1ELi3EEvPKT_PKT0_S8_ifPKiSA_SA_iPKfiiiPfSD_PS3_PT2_iSC_SC_.kd
    .uniform_work_group_size: 1
    .uses_dynamic_stack: false
    .vgpr_count:     51
    .vgpr_spill_count: 0
    .wavefront_size: 32
  - .args:
      - .actual_access:  read_only
        .address_space:  global
        .offset:         0
        .size:           8
        .value_kind:     global_buffer
      - .actual_access:  read_only
        .address_space:  global
        .offset:         8
        .size:           8
        .value_kind:     global_buffer
      - .actual_access:  read_only
        .address_space:  global
        .offset:         16
        .size:           8
        .value_kind:     global_buffer
      - .offset:         24
        .size:           4
        .value_kind:     by_value
      - .offset:         28
        .size:           4
        .value_kind:     by_value
      - .actual_access:  read_only
        .address_space:  global
        .offset:         32
        .size:           8
        .value_kind:     global_buffer
      - .actual_access:  read_only
        .address_space:  global
        .offset:         40
        .size:           8
        .value_kind:     global_buffer
      - .actual_access:  read_only
        .address_space:  global
        .offset:         48
        .size:           8
        .value_kind:     global_buffer
      - .offset:         56
        .size:           4
        .value_kind:     by_value
      - .actual_access:  read_only
        .address_space:  global
        .offset:         64
        .size:           8
        .value_kind:     global_buffer
      - .offset:         72
        .size:           4
        .value_kind:     by_value
      - .offset:         76
        .size:           4
        .value_kind:     by_value
      - .offset:         80
        .size:           4
        .value_kind:     by_value
      - .actual_access:  read_only
        .address_space:  global
        .offset:         88
        .size:           8
        .value_kind:     global_buffer
      - .actual_access:  read_only
        .address_space:  global
        .offset:         96
        .size:           8
        .value_kind:     global_buffer
      - .actual_access:  read_only
        .address_space:  global
        .offset:         104
        .size:           8
        .value_kind:     global_buffer
      - .actual_access:  read_only
        .address_space:  global
        .offset:         112
        .size:           8
        .value_kind:     global_buffer
      - .offset:         120
        .size:           4
        .value_kind:     by_value
      - .address_space:  global
        .offset:         128
        .size:           8
        .value_kind:     global_buffer
      - .address_space:  global
        .offset:         136
        .size:           8
        .value_kind:     global_buffer
      - .offset:         144
        .size:           4
        .value_kind:     hidden_block_count_x
      - .offset:         148
        .size:           4
        .value_kind:     hidden_block_count_y
      - .offset:         152
        .size:           4
        .value_kind:     hidden_block_count_z
      - .offset:         156
        .size:           2
        .value_kind:     hidden_group_size_x
      - .offset:         158
        .size:           2
        .value_kind:     hidden_group_size_y
      - .offset:         160
        .size:           2
        .value_kind:     hidden_group_size_z
      - .offset:         162
        .size:           2
        .value_kind:     hidden_remainder_x
      - .offset:         164
        .size:           2
        .value_kind:     hidden_remainder_y
      - .offset:         166
        .size:           2
        .value_kind:     hidden_remainder_z
      - .offset:         184
        .size:           8
        .value_kind:     hidden_global_offset_x
      - .offset:         192
        .size:           8
        .value_kind:     hidden_global_offset_y
      - .offset:         200
        .size:           8
        .value_kind:     hidden_global_offset_z
      - .offset:         208
        .size:           2
        .value_kind:     hidden_grid_dims
      - .offset:         224
        .size:           8
        .value_kind:     hidden_hostcall_buffer
    .group_segment_fixed_size: 0
    .kernarg_segment_align: 8
    .kernarg_segment_size: 400
    .language:       OpenCL C
    .language_version:
      - 2
      - 0
    .max_flat_workgroup_size: 256
    .name:           _Z38paged_attention_ll4mi_QKV_mfma4_kernelI14__hip_bfloat16S0_LN4vllm18Fp8KVCacheDataTypeE0EhLi32ELi128ELi256ELb1ELi4EEvPKT_PKT0_S8_ifPKiSA_SA_iPKfiiiPfSD_PS3_PT2_iSC_SC_
    .private_segment_fixed_size: 64
    .sgpr_count:     36
    .sgpr_spill_count: 0
    .symbol:         _Z38paged_attention_ll4mi_QKV_mfma4_kernelI14__hip_bfloat16S0_LN4vllm18Fp8KVCacheDataTypeE0EhLi32ELi128ELi256ELb1ELi4EEvPKT_PKT0_S8_ifPKiSA_SA_iPKfiiiPfSD_PS3_PT2_iSC_SC_.kd
    .uniform_work_group_size: 1
    .uses_dynamic_stack: false
    .vgpr_count:     51
    .vgpr_spill_count: 0
    .wavefront_size: 32
  - .args:
      - .actual_access:  read_only
        .address_space:  global
        .offset:         0
        .size:           8
        .value_kind:     global_buffer
      - .actual_access:  read_only
        .address_space:  global
        .offset:         8
        .size:           8
        .value_kind:     global_buffer
      - .actual_access:  read_only
        .address_space:  global
        .offset:         16
        .size:           8
        .value_kind:     global_buffer
      - .offset:         24
        .size:           4
        .value_kind:     by_value
      - .offset:         28
        .size:           4
        .value_kind:     by_value
      - .actual_access:  read_only
        .address_space:  global
        .offset:         32
        .size:           8
        .value_kind:     global_buffer
      - .actual_access:  read_only
        .address_space:  global
        .offset:         40
        .size:           8
        .value_kind:     global_buffer
      - .actual_access:  read_only
        .address_space:  global
        .offset:         48
        .size:           8
        .value_kind:     global_buffer
      - .offset:         56
        .size:           4
        .value_kind:     by_value
      - .actual_access:  read_only
        .address_space:  global
        .offset:         64
        .size:           8
        .value_kind:     global_buffer
      - .offset:         72
        .size:           4
        .value_kind:     by_value
      - .offset:         76
        .size:           4
        .value_kind:     by_value
      - .offset:         80
        .size:           4
        .value_kind:     by_value
      - .actual_access:  read_only
        .address_space:  global
        .offset:         88
        .size:           8
        .value_kind:     global_buffer
      - .actual_access:  read_only
        .address_space:  global
        .offset:         96
        .size:           8
        .value_kind:     global_buffer
      - .actual_access:  read_only
        .address_space:  global
        .offset:         104
        .size:           8
        .value_kind:     global_buffer
      - .actual_access:  read_only
        .address_space:  global
        .offset:         112
        .size:           8
        .value_kind:     global_buffer
      - .offset:         120
        .size:           4
        .value_kind:     by_value
      - .address_space:  global
        .offset:         128
        .size:           8
        .value_kind:     global_buffer
      - .address_space:  global
        .offset:         136
        .size:           8
        .value_kind:     global_buffer
      - .offset:         144
        .size:           4
        .value_kind:     hidden_block_count_x
      - .offset:         148
        .size:           4
        .value_kind:     hidden_block_count_y
      - .offset:         152
        .size:           4
        .value_kind:     hidden_block_count_z
      - .offset:         156
        .size:           2
        .value_kind:     hidden_group_size_x
      - .offset:         158
        .size:           2
        .value_kind:     hidden_group_size_y
      - .offset:         160
        .size:           2
        .value_kind:     hidden_group_size_z
      - .offset:         162
        .size:           2
        .value_kind:     hidden_remainder_x
      - .offset:         164
        .size:           2
        .value_kind:     hidden_remainder_y
      - .offset:         166
        .size:           2
        .value_kind:     hidden_remainder_z
      - .offset:         184
        .size:           8
        .value_kind:     hidden_global_offset_x
      - .offset:         192
        .size:           8
        .value_kind:     hidden_global_offset_y
      - .offset:         200
        .size:           8
        .value_kind:     hidden_global_offset_z
      - .offset:         208
        .size:           2
        .value_kind:     hidden_grid_dims
      - .offset:         224
        .size:           8
        .value_kind:     hidden_hostcall_buffer
    .group_segment_fixed_size: 0
    .kernarg_segment_align: 8
    .kernarg_segment_size: 400
    .language:       OpenCL C
    .language_version:
      - 2
      - 0
    .max_flat_workgroup_size: 256
    .name:           _Z39paged_attention_ll4mi_QKV_mfma16_kernelI14__hip_bfloat16S0_LN4vllm18Fp8KVCacheDataTypeE0EhLi32ELi128ELi256ELb1ELi5EEvPKT_PKT0_S8_ifPKiSA_SA_iPKfiiiPfSD_PS3_PT2_iSC_SC_
    .private_segment_fixed_size: 64
    .sgpr_count:     36
    .sgpr_spill_count: 0
    .symbol:         _Z39paged_attention_ll4mi_QKV_mfma16_kernelI14__hip_bfloat16S0_LN4vllm18Fp8KVCacheDataTypeE0EhLi32ELi128ELi256ELb1ELi5EEvPKT_PKT0_S8_ifPKiSA_SA_iPKfiiiPfSD_PS3_PT2_iSC_SC_.kd
    .uniform_work_group_size: 1
    .uses_dynamic_stack: false
    .vgpr_count:     51
    .vgpr_spill_count: 0
    .wavefront_size: 32
  - .args:
      - .actual_access:  read_only
        .address_space:  global
        .offset:         0
        .size:           8
        .value_kind:     global_buffer
      - .actual_access:  read_only
        .address_space:  global
        .offset:         8
        .size:           8
        .value_kind:     global_buffer
      - .actual_access:  read_only
        .address_space:  global
        .offset:         16
        .size:           8
        .value_kind:     global_buffer
      - .offset:         24
        .size:           4
        .value_kind:     by_value
      - .offset:         28
        .size:           4
        .value_kind:     by_value
      - .actual_access:  read_only
        .address_space:  global
        .offset:         32
        .size:           8
        .value_kind:     global_buffer
      - .actual_access:  read_only
        .address_space:  global
        .offset:         40
        .size:           8
        .value_kind:     global_buffer
      - .actual_access:  read_only
        .address_space:  global
        .offset:         48
        .size:           8
        .value_kind:     global_buffer
      - .offset:         56
        .size:           4
        .value_kind:     by_value
      - .actual_access:  read_only
        .address_space:  global
        .offset:         64
        .size:           8
        .value_kind:     global_buffer
      - .offset:         72
        .size:           4
        .value_kind:     by_value
      - .offset:         76
        .size:           4
        .value_kind:     by_value
      - .offset:         80
        .size:           4
        .value_kind:     by_value
      - .actual_access:  read_only
        .address_space:  global
        .offset:         88
        .size:           8
        .value_kind:     global_buffer
      - .actual_access:  read_only
        .address_space:  global
        .offset:         96
        .size:           8
        .value_kind:     global_buffer
      - .actual_access:  read_only
        .address_space:  global
        .offset:         104
        .size:           8
        .value_kind:     global_buffer
      - .actual_access:  read_only
        .address_space:  global
        .offset:         112
        .size:           8
        .value_kind:     global_buffer
      - .offset:         120
        .size:           4
        .value_kind:     by_value
      - .address_space:  global
        .offset:         128
        .size:           8
        .value_kind:     global_buffer
      - .address_space:  global
        .offset:         136
        .size:           8
        .value_kind:     global_buffer
      - .offset:         144
        .size:           4
        .value_kind:     hidden_block_count_x
      - .offset:         148
        .size:           4
        .value_kind:     hidden_block_count_y
      - .offset:         152
        .size:           4
        .value_kind:     hidden_block_count_z
      - .offset:         156
        .size:           2
        .value_kind:     hidden_group_size_x
      - .offset:         158
        .size:           2
        .value_kind:     hidden_group_size_y
      - .offset:         160
        .size:           2
        .value_kind:     hidden_group_size_z
      - .offset:         162
        .size:           2
        .value_kind:     hidden_remainder_x
      - .offset:         164
        .size:           2
        .value_kind:     hidden_remainder_y
      - .offset:         166
        .size:           2
        .value_kind:     hidden_remainder_z
      - .offset:         184
        .size:           8
        .value_kind:     hidden_global_offset_x
      - .offset:         192
        .size:           8
        .value_kind:     hidden_global_offset_y
      - .offset:         200
        .size:           8
        .value_kind:     hidden_global_offset_z
      - .offset:         208
        .size:           2
        .value_kind:     hidden_grid_dims
      - .offset:         224
        .size:           8
        .value_kind:     hidden_hostcall_buffer
    .group_segment_fixed_size: 0
    .kernarg_segment_align: 8
    .kernarg_segment_size: 400
    .language:       OpenCL C
    .language_version:
      - 2
      - 0
    .max_flat_workgroup_size: 256
    .name:           _Z39paged_attention_ll4mi_QKV_mfma16_kernelI14__hip_bfloat16S0_LN4vllm18Fp8KVCacheDataTypeE0EhLi32ELi128ELi256ELb1ELi6EEvPKT_PKT0_S8_ifPKiSA_SA_iPKfiiiPfSD_PS3_PT2_iSC_SC_
    .private_segment_fixed_size: 64
    .sgpr_count:     36
    .sgpr_spill_count: 0
    .symbol:         _Z39paged_attention_ll4mi_QKV_mfma16_kernelI14__hip_bfloat16S0_LN4vllm18Fp8KVCacheDataTypeE0EhLi32ELi128ELi256ELb1ELi6EEvPKT_PKT0_S8_ifPKiSA_SA_iPKfiiiPfSD_PS3_PT2_iSC_SC_.kd
    .uniform_work_group_size: 1
    .uses_dynamic_stack: false
    .vgpr_count:     51
    .vgpr_spill_count: 0
    .wavefront_size: 32
  - .args:
      - .actual_access:  read_only
        .address_space:  global
        .offset:         0
        .size:           8
        .value_kind:     global_buffer
      - .actual_access:  read_only
        .address_space:  global
        .offset:         8
        .size:           8
        .value_kind:     global_buffer
      - .actual_access:  read_only
        .address_space:  global
        .offset:         16
        .size:           8
        .value_kind:     global_buffer
      - .offset:         24
        .size:           4
        .value_kind:     by_value
      - .offset:         28
        .size:           4
        .value_kind:     by_value
      - .actual_access:  read_only
        .address_space:  global
        .offset:         32
        .size:           8
        .value_kind:     global_buffer
      - .actual_access:  read_only
        .address_space:  global
        .offset:         40
        .size:           8
        .value_kind:     global_buffer
      - .actual_access:  read_only
        .address_space:  global
        .offset:         48
        .size:           8
        .value_kind:     global_buffer
      - .offset:         56
        .size:           4
        .value_kind:     by_value
      - .actual_access:  read_only
        .address_space:  global
        .offset:         64
        .size:           8
        .value_kind:     global_buffer
      - .offset:         72
        .size:           4
        .value_kind:     by_value
      - .offset:         76
        .size:           4
        .value_kind:     by_value
      - .offset:         80
        .size:           4
        .value_kind:     by_value
      - .actual_access:  read_only
        .address_space:  global
        .offset:         88
        .size:           8
        .value_kind:     global_buffer
      - .actual_access:  read_only
        .address_space:  global
        .offset:         96
        .size:           8
        .value_kind:     global_buffer
      - .actual_access:  read_only
        .address_space:  global
        .offset:         104
        .size:           8
        .value_kind:     global_buffer
      - .actual_access:  read_only
        .address_space:  global
        .offset:         112
        .size:           8
        .value_kind:     global_buffer
      - .offset:         120
        .size:           4
        .value_kind:     by_value
      - .address_space:  global
        .offset:         128
        .size:           8
        .value_kind:     global_buffer
      - .address_space:  global
        .offset:         136
        .size:           8
        .value_kind:     global_buffer
      - .offset:         144
        .size:           4
        .value_kind:     hidden_block_count_x
      - .offset:         148
        .size:           4
        .value_kind:     hidden_block_count_y
      - .offset:         152
        .size:           4
        .value_kind:     hidden_block_count_z
      - .offset:         156
        .size:           2
        .value_kind:     hidden_group_size_x
      - .offset:         158
        .size:           2
        .value_kind:     hidden_group_size_y
      - .offset:         160
        .size:           2
        .value_kind:     hidden_group_size_z
      - .offset:         162
        .size:           2
        .value_kind:     hidden_remainder_x
      - .offset:         164
        .size:           2
        .value_kind:     hidden_remainder_y
      - .offset:         166
        .size:           2
        .value_kind:     hidden_remainder_z
      - .offset:         184
        .size:           8
        .value_kind:     hidden_global_offset_x
      - .offset:         192
        .size:           8
        .value_kind:     hidden_global_offset_y
      - .offset:         200
        .size:           8
        .value_kind:     hidden_global_offset_z
      - .offset:         208
        .size:           2
        .value_kind:     hidden_grid_dims
      - .offset:         224
        .size:           8
        .value_kind:     hidden_hostcall_buffer
    .group_segment_fixed_size: 0
    .kernarg_segment_align: 8
    .kernarg_segment_size: 400
    .language:       OpenCL C
    .language_version:
      - 2
      - 0
    .max_flat_workgroup_size: 256
    .name:           _Z39paged_attention_ll4mi_QKV_mfma16_kernelI14__hip_bfloat16S0_LN4vllm18Fp8KVCacheDataTypeE0EhLi32ELi128ELi256ELb1ELi7EEvPKT_PKT0_S8_ifPKiSA_SA_iPKfiiiPfSD_PS3_PT2_iSC_SC_
    .private_segment_fixed_size: 64
    .sgpr_count:     36
    .sgpr_spill_count: 0
    .symbol:         _Z39paged_attention_ll4mi_QKV_mfma16_kernelI14__hip_bfloat16S0_LN4vllm18Fp8KVCacheDataTypeE0EhLi32ELi128ELi256ELb1ELi7EEvPKT_PKT0_S8_ifPKiSA_SA_iPKfiiiPfSD_PS3_PT2_iSC_SC_.kd
    .uniform_work_group_size: 1
    .uses_dynamic_stack: false
    .vgpr_count:     51
    .vgpr_spill_count: 0
    .wavefront_size: 32
  - .args:
      - .actual_access:  read_only
        .address_space:  global
        .offset:         0
        .size:           8
        .value_kind:     global_buffer
      - .actual_access:  read_only
        .address_space:  global
        .offset:         8
        .size:           8
        .value_kind:     global_buffer
      - .actual_access:  read_only
        .address_space:  global
        .offset:         16
        .size:           8
        .value_kind:     global_buffer
      - .offset:         24
        .size:           4
        .value_kind:     by_value
      - .offset:         28
        .size:           4
        .value_kind:     by_value
      - .actual_access:  read_only
        .address_space:  global
        .offset:         32
        .size:           8
        .value_kind:     global_buffer
      - .actual_access:  read_only
        .address_space:  global
        .offset:         40
        .size:           8
        .value_kind:     global_buffer
      - .actual_access:  read_only
        .address_space:  global
        .offset:         48
        .size:           8
        .value_kind:     global_buffer
      - .offset:         56
        .size:           4
        .value_kind:     by_value
      - .actual_access:  read_only
        .address_space:  global
        .offset:         64
        .size:           8
        .value_kind:     global_buffer
      - .offset:         72
        .size:           4
        .value_kind:     by_value
      - .offset:         76
        .size:           4
        .value_kind:     by_value
      - .offset:         80
        .size:           4
        .value_kind:     by_value
      - .actual_access:  read_only
        .address_space:  global
        .offset:         88
        .size:           8
        .value_kind:     global_buffer
      - .actual_access:  read_only
        .address_space:  global
        .offset:         96
        .size:           8
        .value_kind:     global_buffer
      - .actual_access:  read_only
        .address_space:  global
        .offset:         104
        .size:           8
        .value_kind:     global_buffer
      - .actual_access:  read_only
        .address_space:  global
        .offset:         112
        .size:           8
        .value_kind:     global_buffer
      - .offset:         120
        .size:           4
        .value_kind:     by_value
      - .address_space:  global
        .offset:         128
        .size:           8
        .value_kind:     global_buffer
      - .address_space:  global
        .offset:         136
        .size:           8
        .value_kind:     global_buffer
      - .offset:         144
        .size:           4
        .value_kind:     hidden_block_count_x
      - .offset:         148
        .size:           4
        .value_kind:     hidden_block_count_y
      - .offset:         152
        .size:           4
        .value_kind:     hidden_block_count_z
      - .offset:         156
        .size:           2
        .value_kind:     hidden_group_size_x
      - .offset:         158
        .size:           2
        .value_kind:     hidden_group_size_y
      - .offset:         160
        .size:           2
        .value_kind:     hidden_group_size_z
      - .offset:         162
        .size:           2
        .value_kind:     hidden_remainder_x
      - .offset:         164
        .size:           2
        .value_kind:     hidden_remainder_y
      - .offset:         166
        .size:           2
        .value_kind:     hidden_remainder_z
      - .offset:         184
        .size:           8
        .value_kind:     hidden_global_offset_x
      - .offset:         192
        .size:           8
        .value_kind:     hidden_global_offset_y
      - .offset:         200
        .size:           8
        .value_kind:     hidden_global_offset_z
      - .offset:         208
        .size:           2
        .value_kind:     hidden_grid_dims
      - .offset:         224
        .size:           8
        .value_kind:     hidden_hostcall_buffer
    .group_segment_fixed_size: 0
    .kernarg_segment_align: 8
    .kernarg_segment_size: 400
    .language:       OpenCL C
    .language_version:
      - 2
      - 0
    .max_flat_workgroup_size: 256
    .name:           _Z39paged_attention_ll4mi_QKV_mfma16_kernelI14__hip_bfloat16S0_LN4vllm18Fp8KVCacheDataTypeE0EhLi32ELi128ELi256ELb1ELi8EEvPKT_PKT0_S8_ifPKiSA_SA_iPKfiiiPfSD_PS3_PT2_iSC_SC_
    .private_segment_fixed_size: 64
    .sgpr_count:     36
    .sgpr_spill_count: 0
    .symbol:         _Z39paged_attention_ll4mi_QKV_mfma16_kernelI14__hip_bfloat16S0_LN4vllm18Fp8KVCacheDataTypeE0EhLi32ELi128ELi256ELb1ELi8EEvPKT_PKT0_S8_ifPKiSA_SA_iPKfiiiPfSD_PS3_PT2_iSC_SC_.kd
    .uniform_work_group_size: 1
    .uses_dynamic_stack: false
    .vgpr_count:     51
    .vgpr_spill_count: 0
    .wavefront_size: 32
  - .args:
      - .actual_access:  read_only
        .address_space:  global
        .offset:         0
        .size:           8
        .value_kind:     global_buffer
      - .actual_access:  read_only
        .address_space:  global
        .offset:         8
        .size:           8
        .value_kind:     global_buffer
      - .actual_access:  read_only
        .address_space:  global
        .offset:         16
        .size:           8
        .value_kind:     global_buffer
      - .offset:         24
        .size:           4
        .value_kind:     by_value
      - .offset:         28
        .size:           4
        .value_kind:     by_value
      - .actual_access:  read_only
        .address_space:  global
        .offset:         32
        .size:           8
        .value_kind:     global_buffer
      - .actual_access:  read_only
        .address_space:  global
        .offset:         40
        .size:           8
        .value_kind:     global_buffer
      - .actual_access:  read_only
        .address_space:  global
        .offset:         48
        .size:           8
        .value_kind:     global_buffer
      - .offset:         56
        .size:           4
        .value_kind:     by_value
      - .actual_access:  read_only
        .address_space:  global
        .offset:         64
        .size:           8
        .value_kind:     global_buffer
      - .offset:         72
        .size:           4
        .value_kind:     by_value
      - .offset:         76
        .size:           4
        .value_kind:     by_value
      - .offset:         80
        .size:           4
        .value_kind:     by_value
      - .actual_access:  read_only
        .address_space:  global
        .offset:         88
        .size:           8
        .value_kind:     global_buffer
      - .actual_access:  read_only
        .address_space:  global
        .offset:         96
        .size:           8
        .value_kind:     global_buffer
      - .actual_access:  read_only
        .address_space:  global
        .offset:         104
        .size:           8
        .value_kind:     global_buffer
      - .actual_access:  read_only
        .address_space:  global
        .offset:         112
        .size:           8
        .value_kind:     global_buffer
      - .offset:         120
        .size:           4
        .value_kind:     by_value
      - .address_space:  global
        .offset:         128
        .size:           8
        .value_kind:     global_buffer
      - .address_space:  global
        .offset:         136
        .size:           8
        .value_kind:     global_buffer
      - .offset:         144
        .size:           4
        .value_kind:     hidden_block_count_x
      - .offset:         148
        .size:           4
        .value_kind:     hidden_block_count_y
      - .offset:         152
        .size:           4
        .value_kind:     hidden_block_count_z
      - .offset:         156
        .size:           2
        .value_kind:     hidden_group_size_x
      - .offset:         158
        .size:           2
        .value_kind:     hidden_group_size_y
      - .offset:         160
        .size:           2
        .value_kind:     hidden_group_size_z
      - .offset:         162
        .size:           2
        .value_kind:     hidden_remainder_x
      - .offset:         164
        .size:           2
        .value_kind:     hidden_remainder_y
      - .offset:         166
        .size:           2
        .value_kind:     hidden_remainder_z
      - .offset:         184
        .size:           8
        .value_kind:     hidden_global_offset_x
      - .offset:         192
        .size:           8
        .value_kind:     hidden_global_offset_y
      - .offset:         200
        .size:           8
        .value_kind:     hidden_global_offset_z
      - .offset:         208
        .size:           2
        .value_kind:     hidden_grid_dims
      - .offset:         224
        .size:           8
        .value_kind:     hidden_hostcall_buffer
    .group_segment_fixed_size: 0
    .kernarg_segment_align: 8
    .kernarg_segment_size: 400
    .language:       OpenCL C
    .language_version:
      - 2
      - 0
    .max_flat_workgroup_size: 256
    .name:           _Z39paged_attention_ll4mi_QKV_mfma16_kernelI14__hip_bfloat16S0_LN4vllm18Fp8KVCacheDataTypeE0EhLi32ELi128ELi256ELb1ELi9EEvPKT_PKT0_S8_ifPKiSA_SA_iPKfiiiPfSD_PS3_PT2_iSC_SC_
    .private_segment_fixed_size: 64
    .sgpr_count:     36
    .sgpr_spill_count: 0
    .symbol:         _Z39paged_attention_ll4mi_QKV_mfma16_kernelI14__hip_bfloat16S0_LN4vllm18Fp8KVCacheDataTypeE0EhLi32ELi128ELi256ELb1ELi9EEvPKT_PKT0_S8_ifPKiSA_SA_iPKfiiiPfSD_PS3_PT2_iSC_SC_.kd
    .uniform_work_group_size: 1
    .uses_dynamic_stack: false
    .vgpr_count:     51
    .vgpr_spill_count: 0
    .wavefront_size: 32
  - .args:
      - .actual_access:  read_only
        .address_space:  global
        .offset:         0
        .size:           8
        .value_kind:     global_buffer
      - .actual_access:  read_only
        .address_space:  global
        .offset:         8
        .size:           8
        .value_kind:     global_buffer
      - .actual_access:  read_only
        .address_space:  global
        .offset:         16
        .size:           8
        .value_kind:     global_buffer
      - .offset:         24
        .size:           4
        .value_kind:     by_value
      - .offset:         28
        .size:           4
        .value_kind:     by_value
      - .actual_access:  read_only
        .address_space:  global
        .offset:         32
        .size:           8
        .value_kind:     global_buffer
      - .actual_access:  read_only
        .address_space:  global
        .offset:         40
        .size:           8
        .value_kind:     global_buffer
      - .actual_access:  read_only
        .address_space:  global
        .offset:         48
        .size:           8
        .value_kind:     global_buffer
      - .offset:         56
        .size:           4
        .value_kind:     by_value
      - .actual_access:  read_only
        .address_space:  global
        .offset:         64
        .size:           8
        .value_kind:     global_buffer
      - .offset:         72
        .size:           4
        .value_kind:     by_value
      - .offset:         76
        .size:           4
        .value_kind:     by_value
      - .offset:         80
        .size:           4
        .value_kind:     by_value
      - .actual_access:  read_only
        .address_space:  global
        .offset:         88
        .size:           8
        .value_kind:     global_buffer
      - .actual_access:  read_only
        .address_space:  global
        .offset:         96
        .size:           8
        .value_kind:     global_buffer
      - .actual_access:  read_only
        .address_space:  global
        .offset:         104
        .size:           8
        .value_kind:     global_buffer
      - .actual_access:  read_only
        .address_space:  global
        .offset:         112
        .size:           8
        .value_kind:     global_buffer
      - .offset:         120
        .size:           4
        .value_kind:     by_value
      - .address_space:  global
        .offset:         128
        .size:           8
        .value_kind:     global_buffer
      - .address_space:  global
        .offset:         136
        .size:           8
        .value_kind:     global_buffer
      - .offset:         144
        .size:           4
        .value_kind:     hidden_block_count_x
      - .offset:         148
        .size:           4
        .value_kind:     hidden_block_count_y
      - .offset:         152
        .size:           4
        .value_kind:     hidden_block_count_z
      - .offset:         156
        .size:           2
        .value_kind:     hidden_group_size_x
      - .offset:         158
        .size:           2
        .value_kind:     hidden_group_size_y
      - .offset:         160
        .size:           2
        .value_kind:     hidden_group_size_z
      - .offset:         162
        .size:           2
        .value_kind:     hidden_remainder_x
      - .offset:         164
        .size:           2
        .value_kind:     hidden_remainder_y
      - .offset:         166
        .size:           2
        .value_kind:     hidden_remainder_z
      - .offset:         184
        .size:           8
        .value_kind:     hidden_global_offset_x
      - .offset:         192
        .size:           8
        .value_kind:     hidden_global_offset_y
      - .offset:         200
        .size:           8
        .value_kind:     hidden_global_offset_z
      - .offset:         208
        .size:           2
        .value_kind:     hidden_grid_dims
      - .offset:         224
        .size:           8
        .value_kind:     hidden_hostcall_buffer
    .group_segment_fixed_size: 0
    .kernarg_segment_align: 8
    .kernarg_segment_size: 400
    .language:       OpenCL C
    .language_version:
      - 2
      - 0
    .max_flat_workgroup_size: 256
    .name:           _Z39paged_attention_ll4mi_QKV_mfma16_kernelI14__hip_bfloat16S0_LN4vllm18Fp8KVCacheDataTypeE0EhLi32ELi128ELi256ELb1ELi10EEvPKT_PKT0_S8_ifPKiSA_SA_iPKfiiiPfSD_PS3_PT2_iSC_SC_
    .private_segment_fixed_size: 64
    .sgpr_count:     36
    .sgpr_spill_count: 0
    .symbol:         _Z39paged_attention_ll4mi_QKV_mfma16_kernelI14__hip_bfloat16S0_LN4vllm18Fp8KVCacheDataTypeE0EhLi32ELi128ELi256ELb1ELi10EEvPKT_PKT0_S8_ifPKiSA_SA_iPKfiiiPfSD_PS3_PT2_iSC_SC_.kd
    .uniform_work_group_size: 1
    .uses_dynamic_stack: false
    .vgpr_count:     51
    .vgpr_spill_count: 0
    .wavefront_size: 32
  - .args:
      - .actual_access:  read_only
        .address_space:  global
        .offset:         0
        .size:           8
        .value_kind:     global_buffer
      - .actual_access:  read_only
        .address_space:  global
        .offset:         8
        .size:           8
        .value_kind:     global_buffer
      - .actual_access:  read_only
        .address_space:  global
        .offset:         16
        .size:           8
        .value_kind:     global_buffer
      - .offset:         24
        .size:           4
        .value_kind:     by_value
      - .offset:         28
        .size:           4
        .value_kind:     by_value
      - .actual_access:  read_only
        .address_space:  global
        .offset:         32
        .size:           8
        .value_kind:     global_buffer
      - .actual_access:  read_only
        .address_space:  global
        .offset:         40
        .size:           8
        .value_kind:     global_buffer
      - .actual_access:  read_only
        .address_space:  global
        .offset:         48
        .size:           8
        .value_kind:     global_buffer
      - .offset:         56
        .size:           4
        .value_kind:     by_value
      - .actual_access:  read_only
        .address_space:  global
        .offset:         64
        .size:           8
        .value_kind:     global_buffer
      - .offset:         72
        .size:           4
        .value_kind:     by_value
      - .offset:         76
        .size:           4
        .value_kind:     by_value
      - .offset:         80
        .size:           4
        .value_kind:     by_value
      - .actual_access:  read_only
        .address_space:  global
        .offset:         88
        .size:           8
        .value_kind:     global_buffer
      - .actual_access:  read_only
        .address_space:  global
        .offset:         96
        .size:           8
        .value_kind:     global_buffer
      - .actual_access:  read_only
        .address_space:  global
        .offset:         104
        .size:           8
        .value_kind:     global_buffer
      - .actual_access:  read_only
        .address_space:  global
        .offset:         112
        .size:           8
        .value_kind:     global_buffer
      - .offset:         120
        .size:           4
        .value_kind:     by_value
      - .address_space:  global
        .offset:         128
        .size:           8
        .value_kind:     global_buffer
      - .address_space:  global
        .offset:         136
        .size:           8
        .value_kind:     global_buffer
      - .offset:         144
        .size:           4
        .value_kind:     hidden_block_count_x
      - .offset:         148
        .size:           4
        .value_kind:     hidden_block_count_y
      - .offset:         152
        .size:           4
        .value_kind:     hidden_block_count_z
      - .offset:         156
        .size:           2
        .value_kind:     hidden_group_size_x
      - .offset:         158
        .size:           2
        .value_kind:     hidden_group_size_y
      - .offset:         160
        .size:           2
        .value_kind:     hidden_group_size_z
      - .offset:         162
        .size:           2
        .value_kind:     hidden_remainder_x
      - .offset:         164
        .size:           2
        .value_kind:     hidden_remainder_y
      - .offset:         166
        .size:           2
        .value_kind:     hidden_remainder_z
      - .offset:         184
        .size:           8
        .value_kind:     hidden_global_offset_x
      - .offset:         192
        .size:           8
        .value_kind:     hidden_global_offset_y
      - .offset:         200
        .size:           8
        .value_kind:     hidden_global_offset_z
      - .offset:         208
        .size:           2
        .value_kind:     hidden_grid_dims
      - .offset:         224
        .size:           8
        .value_kind:     hidden_hostcall_buffer
    .group_segment_fixed_size: 0
    .kernarg_segment_align: 8
    .kernarg_segment_size: 400
    .language:       OpenCL C
    .language_version:
      - 2
      - 0
    .max_flat_workgroup_size: 256
    .name:           _Z39paged_attention_ll4mi_QKV_mfma16_kernelI14__hip_bfloat16S0_LN4vllm18Fp8KVCacheDataTypeE0EhLi32ELi128ELi256ELb1ELi11EEvPKT_PKT0_S8_ifPKiSA_SA_iPKfiiiPfSD_PS3_PT2_iSC_SC_
    .private_segment_fixed_size: 64
    .sgpr_count:     36
    .sgpr_spill_count: 0
    .symbol:         _Z39paged_attention_ll4mi_QKV_mfma16_kernelI14__hip_bfloat16S0_LN4vllm18Fp8KVCacheDataTypeE0EhLi32ELi128ELi256ELb1ELi11EEvPKT_PKT0_S8_ifPKiSA_SA_iPKfiiiPfSD_PS3_PT2_iSC_SC_.kd
    .uniform_work_group_size: 1
    .uses_dynamic_stack: false
    .vgpr_count:     51
    .vgpr_spill_count: 0
    .wavefront_size: 32
  - .args:
      - .actual_access:  read_only
        .address_space:  global
        .offset:         0
        .size:           8
        .value_kind:     global_buffer
      - .actual_access:  read_only
        .address_space:  global
        .offset:         8
        .size:           8
        .value_kind:     global_buffer
      - .actual_access:  read_only
        .address_space:  global
        .offset:         16
        .size:           8
        .value_kind:     global_buffer
      - .offset:         24
        .size:           4
        .value_kind:     by_value
      - .offset:         28
        .size:           4
        .value_kind:     by_value
      - .actual_access:  read_only
        .address_space:  global
        .offset:         32
        .size:           8
        .value_kind:     global_buffer
      - .actual_access:  read_only
        .address_space:  global
        .offset:         40
        .size:           8
        .value_kind:     global_buffer
      - .actual_access:  read_only
        .address_space:  global
        .offset:         48
        .size:           8
        .value_kind:     global_buffer
      - .offset:         56
        .size:           4
        .value_kind:     by_value
      - .actual_access:  read_only
        .address_space:  global
        .offset:         64
        .size:           8
        .value_kind:     global_buffer
      - .offset:         72
        .size:           4
        .value_kind:     by_value
      - .offset:         76
        .size:           4
        .value_kind:     by_value
      - .offset:         80
        .size:           4
        .value_kind:     by_value
      - .actual_access:  read_only
        .address_space:  global
        .offset:         88
        .size:           8
        .value_kind:     global_buffer
      - .actual_access:  read_only
        .address_space:  global
        .offset:         96
        .size:           8
        .value_kind:     global_buffer
      - .actual_access:  read_only
        .address_space:  global
        .offset:         104
        .size:           8
        .value_kind:     global_buffer
      - .actual_access:  read_only
        .address_space:  global
        .offset:         112
        .size:           8
        .value_kind:     global_buffer
      - .offset:         120
        .size:           4
        .value_kind:     by_value
      - .address_space:  global
        .offset:         128
        .size:           8
        .value_kind:     global_buffer
      - .address_space:  global
        .offset:         136
        .size:           8
        .value_kind:     global_buffer
      - .offset:         144
        .size:           4
        .value_kind:     hidden_block_count_x
      - .offset:         148
        .size:           4
        .value_kind:     hidden_block_count_y
      - .offset:         152
        .size:           4
        .value_kind:     hidden_block_count_z
      - .offset:         156
        .size:           2
        .value_kind:     hidden_group_size_x
      - .offset:         158
        .size:           2
        .value_kind:     hidden_group_size_y
      - .offset:         160
        .size:           2
        .value_kind:     hidden_group_size_z
      - .offset:         162
        .size:           2
        .value_kind:     hidden_remainder_x
      - .offset:         164
        .size:           2
        .value_kind:     hidden_remainder_y
      - .offset:         166
        .size:           2
        .value_kind:     hidden_remainder_z
      - .offset:         184
        .size:           8
        .value_kind:     hidden_global_offset_x
      - .offset:         192
        .size:           8
        .value_kind:     hidden_global_offset_y
      - .offset:         200
        .size:           8
        .value_kind:     hidden_global_offset_z
      - .offset:         208
        .size:           2
        .value_kind:     hidden_grid_dims
      - .offset:         224
        .size:           8
        .value_kind:     hidden_hostcall_buffer
    .group_segment_fixed_size: 0
    .kernarg_segment_align: 8
    .kernarg_segment_size: 400
    .language:       OpenCL C
    .language_version:
      - 2
      - 0
    .max_flat_workgroup_size: 256
    .name:           _Z39paged_attention_ll4mi_QKV_mfma16_kernelI14__hip_bfloat16S0_LN4vllm18Fp8KVCacheDataTypeE0EhLi32ELi128ELi256ELb1ELi12EEvPKT_PKT0_S8_ifPKiSA_SA_iPKfiiiPfSD_PS3_PT2_iSC_SC_
    .private_segment_fixed_size: 64
    .sgpr_count:     36
    .sgpr_spill_count: 0
    .symbol:         _Z39paged_attention_ll4mi_QKV_mfma16_kernelI14__hip_bfloat16S0_LN4vllm18Fp8KVCacheDataTypeE0EhLi32ELi128ELi256ELb1ELi12EEvPKT_PKT0_S8_ifPKiSA_SA_iPKfiiiPfSD_PS3_PT2_iSC_SC_.kd
    .uniform_work_group_size: 1
    .uses_dynamic_stack: false
    .vgpr_count:     51
    .vgpr_spill_count: 0
    .wavefront_size: 32
  - .args:
      - .actual_access:  read_only
        .address_space:  global
        .offset:         0
        .size:           8
        .value_kind:     global_buffer
      - .actual_access:  read_only
        .address_space:  global
        .offset:         8
        .size:           8
        .value_kind:     global_buffer
      - .actual_access:  read_only
        .address_space:  global
        .offset:         16
        .size:           8
        .value_kind:     global_buffer
      - .offset:         24
        .size:           4
        .value_kind:     by_value
      - .offset:         28
        .size:           4
        .value_kind:     by_value
      - .actual_access:  read_only
        .address_space:  global
        .offset:         32
        .size:           8
        .value_kind:     global_buffer
      - .actual_access:  read_only
        .address_space:  global
        .offset:         40
        .size:           8
        .value_kind:     global_buffer
      - .actual_access:  read_only
        .address_space:  global
        .offset:         48
        .size:           8
        .value_kind:     global_buffer
      - .offset:         56
        .size:           4
        .value_kind:     by_value
      - .actual_access:  read_only
        .address_space:  global
        .offset:         64
        .size:           8
        .value_kind:     global_buffer
      - .offset:         72
        .size:           4
        .value_kind:     by_value
      - .offset:         76
        .size:           4
        .value_kind:     by_value
      - .offset:         80
        .size:           4
        .value_kind:     by_value
      - .actual_access:  read_only
        .address_space:  global
        .offset:         88
        .size:           8
        .value_kind:     global_buffer
      - .actual_access:  read_only
        .address_space:  global
        .offset:         96
        .size:           8
        .value_kind:     global_buffer
      - .actual_access:  read_only
        .address_space:  global
        .offset:         104
        .size:           8
        .value_kind:     global_buffer
      - .actual_access:  read_only
        .address_space:  global
        .offset:         112
        .size:           8
        .value_kind:     global_buffer
      - .offset:         120
        .size:           4
        .value_kind:     by_value
      - .address_space:  global
        .offset:         128
        .size:           8
        .value_kind:     global_buffer
      - .address_space:  global
        .offset:         136
        .size:           8
        .value_kind:     global_buffer
      - .offset:         144
        .size:           4
        .value_kind:     hidden_block_count_x
      - .offset:         148
        .size:           4
        .value_kind:     hidden_block_count_y
      - .offset:         152
        .size:           4
        .value_kind:     hidden_block_count_z
      - .offset:         156
        .size:           2
        .value_kind:     hidden_group_size_x
      - .offset:         158
        .size:           2
        .value_kind:     hidden_group_size_y
      - .offset:         160
        .size:           2
        .value_kind:     hidden_group_size_z
      - .offset:         162
        .size:           2
        .value_kind:     hidden_remainder_x
      - .offset:         164
        .size:           2
        .value_kind:     hidden_remainder_y
      - .offset:         166
        .size:           2
        .value_kind:     hidden_remainder_z
      - .offset:         184
        .size:           8
        .value_kind:     hidden_global_offset_x
      - .offset:         192
        .size:           8
        .value_kind:     hidden_global_offset_y
      - .offset:         200
        .size:           8
        .value_kind:     hidden_global_offset_z
      - .offset:         208
        .size:           2
        .value_kind:     hidden_grid_dims
      - .offset:         224
        .size:           8
        .value_kind:     hidden_hostcall_buffer
    .group_segment_fixed_size: 0
    .kernarg_segment_align: 8
    .kernarg_segment_size: 400
    .language:       OpenCL C
    .language_version:
      - 2
      - 0
    .max_flat_workgroup_size: 256
    .name:           _Z39paged_attention_ll4mi_QKV_mfma16_kernelI14__hip_bfloat16S0_LN4vllm18Fp8KVCacheDataTypeE0EhLi32ELi128ELi256ELb1ELi13EEvPKT_PKT0_S8_ifPKiSA_SA_iPKfiiiPfSD_PS3_PT2_iSC_SC_
    .private_segment_fixed_size: 64
    .sgpr_count:     36
    .sgpr_spill_count: 0
    .symbol:         _Z39paged_attention_ll4mi_QKV_mfma16_kernelI14__hip_bfloat16S0_LN4vllm18Fp8KVCacheDataTypeE0EhLi32ELi128ELi256ELb1ELi13EEvPKT_PKT0_S8_ifPKiSA_SA_iPKfiiiPfSD_PS3_PT2_iSC_SC_.kd
    .uniform_work_group_size: 1
    .uses_dynamic_stack: false
    .vgpr_count:     51
    .vgpr_spill_count: 0
    .wavefront_size: 32
  - .args:
      - .actual_access:  read_only
        .address_space:  global
        .offset:         0
        .size:           8
        .value_kind:     global_buffer
      - .actual_access:  read_only
        .address_space:  global
        .offset:         8
        .size:           8
        .value_kind:     global_buffer
      - .actual_access:  read_only
        .address_space:  global
        .offset:         16
        .size:           8
        .value_kind:     global_buffer
      - .offset:         24
        .size:           4
        .value_kind:     by_value
      - .offset:         28
        .size:           4
        .value_kind:     by_value
      - .actual_access:  read_only
        .address_space:  global
        .offset:         32
        .size:           8
        .value_kind:     global_buffer
      - .actual_access:  read_only
        .address_space:  global
        .offset:         40
        .size:           8
        .value_kind:     global_buffer
      - .actual_access:  read_only
        .address_space:  global
        .offset:         48
        .size:           8
        .value_kind:     global_buffer
      - .offset:         56
        .size:           4
        .value_kind:     by_value
      - .actual_access:  read_only
        .address_space:  global
        .offset:         64
        .size:           8
        .value_kind:     global_buffer
      - .offset:         72
        .size:           4
        .value_kind:     by_value
      - .offset:         76
        .size:           4
        .value_kind:     by_value
      - .offset:         80
        .size:           4
        .value_kind:     by_value
      - .actual_access:  read_only
        .address_space:  global
        .offset:         88
        .size:           8
        .value_kind:     global_buffer
      - .actual_access:  read_only
        .address_space:  global
        .offset:         96
        .size:           8
        .value_kind:     global_buffer
      - .actual_access:  read_only
        .address_space:  global
        .offset:         104
        .size:           8
        .value_kind:     global_buffer
      - .actual_access:  read_only
        .address_space:  global
        .offset:         112
        .size:           8
        .value_kind:     global_buffer
      - .offset:         120
        .size:           4
        .value_kind:     by_value
      - .address_space:  global
        .offset:         128
        .size:           8
        .value_kind:     global_buffer
      - .address_space:  global
        .offset:         136
        .size:           8
        .value_kind:     global_buffer
      - .offset:         144
        .size:           4
        .value_kind:     hidden_block_count_x
      - .offset:         148
        .size:           4
        .value_kind:     hidden_block_count_y
      - .offset:         152
        .size:           4
        .value_kind:     hidden_block_count_z
      - .offset:         156
        .size:           2
        .value_kind:     hidden_group_size_x
      - .offset:         158
        .size:           2
        .value_kind:     hidden_group_size_y
      - .offset:         160
        .size:           2
        .value_kind:     hidden_group_size_z
      - .offset:         162
        .size:           2
        .value_kind:     hidden_remainder_x
      - .offset:         164
        .size:           2
        .value_kind:     hidden_remainder_y
      - .offset:         166
        .size:           2
        .value_kind:     hidden_remainder_z
      - .offset:         184
        .size:           8
        .value_kind:     hidden_global_offset_x
      - .offset:         192
        .size:           8
        .value_kind:     hidden_global_offset_y
      - .offset:         200
        .size:           8
        .value_kind:     hidden_global_offset_z
      - .offset:         208
        .size:           2
        .value_kind:     hidden_grid_dims
      - .offset:         224
        .size:           8
        .value_kind:     hidden_hostcall_buffer
    .group_segment_fixed_size: 0
    .kernarg_segment_align: 8
    .kernarg_segment_size: 400
    .language:       OpenCL C
    .language_version:
      - 2
      - 0
    .max_flat_workgroup_size: 256
    .name:           _Z39paged_attention_ll4mi_QKV_mfma16_kernelI14__hip_bfloat16S0_LN4vllm18Fp8KVCacheDataTypeE0EhLi32ELi128ELi256ELb1ELi14EEvPKT_PKT0_S8_ifPKiSA_SA_iPKfiiiPfSD_PS3_PT2_iSC_SC_
    .private_segment_fixed_size: 64
    .sgpr_count:     36
    .sgpr_spill_count: 0
    .symbol:         _Z39paged_attention_ll4mi_QKV_mfma16_kernelI14__hip_bfloat16S0_LN4vllm18Fp8KVCacheDataTypeE0EhLi32ELi128ELi256ELb1ELi14EEvPKT_PKT0_S8_ifPKiSA_SA_iPKfiiiPfSD_PS3_PT2_iSC_SC_.kd
    .uniform_work_group_size: 1
    .uses_dynamic_stack: false
    .vgpr_count:     51
    .vgpr_spill_count: 0
    .wavefront_size: 32
  - .args:
      - .actual_access:  read_only
        .address_space:  global
        .offset:         0
        .size:           8
        .value_kind:     global_buffer
      - .actual_access:  read_only
        .address_space:  global
        .offset:         8
        .size:           8
        .value_kind:     global_buffer
      - .actual_access:  read_only
        .address_space:  global
        .offset:         16
        .size:           8
        .value_kind:     global_buffer
      - .offset:         24
        .size:           4
        .value_kind:     by_value
      - .offset:         28
        .size:           4
        .value_kind:     by_value
      - .actual_access:  read_only
        .address_space:  global
        .offset:         32
        .size:           8
        .value_kind:     global_buffer
      - .actual_access:  read_only
        .address_space:  global
        .offset:         40
        .size:           8
        .value_kind:     global_buffer
      - .actual_access:  read_only
        .address_space:  global
        .offset:         48
        .size:           8
        .value_kind:     global_buffer
      - .offset:         56
        .size:           4
        .value_kind:     by_value
      - .actual_access:  read_only
        .address_space:  global
        .offset:         64
        .size:           8
        .value_kind:     global_buffer
      - .offset:         72
        .size:           4
        .value_kind:     by_value
      - .offset:         76
        .size:           4
        .value_kind:     by_value
      - .offset:         80
        .size:           4
        .value_kind:     by_value
      - .actual_access:  read_only
        .address_space:  global
        .offset:         88
        .size:           8
        .value_kind:     global_buffer
      - .actual_access:  read_only
        .address_space:  global
        .offset:         96
        .size:           8
        .value_kind:     global_buffer
      - .actual_access:  read_only
        .address_space:  global
        .offset:         104
        .size:           8
        .value_kind:     global_buffer
      - .actual_access:  read_only
        .address_space:  global
        .offset:         112
        .size:           8
        .value_kind:     global_buffer
      - .offset:         120
        .size:           4
        .value_kind:     by_value
      - .address_space:  global
        .offset:         128
        .size:           8
        .value_kind:     global_buffer
      - .address_space:  global
        .offset:         136
        .size:           8
        .value_kind:     global_buffer
      - .offset:         144
        .size:           4
        .value_kind:     hidden_block_count_x
      - .offset:         148
        .size:           4
        .value_kind:     hidden_block_count_y
      - .offset:         152
        .size:           4
        .value_kind:     hidden_block_count_z
      - .offset:         156
        .size:           2
        .value_kind:     hidden_group_size_x
      - .offset:         158
        .size:           2
        .value_kind:     hidden_group_size_y
      - .offset:         160
        .size:           2
        .value_kind:     hidden_group_size_z
      - .offset:         162
        .size:           2
        .value_kind:     hidden_remainder_x
      - .offset:         164
        .size:           2
        .value_kind:     hidden_remainder_y
      - .offset:         166
        .size:           2
        .value_kind:     hidden_remainder_z
      - .offset:         184
        .size:           8
        .value_kind:     hidden_global_offset_x
      - .offset:         192
        .size:           8
        .value_kind:     hidden_global_offset_y
      - .offset:         200
        .size:           8
        .value_kind:     hidden_global_offset_z
      - .offset:         208
        .size:           2
        .value_kind:     hidden_grid_dims
      - .offset:         224
        .size:           8
        .value_kind:     hidden_hostcall_buffer
    .group_segment_fixed_size: 0
    .kernarg_segment_align: 8
    .kernarg_segment_size: 400
    .language:       OpenCL C
    .language_version:
      - 2
      - 0
    .max_flat_workgroup_size: 256
    .name:           _Z39paged_attention_ll4mi_QKV_mfma16_kernelI14__hip_bfloat16S0_LN4vllm18Fp8KVCacheDataTypeE0EhLi32ELi128ELi256ELb1ELi15EEvPKT_PKT0_S8_ifPKiSA_SA_iPKfiiiPfSD_PS3_PT2_iSC_SC_
    .private_segment_fixed_size: 64
    .sgpr_count:     36
    .sgpr_spill_count: 0
    .symbol:         _Z39paged_attention_ll4mi_QKV_mfma16_kernelI14__hip_bfloat16S0_LN4vllm18Fp8KVCacheDataTypeE0EhLi32ELi128ELi256ELb1ELi15EEvPKT_PKT0_S8_ifPKiSA_SA_iPKfiiiPfSD_PS3_PT2_iSC_SC_.kd
    .uniform_work_group_size: 1
    .uses_dynamic_stack: false
    .vgpr_count:     51
    .vgpr_spill_count: 0
    .wavefront_size: 32
  - .args:
      - .actual_access:  read_only
        .address_space:  global
        .offset:         0
        .size:           8
        .value_kind:     global_buffer
      - .actual_access:  read_only
        .address_space:  global
        .offset:         8
        .size:           8
        .value_kind:     global_buffer
      - .actual_access:  read_only
        .address_space:  global
        .offset:         16
        .size:           8
        .value_kind:     global_buffer
      - .offset:         24
        .size:           4
        .value_kind:     by_value
      - .offset:         28
        .size:           4
        .value_kind:     by_value
      - .actual_access:  read_only
        .address_space:  global
        .offset:         32
        .size:           8
        .value_kind:     global_buffer
      - .actual_access:  read_only
        .address_space:  global
        .offset:         40
        .size:           8
        .value_kind:     global_buffer
      - .actual_access:  read_only
        .address_space:  global
        .offset:         48
        .size:           8
        .value_kind:     global_buffer
      - .offset:         56
        .size:           4
        .value_kind:     by_value
      - .actual_access:  read_only
        .address_space:  global
        .offset:         64
        .size:           8
        .value_kind:     global_buffer
      - .offset:         72
        .size:           4
        .value_kind:     by_value
      - .offset:         76
        .size:           4
        .value_kind:     by_value
      - .offset:         80
        .size:           4
        .value_kind:     by_value
      - .actual_access:  read_only
        .address_space:  global
        .offset:         88
        .size:           8
        .value_kind:     global_buffer
      - .actual_access:  read_only
        .address_space:  global
        .offset:         96
        .size:           8
        .value_kind:     global_buffer
      - .actual_access:  read_only
        .address_space:  global
        .offset:         104
        .size:           8
        .value_kind:     global_buffer
      - .actual_access:  read_only
        .address_space:  global
        .offset:         112
        .size:           8
        .value_kind:     global_buffer
      - .offset:         120
        .size:           4
        .value_kind:     by_value
      - .address_space:  global
        .offset:         128
        .size:           8
        .value_kind:     global_buffer
      - .address_space:  global
        .offset:         136
        .size:           8
        .value_kind:     global_buffer
      - .offset:         144
        .size:           4
        .value_kind:     hidden_block_count_x
      - .offset:         148
        .size:           4
        .value_kind:     hidden_block_count_y
      - .offset:         152
        .size:           4
        .value_kind:     hidden_block_count_z
      - .offset:         156
        .size:           2
        .value_kind:     hidden_group_size_x
      - .offset:         158
        .size:           2
        .value_kind:     hidden_group_size_y
      - .offset:         160
        .size:           2
        .value_kind:     hidden_group_size_z
      - .offset:         162
        .size:           2
        .value_kind:     hidden_remainder_x
      - .offset:         164
        .size:           2
        .value_kind:     hidden_remainder_y
      - .offset:         166
        .size:           2
        .value_kind:     hidden_remainder_z
      - .offset:         184
        .size:           8
        .value_kind:     hidden_global_offset_x
      - .offset:         192
        .size:           8
        .value_kind:     hidden_global_offset_y
      - .offset:         200
        .size:           8
        .value_kind:     hidden_global_offset_z
      - .offset:         208
        .size:           2
        .value_kind:     hidden_grid_dims
      - .offset:         224
        .size:           8
        .value_kind:     hidden_hostcall_buffer
    .group_segment_fixed_size: 0
    .kernarg_segment_align: 8
    .kernarg_segment_size: 400
    .language:       OpenCL C
    .language_version:
      - 2
      - 0
    .max_flat_workgroup_size: 256
    .name:           _Z39paged_attention_ll4mi_QKV_mfma16_kernelI14__hip_bfloat16S0_LN4vllm18Fp8KVCacheDataTypeE0EhLi32ELi128ELi256ELb1ELi16EEvPKT_PKT0_S8_ifPKiSA_SA_iPKfiiiPfSD_PS3_PT2_iSC_SC_
    .private_segment_fixed_size: 64
    .sgpr_count:     36
    .sgpr_spill_count: 0
    .symbol:         _Z39paged_attention_ll4mi_QKV_mfma16_kernelI14__hip_bfloat16S0_LN4vllm18Fp8KVCacheDataTypeE0EhLi32ELi128ELi256ELb1ELi16EEvPKT_PKT0_S8_ifPKiSA_SA_iPKfiiiPfSD_PS3_PT2_iSC_SC_.kd
    .uniform_work_group_size: 1
    .uses_dynamic_stack: false
    .vgpr_count:     51
    .vgpr_spill_count: 0
    .wavefront_size: 32
  - .args:
      - .actual_access:  read_only
        .address_space:  global
        .offset:         0
        .size:           8
        .value_kind:     global_buffer
      - .actual_access:  read_only
        .address_space:  global
        .offset:         8
        .size:           8
        .value_kind:     global_buffer
      - .actual_access:  read_only
        .address_space:  global
        .offset:         16
        .size:           8
        .value_kind:     global_buffer
      - .offset:         24
        .size:           4
        .value_kind:     by_value
      - .offset:         28
        .size:           4
        .value_kind:     by_value
      - .actual_access:  read_only
        .address_space:  global
        .offset:         32
        .size:           8
        .value_kind:     global_buffer
      - .actual_access:  read_only
        .address_space:  global
        .offset:         40
        .size:           8
        .value_kind:     global_buffer
      - .actual_access:  read_only
        .address_space:  global
        .offset:         48
        .size:           8
        .value_kind:     global_buffer
      - .offset:         56
        .size:           4
        .value_kind:     by_value
      - .actual_access:  read_only
        .address_space:  global
        .offset:         64
        .size:           8
        .value_kind:     global_buffer
      - .offset:         72
        .size:           4
        .value_kind:     by_value
      - .offset:         76
        .size:           4
        .value_kind:     by_value
      - .offset:         80
        .size:           4
        .value_kind:     by_value
      - .actual_access:  read_only
        .address_space:  global
        .offset:         88
        .size:           8
        .value_kind:     global_buffer
      - .actual_access:  read_only
        .address_space:  global
        .offset:         96
        .size:           8
        .value_kind:     global_buffer
      - .actual_access:  read_only
        .address_space:  global
        .offset:         104
        .size:           8
        .value_kind:     global_buffer
      - .actual_access:  read_only
        .address_space:  global
        .offset:         112
        .size:           8
        .value_kind:     global_buffer
      - .offset:         120
        .size:           4
        .value_kind:     by_value
      - .address_space:  global
        .offset:         128
        .size:           8
        .value_kind:     global_buffer
      - .address_space:  global
        .offset:         136
        .size:           8
        .value_kind:     global_buffer
      - .offset:         144
        .size:           4
        .value_kind:     hidden_block_count_x
      - .offset:         148
        .size:           4
        .value_kind:     hidden_block_count_y
      - .offset:         152
        .size:           4
        .value_kind:     hidden_block_count_z
      - .offset:         156
        .size:           2
        .value_kind:     hidden_group_size_x
      - .offset:         158
        .size:           2
        .value_kind:     hidden_group_size_y
      - .offset:         160
        .size:           2
        .value_kind:     hidden_group_size_z
      - .offset:         162
        .size:           2
        .value_kind:     hidden_remainder_x
      - .offset:         164
        .size:           2
        .value_kind:     hidden_remainder_y
      - .offset:         166
        .size:           2
        .value_kind:     hidden_remainder_z
      - .offset:         184
        .size:           8
        .value_kind:     hidden_global_offset_x
      - .offset:         192
        .size:           8
        .value_kind:     hidden_global_offset_y
      - .offset:         200
        .size:           8
        .value_kind:     hidden_global_offset_z
      - .offset:         208
        .size:           2
        .value_kind:     hidden_grid_dims
      - .offset:         224
        .size:           8
        .value_kind:     hidden_hostcall_buffer
    .group_segment_fixed_size: 0
    .kernarg_segment_align: 8
    .kernarg_segment_size: 400
    .language:       OpenCL C
    .language_version:
      - 2
      - 0
    .max_flat_workgroup_size: 256
    .name:           _Z39paged_attention_ll4mi_QKV_mfma16_kernelI14__hip_bfloat16S0_LN4vllm18Fp8KVCacheDataTypeE0EhLi32ELi128ELi256ELb1ELi1EEvPKT_PKT0_S8_ifPKiSA_SA_iPKfiiiPfSD_PS3_PT2_iSC_SC_
    .private_segment_fixed_size: 64
    .sgpr_count:     36
    .sgpr_spill_count: 0
    .symbol:         _Z39paged_attention_ll4mi_QKV_mfma16_kernelI14__hip_bfloat16S0_LN4vllm18Fp8KVCacheDataTypeE0EhLi32ELi128ELi256ELb1ELi1EEvPKT_PKT0_S8_ifPKiSA_SA_iPKfiiiPfSD_PS3_PT2_iSC_SC_.kd
    .uniform_work_group_size: 1
    .uses_dynamic_stack: false
    .vgpr_count:     51
    .vgpr_spill_count: 0
    .wavefront_size: 32
  - .args:
      - .actual_access:  read_only
        .address_space:  global
        .offset:         0
        .size:           8
        .value_kind:     global_buffer
      - .actual_access:  read_only
        .address_space:  global
        .offset:         8
        .size:           8
        .value_kind:     global_buffer
      - .actual_access:  read_only
        .address_space:  global
        .offset:         16
        .size:           8
        .value_kind:     global_buffer
      - .offset:         24
        .size:           4
        .value_kind:     by_value
      - .offset:         28
        .size:           4
        .value_kind:     by_value
      - .actual_access:  read_only
        .address_space:  global
        .offset:         32
        .size:           8
        .value_kind:     global_buffer
      - .actual_access:  read_only
        .address_space:  global
        .offset:         40
        .size:           8
        .value_kind:     global_buffer
      - .actual_access:  read_only
        .address_space:  global
        .offset:         48
        .size:           8
        .value_kind:     global_buffer
      - .offset:         56
        .size:           4
        .value_kind:     by_value
      - .actual_access:  read_only
        .address_space:  global
        .offset:         64
        .size:           8
        .value_kind:     global_buffer
      - .offset:         72
        .size:           4
        .value_kind:     by_value
      - .offset:         76
        .size:           4
        .value_kind:     by_value
      - .offset:         80
        .size:           4
        .value_kind:     by_value
      - .actual_access:  read_only
        .address_space:  global
        .offset:         88
        .size:           8
        .value_kind:     global_buffer
      - .actual_access:  read_only
        .address_space:  global
        .offset:         96
        .size:           8
        .value_kind:     global_buffer
      - .actual_access:  read_only
        .address_space:  global
        .offset:         104
        .size:           8
        .value_kind:     global_buffer
      - .actual_access:  read_only
        .address_space:  global
        .offset:         112
        .size:           8
        .value_kind:     global_buffer
      - .offset:         120
        .size:           4
        .value_kind:     by_value
      - .address_space:  global
        .offset:         128
        .size:           8
        .value_kind:     global_buffer
      - .address_space:  global
        .offset:         136
        .size:           8
        .value_kind:     global_buffer
      - .offset:         144
        .size:           4
        .value_kind:     hidden_block_count_x
      - .offset:         148
        .size:           4
        .value_kind:     hidden_block_count_y
      - .offset:         152
        .size:           4
        .value_kind:     hidden_block_count_z
      - .offset:         156
        .size:           2
        .value_kind:     hidden_group_size_x
      - .offset:         158
        .size:           2
        .value_kind:     hidden_group_size_y
      - .offset:         160
        .size:           2
        .value_kind:     hidden_group_size_z
      - .offset:         162
        .size:           2
        .value_kind:     hidden_remainder_x
      - .offset:         164
        .size:           2
        .value_kind:     hidden_remainder_y
      - .offset:         166
        .size:           2
        .value_kind:     hidden_remainder_z
      - .offset:         184
        .size:           8
        .value_kind:     hidden_global_offset_x
      - .offset:         192
        .size:           8
        .value_kind:     hidden_global_offset_y
      - .offset:         200
        .size:           8
        .value_kind:     hidden_global_offset_z
      - .offset:         208
        .size:           2
        .value_kind:     hidden_grid_dims
      - .offset:         224
        .size:           8
        .value_kind:     hidden_hostcall_buffer
    .group_segment_fixed_size: 0
    .kernarg_segment_align: 8
    .kernarg_segment_size: 400
    .language:       OpenCL C
    .language_version:
      - 2
      - 0
    .max_flat_workgroup_size: 256
    .name:           _Z39paged_attention_ll4mi_QKV_mfma16_kernelI14__hip_bfloat16S0_LN4vllm18Fp8KVCacheDataTypeE0EhLi32ELi128ELi256ELb1ELi2EEvPKT_PKT0_S8_ifPKiSA_SA_iPKfiiiPfSD_PS3_PT2_iSC_SC_
    .private_segment_fixed_size: 64
    .sgpr_count:     36
    .sgpr_spill_count: 0
    .symbol:         _Z39paged_attention_ll4mi_QKV_mfma16_kernelI14__hip_bfloat16S0_LN4vllm18Fp8KVCacheDataTypeE0EhLi32ELi128ELi256ELb1ELi2EEvPKT_PKT0_S8_ifPKiSA_SA_iPKfiiiPfSD_PS3_PT2_iSC_SC_.kd
    .uniform_work_group_size: 1
    .uses_dynamic_stack: false
    .vgpr_count:     51
    .vgpr_spill_count: 0
    .wavefront_size: 32
  - .args:
      - .actual_access:  read_only
        .address_space:  global
        .offset:         0
        .size:           8
        .value_kind:     global_buffer
      - .actual_access:  read_only
        .address_space:  global
        .offset:         8
        .size:           8
        .value_kind:     global_buffer
      - .actual_access:  read_only
        .address_space:  global
        .offset:         16
        .size:           8
        .value_kind:     global_buffer
      - .offset:         24
        .size:           4
        .value_kind:     by_value
      - .offset:         28
        .size:           4
        .value_kind:     by_value
      - .actual_access:  read_only
        .address_space:  global
        .offset:         32
        .size:           8
        .value_kind:     global_buffer
      - .actual_access:  read_only
        .address_space:  global
        .offset:         40
        .size:           8
        .value_kind:     global_buffer
      - .actual_access:  read_only
        .address_space:  global
        .offset:         48
        .size:           8
        .value_kind:     global_buffer
      - .offset:         56
        .size:           4
        .value_kind:     by_value
      - .actual_access:  read_only
        .address_space:  global
        .offset:         64
        .size:           8
        .value_kind:     global_buffer
      - .offset:         72
        .size:           4
        .value_kind:     by_value
      - .offset:         76
        .size:           4
        .value_kind:     by_value
      - .offset:         80
        .size:           4
        .value_kind:     by_value
      - .actual_access:  read_only
        .address_space:  global
        .offset:         88
        .size:           8
        .value_kind:     global_buffer
      - .actual_access:  read_only
        .address_space:  global
        .offset:         96
        .size:           8
        .value_kind:     global_buffer
      - .actual_access:  read_only
        .address_space:  global
        .offset:         104
        .size:           8
        .value_kind:     global_buffer
      - .actual_access:  read_only
        .address_space:  global
        .offset:         112
        .size:           8
        .value_kind:     global_buffer
      - .offset:         120
        .size:           4
        .value_kind:     by_value
      - .address_space:  global
        .offset:         128
        .size:           8
        .value_kind:     global_buffer
      - .address_space:  global
        .offset:         136
        .size:           8
        .value_kind:     global_buffer
      - .offset:         144
        .size:           4
        .value_kind:     hidden_block_count_x
      - .offset:         148
        .size:           4
        .value_kind:     hidden_block_count_y
      - .offset:         152
        .size:           4
        .value_kind:     hidden_block_count_z
      - .offset:         156
        .size:           2
        .value_kind:     hidden_group_size_x
      - .offset:         158
        .size:           2
        .value_kind:     hidden_group_size_y
      - .offset:         160
        .size:           2
        .value_kind:     hidden_group_size_z
      - .offset:         162
        .size:           2
        .value_kind:     hidden_remainder_x
      - .offset:         164
        .size:           2
        .value_kind:     hidden_remainder_y
      - .offset:         166
        .size:           2
        .value_kind:     hidden_remainder_z
      - .offset:         184
        .size:           8
        .value_kind:     hidden_global_offset_x
      - .offset:         192
        .size:           8
        .value_kind:     hidden_global_offset_y
      - .offset:         200
        .size:           8
        .value_kind:     hidden_global_offset_z
      - .offset:         208
        .size:           2
        .value_kind:     hidden_grid_dims
      - .offset:         224
        .size:           8
        .value_kind:     hidden_hostcall_buffer
    .group_segment_fixed_size: 0
    .kernarg_segment_align: 8
    .kernarg_segment_size: 400
    .language:       OpenCL C
    .language_version:
      - 2
      - 0
    .max_flat_workgroup_size: 256
    .name:           _Z39paged_attention_ll4mi_QKV_mfma16_kernelI14__hip_bfloat16S0_LN4vllm18Fp8KVCacheDataTypeE0EhLi32ELi128ELi256ELb1ELi3EEvPKT_PKT0_S8_ifPKiSA_SA_iPKfiiiPfSD_PS3_PT2_iSC_SC_
    .private_segment_fixed_size: 64
    .sgpr_count:     36
    .sgpr_spill_count: 0
    .symbol:         _Z39paged_attention_ll4mi_QKV_mfma16_kernelI14__hip_bfloat16S0_LN4vllm18Fp8KVCacheDataTypeE0EhLi32ELi128ELi256ELb1ELi3EEvPKT_PKT0_S8_ifPKiSA_SA_iPKfiiiPfSD_PS3_PT2_iSC_SC_.kd
    .uniform_work_group_size: 1
    .uses_dynamic_stack: false
    .vgpr_count:     51
    .vgpr_spill_count: 0
    .wavefront_size: 32
  - .args:
      - .actual_access:  read_only
        .address_space:  global
        .offset:         0
        .size:           8
        .value_kind:     global_buffer
      - .actual_access:  read_only
        .address_space:  global
        .offset:         8
        .size:           8
        .value_kind:     global_buffer
      - .actual_access:  read_only
        .address_space:  global
        .offset:         16
        .size:           8
        .value_kind:     global_buffer
      - .offset:         24
        .size:           4
        .value_kind:     by_value
      - .offset:         28
        .size:           4
        .value_kind:     by_value
      - .actual_access:  read_only
        .address_space:  global
        .offset:         32
        .size:           8
        .value_kind:     global_buffer
      - .actual_access:  read_only
        .address_space:  global
        .offset:         40
        .size:           8
        .value_kind:     global_buffer
      - .actual_access:  read_only
        .address_space:  global
        .offset:         48
        .size:           8
        .value_kind:     global_buffer
      - .offset:         56
        .size:           4
        .value_kind:     by_value
      - .actual_access:  read_only
        .address_space:  global
        .offset:         64
        .size:           8
        .value_kind:     global_buffer
      - .offset:         72
        .size:           4
        .value_kind:     by_value
      - .offset:         76
        .size:           4
        .value_kind:     by_value
      - .offset:         80
        .size:           4
        .value_kind:     by_value
      - .actual_access:  read_only
        .address_space:  global
        .offset:         88
        .size:           8
        .value_kind:     global_buffer
      - .actual_access:  read_only
        .address_space:  global
        .offset:         96
        .size:           8
        .value_kind:     global_buffer
      - .actual_access:  read_only
        .address_space:  global
        .offset:         104
        .size:           8
        .value_kind:     global_buffer
      - .actual_access:  read_only
        .address_space:  global
        .offset:         112
        .size:           8
        .value_kind:     global_buffer
      - .offset:         120
        .size:           4
        .value_kind:     by_value
      - .address_space:  global
        .offset:         128
        .size:           8
        .value_kind:     global_buffer
      - .address_space:  global
        .offset:         136
        .size:           8
        .value_kind:     global_buffer
      - .offset:         144
        .size:           4
        .value_kind:     hidden_block_count_x
      - .offset:         148
        .size:           4
        .value_kind:     hidden_block_count_y
      - .offset:         152
        .size:           4
        .value_kind:     hidden_block_count_z
      - .offset:         156
        .size:           2
        .value_kind:     hidden_group_size_x
      - .offset:         158
        .size:           2
        .value_kind:     hidden_group_size_y
      - .offset:         160
        .size:           2
        .value_kind:     hidden_group_size_z
      - .offset:         162
        .size:           2
        .value_kind:     hidden_remainder_x
      - .offset:         164
        .size:           2
        .value_kind:     hidden_remainder_y
      - .offset:         166
        .size:           2
        .value_kind:     hidden_remainder_z
      - .offset:         184
        .size:           8
        .value_kind:     hidden_global_offset_x
      - .offset:         192
        .size:           8
        .value_kind:     hidden_global_offset_y
      - .offset:         200
        .size:           8
        .value_kind:     hidden_global_offset_z
      - .offset:         208
        .size:           2
        .value_kind:     hidden_grid_dims
      - .offset:         224
        .size:           8
        .value_kind:     hidden_hostcall_buffer
    .group_segment_fixed_size: 0
    .kernarg_segment_align: 8
    .kernarg_segment_size: 400
    .language:       OpenCL C
    .language_version:
      - 2
      - 0
    .max_flat_workgroup_size: 256
    .name:           _Z39paged_attention_ll4mi_QKV_mfma16_kernelI14__hip_bfloat16S0_LN4vllm18Fp8KVCacheDataTypeE0EhLi32ELi128ELi256ELb1ELi4EEvPKT_PKT0_S8_ifPKiSA_SA_iPKfiiiPfSD_PS3_PT2_iSC_SC_
    .private_segment_fixed_size: 64
    .sgpr_count:     36
    .sgpr_spill_count: 0
    .symbol:         _Z39paged_attention_ll4mi_QKV_mfma16_kernelI14__hip_bfloat16S0_LN4vllm18Fp8KVCacheDataTypeE0EhLi32ELi128ELi256ELb1ELi4EEvPKT_PKT0_S8_ifPKiSA_SA_iPKfiiiPfSD_PS3_PT2_iSC_SC_.kd
    .uniform_work_group_size: 1
    .uses_dynamic_stack: false
    .vgpr_count:     51
    .vgpr_spill_count: 0
    .wavefront_size: 32
  - .args:
      - .actual_access:  read_only
        .address_space:  global
        .offset:         0
        .size:           8
        .value_kind:     global_buffer
      - .actual_access:  read_only
        .address_space:  global
        .offset:         8
        .size:           8
        .value_kind:     global_buffer
      - .actual_access:  read_only
        .address_space:  global
        .offset:         16
        .size:           8
        .value_kind:     global_buffer
      - .offset:         24
        .size:           4
        .value_kind:     by_value
      - .offset:         28
        .size:           4
        .value_kind:     by_value
      - .actual_access:  read_only
        .address_space:  global
        .offset:         32
        .size:           8
        .value_kind:     global_buffer
      - .actual_access:  read_only
        .address_space:  global
        .offset:         40
        .size:           8
        .value_kind:     global_buffer
      - .actual_access:  read_only
        .address_space:  global
        .offset:         48
        .size:           8
        .value_kind:     global_buffer
      - .offset:         56
        .size:           4
        .value_kind:     by_value
      - .actual_access:  read_only
        .address_space:  global
        .offset:         64
        .size:           8
        .value_kind:     global_buffer
      - .offset:         72
        .size:           4
        .value_kind:     by_value
      - .offset:         76
        .size:           4
        .value_kind:     by_value
      - .offset:         80
        .size:           4
        .value_kind:     by_value
      - .actual_access:  read_only
        .address_space:  global
        .offset:         88
        .size:           8
        .value_kind:     global_buffer
      - .actual_access:  read_only
        .address_space:  global
        .offset:         96
        .size:           8
        .value_kind:     global_buffer
      - .actual_access:  read_only
        .address_space:  global
        .offset:         104
        .size:           8
        .value_kind:     global_buffer
      - .actual_access:  read_only
        .address_space:  global
        .offset:         112
        .size:           8
        .value_kind:     global_buffer
      - .offset:         120
        .size:           4
        .value_kind:     by_value
      - .address_space:  global
        .offset:         128
        .size:           8
        .value_kind:     global_buffer
      - .address_space:  global
        .offset:         136
        .size:           8
        .value_kind:     global_buffer
      - .offset:         144
        .size:           4
        .value_kind:     hidden_block_count_x
      - .offset:         148
        .size:           4
        .value_kind:     hidden_block_count_y
      - .offset:         152
        .size:           4
        .value_kind:     hidden_block_count_z
      - .offset:         156
        .size:           2
        .value_kind:     hidden_group_size_x
      - .offset:         158
        .size:           2
        .value_kind:     hidden_group_size_y
      - .offset:         160
        .size:           2
        .value_kind:     hidden_group_size_z
      - .offset:         162
        .size:           2
        .value_kind:     hidden_remainder_x
      - .offset:         164
        .size:           2
        .value_kind:     hidden_remainder_y
      - .offset:         166
        .size:           2
        .value_kind:     hidden_remainder_z
      - .offset:         184
        .size:           8
        .value_kind:     hidden_global_offset_x
      - .offset:         192
        .size:           8
        .value_kind:     hidden_global_offset_y
      - .offset:         200
        .size:           8
        .value_kind:     hidden_global_offset_z
      - .offset:         208
        .size:           2
        .value_kind:     hidden_grid_dims
      - .offset:         224
        .size:           8
        .value_kind:     hidden_hostcall_buffer
    .group_segment_fixed_size: 0
    .kernarg_segment_align: 8
    .kernarg_segment_size: 400
    .language:       OpenCL C
    .language_version:
      - 2
      - 0
    .max_flat_workgroup_size: 256
    .name:           _Z38paged_attention_ll4mi_QKV_mfma4_kernelI14__hip_bfloat16S0_LN4vllm18Fp8KVCacheDataTypeE0EhLi32ELi128ELi256ELb0ELi1EEvPKT_PKT0_S8_ifPKiSA_SA_iPKfiiiPfSD_PS3_PT2_iSC_SC_
    .private_segment_fixed_size: 64
    .sgpr_count:     36
    .sgpr_spill_count: 0
    .symbol:         _Z38paged_attention_ll4mi_QKV_mfma4_kernelI14__hip_bfloat16S0_LN4vllm18Fp8KVCacheDataTypeE0EhLi32ELi128ELi256ELb0ELi1EEvPKT_PKT0_S8_ifPKiSA_SA_iPKfiiiPfSD_PS3_PT2_iSC_SC_.kd
    .uniform_work_group_size: 1
    .uses_dynamic_stack: false
    .vgpr_count:     51
    .vgpr_spill_count: 0
    .wavefront_size: 32
  - .args:
      - .actual_access:  read_only
        .address_space:  global
        .offset:         0
        .size:           8
        .value_kind:     global_buffer
      - .actual_access:  read_only
        .address_space:  global
        .offset:         8
        .size:           8
        .value_kind:     global_buffer
      - .actual_access:  read_only
        .address_space:  global
        .offset:         16
        .size:           8
        .value_kind:     global_buffer
      - .offset:         24
        .size:           4
        .value_kind:     by_value
      - .offset:         28
        .size:           4
        .value_kind:     by_value
      - .actual_access:  read_only
        .address_space:  global
        .offset:         32
        .size:           8
        .value_kind:     global_buffer
      - .actual_access:  read_only
        .address_space:  global
        .offset:         40
        .size:           8
        .value_kind:     global_buffer
      - .actual_access:  read_only
        .address_space:  global
        .offset:         48
        .size:           8
        .value_kind:     global_buffer
      - .offset:         56
        .size:           4
        .value_kind:     by_value
      - .actual_access:  read_only
        .address_space:  global
        .offset:         64
        .size:           8
        .value_kind:     global_buffer
      - .offset:         72
        .size:           4
        .value_kind:     by_value
      - .offset:         76
        .size:           4
        .value_kind:     by_value
      - .offset:         80
        .size:           4
        .value_kind:     by_value
      - .actual_access:  read_only
        .address_space:  global
        .offset:         88
        .size:           8
        .value_kind:     global_buffer
      - .actual_access:  read_only
        .address_space:  global
        .offset:         96
        .size:           8
        .value_kind:     global_buffer
      - .actual_access:  read_only
        .address_space:  global
        .offset:         104
        .size:           8
        .value_kind:     global_buffer
      - .actual_access:  read_only
        .address_space:  global
        .offset:         112
        .size:           8
        .value_kind:     global_buffer
      - .offset:         120
        .size:           4
        .value_kind:     by_value
      - .address_space:  global
        .offset:         128
        .size:           8
        .value_kind:     global_buffer
      - .address_space:  global
        .offset:         136
        .size:           8
        .value_kind:     global_buffer
      - .offset:         144
        .size:           4
        .value_kind:     hidden_block_count_x
      - .offset:         148
        .size:           4
        .value_kind:     hidden_block_count_y
      - .offset:         152
        .size:           4
        .value_kind:     hidden_block_count_z
      - .offset:         156
        .size:           2
        .value_kind:     hidden_group_size_x
      - .offset:         158
        .size:           2
        .value_kind:     hidden_group_size_y
      - .offset:         160
        .size:           2
        .value_kind:     hidden_group_size_z
      - .offset:         162
        .size:           2
        .value_kind:     hidden_remainder_x
      - .offset:         164
        .size:           2
        .value_kind:     hidden_remainder_y
      - .offset:         166
        .size:           2
        .value_kind:     hidden_remainder_z
      - .offset:         184
        .size:           8
        .value_kind:     hidden_global_offset_x
      - .offset:         192
        .size:           8
        .value_kind:     hidden_global_offset_y
      - .offset:         200
        .size:           8
        .value_kind:     hidden_global_offset_z
      - .offset:         208
        .size:           2
        .value_kind:     hidden_grid_dims
      - .offset:         224
        .size:           8
        .value_kind:     hidden_hostcall_buffer
    .group_segment_fixed_size: 0
    .kernarg_segment_align: 8
    .kernarg_segment_size: 400
    .language:       OpenCL C
    .language_version:
      - 2
      - 0
    .max_flat_workgroup_size: 256
    .name:           _Z38paged_attention_ll4mi_QKV_mfma4_kernelI14__hip_bfloat16S0_LN4vllm18Fp8KVCacheDataTypeE0EhLi32ELi128ELi256ELb0ELi2EEvPKT_PKT0_S8_ifPKiSA_SA_iPKfiiiPfSD_PS3_PT2_iSC_SC_
    .private_segment_fixed_size: 64
    .sgpr_count:     36
    .sgpr_spill_count: 0
    .symbol:         _Z38paged_attention_ll4mi_QKV_mfma4_kernelI14__hip_bfloat16S0_LN4vllm18Fp8KVCacheDataTypeE0EhLi32ELi128ELi256ELb0ELi2EEvPKT_PKT0_S8_ifPKiSA_SA_iPKfiiiPfSD_PS3_PT2_iSC_SC_.kd
    .uniform_work_group_size: 1
    .uses_dynamic_stack: false
    .vgpr_count:     51
    .vgpr_spill_count: 0
    .wavefront_size: 32
  - .args:
      - .actual_access:  read_only
        .address_space:  global
        .offset:         0
        .size:           8
        .value_kind:     global_buffer
      - .actual_access:  read_only
        .address_space:  global
        .offset:         8
        .size:           8
        .value_kind:     global_buffer
      - .actual_access:  read_only
        .address_space:  global
        .offset:         16
        .size:           8
        .value_kind:     global_buffer
      - .offset:         24
        .size:           4
        .value_kind:     by_value
      - .offset:         28
        .size:           4
        .value_kind:     by_value
      - .actual_access:  read_only
        .address_space:  global
        .offset:         32
        .size:           8
        .value_kind:     global_buffer
      - .actual_access:  read_only
        .address_space:  global
        .offset:         40
        .size:           8
        .value_kind:     global_buffer
      - .actual_access:  read_only
        .address_space:  global
        .offset:         48
        .size:           8
        .value_kind:     global_buffer
      - .offset:         56
        .size:           4
        .value_kind:     by_value
      - .actual_access:  read_only
        .address_space:  global
        .offset:         64
        .size:           8
        .value_kind:     global_buffer
      - .offset:         72
        .size:           4
        .value_kind:     by_value
      - .offset:         76
        .size:           4
        .value_kind:     by_value
      - .offset:         80
        .size:           4
        .value_kind:     by_value
      - .actual_access:  read_only
        .address_space:  global
        .offset:         88
        .size:           8
        .value_kind:     global_buffer
      - .actual_access:  read_only
        .address_space:  global
        .offset:         96
        .size:           8
        .value_kind:     global_buffer
      - .actual_access:  read_only
        .address_space:  global
        .offset:         104
        .size:           8
        .value_kind:     global_buffer
      - .actual_access:  read_only
        .address_space:  global
        .offset:         112
        .size:           8
        .value_kind:     global_buffer
      - .offset:         120
        .size:           4
        .value_kind:     by_value
      - .address_space:  global
        .offset:         128
        .size:           8
        .value_kind:     global_buffer
      - .address_space:  global
        .offset:         136
        .size:           8
        .value_kind:     global_buffer
      - .offset:         144
        .size:           4
        .value_kind:     hidden_block_count_x
      - .offset:         148
        .size:           4
        .value_kind:     hidden_block_count_y
      - .offset:         152
        .size:           4
        .value_kind:     hidden_block_count_z
      - .offset:         156
        .size:           2
        .value_kind:     hidden_group_size_x
      - .offset:         158
        .size:           2
        .value_kind:     hidden_group_size_y
      - .offset:         160
        .size:           2
        .value_kind:     hidden_group_size_z
      - .offset:         162
        .size:           2
        .value_kind:     hidden_remainder_x
      - .offset:         164
        .size:           2
        .value_kind:     hidden_remainder_y
      - .offset:         166
        .size:           2
        .value_kind:     hidden_remainder_z
      - .offset:         184
        .size:           8
        .value_kind:     hidden_global_offset_x
      - .offset:         192
        .size:           8
        .value_kind:     hidden_global_offset_y
      - .offset:         200
        .size:           8
        .value_kind:     hidden_global_offset_z
      - .offset:         208
        .size:           2
        .value_kind:     hidden_grid_dims
      - .offset:         224
        .size:           8
        .value_kind:     hidden_hostcall_buffer
    .group_segment_fixed_size: 0
    .kernarg_segment_align: 8
    .kernarg_segment_size: 400
    .language:       OpenCL C
    .language_version:
      - 2
      - 0
    .max_flat_workgroup_size: 256
    .name:           _Z38paged_attention_ll4mi_QKV_mfma4_kernelI14__hip_bfloat16S0_LN4vllm18Fp8KVCacheDataTypeE0EhLi32ELi128ELi256ELb0ELi3EEvPKT_PKT0_S8_ifPKiSA_SA_iPKfiiiPfSD_PS3_PT2_iSC_SC_
    .private_segment_fixed_size: 64
    .sgpr_count:     36
    .sgpr_spill_count: 0
    .symbol:         _Z38paged_attention_ll4mi_QKV_mfma4_kernelI14__hip_bfloat16S0_LN4vllm18Fp8KVCacheDataTypeE0EhLi32ELi128ELi256ELb0ELi3EEvPKT_PKT0_S8_ifPKiSA_SA_iPKfiiiPfSD_PS3_PT2_iSC_SC_.kd
    .uniform_work_group_size: 1
    .uses_dynamic_stack: false
    .vgpr_count:     51
    .vgpr_spill_count: 0
    .wavefront_size: 32
  - .args:
      - .actual_access:  read_only
        .address_space:  global
        .offset:         0
        .size:           8
        .value_kind:     global_buffer
      - .actual_access:  read_only
        .address_space:  global
        .offset:         8
        .size:           8
        .value_kind:     global_buffer
      - .actual_access:  read_only
        .address_space:  global
        .offset:         16
        .size:           8
        .value_kind:     global_buffer
      - .offset:         24
        .size:           4
        .value_kind:     by_value
      - .offset:         28
        .size:           4
        .value_kind:     by_value
      - .actual_access:  read_only
        .address_space:  global
        .offset:         32
        .size:           8
        .value_kind:     global_buffer
      - .actual_access:  read_only
        .address_space:  global
        .offset:         40
        .size:           8
        .value_kind:     global_buffer
      - .actual_access:  read_only
        .address_space:  global
        .offset:         48
        .size:           8
        .value_kind:     global_buffer
      - .offset:         56
        .size:           4
        .value_kind:     by_value
      - .actual_access:  read_only
        .address_space:  global
        .offset:         64
        .size:           8
        .value_kind:     global_buffer
      - .offset:         72
        .size:           4
        .value_kind:     by_value
      - .offset:         76
        .size:           4
        .value_kind:     by_value
      - .offset:         80
        .size:           4
        .value_kind:     by_value
      - .actual_access:  read_only
        .address_space:  global
        .offset:         88
        .size:           8
        .value_kind:     global_buffer
      - .actual_access:  read_only
        .address_space:  global
        .offset:         96
        .size:           8
        .value_kind:     global_buffer
      - .actual_access:  read_only
        .address_space:  global
        .offset:         104
        .size:           8
        .value_kind:     global_buffer
      - .actual_access:  read_only
        .address_space:  global
        .offset:         112
        .size:           8
        .value_kind:     global_buffer
      - .offset:         120
        .size:           4
        .value_kind:     by_value
      - .address_space:  global
        .offset:         128
        .size:           8
        .value_kind:     global_buffer
      - .address_space:  global
        .offset:         136
        .size:           8
        .value_kind:     global_buffer
      - .offset:         144
        .size:           4
        .value_kind:     hidden_block_count_x
      - .offset:         148
        .size:           4
        .value_kind:     hidden_block_count_y
      - .offset:         152
        .size:           4
        .value_kind:     hidden_block_count_z
      - .offset:         156
        .size:           2
        .value_kind:     hidden_group_size_x
      - .offset:         158
        .size:           2
        .value_kind:     hidden_group_size_y
      - .offset:         160
        .size:           2
        .value_kind:     hidden_group_size_z
      - .offset:         162
        .size:           2
        .value_kind:     hidden_remainder_x
      - .offset:         164
        .size:           2
        .value_kind:     hidden_remainder_y
      - .offset:         166
        .size:           2
        .value_kind:     hidden_remainder_z
      - .offset:         184
        .size:           8
        .value_kind:     hidden_global_offset_x
      - .offset:         192
        .size:           8
        .value_kind:     hidden_global_offset_y
      - .offset:         200
        .size:           8
        .value_kind:     hidden_global_offset_z
      - .offset:         208
        .size:           2
        .value_kind:     hidden_grid_dims
      - .offset:         224
        .size:           8
        .value_kind:     hidden_hostcall_buffer
    .group_segment_fixed_size: 0
    .kernarg_segment_align: 8
    .kernarg_segment_size: 400
    .language:       OpenCL C
    .language_version:
      - 2
      - 0
    .max_flat_workgroup_size: 256
    .name:           _Z38paged_attention_ll4mi_QKV_mfma4_kernelI14__hip_bfloat16S0_LN4vllm18Fp8KVCacheDataTypeE0EhLi32ELi128ELi256ELb0ELi4EEvPKT_PKT0_S8_ifPKiSA_SA_iPKfiiiPfSD_PS3_PT2_iSC_SC_
    .private_segment_fixed_size: 64
    .sgpr_count:     36
    .sgpr_spill_count: 0
    .symbol:         _Z38paged_attention_ll4mi_QKV_mfma4_kernelI14__hip_bfloat16S0_LN4vllm18Fp8KVCacheDataTypeE0EhLi32ELi128ELi256ELb0ELi4EEvPKT_PKT0_S8_ifPKiSA_SA_iPKfiiiPfSD_PS3_PT2_iSC_SC_.kd
    .uniform_work_group_size: 1
    .uses_dynamic_stack: false
    .vgpr_count:     51
    .vgpr_spill_count: 0
    .wavefront_size: 32
  - .args:
      - .actual_access:  read_only
        .address_space:  global
        .offset:         0
        .size:           8
        .value_kind:     global_buffer
      - .actual_access:  read_only
        .address_space:  global
        .offset:         8
        .size:           8
        .value_kind:     global_buffer
      - .actual_access:  read_only
        .address_space:  global
        .offset:         16
        .size:           8
        .value_kind:     global_buffer
      - .offset:         24
        .size:           4
        .value_kind:     by_value
      - .offset:         28
        .size:           4
        .value_kind:     by_value
      - .actual_access:  read_only
        .address_space:  global
        .offset:         32
        .size:           8
        .value_kind:     global_buffer
      - .actual_access:  read_only
        .address_space:  global
        .offset:         40
        .size:           8
        .value_kind:     global_buffer
      - .actual_access:  read_only
        .address_space:  global
        .offset:         48
        .size:           8
        .value_kind:     global_buffer
      - .offset:         56
        .size:           4
        .value_kind:     by_value
      - .actual_access:  read_only
        .address_space:  global
        .offset:         64
        .size:           8
        .value_kind:     global_buffer
      - .offset:         72
        .size:           4
        .value_kind:     by_value
      - .offset:         76
        .size:           4
        .value_kind:     by_value
      - .offset:         80
        .size:           4
        .value_kind:     by_value
      - .actual_access:  read_only
        .address_space:  global
        .offset:         88
        .size:           8
        .value_kind:     global_buffer
      - .actual_access:  read_only
        .address_space:  global
        .offset:         96
        .size:           8
        .value_kind:     global_buffer
      - .actual_access:  read_only
        .address_space:  global
        .offset:         104
        .size:           8
        .value_kind:     global_buffer
      - .actual_access:  read_only
        .address_space:  global
        .offset:         112
        .size:           8
        .value_kind:     global_buffer
      - .offset:         120
        .size:           4
        .value_kind:     by_value
      - .address_space:  global
        .offset:         128
        .size:           8
        .value_kind:     global_buffer
      - .address_space:  global
        .offset:         136
        .size:           8
        .value_kind:     global_buffer
      - .offset:         144
        .size:           4
        .value_kind:     hidden_block_count_x
      - .offset:         148
        .size:           4
        .value_kind:     hidden_block_count_y
      - .offset:         152
        .size:           4
        .value_kind:     hidden_block_count_z
      - .offset:         156
        .size:           2
        .value_kind:     hidden_group_size_x
      - .offset:         158
        .size:           2
        .value_kind:     hidden_group_size_y
      - .offset:         160
        .size:           2
        .value_kind:     hidden_group_size_z
      - .offset:         162
        .size:           2
        .value_kind:     hidden_remainder_x
      - .offset:         164
        .size:           2
        .value_kind:     hidden_remainder_y
      - .offset:         166
        .size:           2
        .value_kind:     hidden_remainder_z
      - .offset:         184
        .size:           8
        .value_kind:     hidden_global_offset_x
      - .offset:         192
        .size:           8
        .value_kind:     hidden_global_offset_y
      - .offset:         200
        .size:           8
        .value_kind:     hidden_global_offset_z
      - .offset:         208
        .size:           2
        .value_kind:     hidden_grid_dims
      - .offset:         224
        .size:           8
        .value_kind:     hidden_hostcall_buffer
    .group_segment_fixed_size: 0
    .kernarg_segment_align: 8
    .kernarg_segment_size: 400
    .language:       OpenCL C
    .language_version:
      - 2
      - 0
    .max_flat_workgroup_size: 256
    .name:           _Z39paged_attention_ll4mi_QKV_mfma16_kernelI14__hip_bfloat16S0_LN4vllm18Fp8KVCacheDataTypeE0EhLi32ELi128ELi256ELb0ELi5EEvPKT_PKT0_S8_ifPKiSA_SA_iPKfiiiPfSD_PS3_PT2_iSC_SC_
    .private_segment_fixed_size: 64
    .sgpr_count:     36
    .sgpr_spill_count: 0
    .symbol:         _Z39paged_attention_ll4mi_QKV_mfma16_kernelI14__hip_bfloat16S0_LN4vllm18Fp8KVCacheDataTypeE0EhLi32ELi128ELi256ELb0ELi5EEvPKT_PKT0_S8_ifPKiSA_SA_iPKfiiiPfSD_PS3_PT2_iSC_SC_.kd
    .uniform_work_group_size: 1
    .uses_dynamic_stack: false
    .vgpr_count:     51
    .vgpr_spill_count: 0
    .wavefront_size: 32
  - .args:
      - .actual_access:  read_only
        .address_space:  global
        .offset:         0
        .size:           8
        .value_kind:     global_buffer
      - .actual_access:  read_only
        .address_space:  global
        .offset:         8
        .size:           8
        .value_kind:     global_buffer
      - .actual_access:  read_only
        .address_space:  global
        .offset:         16
        .size:           8
        .value_kind:     global_buffer
      - .offset:         24
        .size:           4
        .value_kind:     by_value
      - .offset:         28
        .size:           4
        .value_kind:     by_value
      - .actual_access:  read_only
        .address_space:  global
        .offset:         32
        .size:           8
        .value_kind:     global_buffer
      - .actual_access:  read_only
        .address_space:  global
        .offset:         40
        .size:           8
        .value_kind:     global_buffer
      - .actual_access:  read_only
        .address_space:  global
        .offset:         48
        .size:           8
        .value_kind:     global_buffer
      - .offset:         56
        .size:           4
        .value_kind:     by_value
      - .actual_access:  read_only
        .address_space:  global
        .offset:         64
        .size:           8
        .value_kind:     global_buffer
      - .offset:         72
        .size:           4
        .value_kind:     by_value
      - .offset:         76
        .size:           4
        .value_kind:     by_value
      - .offset:         80
        .size:           4
        .value_kind:     by_value
      - .actual_access:  read_only
        .address_space:  global
        .offset:         88
        .size:           8
        .value_kind:     global_buffer
      - .actual_access:  read_only
        .address_space:  global
        .offset:         96
        .size:           8
        .value_kind:     global_buffer
      - .actual_access:  read_only
        .address_space:  global
        .offset:         104
        .size:           8
        .value_kind:     global_buffer
      - .actual_access:  read_only
        .address_space:  global
        .offset:         112
        .size:           8
        .value_kind:     global_buffer
      - .offset:         120
        .size:           4
        .value_kind:     by_value
      - .address_space:  global
        .offset:         128
        .size:           8
        .value_kind:     global_buffer
      - .address_space:  global
        .offset:         136
        .size:           8
        .value_kind:     global_buffer
      - .offset:         144
        .size:           4
        .value_kind:     hidden_block_count_x
      - .offset:         148
        .size:           4
        .value_kind:     hidden_block_count_y
      - .offset:         152
        .size:           4
        .value_kind:     hidden_block_count_z
      - .offset:         156
        .size:           2
        .value_kind:     hidden_group_size_x
      - .offset:         158
        .size:           2
        .value_kind:     hidden_group_size_y
      - .offset:         160
        .size:           2
        .value_kind:     hidden_group_size_z
      - .offset:         162
        .size:           2
        .value_kind:     hidden_remainder_x
      - .offset:         164
        .size:           2
        .value_kind:     hidden_remainder_y
      - .offset:         166
        .size:           2
        .value_kind:     hidden_remainder_z
      - .offset:         184
        .size:           8
        .value_kind:     hidden_global_offset_x
      - .offset:         192
        .size:           8
        .value_kind:     hidden_global_offset_y
      - .offset:         200
        .size:           8
        .value_kind:     hidden_global_offset_z
      - .offset:         208
        .size:           2
        .value_kind:     hidden_grid_dims
      - .offset:         224
        .size:           8
        .value_kind:     hidden_hostcall_buffer
    .group_segment_fixed_size: 0
    .kernarg_segment_align: 8
    .kernarg_segment_size: 400
    .language:       OpenCL C
    .language_version:
      - 2
      - 0
    .max_flat_workgroup_size: 256
    .name:           _Z39paged_attention_ll4mi_QKV_mfma16_kernelI14__hip_bfloat16S0_LN4vllm18Fp8KVCacheDataTypeE0EhLi32ELi128ELi256ELb0ELi6EEvPKT_PKT0_S8_ifPKiSA_SA_iPKfiiiPfSD_PS3_PT2_iSC_SC_
    .private_segment_fixed_size: 64
    .sgpr_count:     36
    .sgpr_spill_count: 0
    .symbol:         _Z39paged_attention_ll4mi_QKV_mfma16_kernelI14__hip_bfloat16S0_LN4vllm18Fp8KVCacheDataTypeE0EhLi32ELi128ELi256ELb0ELi6EEvPKT_PKT0_S8_ifPKiSA_SA_iPKfiiiPfSD_PS3_PT2_iSC_SC_.kd
    .uniform_work_group_size: 1
    .uses_dynamic_stack: false
    .vgpr_count:     51
    .vgpr_spill_count: 0
    .wavefront_size: 32
  - .args:
      - .actual_access:  read_only
        .address_space:  global
        .offset:         0
        .size:           8
        .value_kind:     global_buffer
      - .actual_access:  read_only
        .address_space:  global
        .offset:         8
        .size:           8
        .value_kind:     global_buffer
      - .actual_access:  read_only
        .address_space:  global
        .offset:         16
        .size:           8
        .value_kind:     global_buffer
      - .offset:         24
        .size:           4
        .value_kind:     by_value
      - .offset:         28
        .size:           4
        .value_kind:     by_value
      - .actual_access:  read_only
        .address_space:  global
        .offset:         32
        .size:           8
        .value_kind:     global_buffer
      - .actual_access:  read_only
        .address_space:  global
        .offset:         40
        .size:           8
        .value_kind:     global_buffer
      - .actual_access:  read_only
        .address_space:  global
        .offset:         48
        .size:           8
        .value_kind:     global_buffer
      - .offset:         56
        .size:           4
        .value_kind:     by_value
      - .actual_access:  read_only
        .address_space:  global
        .offset:         64
        .size:           8
        .value_kind:     global_buffer
      - .offset:         72
        .size:           4
        .value_kind:     by_value
      - .offset:         76
        .size:           4
        .value_kind:     by_value
      - .offset:         80
        .size:           4
        .value_kind:     by_value
      - .actual_access:  read_only
        .address_space:  global
        .offset:         88
        .size:           8
        .value_kind:     global_buffer
      - .actual_access:  read_only
        .address_space:  global
        .offset:         96
        .size:           8
        .value_kind:     global_buffer
      - .actual_access:  read_only
        .address_space:  global
        .offset:         104
        .size:           8
        .value_kind:     global_buffer
      - .actual_access:  read_only
        .address_space:  global
        .offset:         112
        .size:           8
        .value_kind:     global_buffer
      - .offset:         120
        .size:           4
        .value_kind:     by_value
      - .address_space:  global
        .offset:         128
        .size:           8
        .value_kind:     global_buffer
      - .address_space:  global
        .offset:         136
        .size:           8
        .value_kind:     global_buffer
      - .offset:         144
        .size:           4
        .value_kind:     hidden_block_count_x
      - .offset:         148
        .size:           4
        .value_kind:     hidden_block_count_y
      - .offset:         152
        .size:           4
        .value_kind:     hidden_block_count_z
      - .offset:         156
        .size:           2
        .value_kind:     hidden_group_size_x
      - .offset:         158
        .size:           2
        .value_kind:     hidden_group_size_y
      - .offset:         160
        .size:           2
        .value_kind:     hidden_group_size_z
      - .offset:         162
        .size:           2
        .value_kind:     hidden_remainder_x
      - .offset:         164
        .size:           2
        .value_kind:     hidden_remainder_y
      - .offset:         166
        .size:           2
        .value_kind:     hidden_remainder_z
      - .offset:         184
        .size:           8
        .value_kind:     hidden_global_offset_x
      - .offset:         192
        .size:           8
        .value_kind:     hidden_global_offset_y
      - .offset:         200
        .size:           8
        .value_kind:     hidden_global_offset_z
      - .offset:         208
        .size:           2
        .value_kind:     hidden_grid_dims
      - .offset:         224
        .size:           8
        .value_kind:     hidden_hostcall_buffer
    .group_segment_fixed_size: 0
    .kernarg_segment_align: 8
    .kernarg_segment_size: 400
    .language:       OpenCL C
    .language_version:
      - 2
      - 0
    .max_flat_workgroup_size: 256
    .name:           _Z39paged_attention_ll4mi_QKV_mfma16_kernelI14__hip_bfloat16S0_LN4vllm18Fp8KVCacheDataTypeE0EhLi32ELi128ELi256ELb0ELi7EEvPKT_PKT0_S8_ifPKiSA_SA_iPKfiiiPfSD_PS3_PT2_iSC_SC_
    .private_segment_fixed_size: 64
    .sgpr_count:     36
    .sgpr_spill_count: 0
    .symbol:         _Z39paged_attention_ll4mi_QKV_mfma16_kernelI14__hip_bfloat16S0_LN4vllm18Fp8KVCacheDataTypeE0EhLi32ELi128ELi256ELb0ELi7EEvPKT_PKT0_S8_ifPKiSA_SA_iPKfiiiPfSD_PS3_PT2_iSC_SC_.kd
    .uniform_work_group_size: 1
    .uses_dynamic_stack: false
    .vgpr_count:     51
    .vgpr_spill_count: 0
    .wavefront_size: 32
  - .args:
      - .actual_access:  read_only
        .address_space:  global
        .offset:         0
        .size:           8
        .value_kind:     global_buffer
      - .actual_access:  read_only
        .address_space:  global
        .offset:         8
        .size:           8
        .value_kind:     global_buffer
      - .actual_access:  read_only
        .address_space:  global
        .offset:         16
        .size:           8
        .value_kind:     global_buffer
      - .offset:         24
        .size:           4
        .value_kind:     by_value
      - .offset:         28
        .size:           4
        .value_kind:     by_value
      - .actual_access:  read_only
        .address_space:  global
        .offset:         32
        .size:           8
        .value_kind:     global_buffer
      - .actual_access:  read_only
        .address_space:  global
        .offset:         40
        .size:           8
        .value_kind:     global_buffer
      - .actual_access:  read_only
        .address_space:  global
        .offset:         48
        .size:           8
        .value_kind:     global_buffer
      - .offset:         56
        .size:           4
        .value_kind:     by_value
      - .actual_access:  read_only
        .address_space:  global
        .offset:         64
        .size:           8
        .value_kind:     global_buffer
      - .offset:         72
        .size:           4
        .value_kind:     by_value
      - .offset:         76
        .size:           4
        .value_kind:     by_value
      - .offset:         80
        .size:           4
        .value_kind:     by_value
      - .actual_access:  read_only
        .address_space:  global
        .offset:         88
        .size:           8
        .value_kind:     global_buffer
      - .actual_access:  read_only
        .address_space:  global
        .offset:         96
        .size:           8
        .value_kind:     global_buffer
      - .actual_access:  read_only
        .address_space:  global
        .offset:         104
        .size:           8
        .value_kind:     global_buffer
      - .actual_access:  read_only
        .address_space:  global
        .offset:         112
        .size:           8
        .value_kind:     global_buffer
      - .offset:         120
        .size:           4
        .value_kind:     by_value
      - .address_space:  global
        .offset:         128
        .size:           8
        .value_kind:     global_buffer
      - .address_space:  global
        .offset:         136
        .size:           8
        .value_kind:     global_buffer
      - .offset:         144
        .size:           4
        .value_kind:     hidden_block_count_x
      - .offset:         148
        .size:           4
        .value_kind:     hidden_block_count_y
      - .offset:         152
        .size:           4
        .value_kind:     hidden_block_count_z
      - .offset:         156
        .size:           2
        .value_kind:     hidden_group_size_x
      - .offset:         158
        .size:           2
        .value_kind:     hidden_group_size_y
      - .offset:         160
        .size:           2
        .value_kind:     hidden_group_size_z
      - .offset:         162
        .size:           2
        .value_kind:     hidden_remainder_x
      - .offset:         164
        .size:           2
        .value_kind:     hidden_remainder_y
      - .offset:         166
        .size:           2
        .value_kind:     hidden_remainder_z
      - .offset:         184
        .size:           8
        .value_kind:     hidden_global_offset_x
      - .offset:         192
        .size:           8
        .value_kind:     hidden_global_offset_y
      - .offset:         200
        .size:           8
        .value_kind:     hidden_global_offset_z
      - .offset:         208
        .size:           2
        .value_kind:     hidden_grid_dims
      - .offset:         224
        .size:           8
        .value_kind:     hidden_hostcall_buffer
    .group_segment_fixed_size: 0
    .kernarg_segment_align: 8
    .kernarg_segment_size: 400
    .language:       OpenCL C
    .language_version:
      - 2
      - 0
    .max_flat_workgroup_size: 256
    .name:           _Z39paged_attention_ll4mi_QKV_mfma16_kernelI14__hip_bfloat16S0_LN4vllm18Fp8KVCacheDataTypeE0EhLi32ELi128ELi256ELb0ELi8EEvPKT_PKT0_S8_ifPKiSA_SA_iPKfiiiPfSD_PS3_PT2_iSC_SC_
    .private_segment_fixed_size: 64
    .sgpr_count:     36
    .sgpr_spill_count: 0
    .symbol:         _Z39paged_attention_ll4mi_QKV_mfma16_kernelI14__hip_bfloat16S0_LN4vllm18Fp8KVCacheDataTypeE0EhLi32ELi128ELi256ELb0ELi8EEvPKT_PKT0_S8_ifPKiSA_SA_iPKfiiiPfSD_PS3_PT2_iSC_SC_.kd
    .uniform_work_group_size: 1
    .uses_dynamic_stack: false
    .vgpr_count:     51
    .vgpr_spill_count: 0
    .wavefront_size: 32
  - .args:
      - .actual_access:  read_only
        .address_space:  global
        .offset:         0
        .size:           8
        .value_kind:     global_buffer
      - .actual_access:  read_only
        .address_space:  global
        .offset:         8
        .size:           8
        .value_kind:     global_buffer
      - .actual_access:  read_only
        .address_space:  global
        .offset:         16
        .size:           8
        .value_kind:     global_buffer
      - .offset:         24
        .size:           4
        .value_kind:     by_value
      - .offset:         28
        .size:           4
        .value_kind:     by_value
      - .actual_access:  read_only
        .address_space:  global
        .offset:         32
        .size:           8
        .value_kind:     global_buffer
      - .actual_access:  read_only
        .address_space:  global
        .offset:         40
        .size:           8
        .value_kind:     global_buffer
      - .actual_access:  read_only
        .address_space:  global
        .offset:         48
        .size:           8
        .value_kind:     global_buffer
      - .offset:         56
        .size:           4
        .value_kind:     by_value
      - .actual_access:  read_only
        .address_space:  global
        .offset:         64
        .size:           8
        .value_kind:     global_buffer
      - .offset:         72
        .size:           4
        .value_kind:     by_value
      - .offset:         76
        .size:           4
        .value_kind:     by_value
      - .offset:         80
        .size:           4
        .value_kind:     by_value
      - .actual_access:  read_only
        .address_space:  global
        .offset:         88
        .size:           8
        .value_kind:     global_buffer
      - .actual_access:  read_only
        .address_space:  global
        .offset:         96
        .size:           8
        .value_kind:     global_buffer
      - .actual_access:  read_only
        .address_space:  global
        .offset:         104
        .size:           8
        .value_kind:     global_buffer
      - .actual_access:  read_only
        .address_space:  global
        .offset:         112
        .size:           8
        .value_kind:     global_buffer
      - .offset:         120
        .size:           4
        .value_kind:     by_value
      - .address_space:  global
        .offset:         128
        .size:           8
        .value_kind:     global_buffer
      - .address_space:  global
        .offset:         136
        .size:           8
        .value_kind:     global_buffer
      - .offset:         144
        .size:           4
        .value_kind:     hidden_block_count_x
      - .offset:         148
        .size:           4
        .value_kind:     hidden_block_count_y
      - .offset:         152
        .size:           4
        .value_kind:     hidden_block_count_z
      - .offset:         156
        .size:           2
        .value_kind:     hidden_group_size_x
      - .offset:         158
        .size:           2
        .value_kind:     hidden_group_size_y
      - .offset:         160
        .size:           2
        .value_kind:     hidden_group_size_z
      - .offset:         162
        .size:           2
        .value_kind:     hidden_remainder_x
      - .offset:         164
        .size:           2
        .value_kind:     hidden_remainder_y
      - .offset:         166
        .size:           2
        .value_kind:     hidden_remainder_z
      - .offset:         184
        .size:           8
        .value_kind:     hidden_global_offset_x
      - .offset:         192
        .size:           8
        .value_kind:     hidden_global_offset_y
      - .offset:         200
        .size:           8
        .value_kind:     hidden_global_offset_z
      - .offset:         208
        .size:           2
        .value_kind:     hidden_grid_dims
      - .offset:         224
        .size:           8
        .value_kind:     hidden_hostcall_buffer
    .group_segment_fixed_size: 0
    .kernarg_segment_align: 8
    .kernarg_segment_size: 400
    .language:       OpenCL C
    .language_version:
      - 2
      - 0
    .max_flat_workgroup_size: 256
    .name:           _Z39paged_attention_ll4mi_QKV_mfma16_kernelI14__hip_bfloat16S0_LN4vllm18Fp8KVCacheDataTypeE0EhLi32ELi128ELi256ELb0ELi9EEvPKT_PKT0_S8_ifPKiSA_SA_iPKfiiiPfSD_PS3_PT2_iSC_SC_
    .private_segment_fixed_size: 64
    .sgpr_count:     36
    .sgpr_spill_count: 0
    .symbol:         _Z39paged_attention_ll4mi_QKV_mfma16_kernelI14__hip_bfloat16S0_LN4vllm18Fp8KVCacheDataTypeE0EhLi32ELi128ELi256ELb0ELi9EEvPKT_PKT0_S8_ifPKiSA_SA_iPKfiiiPfSD_PS3_PT2_iSC_SC_.kd
    .uniform_work_group_size: 1
    .uses_dynamic_stack: false
    .vgpr_count:     51
    .vgpr_spill_count: 0
    .wavefront_size: 32
  - .args:
      - .actual_access:  read_only
        .address_space:  global
        .offset:         0
        .size:           8
        .value_kind:     global_buffer
      - .actual_access:  read_only
        .address_space:  global
        .offset:         8
        .size:           8
        .value_kind:     global_buffer
      - .actual_access:  read_only
        .address_space:  global
        .offset:         16
        .size:           8
        .value_kind:     global_buffer
      - .offset:         24
        .size:           4
        .value_kind:     by_value
      - .offset:         28
        .size:           4
        .value_kind:     by_value
      - .actual_access:  read_only
        .address_space:  global
        .offset:         32
        .size:           8
        .value_kind:     global_buffer
      - .actual_access:  read_only
        .address_space:  global
        .offset:         40
        .size:           8
        .value_kind:     global_buffer
      - .actual_access:  read_only
        .address_space:  global
        .offset:         48
        .size:           8
        .value_kind:     global_buffer
      - .offset:         56
        .size:           4
        .value_kind:     by_value
      - .actual_access:  read_only
        .address_space:  global
        .offset:         64
        .size:           8
        .value_kind:     global_buffer
      - .offset:         72
        .size:           4
        .value_kind:     by_value
      - .offset:         76
        .size:           4
        .value_kind:     by_value
      - .offset:         80
        .size:           4
        .value_kind:     by_value
      - .actual_access:  read_only
        .address_space:  global
        .offset:         88
        .size:           8
        .value_kind:     global_buffer
      - .actual_access:  read_only
        .address_space:  global
        .offset:         96
        .size:           8
        .value_kind:     global_buffer
      - .actual_access:  read_only
        .address_space:  global
        .offset:         104
        .size:           8
        .value_kind:     global_buffer
      - .actual_access:  read_only
        .address_space:  global
        .offset:         112
        .size:           8
        .value_kind:     global_buffer
      - .offset:         120
        .size:           4
        .value_kind:     by_value
      - .address_space:  global
        .offset:         128
        .size:           8
        .value_kind:     global_buffer
      - .address_space:  global
        .offset:         136
        .size:           8
        .value_kind:     global_buffer
      - .offset:         144
        .size:           4
        .value_kind:     hidden_block_count_x
      - .offset:         148
        .size:           4
        .value_kind:     hidden_block_count_y
      - .offset:         152
        .size:           4
        .value_kind:     hidden_block_count_z
      - .offset:         156
        .size:           2
        .value_kind:     hidden_group_size_x
      - .offset:         158
        .size:           2
        .value_kind:     hidden_group_size_y
      - .offset:         160
        .size:           2
        .value_kind:     hidden_group_size_z
      - .offset:         162
        .size:           2
        .value_kind:     hidden_remainder_x
      - .offset:         164
        .size:           2
        .value_kind:     hidden_remainder_y
      - .offset:         166
        .size:           2
        .value_kind:     hidden_remainder_z
      - .offset:         184
        .size:           8
        .value_kind:     hidden_global_offset_x
      - .offset:         192
        .size:           8
        .value_kind:     hidden_global_offset_y
      - .offset:         200
        .size:           8
        .value_kind:     hidden_global_offset_z
      - .offset:         208
        .size:           2
        .value_kind:     hidden_grid_dims
      - .offset:         224
        .size:           8
        .value_kind:     hidden_hostcall_buffer
    .group_segment_fixed_size: 0
    .kernarg_segment_align: 8
    .kernarg_segment_size: 400
    .language:       OpenCL C
    .language_version:
      - 2
      - 0
    .max_flat_workgroup_size: 256
    .name:           _Z39paged_attention_ll4mi_QKV_mfma16_kernelI14__hip_bfloat16S0_LN4vllm18Fp8KVCacheDataTypeE0EhLi32ELi128ELi256ELb0ELi10EEvPKT_PKT0_S8_ifPKiSA_SA_iPKfiiiPfSD_PS3_PT2_iSC_SC_
    .private_segment_fixed_size: 64
    .sgpr_count:     36
    .sgpr_spill_count: 0
    .symbol:         _Z39paged_attention_ll4mi_QKV_mfma16_kernelI14__hip_bfloat16S0_LN4vllm18Fp8KVCacheDataTypeE0EhLi32ELi128ELi256ELb0ELi10EEvPKT_PKT0_S8_ifPKiSA_SA_iPKfiiiPfSD_PS3_PT2_iSC_SC_.kd
    .uniform_work_group_size: 1
    .uses_dynamic_stack: false
    .vgpr_count:     51
    .vgpr_spill_count: 0
    .wavefront_size: 32
  - .args:
      - .actual_access:  read_only
        .address_space:  global
        .offset:         0
        .size:           8
        .value_kind:     global_buffer
      - .actual_access:  read_only
        .address_space:  global
        .offset:         8
        .size:           8
        .value_kind:     global_buffer
      - .actual_access:  read_only
        .address_space:  global
        .offset:         16
        .size:           8
        .value_kind:     global_buffer
      - .offset:         24
        .size:           4
        .value_kind:     by_value
      - .offset:         28
        .size:           4
        .value_kind:     by_value
      - .actual_access:  read_only
        .address_space:  global
        .offset:         32
        .size:           8
        .value_kind:     global_buffer
      - .actual_access:  read_only
        .address_space:  global
        .offset:         40
        .size:           8
        .value_kind:     global_buffer
      - .actual_access:  read_only
        .address_space:  global
        .offset:         48
        .size:           8
        .value_kind:     global_buffer
      - .offset:         56
        .size:           4
        .value_kind:     by_value
      - .actual_access:  read_only
        .address_space:  global
        .offset:         64
        .size:           8
        .value_kind:     global_buffer
      - .offset:         72
        .size:           4
        .value_kind:     by_value
      - .offset:         76
        .size:           4
        .value_kind:     by_value
      - .offset:         80
        .size:           4
        .value_kind:     by_value
      - .actual_access:  read_only
        .address_space:  global
        .offset:         88
        .size:           8
        .value_kind:     global_buffer
      - .actual_access:  read_only
        .address_space:  global
        .offset:         96
        .size:           8
        .value_kind:     global_buffer
      - .actual_access:  read_only
        .address_space:  global
        .offset:         104
        .size:           8
        .value_kind:     global_buffer
      - .actual_access:  read_only
        .address_space:  global
        .offset:         112
        .size:           8
        .value_kind:     global_buffer
      - .offset:         120
        .size:           4
        .value_kind:     by_value
      - .address_space:  global
        .offset:         128
        .size:           8
        .value_kind:     global_buffer
      - .address_space:  global
        .offset:         136
        .size:           8
        .value_kind:     global_buffer
      - .offset:         144
        .size:           4
        .value_kind:     hidden_block_count_x
      - .offset:         148
        .size:           4
        .value_kind:     hidden_block_count_y
      - .offset:         152
        .size:           4
        .value_kind:     hidden_block_count_z
      - .offset:         156
        .size:           2
        .value_kind:     hidden_group_size_x
      - .offset:         158
        .size:           2
        .value_kind:     hidden_group_size_y
      - .offset:         160
        .size:           2
        .value_kind:     hidden_group_size_z
      - .offset:         162
        .size:           2
        .value_kind:     hidden_remainder_x
      - .offset:         164
        .size:           2
        .value_kind:     hidden_remainder_y
      - .offset:         166
        .size:           2
        .value_kind:     hidden_remainder_z
      - .offset:         184
        .size:           8
        .value_kind:     hidden_global_offset_x
      - .offset:         192
        .size:           8
        .value_kind:     hidden_global_offset_y
      - .offset:         200
        .size:           8
        .value_kind:     hidden_global_offset_z
      - .offset:         208
        .size:           2
        .value_kind:     hidden_grid_dims
      - .offset:         224
        .size:           8
        .value_kind:     hidden_hostcall_buffer
    .group_segment_fixed_size: 0
    .kernarg_segment_align: 8
    .kernarg_segment_size: 400
    .language:       OpenCL C
    .language_version:
      - 2
      - 0
    .max_flat_workgroup_size: 256
    .name:           _Z39paged_attention_ll4mi_QKV_mfma16_kernelI14__hip_bfloat16S0_LN4vllm18Fp8KVCacheDataTypeE0EhLi32ELi128ELi256ELb0ELi11EEvPKT_PKT0_S8_ifPKiSA_SA_iPKfiiiPfSD_PS3_PT2_iSC_SC_
    .private_segment_fixed_size: 64
    .sgpr_count:     36
    .sgpr_spill_count: 0
    .symbol:         _Z39paged_attention_ll4mi_QKV_mfma16_kernelI14__hip_bfloat16S0_LN4vllm18Fp8KVCacheDataTypeE0EhLi32ELi128ELi256ELb0ELi11EEvPKT_PKT0_S8_ifPKiSA_SA_iPKfiiiPfSD_PS3_PT2_iSC_SC_.kd
    .uniform_work_group_size: 1
    .uses_dynamic_stack: false
    .vgpr_count:     51
    .vgpr_spill_count: 0
    .wavefront_size: 32
  - .args:
      - .actual_access:  read_only
        .address_space:  global
        .offset:         0
        .size:           8
        .value_kind:     global_buffer
      - .actual_access:  read_only
        .address_space:  global
        .offset:         8
        .size:           8
        .value_kind:     global_buffer
      - .actual_access:  read_only
        .address_space:  global
        .offset:         16
        .size:           8
        .value_kind:     global_buffer
      - .offset:         24
        .size:           4
        .value_kind:     by_value
      - .offset:         28
        .size:           4
        .value_kind:     by_value
      - .actual_access:  read_only
        .address_space:  global
        .offset:         32
        .size:           8
        .value_kind:     global_buffer
      - .actual_access:  read_only
        .address_space:  global
        .offset:         40
        .size:           8
        .value_kind:     global_buffer
      - .actual_access:  read_only
        .address_space:  global
        .offset:         48
        .size:           8
        .value_kind:     global_buffer
      - .offset:         56
        .size:           4
        .value_kind:     by_value
      - .actual_access:  read_only
        .address_space:  global
        .offset:         64
        .size:           8
        .value_kind:     global_buffer
      - .offset:         72
        .size:           4
        .value_kind:     by_value
      - .offset:         76
        .size:           4
        .value_kind:     by_value
      - .offset:         80
        .size:           4
        .value_kind:     by_value
      - .actual_access:  read_only
        .address_space:  global
        .offset:         88
        .size:           8
        .value_kind:     global_buffer
      - .actual_access:  read_only
        .address_space:  global
        .offset:         96
        .size:           8
        .value_kind:     global_buffer
      - .actual_access:  read_only
        .address_space:  global
        .offset:         104
        .size:           8
        .value_kind:     global_buffer
      - .actual_access:  read_only
        .address_space:  global
        .offset:         112
        .size:           8
        .value_kind:     global_buffer
      - .offset:         120
        .size:           4
        .value_kind:     by_value
      - .address_space:  global
        .offset:         128
        .size:           8
        .value_kind:     global_buffer
      - .address_space:  global
        .offset:         136
        .size:           8
        .value_kind:     global_buffer
      - .offset:         144
        .size:           4
        .value_kind:     hidden_block_count_x
      - .offset:         148
        .size:           4
        .value_kind:     hidden_block_count_y
      - .offset:         152
        .size:           4
        .value_kind:     hidden_block_count_z
      - .offset:         156
        .size:           2
        .value_kind:     hidden_group_size_x
      - .offset:         158
        .size:           2
        .value_kind:     hidden_group_size_y
      - .offset:         160
        .size:           2
        .value_kind:     hidden_group_size_z
      - .offset:         162
        .size:           2
        .value_kind:     hidden_remainder_x
      - .offset:         164
        .size:           2
        .value_kind:     hidden_remainder_y
      - .offset:         166
        .size:           2
        .value_kind:     hidden_remainder_z
      - .offset:         184
        .size:           8
        .value_kind:     hidden_global_offset_x
      - .offset:         192
        .size:           8
        .value_kind:     hidden_global_offset_y
      - .offset:         200
        .size:           8
        .value_kind:     hidden_global_offset_z
      - .offset:         208
        .size:           2
        .value_kind:     hidden_grid_dims
      - .offset:         224
        .size:           8
        .value_kind:     hidden_hostcall_buffer
    .group_segment_fixed_size: 0
    .kernarg_segment_align: 8
    .kernarg_segment_size: 400
    .language:       OpenCL C
    .language_version:
      - 2
      - 0
    .max_flat_workgroup_size: 256
    .name:           _Z39paged_attention_ll4mi_QKV_mfma16_kernelI14__hip_bfloat16S0_LN4vllm18Fp8KVCacheDataTypeE0EhLi32ELi128ELi256ELb0ELi12EEvPKT_PKT0_S8_ifPKiSA_SA_iPKfiiiPfSD_PS3_PT2_iSC_SC_
    .private_segment_fixed_size: 64
    .sgpr_count:     36
    .sgpr_spill_count: 0
    .symbol:         _Z39paged_attention_ll4mi_QKV_mfma16_kernelI14__hip_bfloat16S0_LN4vllm18Fp8KVCacheDataTypeE0EhLi32ELi128ELi256ELb0ELi12EEvPKT_PKT0_S8_ifPKiSA_SA_iPKfiiiPfSD_PS3_PT2_iSC_SC_.kd
    .uniform_work_group_size: 1
    .uses_dynamic_stack: false
    .vgpr_count:     51
    .vgpr_spill_count: 0
    .wavefront_size: 32
  - .args:
      - .actual_access:  read_only
        .address_space:  global
        .offset:         0
        .size:           8
        .value_kind:     global_buffer
      - .actual_access:  read_only
        .address_space:  global
        .offset:         8
        .size:           8
        .value_kind:     global_buffer
      - .actual_access:  read_only
        .address_space:  global
        .offset:         16
        .size:           8
        .value_kind:     global_buffer
      - .offset:         24
        .size:           4
        .value_kind:     by_value
      - .offset:         28
        .size:           4
        .value_kind:     by_value
      - .actual_access:  read_only
        .address_space:  global
        .offset:         32
        .size:           8
        .value_kind:     global_buffer
      - .actual_access:  read_only
        .address_space:  global
        .offset:         40
        .size:           8
        .value_kind:     global_buffer
      - .actual_access:  read_only
        .address_space:  global
        .offset:         48
        .size:           8
        .value_kind:     global_buffer
      - .offset:         56
        .size:           4
        .value_kind:     by_value
      - .actual_access:  read_only
        .address_space:  global
        .offset:         64
        .size:           8
        .value_kind:     global_buffer
      - .offset:         72
        .size:           4
        .value_kind:     by_value
      - .offset:         76
        .size:           4
        .value_kind:     by_value
      - .offset:         80
        .size:           4
        .value_kind:     by_value
      - .actual_access:  read_only
        .address_space:  global
        .offset:         88
        .size:           8
        .value_kind:     global_buffer
      - .actual_access:  read_only
        .address_space:  global
        .offset:         96
        .size:           8
        .value_kind:     global_buffer
      - .actual_access:  read_only
        .address_space:  global
        .offset:         104
        .size:           8
        .value_kind:     global_buffer
      - .actual_access:  read_only
        .address_space:  global
        .offset:         112
        .size:           8
        .value_kind:     global_buffer
      - .offset:         120
        .size:           4
        .value_kind:     by_value
      - .address_space:  global
        .offset:         128
        .size:           8
        .value_kind:     global_buffer
      - .address_space:  global
        .offset:         136
        .size:           8
        .value_kind:     global_buffer
      - .offset:         144
        .size:           4
        .value_kind:     hidden_block_count_x
      - .offset:         148
        .size:           4
        .value_kind:     hidden_block_count_y
      - .offset:         152
        .size:           4
        .value_kind:     hidden_block_count_z
      - .offset:         156
        .size:           2
        .value_kind:     hidden_group_size_x
      - .offset:         158
        .size:           2
        .value_kind:     hidden_group_size_y
      - .offset:         160
        .size:           2
        .value_kind:     hidden_group_size_z
      - .offset:         162
        .size:           2
        .value_kind:     hidden_remainder_x
      - .offset:         164
        .size:           2
        .value_kind:     hidden_remainder_y
      - .offset:         166
        .size:           2
        .value_kind:     hidden_remainder_z
      - .offset:         184
        .size:           8
        .value_kind:     hidden_global_offset_x
      - .offset:         192
        .size:           8
        .value_kind:     hidden_global_offset_y
      - .offset:         200
        .size:           8
        .value_kind:     hidden_global_offset_z
      - .offset:         208
        .size:           2
        .value_kind:     hidden_grid_dims
      - .offset:         224
        .size:           8
        .value_kind:     hidden_hostcall_buffer
    .group_segment_fixed_size: 0
    .kernarg_segment_align: 8
    .kernarg_segment_size: 400
    .language:       OpenCL C
    .language_version:
      - 2
      - 0
    .max_flat_workgroup_size: 256
    .name:           _Z39paged_attention_ll4mi_QKV_mfma16_kernelI14__hip_bfloat16S0_LN4vllm18Fp8KVCacheDataTypeE0EhLi32ELi128ELi256ELb0ELi13EEvPKT_PKT0_S8_ifPKiSA_SA_iPKfiiiPfSD_PS3_PT2_iSC_SC_
    .private_segment_fixed_size: 64
    .sgpr_count:     36
    .sgpr_spill_count: 0
    .symbol:         _Z39paged_attention_ll4mi_QKV_mfma16_kernelI14__hip_bfloat16S0_LN4vllm18Fp8KVCacheDataTypeE0EhLi32ELi128ELi256ELb0ELi13EEvPKT_PKT0_S8_ifPKiSA_SA_iPKfiiiPfSD_PS3_PT2_iSC_SC_.kd
    .uniform_work_group_size: 1
    .uses_dynamic_stack: false
    .vgpr_count:     51
    .vgpr_spill_count: 0
    .wavefront_size: 32
  - .args:
      - .actual_access:  read_only
        .address_space:  global
        .offset:         0
        .size:           8
        .value_kind:     global_buffer
      - .actual_access:  read_only
        .address_space:  global
        .offset:         8
        .size:           8
        .value_kind:     global_buffer
      - .actual_access:  read_only
        .address_space:  global
        .offset:         16
        .size:           8
        .value_kind:     global_buffer
      - .offset:         24
        .size:           4
        .value_kind:     by_value
      - .offset:         28
        .size:           4
        .value_kind:     by_value
      - .actual_access:  read_only
        .address_space:  global
        .offset:         32
        .size:           8
        .value_kind:     global_buffer
      - .actual_access:  read_only
        .address_space:  global
        .offset:         40
        .size:           8
        .value_kind:     global_buffer
      - .actual_access:  read_only
        .address_space:  global
        .offset:         48
        .size:           8
        .value_kind:     global_buffer
      - .offset:         56
        .size:           4
        .value_kind:     by_value
      - .actual_access:  read_only
        .address_space:  global
        .offset:         64
        .size:           8
        .value_kind:     global_buffer
      - .offset:         72
        .size:           4
        .value_kind:     by_value
      - .offset:         76
        .size:           4
        .value_kind:     by_value
      - .offset:         80
        .size:           4
        .value_kind:     by_value
      - .actual_access:  read_only
        .address_space:  global
        .offset:         88
        .size:           8
        .value_kind:     global_buffer
      - .actual_access:  read_only
        .address_space:  global
        .offset:         96
        .size:           8
        .value_kind:     global_buffer
      - .actual_access:  read_only
        .address_space:  global
        .offset:         104
        .size:           8
        .value_kind:     global_buffer
      - .actual_access:  read_only
        .address_space:  global
        .offset:         112
        .size:           8
        .value_kind:     global_buffer
      - .offset:         120
        .size:           4
        .value_kind:     by_value
      - .address_space:  global
        .offset:         128
        .size:           8
        .value_kind:     global_buffer
      - .address_space:  global
        .offset:         136
        .size:           8
        .value_kind:     global_buffer
      - .offset:         144
        .size:           4
        .value_kind:     hidden_block_count_x
      - .offset:         148
        .size:           4
        .value_kind:     hidden_block_count_y
      - .offset:         152
        .size:           4
        .value_kind:     hidden_block_count_z
      - .offset:         156
        .size:           2
        .value_kind:     hidden_group_size_x
      - .offset:         158
        .size:           2
        .value_kind:     hidden_group_size_y
      - .offset:         160
        .size:           2
        .value_kind:     hidden_group_size_z
      - .offset:         162
        .size:           2
        .value_kind:     hidden_remainder_x
      - .offset:         164
        .size:           2
        .value_kind:     hidden_remainder_y
      - .offset:         166
        .size:           2
        .value_kind:     hidden_remainder_z
      - .offset:         184
        .size:           8
        .value_kind:     hidden_global_offset_x
      - .offset:         192
        .size:           8
        .value_kind:     hidden_global_offset_y
      - .offset:         200
        .size:           8
        .value_kind:     hidden_global_offset_z
      - .offset:         208
        .size:           2
        .value_kind:     hidden_grid_dims
      - .offset:         224
        .size:           8
        .value_kind:     hidden_hostcall_buffer
    .group_segment_fixed_size: 0
    .kernarg_segment_align: 8
    .kernarg_segment_size: 400
    .language:       OpenCL C
    .language_version:
      - 2
      - 0
    .max_flat_workgroup_size: 256
    .name:           _Z39paged_attention_ll4mi_QKV_mfma16_kernelI14__hip_bfloat16S0_LN4vllm18Fp8KVCacheDataTypeE0EhLi32ELi128ELi256ELb0ELi14EEvPKT_PKT0_S8_ifPKiSA_SA_iPKfiiiPfSD_PS3_PT2_iSC_SC_
    .private_segment_fixed_size: 64
    .sgpr_count:     36
    .sgpr_spill_count: 0
    .symbol:         _Z39paged_attention_ll4mi_QKV_mfma16_kernelI14__hip_bfloat16S0_LN4vllm18Fp8KVCacheDataTypeE0EhLi32ELi128ELi256ELb0ELi14EEvPKT_PKT0_S8_ifPKiSA_SA_iPKfiiiPfSD_PS3_PT2_iSC_SC_.kd
    .uniform_work_group_size: 1
    .uses_dynamic_stack: false
    .vgpr_count:     51
    .vgpr_spill_count: 0
    .wavefront_size: 32
  - .args:
      - .actual_access:  read_only
        .address_space:  global
        .offset:         0
        .size:           8
        .value_kind:     global_buffer
      - .actual_access:  read_only
        .address_space:  global
        .offset:         8
        .size:           8
        .value_kind:     global_buffer
      - .actual_access:  read_only
        .address_space:  global
        .offset:         16
        .size:           8
        .value_kind:     global_buffer
      - .offset:         24
        .size:           4
        .value_kind:     by_value
      - .offset:         28
        .size:           4
        .value_kind:     by_value
      - .actual_access:  read_only
        .address_space:  global
        .offset:         32
        .size:           8
        .value_kind:     global_buffer
      - .actual_access:  read_only
        .address_space:  global
        .offset:         40
        .size:           8
        .value_kind:     global_buffer
      - .actual_access:  read_only
        .address_space:  global
        .offset:         48
        .size:           8
        .value_kind:     global_buffer
      - .offset:         56
        .size:           4
        .value_kind:     by_value
      - .actual_access:  read_only
        .address_space:  global
        .offset:         64
        .size:           8
        .value_kind:     global_buffer
      - .offset:         72
        .size:           4
        .value_kind:     by_value
      - .offset:         76
        .size:           4
        .value_kind:     by_value
      - .offset:         80
        .size:           4
        .value_kind:     by_value
      - .actual_access:  read_only
        .address_space:  global
        .offset:         88
        .size:           8
        .value_kind:     global_buffer
      - .actual_access:  read_only
        .address_space:  global
        .offset:         96
        .size:           8
        .value_kind:     global_buffer
      - .actual_access:  read_only
        .address_space:  global
        .offset:         104
        .size:           8
        .value_kind:     global_buffer
      - .actual_access:  read_only
        .address_space:  global
        .offset:         112
        .size:           8
        .value_kind:     global_buffer
      - .offset:         120
        .size:           4
        .value_kind:     by_value
      - .address_space:  global
        .offset:         128
        .size:           8
        .value_kind:     global_buffer
      - .address_space:  global
        .offset:         136
        .size:           8
        .value_kind:     global_buffer
      - .offset:         144
        .size:           4
        .value_kind:     hidden_block_count_x
      - .offset:         148
        .size:           4
        .value_kind:     hidden_block_count_y
      - .offset:         152
        .size:           4
        .value_kind:     hidden_block_count_z
      - .offset:         156
        .size:           2
        .value_kind:     hidden_group_size_x
      - .offset:         158
        .size:           2
        .value_kind:     hidden_group_size_y
      - .offset:         160
        .size:           2
        .value_kind:     hidden_group_size_z
      - .offset:         162
        .size:           2
        .value_kind:     hidden_remainder_x
      - .offset:         164
        .size:           2
        .value_kind:     hidden_remainder_y
      - .offset:         166
        .size:           2
        .value_kind:     hidden_remainder_z
      - .offset:         184
        .size:           8
        .value_kind:     hidden_global_offset_x
      - .offset:         192
        .size:           8
        .value_kind:     hidden_global_offset_y
      - .offset:         200
        .size:           8
        .value_kind:     hidden_global_offset_z
      - .offset:         208
        .size:           2
        .value_kind:     hidden_grid_dims
      - .offset:         224
        .size:           8
        .value_kind:     hidden_hostcall_buffer
    .group_segment_fixed_size: 0
    .kernarg_segment_align: 8
    .kernarg_segment_size: 400
    .language:       OpenCL C
    .language_version:
      - 2
      - 0
    .max_flat_workgroup_size: 256
    .name:           _Z39paged_attention_ll4mi_QKV_mfma16_kernelI14__hip_bfloat16S0_LN4vllm18Fp8KVCacheDataTypeE0EhLi32ELi128ELi256ELb0ELi15EEvPKT_PKT0_S8_ifPKiSA_SA_iPKfiiiPfSD_PS3_PT2_iSC_SC_
    .private_segment_fixed_size: 64
    .sgpr_count:     36
    .sgpr_spill_count: 0
    .symbol:         _Z39paged_attention_ll4mi_QKV_mfma16_kernelI14__hip_bfloat16S0_LN4vllm18Fp8KVCacheDataTypeE0EhLi32ELi128ELi256ELb0ELi15EEvPKT_PKT0_S8_ifPKiSA_SA_iPKfiiiPfSD_PS3_PT2_iSC_SC_.kd
    .uniform_work_group_size: 1
    .uses_dynamic_stack: false
    .vgpr_count:     51
    .vgpr_spill_count: 0
    .wavefront_size: 32
  - .args:
      - .actual_access:  read_only
        .address_space:  global
        .offset:         0
        .size:           8
        .value_kind:     global_buffer
      - .actual_access:  read_only
        .address_space:  global
        .offset:         8
        .size:           8
        .value_kind:     global_buffer
      - .actual_access:  read_only
        .address_space:  global
        .offset:         16
        .size:           8
        .value_kind:     global_buffer
      - .offset:         24
        .size:           4
        .value_kind:     by_value
      - .offset:         28
        .size:           4
        .value_kind:     by_value
      - .actual_access:  read_only
        .address_space:  global
        .offset:         32
        .size:           8
        .value_kind:     global_buffer
      - .actual_access:  read_only
        .address_space:  global
        .offset:         40
        .size:           8
        .value_kind:     global_buffer
      - .actual_access:  read_only
        .address_space:  global
        .offset:         48
        .size:           8
        .value_kind:     global_buffer
      - .offset:         56
        .size:           4
        .value_kind:     by_value
      - .actual_access:  read_only
        .address_space:  global
        .offset:         64
        .size:           8
        .value_kind:     global_buffer
      - .offset:         72
        .size:           4
        .value_kind:     by_value
      - .offset:         76
        .size:           4
        .value_kind:     by_value
      - .offset:         80
        .size:           4
        .value_kind:     by_value
      - .actual_access:  read_only
        .address_space:  global
        .offset:         88
        .size:           8
        .value_kind:     global_buffer
      - .actual_access:  read_only
        .address_space:  global
        .offset:         96
        .size:           8
        .value_kind:     global_buffer
      - .actual_access:  read_only
        .address_space:  global
        .offset:         104
        .size:           8
        .value_kind:     global_buffer
      - .actual_access:  read_only
        .address_space:  global
        .offset:         112
        .size:           8
        .value_kind:     global_buffer
      - .offset:         120
        .size:           4
        .value_kind:     by_value
      - .address_space:  global
        .offset:         128
        .size:           8
        .value_kind:     global_buffer
      - .address_space:  global
        .offset:         136
        .size:           8
        .value_kind:     global_buffer
      - .offset:         144
        .size:           4
        .value_kind:     hidden_block_count_x
      - .offset:         148
        .size:           4
        .value_kind:     hidden_block_count_y
      - .offset:         152
        .size:           4
        .value_kind:     hidden_block_count_z
      - .offset:         156
        .size:           2
        .value_kind:     hidden_group_size_x
      - .offset:         158
        .size:           2
        .value_kind:     hidden_group_size_y
      - .offset:         160
        .size:           2
        .value_kind:     hidden_group_size_z
      - .offset:         162
        .size:           2
        .value_kind:     hidden_remainder_x
      - .offset:         164
        .size:           2
        .value_kind:     hidden_remainder_y
      - .offset:         166
        .size:           2
        .value_kind:     hidden_remainder_z
      - .offset:         184
        .size:           8
        .value_kind:     hidden_global_offset_x
      - .offset:         192
        .size:           8
        .value_kind:     hidden_global_offset_y
      - .offset:         200
        .size:           8
        .value_kind:     hidden_global_offset_z
      - .offset:         208
        .size:           2
        .value_kind:     hidden_grid_dims
      - .offset:         224
        .size:           8
        .value_kind:     hidden_hostcall_buffer
    .group_segment_fixed_size: 0
    .kernarg_segment_align: 8
    .kernarg_segment_size: 400
    .language:       OpenCL C
    .language_version:
      - 2
      - 0
    .max_flat_workgroup_size: 256
    .name:           _Z39paged_attention_ll4mi_QKV_mfma16_kernelI14__hip_bfloat16S0_LN4vllm18Fp8KVCacheDataTypeE0EhLi32ELi128ELi256ELb0ELi16EEvPKT_PKT0_S8_ifPKiSA_SA_iPKfiiiPfSD_PS3_PT2_iSC_SC_
    .private_segment_fixed_size: 64
    .sgpr_count:     36
    .sgpr_spill_count: 0
    .symbol:         _Z39paged_attention_ll4mi_QKV_mfma16_kernelI14__hip_bfloat16S0_LN4vllm18Fp8KVCacheDataTypeE0EhLi32ELi128ELi256ELb0ELi16EEvPKT_PKT0_S8_ifPKiSA_SA_iPKfiiiPfSD_PS3_PT2_iSC_SC_.kd
    .uniform_work_group_size: 1
    .uses_dynamic_stack: false
    .vgpr_count:     51
    .vgpr_spill_count: 0
    .wavefront_size: 32
  - .args:
      - .actual_access:  read_only
        .address_space:  global
        .offset:         0
        .size:           8
        .value_kind:     global_buffer
      - .actual_access:  read_only
        .address_space:  global
        .offset:         8
        .size:           8
        .value_kind:     global_buffer
      - .actual_access:  read_only
        .address_space:  global
        .offset:         16
        .size:           8
        .value_kind:     global_buffer
      - .offset:         24
        .size:           4
        .value_kind:     by_value
      - .offset:         28
        .size:           4
        .value_kind:     by_value
      - .actual_access:  read_only
        .address_space:  global
        .offset:         32
        .size:           8
        .value_kind:     global_buffer
      - .actual_access:  read_only
        .address_space:  global
        .offset:         40
        .size:           8
        .value_kind:     global_buffer
      - .actual_access:  read_only
        .address_space:  global
        .offset:         48
        .size:           8
        .value_kind:     global_buffer
      - .offset:         56
        .size:           4
        .value_kind:     by_value
      - .actual_access:  read_only
        .address_space:  global
        .offset:         64
        .size:           8
        .value_kind:     global_buffer
      - .offset:         72
        .size:           4
        .value_kind:     by_value
      - .offset:         76
        .size:           4
        .value_kind:     by_value
      - .offset:         80
        .size:           4
        .value_kind:     by_value
      - .actual_access:  read_only
        .address_space:  global
        .offset:         88
        .size:           8
        .value_kind:     global_buffer
      - .actual_access:  read_only
        .address_space:  global
        .offset:         96
        .size:           8
        .value_kind:     global_buffer
      - .actual_access:  read_only
        .address_space:  global
        .offset:         104
        .size:           8
        .value_kind:     global_buffer
      - .actual_access:  read_only
        .address_space:  global
        .offset:         112
        .size:           8
        .value_kind:     global_buffer
      - .offset:         120
        .size:           4
        .value_kind:     by_value
      - .address_space:  global
        .offset:         128
        .size:           8
        .value_kind:     global_buffer
      - .address_space:  global
        .offset:         136
        .size:           8
        .value_kind:     global_buffer
      - .offset:         144
        .size:           4
        .value_kind:     hidden_block_count_x
      - .offset:         148
        .size:           4
        .value_kind:     hidden_block_count_y
      - .offset:         152
        .size:           4
        .value_kind:     hidden_block_count_z
      - .offset:         156
        .size:           2
        .value_kind:     hidden_group_size_x
      - .offset:         158
        .size:           2
        .value_kind:     hidden_group_size_y
      - .offset:         160
        .size:           2
        .value_kind:     hidden_group_size_z
      - .offset:         162
        .size:           2
        .value_kind:     hidden_remainder_x
      - .offset:         164
        .size:           2
        .value_kind:     hidden_remainder_y
      - .offset:         166
        .size:           2
        .value_kind:     hidden_remainder_z
      - .offset:         184
        .size:           8
        .value_kind:     hidden_global_offset_x
      - .offset:         192
        .size:           8
        .value_kind:     hidden_global_offset_y
      - .offset:         200
        .size:           8
        .value_kind:     hidden_global_offset_z
      - .offset:         208
        .size:           2
        .value_kind:     hidden_grid_dims
      - .offset:         224
        .size:           8
        .value_kind:     hidden_hostcall_buffer
    .group_segment_fixed_size: 0
    .kernarg_segment_align: 8
    .kernarg_segment_size: 400
    .language:       OpenCL C
    .language_version:
      - 2
      - 0
    .max_flat_workgroup_size: 256
    .name:           _Z39paged_attention_ll4mi_QKV_mfma16_kernelI14__hip_bfloat16S0_LN4vllm18Fp8KVCacheDataTypeE0EhLi32ELi128ELi256ELb0ELi1EEvPKT_PKT0_S8_ifPKiSA_SA_iPKfiiiPfSD_PS3_PT2_iSC_SC_
    .private_segment_fixed_size: 64
    .sgpr_count:     36
    .sgpr_spill_count: 0
    .symbol:         _Z39paged_attention_ll4mi_QKV_mfma16_kernelI14__hip_bfloat16S0_LN4vllm18Fp8KVCacheDataTypeE0EhLi32ELi128ELi256ELb0ELi1EEvPKT_PKT0_S8_ifPKiSA_SA_iPKfiiiPfSD_PS3_PT2_iSC_SC_.kd
    .uniform_work_group_size: 1
    .uses_dynamic_stack: false
    .vgpr_count:     51
    .vgpr_spill_count: 0
    .wavefront_size: 32
  - .args:
      - .actual_access:  read_only
        .address_space:  global
        .offset:         0
        .size:           8
        .value_kind:     global_buffer
      - .actual_access:  read_only
        .address_space:  global
        .offset:         8
        .size:           8
        .value_kind:     global_buffer
      - .actual_access:  read_only
        .address_space:  global
        .offset:         16
        .size:           8
        .value_kind:     global_buffer
      - .offset:         24
        .size:           4
        .value_kind:     by_value
      - .offset:         28
        .size:           4
        .value_kind:     by_value
      - .actual_access:  read_only
        .address_space:  global
        .offset:         32
        .size:           8
        .value_kind:     global_buffer
      - .actual_access:  read_only
        .address_space:  global
        .offset:         40
        .size:           8
        .value_kind:     global_buffer
      - .actual_access:  read_only
        .address_space:  global
        .offset:         48
        .size:           8
        .value_kind:     global_buffer
      - .offset:         56
        .size:           4
        .value_kind:     by_value
      - .actual_access:  read_only
        .address_space:  global
        .offset:         64
        .size:           8
        .value_kind:     global_buffer
      - .offset:         72
        .size:           4
        .value_kind:     by_value
      - .offset:         76
        .size:           4
        .value_kind:     by_value
      - .offset:         80
        .size:           4
        .value_kind:     by_value
      - .actual_access:  read_only
        .address_space:  global
        .offset:         88
        .size:           8
        .value_kind:     global_buffer
      - .actual_access:  read_only
        .address_space:  global
        .offset:         96
        .size:           8
        .value_kind:     global_buffer
      - .actual_access:  read_only
        .address_space:  global
        .offset:         104
        .size:           8
        .value_kind:     global_buffer
      - .actual_access:  read_only
        .address_space:  global
        .offset:         112
        .size:           8
        .value_kind:     global_buffer
      - .offset:         120
        .size:           4
        .value_kind:     by_value
      - .address_space:  global
        .offset:         128
        .size:           8
        .value_kind:     global_buffer
      - .address_space:  global
        .offset:         136
        .size:           8
        .value_kind:     global_buffer
      - .offset:         144
        .size:           4
        .value_kind:     hidden_block_count_x
      - .offset:         148
        .size:           4
        .value_kind:     hidden_block_count_y
      - .offset:         152
        .size:           4
        .value_kind:     hidden_block_count_z
      - .offset:         156
        .size:           2
        .value_kind:     hidden_group_size_x
      - .offset:         158
        .size:           2
        .value_kind:     hidden_group_size_y
      - .offset:         160
        .size:           2
        .value_kind:     hidden_group_size_z
      - .offset:         162
        .size:           2
        .value_kind:     hidden_remainder_x
      - .offset:         164
        .size:           2
        .value_kind:     hidden_remainder_y
      - .offset:         166
        .size:           2
        .value_kind:     hidden_remainder_z
      - .offset:         184
        .size:           8
        .value_kind:     hidden_global_offset_x
      - .offset:         192
        .size:           8
        .value_kind:     hidden_global_offset_y
      - .offset:         200
        .size:           8
        .value_kind:     hidden_global_offset_z
      - .offset:         208
        .size:           2
        .value_kind:     hidden_grid_dims
      - .offset:         224
        .size:           8
        .value_kind:     hidden_hostcall_buffer
    .group_segment_fixed_size: 0
    .kernarg_segment_align: 8
    .kernarg_segment_size: 400
    .language:       OpenCL C
    .language_version:
      - 2
      - 0
    .max_flat_workgroup_size: 256
    .name:           _Z39paged_attention_ll4mi_QKV_mfma16_kernelI14__hip_bfloat16S0_LN4vllm18Fp8KVCacheDataTypeE0EhLi32ELi128ELi256ELb0ELi2EEvPKT_PKT0_S8_ifPKiSA_SA_iPKfiiiPfSD_PS3_PT2_iSC_SC_
    .private_segment_fixed_size: 64
    .sgpr_count:     36
    .sgpr_spill_count: 0
    .symbol:         _Z39paged_attention_ll4mi_QKV_mfma16_kernelI14__hip_bfloat16S0_LN4vllm18Fp8KVCacheDataTypeE0EhLi32ELi128ELi256ELb0ELi2EEvPKT_PKT0_S8_ifPKiSA_SA_iPKfiiiPfSD_PS3_PT2_iSC_SC_.kd
    .uniform_work_group_size: 1
    .uses_dynamic_stack: false
    .vgpr_count:     51
    .vgpr_spill_count: 0
    .wavefront_size: 32
  - .args:
      - .actual_access:  read_only
        .address_space:  global
        .offset:         0
        .size:           8
        .value_kind:     global_buffer
      - .actual_access:  read_only
        .address_space:  global
        .offset:         8
        .size:           8
        .value_kind:     global_buffer
      - .actual_access:  read_only
        .address_space:  global
        .offset:         16
        .size:           8
        .value_kind:     global_buffer
      - .offset:         24
        .size:           4
        .value_kind:     by_value
      - .offset:         28
        .size:           4
        .value_kind:     by_value
      - .actual_access:  read_only
        .address_space:  global
        .offset:         32
        .size:           8
        .value_kind:     global_buffer
      - .actual_access:  read_only
        .address_space:  global
        .offset:         40
        .size:           8
        .value_kind:     global_buffer
      - .actual_access:  read_only
        .address_space:  global
        .offset:         48
        .size:           8
        .value_kind:     global_buffer
      - .offset:         56
        .size:           4
        .value_kind:     by_value
      - .actual_access:  read_only
        .address_space:  global
        .offset:         64
        .size:           8
        .value_kind:     global_buffer
      - .offset:         72
        .size:           4
        .value_kind:     by_value
      - .offset:         76
        .size:           4
        .value_kind:     by_value
      - .offset:         80
        .size:           4
        .value_kind:     by_value
      - .actual_access:  read_only
        .address_space:  global
        .offset:         88
        .size:           8
        .value_kind:     global_buffer
      - .actual_access:  read_only
        .address_space:  global
        .offset:         96
        .size:           8
        .value_kind:     global_buffer
      - .actual_access:  read_only
        .address_space:  global
        .offset:         104
        .size:           8
        .value_kind:     global_buffer
      - .actual_access:  read_only
        .address_space:  global
        .offset:         112
        .size:           8
        .value_kind:     global_buffer
      - .offset:         120
        .size:           4
        .value_kind:     by_value
      - .address_space:  global
        .offset:         128
        .size:           8
        .value_kind:     global_buffer
      - .address_space:  global
        .offset:         136
        .size:           8
        .value_kind:     global_buffer
      - .offset:         144
        .size:           4
        .value_kind:     hidden_block_count_x
      - .offset:         148
        .size:           4
        .value_kind:     hidden_block_count_y
      - .offset:         152
        .size:           4
        .value_kind:     hidden_block_count_z
      - .offset:         156
        .size:           2
        .value_kind:     hidden_group_size_x
      - .offset:         158
        .size:           2
        .value_kind:     hidden_group_size_y
      - .offset:         160
        .size:           2
        .value_kind:     hidden_group_size_z
      - .offset:         162
        .size:           2
        .value_kind:     hidden_remainder_x
      - .offset:         164
        .size:           2
        .value_kind:     hidden_remainder_y
      - .offset:         166
        .size:           2
        .value_kind:     hidden_remainder_z
      - .offset:         184
        .size:           8
        .value_kind:     hidden_global_offset_x
      - .offset:         192
        .size:           8
        .value_kind:     hidden_global_offset_y
      - .offset:         200
        .size:           8
        .value_kind:     hidden_global_offset_z
      - .offset:         208
        .size:           2
        .value_kind:     hidden_grid_dims
      - .offset:         224
        .size:           8
        .value_kind:     hidden_hostcall_buffer
    .group_segment_fixed_size: 0
    .kernarg_segment_align: 8
    .kernarg_segment_size: 400
    .language:       OpenCL C
    .language_version:
      - 2
      - 0
    .max_flat_workgroup_size: 256
    .name:           _Z39paged_attention_ll4mi_QKV_mfma16_kernelI14__hip_bfloat16S0_LN4vllm18Fp8KVCacheDataTypeE0EhLi32ELi128ELi256ELb0ELi3EEvPKT_PKT0_S8_ifPKiSA_SA_iPKfiiiPfSD_PS3_PT2_iSC_SC_
    .private_segment_fixed_size: 64
    .sgpr_count:     36
    .sgpr_spill_count: 0
    .symbol:         _Z39paged_attention_ll4mi_QKV_mfma16_kernelI14__hip_bfloat16S0_LN4vllm18Fp8KVCacheDataTypeE0EhLi32ELi128ELi256ELb0ELi3EEvPKT_PKT0_S8_ifPKiSA_SA_iPKfiiiPfSD_PS3_PT2_iSC_SC_.kd
    .uniform_work_group_size: 1
    .uses_dynamic_stack: false
    .vgpr_count:     51
    .vgpr_spill_count: 0
    .wavefront_size: 32
  - .args:
      - .actual_access:  read_only
        .address_space:  global
        .offset:         0
        .size:           8
        .value_kind:     global_buffer
      - .actual_access:  read_only
        .address_space:  global
        .offset:         8
        .size:           8
        .value_kind:     global_buffer
      - .actual_access:  read_only
        .address_space:  global
        .offset:         16
        .size:           8
        .value_kind:     global_buffer
      - .offset:         24
        .size:           4
        .value_kind:     by_value
      - .offset:         28
        .size:           4
        .value_kind:     by_value
      - .actual_access:  read_only
        .address_space:  global
        .offset:         32
        .size:           8
        .value_kind:     global_buffer
      - .actual_access:  read_only
        .address_space:  global
        .offset:         40
        .size:           8
        .value_kind:     global_buffer
      - .actual_access:  read_only
        .address_space:  global
        .offset:         48
        .size:           8
        .value_kind:     global_buffer
      - .offset:         56
        .size:           4
        .value_kind:     by_value
      - .actual_access:  read_only
        .address_space:  global
        .offset:         64
        .size:           8
        .value_kind:     global_buffer
      - .offset:         72
        .size:           4
        .value_kind:     by_value
      - .offset:         76
        .size:           4
        .value_kind:     by_value
      - .offset:         80
        .size:           4
        .value_kind:     by_value
      - .actual_access:  read_only
        .address_space:  global
        .offset:         88
        .size:           8
        .value_kind:     global_buffer
      - .actual_access:  read_only
        .address_space:  global
        .offset:         96
        .size:           8
        .value_kind:     global_buffer
      - .actual_access:  read_only
        .address_space:  global
        .offset:         104
        .size:           8
        .value_kind:     global_buffer
      - .actual_access:  read_only
        .address_space:  global
        .offset:         112
        .size:           8
        .value_kind:     global_buffer
      - .offset:         120
        .size:           4
        .value_kind:     by_value
      - .address_space:  global
        .offset:         128
        .size:           8
        .value_kind:     global_buffer
      - .address_space:  global
        .offset:         136
        .size:           8
        .value_kind:     global_buffer
      - .offset:         144
        .size:           4
        .value_kind:     hidden_block_count_x
      - .offset:         148
        .size:           4
        .value_kind:     hidden_block_count_y
      - .offset:         152
        .size:           4
        .value_kind:     hidden_block_count_z
      - .offset:         156
        .size:           2
        .value_kind:     hidden_group_size_x
      - .offset:         158
        .size:           2
        .value_kind:     hidden_group_size_y
      - .offset:         160
        .size:           2
        .value_kind:     hidden_group_size_z
      - .offset:         162
        .size:           2
        .value_kind:     hidden_remainder_x
      - .offset:         164
        .size:           2
        .value_kind:     hidden_remainder_y
      - .offset:         166
        .size:           2
        .value_kind:     hidden_remainder_z
      - .offset:         184
        .size:           8
        .value_kind:     hidden_global_offset_x
      - .offset:         192
        .size:           8
        .value_kind:     hidden_global_offset_y
      - .offset:         200
        .size:           8
        .value_kind:     hidden_global_offset_z
      - .offset:         208
        .size:           2
        .value_kind:     hidden_grid_dims
      - .offset:         224
        .size:           8
        .value_kind:     hidden_hostcall_buffer
    .group_segment_fixed_size: 0
    .kernarg_segment_align: 8
    .kernarg_segment_size: 400
    .language:       OpenCL C
    .language_version:
      - 2
      - 0
    .max_flat_workgroup_size: 256
    .name:           _Z39paged_attention_ll4mi_QKV_mfma16_kernelI14__hip_bfloat16S0_LN4vllm18Fp8KVCacheDataTypeE0EhLi32ELi128ELi256ELb0ELi4EEvPKT_PKT0_S8_ifPKiSA_SA_iPKfiiiPfSD_PS3_PT2_iSC_SC_
    .private_segment_fixed_size: 64
    .sgpr_count:     36
    .sgpr_spill_count: 0
    .symbol:         _Z39paged_attention_ll4mi_QKV_mfma16_kernelI14__hip_bfloat16S0_LN4vllm18Fp8KVCacheDataTypeE0EhLi32ELi128ELi256ELb0ELi4EEvPKT_PKT0_S8_ifPKiSA_SA_iPKfiiiPfSD_PS3_PT2_iSC_SC_.kd
    .uniform_work_group_size: 1
    .uses_dynamic_stack: false
    .vgpr_count:     51
    .vgpr_spill_count: 0
    .wavefront_size: 32
  - .args:
      - .actual_access:  read_only
        .address_space:  global
        .offset:         0
        .size:           8
        .value_kind:     global_buffer
      - .actual_access:  read_only
        .address_space:  global
        .offset:         8
        .size:           8
        .value_kind:     global_buffer
      - .actual_access:  read_only
        .address_space:  global
        .offset:         16
        .size:           8
        .value_kind:     global_buffer
      - .offset:         24
        .size:           4
        .value_kind:     by_value
      - .offset:         28
        .size:           4
        .value_kind:     by_value
      - .actual_access:  read_only
        .address_space:  global
        .offset:         32
        .size:           8
        .value_kind:     global_buffer
      - .actual_access:  read_only
        .address_space:  global
        .offset:         40
        .size:           8
        .value_kind:     global_buffer
      - .actual_access:  read_only
        .address_space:  global
        .offset:         48
        .size:           8
        .value_kind:     global_buffer
      - .offset:         56
        .size:           4
        .value_kind:     by_value
      - .actual_access:  read_only
        .address_space:  global
        .offset:         64
        .size:           8
        .value_kind:     global_buffer
      - .offset:         72
        .size:           4
        .value_kind:     by_value
      - .offset:         76
        .size:           4
        .value_kind:     by_value
      - .offset:         80
        .size:           4
        .value_kind:     by_value
      - .actual_access:  read_only
        .address_space:  global
        .offset:         88
        .size:           8
        .value_kind:     global_buffer
      - .actual_access:  read_only
        .address_space:  global
        .offset:         96
        .size:           8
        .value_kind:     global_buffer
      - .actual_access:  read_only
        .address_space:  global
        .offset:         104
        .size:           8
        .value_kind:     global_buffer
      - .actual_access:  read_only
        .address_space:  global
        .offset:         112
        .size:           8
        .value_kind:     global_buffer
      - .offset:         120
        .size:           4
        .value_kind:     by_value
      - .address_space:  global
        .offset:         128
        .size:           8
        .value_kind:     global_buffer
      - .address_space:  global
        .offset:         136
        .size:           8
        .value_kind:     global_buffer
      - .offset:         144
        .size:           4
        .value_kind:     hidden_block_count_x
      - .offset:         148
        .size:           4
        .value_kind:     hidden_block_count_y
      - .offset:         152
        .size:           4
        .value_kind:     hidden_block_count_z
      - .offset:         156
        .size:           2
        .value_kind:     hidden_group_size_x
      - .offset:         158
        .size:           2
        .value_kind:     hidden_group_size_y
      - .offset:         160
        .size:           2
        .value_kind:     hidden_group_size_z
      - .offset:         162
        .size:           2
        .value_kind:     hidden_remainder_x
      - .offset:         164
        .size:           2
        .value_kind:     hidden_remainder_y
      - .offset:         166
        .size:           2
        .value_kind:     hidden_remainder_z
      - .offset:         184
        .size:           8
        .value_kind:     hidden_global_offset_x
      - .offset:         192
        .size:           8
        .value_kind:     hidden_global_offset_y
      - .offset:         200
        .size:           8
        .value_kind:     hidden_global_offset_z
      - .offset:         208
        .size:           2
        .value_kind:     hidden_grid_dims
      - .offset:         224
        .size:           8
        .value_kind:     hidden_hostcall_buffer
    .group_segment_fixed_size: 0
    .kernarg_segment_align: 8
    .kernarg_segment_size: 400
    .language:       OpenCL C
    .language_version:
      - 2
      - 0
    .max_flat_workgroup_size: 256
    .name:           _Z38paged_attention_ll4mi_QKV_mfma4_kernelI14__hip_bfloat16S0_LN4vllm18Fp8KVCacheDataTypeE0ES0_Li32ELi128ELi256ELb1ELi1EEvPKT_PKT0_S8_ifPKiSA_SA_iPKfiiiPfSD_PS3_PT2_iSC_SC_
    .private_segment_fixed_size: 64
    .sgpr_count:     36
    .sgpr_spill_count: 0
    .symbol:         _Z38paged_attention_ll4mi_QKV_mfma4_kernelI14__hip_bfloat16S0_LN4vllm18Fp8KVCacheDataTypeE0ES0_Li32ELi128ELi256ELb1ELi1EEvPKT_PKT0_S8_ifPKiSA_SA_iPKfiiiPfSD_PS3_PT2_iSC_SC_.kd
    .uniform_work_group_size: 1
    .uses_dynamic_stack: false
    .vgpr_count:     51
    .vgpr_spill_count: 0
    .wavefront_size: 32
  - .args:
      - .actual_access:  read_only
        .address_space:  global
        .offset:         0
        .size:           8
        .value_kind:     global_buffer
      - .actual_access:  read_only
        .address_space:  global
        .offset:         8
        .size:           8
        .value_kind:     global_buffer
      - .actual_access:  read_only
        .address_space:  global
        .offset:         16
        .size:           8
        .value_kind:     global_buffer
      - .offset:         24
        .size:           4
        .value_kind:     by_value
      - .offset:         28
        .size:           4
        .value_kind:     by_value
      - .actual_access:  read_only
        .address_space:  global
        .offset:         32
        .size:           8
        .value_kind:     global_buffer
      - .actual_access:  read_only
        .address_space:  global
        .offset:         40
        .size:           8
        .value_kind:     global_buffer
      - .actual_access:  read_only
        .address_space:  global
        .offset:         48
        .size:           8
        .value_kind:     global_buffer
      - .offset:         56
        .size:           4
        .value_kind:     by_value
      - .actual_access:  read_only
        .address_space:  global
        .offset:         64
        .size:           8
        .value_kind:     global_buffer
      - .offset:         72
        .size:           4
        .value_kind:     by_value
      - .offset:         76
        .size:           4
        .value_kind:     by_value
      - .offset:         80
        .size:           4
        .value_kind:     by_value
      - .actual_access:  read_only
        .address_space:  global
        .offset:         88
        .size:           8
        .value_kind:     global_buffer
      - .actual_access:  read_only
        .address_space:  global
        .offset:         96
        .size:           8
        .value_kind:     global_buffer
      - .actual_access:  read_only
        .address_space:  global
        .offset:         104
        .size:           8
        .value_kind:     global_buffer
      - .actual_access:  read_only
        .address_space:  global
        .offset:         112
        .size:           8
        .value_kind:     global_buffer
      - .offset:         120
        .size:           4
        .value_kind:     by_value
      - .address_space:  global
        .offset:         128
        .size:           8
        .value_kind:     global_buffer
      - .address_space:  global
        .offset:         136
        .size:           8
        .value_kind:     global_buffer
      - .offset:         144
        .size:           4
        .value_kind:     hidden_block_count_x
      - .offset:         148
        .size:           4
        .value_kind:     hidden_block_count_y
      - .offset:         152
        .size:           4
        .value_kind:     hidden_block_count_z
      - .offset:         156
        .size:           2
        .value_kind:     hidden_group_size_x
      - .offset:         158
        .size:           2
        .value_kind:     hidden_group_size_y
      - .offset:         160
        .size:           2
        .value_kind:     hidden_group_size_z
      - .offset:         162
        .size:           2
        .value_kind:     hidden_remainder_x
      - .offset:         164
        .size:           2
        .value_kind:     hidden_remainder_y
      - .offset:         166
        .size:           2
        .value_kind:     hidden_remainder_z
      - .offset:         184
        .size:           8
        .value_kind:     hidden_global_offset_x
      - .offset:         192
        .size:           8
        .value_kind:     hidden_global_offset_y
      - .offset:         200
        .size:           8
        .value_kind:     hidden_global_offset_z
      - .offset:         208
        .size:           2
        .value_kind:     hidden_grid_dims
      - .offset:         224
        .size:           8
        .value_kind:     hidden_hostcall_buffer
    .group_segment_fixed_size: 0
    .kernarg_segment_align: 8
    .kernarg_segment_size: 400
    .language:       OpenCL C
    .language_version:
      - 2
      - 0
    .max_flat_workgroup_size: 256
    .name:           _Z38paged_attention_ll4mi_QKV_mfma4_kernelI14__hip_bfloat16S0_LN4vllm18Fp8KVCacheDataTypeE0ES0_Li32ELi128ELi256ELb1ELi2EEvPKT_PKT0_S8_ifPKiSA_SA_iPKfiiiPfSD_PS3_PT2_iSC_SC_
    .private_segment_fixed_size: 64
    .sgpr_count:     36
    .sgpr_spill_count: 0
    .symbol:         _Z38paged_attention_ll4mi_QKV_mfma4_kernelI14__hip_bfloat16S0_LN4vllm18Fp8KVCacheDataTypeE0ES0_Li32ELi128ELi256ELb1ELi2EEvPKT_PKT0_S8_ifPKiSA_SA_iPKfiiiPfSD_PS3_PT2_iSC_SC_.kd
    .uniform_work_group_size: 1
    .uses_dynamic_stack: false
    .vgpr_count:     51
    .vgpr_spill_count: 0
    .wavefront_size: 32
  - .args:
      - .actual_access:  read_only
        .address_space:  global
        .offset:         0
        .size:           8
        .value_kind:     global_buffer
      - .actual_access:  read_only
        .address_space:  global
        .offset:         8
        .size:           8
        .value_kind:     global_buffer
      - .actual_access:  read_only
        .address_space:  global
        .offset:         16
        .size:           8
        .value_kind:     global_buffer
      - .offset:         24
        .size:           4
        .value_kind:     by_value
      - .offset:         28
        .size:           4
        .value_kind:     by_value
      - .actual_access:  read_only
        .address_space:  global
        .offset:         32
        .size:           8
        .value_kind:     global_buffer
      - .actual_access:  read_only
        .address_space:  global
        .offset:         40
        .size:           8
        .value_kind:     global_buffer
      - .actual_access:  read_only
        .address_space:  global
        .offset:         48
        .size:           8
        .value_kind:     global_buffer
      - .offset:         56
        .size:           4
        .value_kind:     by_value
      - .actual_access:  read_only
        .address_space:  global
        .offset:         64
        .size:           8
        .value_kind:     global_buffer
      - .offset:         72
        .size:           4
        .value_kind:     by_value
      - .offset:         76
        .size:           4
        .value_kind:     by_value
      - .offset:         80
        .size:           4
        .value_kind:     by_value
      - .actual_access:  read_only
        .address_space:  global
        .offset:         88
        .size:           8
        .value_kind:     global_buffer
      - .actual_access:  read_only
        .address_space:  global
        .offset:         96
        .size:           8
        .value_kind:     global_buffer
      - .actual_access:  read_only
        .address_space:  global
        .offset:         104
        .size:           8
        .value_kind:     global_buffer
      - .actual_access:  read_only
        .address_space:  global
        .offset:         112
        .size:           8
        .value_kind:     global_buffer
      - .offset:         120
        .size:           4
        .value_kind:     by_value
      - .address_space:  global
        .offset:         128
        .size:           8
        .value_kind:     global_buffer
      - .address_space:  global
        .offset:         136
        .size:           8
        .value_kind:     global_buffer
      - .offset:         144
        .size:           4
        .value_kind:     hidden_block_count_x
      - .offset:         148
        .size:           4
        .value_kind:     hidden_block_count_y
      - .offset:         152
        .size:           4
        .value_kind:     hidden_block_count_z
      - .offset:         156
        .size:           2
        .value_kind:     hidden_group_size_x
      - .offset:         158
        .size:           2
        .value_kind:     hidden_group_size_y
      - .offset:         160
        .size:           2
        .value_kind:     hidden_group_size_z
      - .offset:         162
        .size:           2
        .value_kind:     hidden_remainder_x
      - .offset:         164
        .size:           2
        .value_kind:     hidden_remainder_y
      - .offset:         166
        .size:           2
        .value_kind:     hidden_remainder_z
      - .offset:         184
        .size:           8
        .value_kind:     hidden_global_offset_x
      - .offset:         192
        .size:           8
        .value_kind:     hidden_global_offset_y
      - .offset:         200
        .size:           8
        .value_kind:     hidden_global_offset_z
      - .offset:         208
        .size:           2
        .value_kind:     hidden_grid_dims
      - .offset:         224
        .size:           8
        .value_kind:     hidden_hostcall_buffer
    .group_segment_fixed_size: 0
    .kernarg_segment_align: 8
    .kernarg_segment_size: 400
    .language:       OpenCL C
    .language_version:
      - 2
      - 0
    .max_flat_workgroup_size: 256
    .name:           _Z38paged_attention_ll4mi_QKV_mfma4_kernelI14__hip_bfloat16S0_LN4vllm18Fp8KVCacheDataTypeE0ES0_Li32ELi128ELi256ELb1ELi3EEvPKT_PKT0_S8_ifPKiSA_SA_iPKfiiiPfSD_PS3_PT2_iSC_SC_
    .private_segment_fixed_size: 64
    .sgpr_count:     36
    .sgpr_spill_count: 0
    .symbol:         _Z38paged_attention_ll4mi_QKV_mfma4_kernelI14__hip_bfloat16S0_LN4vllm18Fp8KVCacheDataTypeE0ES0_Li32ELi128ELi256ELb1ELi3EEvPKT_PKT0_S8_ifPKiSA_SA_iPKfiiiPfSD_PS3_PT2_iSC_SC_.kd
    .uniform_work_group_size: 1
    .uses_dynamic_stack: false
    .vgpr_count:     51
    .vgpr_spill_count: 0
    .wavefront_size: 32
  - .args:
      - .actual_access:  read_only
        .address_space:  global
        .offset:         0
        .size:           8
        .value_kind:     global_buffer
      - .actual_access:  read_only
        .address_space:  global
        .offset:         8
        .size:           8
        .value_kind:     global_buffer
      - .actual_access:  read_only
        .address_space:  global
        .offset:         16
        .size:           8
        .value_kind:     global_buffer
      - .offset:         24
        .size:           4
        .value_kind:     by_value
      - .offset:         28
        .size:           4
        .value_kind:     by_value
      - .actual_access:  read_only
        .address_space:  global
        .offset:         32
        .size:           8
        .value_kind:     global_buffer
      - .actual_access:  read_only
        .address_space:  global
        .offset:         40
        .size:           8
        .value_kind:     global_buffer
      - .actual_access:  read_only
        .address_space:  global
        .offset:         48
        .size:           8
        .value_kind:     global_buffer
      - .offset:         56
        .size:           4
        .value_kind:     by_value
      - .actual_access:  read_only
        .address_space:  global
        .offset:         64
        .size:           8
        .value_kind:     global_buffer
      - .offset:         72
        .size:           4
        .value_kind:     by_value
      - .offset:         76
        .size:           4
        .value_kind:     by_value
      - .offset:         80
        .size:           4
        .value_kind:     by_value
      - .actual_access:  read_only
        .address_space:  global
        .offset:         88
        .size:           8
        .value_kind:     global_buffer
      - .actual_access:  read_only
        .address_space:  global
        .offset:         96
        .size:           8
        .value_kind:     global_buffer
      - .actual_access:  read_only
        .address_space:  global
        .offset:         104
        .size:           8
        .value_kind:     global_buffer
      - .actual_access:  read_only
        .address_space:  global
        .offset:         112
        .size:           8
        .value_kind:     global_buffer
      - .offset:         120
        .size:           4
        .value_kind:     by_value
      - .address_space:  global
        .offset:         128
        .size:           8
        .value_kind:     global_buffer
      - .address_space:  global
        .offset:         136
        .size:           8
        .value_kind:     global_buffer
      - .offset:         144
        .size:           4
        .value_kind:     hidden_block_count_x
      - .offset:         148
        .size:           4
        .value_kind:     hidden_block_count_y
      - .offset:         152
        .size:           4
        .value_kind:     hidden_block_count_z
      - .offset:         156
        .size:           2
        .value_kind:     hidden_group_size_x
      - .offset:         158
        .size:           2
        .value_kind:     hidden_group_size_y
      - .offset:         160
        .size:           2
        .value_kind:     hidden_group_size_z
      - .offset:         162
        .size:           2
        .value_kind:     hidden_remainder_x
      - .offset:         164
        .size:           2
        .value_kind:     hidden_remainder_y
      - .offset:         166
        .size:           2
        .value_kind:     hidden_remainder_z
      - .offset:         184
        .size:           8
        .value_kind:     hidden_global_offset_x
      - .offset:         192
        .size:           8
        .value_kind:     hidden_global_offset_y
      - .offset:         200
        .size:           8
        .value_kind:     hidden_global_offset_z
      - .offset:         208
        .size:           2
        .value_kind:     hidden_grid_dims
      - .offset:         224
        .size:           8
        .value_kind:     hidden_hostcall_buffer
    .group_segment_fixed_size: 0
    .kernarg_segment_align: 8
    .kernarg_segment_size: 400
    .language:       OpenCL C
    .language_version:
      - 2
      - 0
    .max_flat_workgroup_size: 256
    .name:           _Z38paged_attention_ll4mi_QKV_mfma4_kernelI14__hip_bfloat16S0_LN4vllm18Fp8KVCacheDataTypeE0ES0_Li32ELi128ELi256ELb1ELi4EEvPKT_PKT0_S8_ifPKiSA_SA_iPKfiiiPfSD_PS3_PT2_iSC_SC_
    .private_segment_fixed_size: 64
    .sgpr_count:     36
    .sgpr_spill_count: 0
    .symbol:         _Z38paged_attention_ll4mi_QKV_mfma4_kernelI14__hip_bfloat16S0_LN4vllm18Fp8KVCacheDataTypeE0ES0_Li32ELi128ELi256ELb1ELi4EEvPKT_PKT0_S8_ifPKiSA_SA_iPKfiiiPfSD_PS3_PT2_iSC_SC_.kd
    .uniform_work_group_size: 1
    .uses_dynamic_stack: false
    .vgpr_count:     51
    .vgpr_spill_count: 0
    .wavefront_size: 32
  - .args:
      - .actual_access:  read_only
        .address_space:  global
        .offset:         0
        .size:           8
        .value_kind:     global_buffer
      - .actual_access:  read_only
        .address_space:  global
        .offset:         8
        .size:           8
        .value_kind:     global_buffer
      - .actual_access:  read_only
        .address_space:  global
        .offset:         16
        .size:           8
        .value_kind:     global_buffer
      - .offset:         24
        .size:           4
        .value_kind:     by_value
      - .offset:         28
        .size:           4
        .value_kind:     by_value
      - .actual_access:  read_only
        .address_space:  global
        .offset:         32
        .size:           8
        .value_kind:     global_buffer
      - .actual_access:  read_only
        .address_space:  global
        .offset:         40
        .size:           8
        .value_kind:     global_buffer
      - .actual_access:  read_only
        .address_space:  global
        .offset:         48
        .size:           8
        .value_kind:     global_buffer
      - .offset:         56
        .size:           4
        .value_kind:     by_value
      - .actual_access:  read_only
        .address_space:  global
        .offset:         64
        .size:           8
        .value_kind:     global_buffer
      - .offset:         72
        .size:           4
        .value_kind:     by_value
      - .offset:         76
        .size:           4
        .value_kind:     by_value
      - .offset:         80
        .size:           4
        .value_kind:     by_value
      - .actual_access:  read_only
        .address_space:  global
        .offset:         88
        .size:           8
        .value_kind:     global_buffer
      - .actual_access:  read_only
        .address_space:  global
        .offset:         96
        .size:           8
        .value_kind:     global_buffer
      - .actual_access:  read_only
        .address_space:  global
        .offset:         104
        .size:           8
        .value_kind:     global_buffer
      - .actual_access:  read_only
        .address_space:  global
        .offset:         112
        .size:           8
        .value_kind:     global_buffer
      - .offset:         120
        .size:           4
        .value_kind:     by_value
      - .address_space:  global
        .offset:         128
        .size:           8
        .value_kind:     global_buffer
      - .address_space:  global
        .offset:         136
        .size:           8
        .value_kind:     global_buffer
      - .offset:         144
        .size:           4
        .value_kind:     hidden_block_count_x
      - .offset:         148
        .size:           4
        .value_kind:     hidden_block_count_y
      - .offset:         152
        .size:           4
        .value_kind:     hidden_block_count_z
      - .offset:         156
        .size:           2
        .value_kind:     hidden_group_size_x
      - .offset:         158
        .size:           2
        .value_kind:     hidden_group_size_y
      - .offset:         160
        .size:           2
        .value_kind:     hidden_group_size_z
      - .offset:         162
        .size:           2
        .value_kind:     hidden_remainder_x
      - .offset:         164
        .size:           2
        .value_kind:     hidden_remainder_y
      - .offset:         166
        .size:           2
        .value_kind:     hidden_remainder_z
      - .offset:         184
        .size:           8
        .value_kind:     hidden_global_offset_x
      - .offset:         192
        .size:           8
        .value_kind:     hidden_global_offset_y
      - .offset:         200
        .size:           8
        .value_kind:     hidden_global_offset_z
      - .offset:         208
        .size:           2
        .value_kind:     hidden_grid_dims
      - .offset:         224
        .size:           8
        .value_kind:     hidden_hostcall_buffer
    .group_segment_fixed_size: 0
    .kernarg_segment_align: 8
    .kernarg_segment_size: 400
    .language:       OpenCL C
    .language_version:
      - 2
      - 0
    .max_flat_workgroup_size: 256
    .name:           _Z39paged_attention_ll4mi_QKV_mfma16_kernelI14__hip_bfloat16S0_LN4vllm18Fp8KVCacheDataTypeE0ES0_Li32ELi128ELi256ELb1ELi5EEvPKT_PKT0_S8_ifPKiSA_SA_iPKfiiiPfSD_PS3_PT2_iSC_SC_
    .private_segment_fixed_size: 64
    .sgpr_count:     36
    .sgpr_spill_count: 0
    .symbol:         _Z39paged_attention_ll4mi_QKV_mfma16_kernelI14__hip_bfloat16S0_LN4vllm18Fp8KVCacheDataTypeE0ES0_Li32ELi128ELi256ELb1ELi5EEvPKT_PKT0_S8_ifPKiSA_SA_iPKfiiiPfSD_PS3_PT2_iSC_SC_.kd
    .uniform_work_group_size: 1
    .uses_dynamic_stack: false
    .vgpr_count:     51
    .vgpr_spill_count: 0
    .wavefront_size: 32
  - .args:
      - .actual_access:  read_only
        .address_space:  global
        .offset:         0
        .size:           8
        .value_kind:     global_buffer
      - .actual_access:  read_only
        .address_space:  global
        .offset:         8
        .size:           8
        .value_kind:     global_buffer
      - .actual_access:  read_only
        .address_space:  global
        .offset:         16
        .size:           8
        .value_kind:     global_buffer
      - .offset:         24
        .size:           4
        .value_kind:     by_value
      - .offset:         28
        .size:           4
        .value_kind:     by_value
      - .actual_access:  read_only
        .address_space:  global
        .offset:         32
        .size:           8
        .value_kind:     global_buffer
      - .actual_access:  read_only
        .address_space:  global
        .offset:         40
        .size:           8
        .value_kind:     global_buffer
      - .actual_access:  read_only
        .address_space:  global
        .offset:         48
        .size:           8
        .value_kind:     global_buffer
      - .offset:         56
        .size:           4
        .value_kind:     by_value
      - .actual_access:  read_only
        .address_space:  global
        .offset:         64
        .size:           8
        .value_kind:     global_buffer
      - .offset:         72
        .size:           4
        .value_kind:     by_value
      - .offset:         76
        .size:           4
        .value_kind:     by_value
      - .offset:         80
        .size:           4
        .value_kind:     by_value
      - .actual_access:  read_only
        .address_space:  global
        .offset:         88
        .size:           8
        .value_kind:     global_buffer
      - .actual_access:  read_only
        .address_space:  global
        .offset:         96
        .size:           8
        .value_kind:     global_buffer
      - .actual_access:  read_only
        .address_space:  global
        .offset:         104
        .size:           8
        .value_kind:     global_buffer
      - .actual_access:  read_only
        .address_space:  global
        .offset:         112
        .size:           8
        .value_kind:     global_buffer
      - .offset:         120
        .size:           4
        .value_kind:     by_value
      - .address_space:  global
        .offset:         128
        .size:           8
        .value_kind:     global_buffer
      - .address_space:  global
        .offset:         136
        .size:           8
        .value_kind:     global_buffer
      - .offset:         144
        .size:           4
        .value_kind:     hidden_block_count_x
      - .offset:         148
        .size:           4
        .value_kind:     hidden_block_count_y
      - .offset:         152
        .size:           4
        .value_kind:     hidden_block_count_z
      - .offset:         156
        .size:           2
        .value_kind:     hidden_group_size_x
      - .offset:         158
        .size:           2
        .value_kind:     hidden_group_size_y
      - .offset:         160
        .size:           2
        .value_kind:     hidden_group_size_z
      - .offset:         162
        .size:           2
        .value_kind:     hidden_remainder_x
      - .offset:         164
        .size:           2
        .value_kind:     hidden_remainder_y
      - .offset:         166
        .size:           2
        .value_kind:     hidden_remainder_z
      - .offset:         184
        .size:           8
        .value_kind:     hidden_global_offset_x
      - .offset:         192
        .size:           8
        .value_kind:     hidden_global_offset_y
      - .offset:         200
        .size:           8
        .value_kind:     hidden_global_offset_z
      - .offset:         208
        .size:           2
        .value_kind:     hidden_grid_dims
      - .offset:         224
        .size:           8
        .value_kind:     hidden_hostcall_buffer
    .group_segment_fixed_size: 0
    .kernarg_segment_align: 8
    .kernarg_segment_size: 400
    .language:       OpenCL C
    .language_version:
      - 2
      - 0
    .max_flat_workgroup_size: 256
    .name:           _Z39paged_attention_ll4mi_QKV_mfma16_kernelI14__hip_bfloat16S0_LN4vllm18Fp8KVCacheDataTypeE0ES0_Li32ELi128ELi256ELb1ELi6EEvPKT_PKT0_S8_ifPKiSA_SA_iPKfiiiPfSD_PS3_PT2_iSC_SC_
    .private_segment_fixed_size: 64
    .sgpr_count:     36
    .sgpr_spill_count: 0
    .symbol:         _Z39paged_attention_ll4mi_QKV_mfma16_kernelI14__hip_bfloat16S0_LN4vllm18Fp8KVCacheDataTypeE0ES0_Li32ELi128ELi256ELb1ELi6EEvPKT_PKT0_S8_ifPKiSA_SA_iPKfiiiPfSD_PS3_PT2_iSC_SC_.kd
    .uniform_work_group_size: 1
    .uses_dynamic_stack: false
    .vgpr_count:     51
    .vgpr_spill_count: 0
    .wavefront_size: 32
  - .args:
      - .actual_access:  read_only
        .address_space:  global
        .offset:         0
        .size:           8
        .value_kind:     global_buffer
      - .actual_access:  read_only
        .address_space:  global
        .offset:         8
        .size:           8
        .value_kind:     global_buffer
      - .actual_access:  read_only
        .address_space:  global
        .offset:         16
        .size:           8
        .value_kind:     global_buffer
      - .offset:         24
        .size:           4
        .value_kind:     by_value
      - .offset:         28
        .size:           4
        .value_kind:     by_value
      - .actual_access:  read_only
        .address_space:  global
        .offset:         32
        .size:           8
        .value_kind:     global_buffer
      - .actual_access:  read_only
        .address_space:  global
        .offset:         40
        .size:           8
        .value_kind:     global_buffer
      - .actual_access:  read_only
        .address_space:  global
        .offset:         48
        .size:           8
        .value_kind:     global_buffer
      - .offset:         56
        .size:           4
        .value_kind:     by_value
      - .actual_access:  read_only
        .address_space:  global
        .offset:         64
        .size:           8
        .value_kind:     global_buffer
      - .offset:         72
        .size:           4
        .value_kind:     by_value
      - .offset:         76
        .size:           4
        .value_kind:     by_value
      - .offset:         80
        .size:           4
        .value_kind:     by_value
      - .actual_access:  read_only
        .address_space:  global
        .offset:         88
        .size:           8
        .value_kind:     global_buffer
      - .actual_access:  read_only
        .address_space:  global
        .offset:         96
        .size:           8
        .value_kind:     global_buffer
      - .actual_access:  read_only
        .address_space:  global
        .offset:         104
        .size:           8
        .value_kind:     global_buffer
      - .actual_access:  read_only
        .address_space:  global
        .offset:         112
        .size:           8
        .value_kind:     global_buffer
      - .offset:         120
        .size:           4
        .value_kind:     by_value
      - .address_space:  global
        .offset:         128
        .size:           8
        .value_kind:     global_buffer
      - .address_space:  global
        .offset:         136
        .size:           8
        .value_kind:     global_buffer
      - .offset:         144
        .size:           4
        .value_kind:     hidden_block_count_x
      - .offset:         148
        .size:           4
        .value_kind:     hidden_block_count_y
      - .offset:         152
        .size:           4
        .value_kind:     hidden_block_count_z
      - .offset:         156
        .size:           2
        .value_kind:     hidden_group_size_x
      - .offset:         158
        .size:           2
        .value_kind:     hidden_group_size_y
      - .offset:         160
        .size:           2
        .value_kind:     hidden_group_size_z
      - .offset:         162
        .size:           2
        .value_kind:     hidden_remainder_x
      - .offset:         164
        .size:           2
        .value_kind:     hidden_remainder_y
      - .offset:         166
        .size:           2
        .value_kind:     hidden_remainder_z
      - .offset:         184
        .size:           8
        .value_kind:     hidden_global_offset_x
      - .offset:         192
        .size:           8
        .value_kind:     hidden_global_offset_y
      - .offset:         200
        .size:           8
        .value_kind:     hidden_global_offset_z
      - .offset:         208
        .size:           2
        .value_kind:     hidden_grid_dims
      - .offset:         224
        .size:           8
        .value_kind:     hidden_hostcall_buffer
    .group_segment_fixed_size: 0
    .kernarg_segment_align: 8
    .kernarg_segment_size: 400
    .language:       OpenCL C
    .language_version:
      - 2
      - 0
    .max_flat_workgroup_size: 256
    .name:           _Z39paged_attention_ll4mi_QKV_mfma16_kernelI14__hip_bfloat16S0_LN4vllm18Fp8KVCacheDataTypeE0ES0_Li32ELi128ELi256ELb1ELi7EEvPKT_PKT0_S8_ifPKiSA_SA_iPKfiiiPfSD_PS3_PT2_iSC_SC_
    .private_segment_fixed_size: 64
    .sgpr_count:     36
    .sgpr_spill_count: 0
    .symbol:         _Z39paged_attention_ll4mi_QKV_mfma16_kernelI14__hip_bfloat16S0_LN4vllm18Fp8KVCacheDataTypeE0ES0_Li32ELi128ELi256ELb1ELi7EEvPKT_PKT0_S8_ifPKiSA_SA_iPKfiiiPfSD_PS3_PT2_iSC_SC_.kd
    .uniform_work_group_size: 1
    .uses_dynamic_stack: false
    .vgpr_count:     51
    .vgpr_spill_count: 0
    .wavefront_size: 32
  - .args:
      - .actual_access:  read_only
        .address_space:  global
        .offset:         0
        .size:           8
        .value_kind:     global_buffer
      - .actual_access:  read_only
        .address_space:  global
        .offset:         8
        .size:           8
        .value_kind:     global_buffer
      - .actual_access:  read_only
        .address_space:  global
        .offset:         16
        .size:           8
        .value_kind:     global_buffer
      - .offset:         24
        .size:           4
        .value_kind:     by_value
      - .offset:         28
        .size:           4
        .value_kind:     by_value
      - .actual_access:  read_only
        .address_space:  global
        .offset:         32
        .size:           8
        .value_kind:     global_buffer
      - .actual_access:  read_only
        .address_space:  global
        .offset:         40
        .size:           8
        .value_kind:     global_buffer
      - .actual_access:  read_only
        .address_space:  global
        .offset:         48
        .size:           8
        .value_kind:     global_buffer
      - .offset:         56
        .size:           4
        .value_kind:     by_value
      - .actual_access:  read_only
        .address_space:  global
        .offset:         64
        .size:           8
        .value_kind:     global_buffer
      - .offset:         72
        .size:           4
        .value_kind:     by_value
      - .offset:         76
        .size:           4
        .value_kind:     by_value
      - .offset:         80
        .size:           4
        .value_kind:     by_value
      - .actual_access:  read_only
        .address_space:  global
        .offset:         88
        .size:           8
        .value_kind:     global_buffer
      - .actual_access:  read_only
        .address_space:  global
        .offset:         96
        .size:           8
        .value_kind:     global_buffer
      - .actual_access:  read_only
        .address_space:  global
        .offset:         104
        .size:           8
        .value_kind:     global_buffer
      - .actual_access:  read_only
        .address_space:  global
        .offset:         112
        .size:           8
        .value_kind:     global_buffer
      - .offset:         120
        .size:           4
        .value_kind:     by_value
      - .address_space:  global
        .offset:         128
        .size:           8
        .value_kind:     global_buffer
      - .address_space:  global
        .offset:         136
        .size:           8
        .value_kind:     global_buffer
      - .offset:         144
        .size:           4
        .value_kind:     hidden_block_count_x
      - .offset:         148
        .size:           4
        .value_kind:     hidden_block_count_y
      - .offset:         152
        .size:           4
        .value_kind:     hidden_block_count_z
      - .offset:         156
        .size:           2
        .value_kind:     hidden_group_size_x
      - .offset:         158
        .size:           2
        .value_kind:     hidden_group_size_y
      - .offset:         160
        .size:           2
        .value_kind:     hidden_group_size_z
      - .offset:         162
        .size:           2
        .value_kind:     hidden_remainder_x
      - .offset:         164
        .size:           2
        .value_kind:     hidden_remainder_y
      - .offset:         166
        .size:           2
        .value_kind:     hidden_remainder_z
      - .offset:         184
        .size:           8
        .value_kind:     hidden_global_offset_x
      - .offset:         192
        .size:           8
        .value_kind:     hidden_global_offset_y
      - .offset:         200
        .size:           8
        .value_kind:     hidden_global_offset_z
      - .offset:         208
        .size:           2
        .value_kind:     hidden_grid_dims
      - .offset:         224
        .size:           8
        .value_kind:     hidden_hostcall_buffer
    .group_segment_fixed_size: 0
    .kernarg_segment_align: 8
    .kernarg_segment_size: 400
    .language:       OpenCL C
    .language_version:
      - 2
      - 0
    .max_flat_workgroup_size: 256
    .name:           _Z39paged_attention_ll4mi_QKV_mfma16_kernelI14__hip_bfloat16S0_LN4vllm18Fp8KVCacheDataTypeE0ES0_Li32ELi128ELi256ELb1ELi8EEvPKT_PKT0_S8_ifPKiSA_SA_iPKfiiiPfSD_PS3_PT2_iSC_SC_
    .private_segment_fixed_size: 64
    .sgpr_count:     36
    .sgpr_spill_count: 0
    .symbol:         _Z39paged_attention_ll4mi_QKV_mfma16_kernelI14__hip_bfloat16S0_LN4vllm18Fp8KVCacheDataTypeE0ES0_Li32ELi128ELi256ELb1ELi8EEvPKT_PKT0_S8_ifPKiSA_SA_iPKfiiiPfSD_PS3_PT2_iSC_SC_.kd
    .uniform_work_group_size: 1
    .uses_dynamic_stack: false
    .vgpr_count:     51
    .vgpr_spill_count: 0
    .wavefront_size: 32
  - .args:
      - .actual_access:  read_only
        .address_space:  global
        .offset:         0
        .size:           8
        .value_kind:     global_buffer
      - .actual_access:  read_only
        .address_space:  global
        .offset:         8
        .size:           8
        .value_kind:     global_buffer
      - .actual_access:  read_only
        .address_space:  global
        .offset:         16
        .size:           8
        .value_kind:     global_buffer
      - .offset:         24
        .size:           4
        .value_kind:     by_value
      - .offset:         28
        .size:           4
        .value_kind:     by_value
      - .actual_access:  read_only
        .address_space:  global
        .offset:         32
        .size:           8
        .value_kind:     global_buffer
      - .actual_access:  read_only
        .address_space:  global
        .offset:         40
        .size:           8
        .value_kind:     global_buffer
      - .actual_access:  read_only
        .address_space:  global
        .offset:         48
        .size:           8
        .value_kind:     global_buffer
      - .offset:         56
        .size:           4
        .value_kind:     by_value
      - .actual_access:  read_only
        .address_space:  global
        .offset:         64
        .size:           8
        .value_kind:     global_buffer
      - .offset:         72
        .size:           4
        .value_kind:     by_value
      - .offset:         76
        .size:           4
        .value_kind:     by_value
      - .offset:         80
        .size:           4
        .value_kind:     by_value
      - .actual_access:  read_only
        .address_space:  global
        .offset:         88
        .size:           8
        .value_kind:     global_buffer
      - .actual_access:  read_only
        .address_space:  global
        .offset:         96
        .size:           8
        .value_kind:     global_buffer
      - .actual_access:  read_only
        .address_space:  global
        .offset:         104
        .size:           8
        .value_kind:     global_buffer
      - .actual_access:  read_only
        .address_space:  global
        .offset:         112
        .size:           8
        .value_kind:     global_buffer
      - .offset:         120
        .size:           4
        .value_kind:     by_value
      - .address_space:  global
        .offset:         128
        .size:           8
        .value_kind:     global_buffer
      - .address_space:  global
        .offset:         136
        .size:           8
        .value_kind:     global_buffer
      - .offset:         144
        .size:           4
        .value_kind:     hidden_block_count_x
      - .offset:         148
        .size:           4
        .value_kind:     hidden_block_count_y
      - .offset:         152
        .size:           4
        .value_kind:     hidden_block_count_z
      - .offset:         156
        .size:           2
        .value_kind:     hidden_group_size_x
      - .offset:         158
        .size:           2
        .value_kind:     hidden_group_size_y
      - .offset:         160
        .size:           2
        .value_kind:     hidden_group_size_z
      - .offset:         162
        .size:           2
        .value_kind:     hidden_remainder_x
      - .offset:         164
        .size:           2
        .value_kind:     hidden_remainder_y
      - .offset:         166
        .size:           2
        .value_kind:     hidden_remainder_z
      - .offset:         184
        .size:           8
        .value_kind:     hidden_global_offset_x
      - .offset:         192
        .size:           8
        .value_kind:     hidden_global_offset_y
      - .offset:         200
        .size:           8
        .value_kind:     hidden_global_offset_z
      - .offset:         208
        .size:           2
        .value_kind:     hidden_grid_dims
      - .offset:         224
        .size:           8
        .value_kind:     hidden_hostcall_buffer
    .group_segment_fixed_size: 0
    .kernarg_segment_align: 8
    .kernarg_segment_size: 400
    .language:       OpenCL C
    .language_version:
      - 2
      - 0
    .max_flat_workgroup_size: 256
    .name:           _Z39paged_attention_ll4mi_QKV_mfma16_kernelI14__hip_bfloat16S0_LN4vllm18Fp8KVCacheDataTypeE0ES0_Li32ELi128ELi256ELb1ELi9EEvPKT_PKT0_S8_ifPKiSA_SA_iPKfiiiPfSD_PS3_PT2_iSC_SC_
    .private_segment_fixed_size: 64
    .sgpr_count:     36
    .sgpr_spill_count: 0
    .symbol:         _Z39paged_attention_ll4mi_QKV_mfma16_kernelI14__hip_bfloat16S0_LN4vllm18Fp8KVCacheDataTypeE0ES0_Li32ELi128ELi256ELb1ELi9EEvPKT_PKT0_S8_ifPKiSA_SA_iPKfiiiPfSD_PS3_PT2_iSC_SC_.kd
    .uniform_work_group_size: 1
    .uses_dynamic_stack: false
    .vgpr_count:     51
    .vgpr_spill_count: 0
    .wavefront_size: 32
  - .args:
      - .actual_access:  read_only
        .address_space:  global
        .offset:         0
        .size:           8
        .value_kind:     global_buffer
      - .actual_access:  read_only
        .address_space:  global
        .offset:         8
        .size:           8
        .value_kind:     global_buffer
      - .actual_access:  read_only
        .address_space:  global
        .offset:         16
        .size:           8
        .value_kind:     global_buffer
      - .offset:         24
        .size:           4
        .value_kind:     by_value
      - .offset:         28
        .size:           4
        .value_kind:     by_value
      - .actual_access:  read_only
        .address_space:  global
        .offset:         32
        .size:           8
        .value_kind:     global_buffer
      - .actual_access:  read_only
        .address_space:  global
        .offset:         40
        .size:           8
        .value_kind:     global_buffer
      - .actual_access:  read_only
        .address_space:  global
        .offset:         48
        .size:           8
        .value_kind:     global_buffer
      - .offset:         56
        .size:           4
        .value_kind:     by_value
      - .actual_access:  read_only
        .address_space:  global
        .offset:         64
        .size:           8
        .value_kind:     global_buffer
      - .offset:         72
        .size:           4
        .value_kind:     by_value
      - .offset:         76
        .size:           4
        .value_kind:     by_value
      - .offset:         80
        .size:           4
        .value_kind:     by_value
      - .actual_access:  read_only
        .address_space:  global
        .offset:         88
        .size:           8
        .value_kind:     global_buffer
      - .actual_access:  read_only
        .address_space:  global
        .offset:         96
        .size:           8
        .value_kind:     global_buffer
      - .actual_access:  read_only
        .address_space:  global
        .offset:         104
        .size:           8
        .value_kind:     global_buffer
      - .actual_access:  read_only
        .address_space:  global
        .offset:         112
        .size:           8
        .value_kind:     global_buffer
      - .offset:         120
        .size:           4
        .value_kind:     by_value
      - .address_space:  global
        .offset:         128
        .size:           8
        .value_kind:     global_buffer
      - .address_space:  global
        .offset:         136
        .size:           8
        .value_kind:     global_buffer
      - .offset:         144
        .size:           4
        .value_kind:     hidden_block_count_x
      - .offset:         148
        .size:           4
        .value_kind:     hidden_block_count_y
      - .offset:         152
        .size:           4
        .value_kind:     hidden_block_count_z
      - .offset:         156
        .size:           2
        .value_kind:     hidden_group_size_x
      - .offset:         158
        .size:           2
        .value_kind:     hidden_group_size_y
      - .offset:         160
        .size:           2
        .value_kind:     hidden_group_size_z
      - .offset:         162
        .size:           2
        .value_kind:     hidden_remainder_x
      - .offset:         164
        .size:           2
        .value_kind:     hidden_remainder_y
      - .offset:         166
        .size:           2
        .value_kind:     hidden_remainder_z
      - .offset:         184
        .size:           8
        .value_kind:     hidden_global_offset_x
      - .offset:         192
        .size:           8
        .value_kind:     hidden_global_offset_y
      - .offset:         200
        .size:           8
        .value_kind:     hidden_global_offset_z
      - .offset:         208
        .size:           2
        .value_kind:     hidden_grid_dims
      - .offset:         224
        .size:           8
        .value_kind:     hidden_hostcall_buffer
    .group_segment_fixed_size: 0
    .kernarg_segment_align: 8
    .kernarg_segment_size: 400
    .language:       OpenCL C
    .language_version:
      - 2
      - 0
    .max_flat_workgroup_size: 256
    .name:           _Z39paged_attention_ll4mi_QKV_mfma16_kernelI14__hip_bfloat16S0_LN4vllm18Fp8KVCacheDataTypeE0ES0_Li32ELi128ELi256ELb1ELi10EEvPKT_PKT0_S8_ifPKiSA_SA_iPKfiiiPfSD_PS3_PT2_iSC_SC_
    .private_segment_fixed_size: 64
    .sgpr_count:     36
    .sgpr_spill_count: 0
    .symbol:         _Z39paged_attention_ll4mi_QKV_mfma16_kernelI14__hip_bfloat16S0_LN4vllm18Fp8KVCacheDataTypeE0ES0_Li32ELi128ELi256ELb1ELi10EEvPKT_PKT0_S8_ifPKiSA_SA_iPKfiiiPfSD_PS3_PT2_iSC_SC_.kd
    .uniform_work_group_size: 1
    .uses_dynamic_stack: false
    .vgpr_count:     51
    .vgpr_spill_count: 0
    .wavefront_size: 32
  - .args:
      - .actual_access:  read_only
        .address_space:  global
        .offset:         0
        .size:           8
        .value_kind:     global_buffer
      - .actual_access:  read_only
        .address_space:  global
        .offset:         8
        .size:           8
        .value_kind:     global_buffer
      - .actual_access:  read_only
        .address_space:  global
        .offset:         16
        .size:           8
        .value_kind:     global_buffer
      - .offset:         24
        .size:           4
        .value_kind:     by_value
      - .offset:         28
        .size:           4
        .value_kind:     by_value
      - .actual_access:  read_only
        .address_space:  global
        .offset:         32
        .size:           8
        .value_kind:     global_buffer
      - .actual_access:  read_only
        .address_space:  global
        .offset:         40
        .size:           8
        .value_kind:     global_buffer
      - .actual_access:  read_only
        .address_space:  global
        .offset:         48
        .size:           8
        .value_kind:     global_buffer
      - .offset:         56
        .size:           4
        .value_kind:     by_value
      - .actual_access:  read_only
        .address_space:  global
        .offset:         64
        .size:           8
        .value_kind:     global_buffer
      - .offset:         72
        .size:           4
        .value_kind:     by_value
      - .offset:         76
        .size:           4
        .value_kind:     by_value
      - .offset:         80
        .size:           4
        .value_kind:     by_value
      - .actual_access:  read_only
        .address_space:  global
        .offset:         88
        .size:           8
        .value_kind:     global_buffer
      - .actual_access:  read_only
        .address_space:  global
        .offset:         96
        .size:           8
        .value_kind:     global_buffer
      - .actual_access:  read_only
        .address_space:  global
        .offset:         104
        .size:           8
        .value_kind:     global_buffer
      - .actual_access:  read_only
        .address_space:  global
        .offset:         112
        .size:           8
        .value_kind:     global_buffer
      - .offset:         120
        .size:           4
        .value_kind:     by_value
      - .address_space:  global
        .offset:         128
        .size:           8
        .value_kind:     global_buffer
      - .address_space:  global
        .offset:         136
        .size:           8
        .value_kind:     global_buffer
      - .offset:         144
        .size:           4
        .value_kind:     hidden_block_count_x
      - .offset:         148
        .size:           4
        .value_kind:     hidden_block_count_y
      - .offset:         152
        .size:           4
        .value_kind:     hidden_block_count_z
      - .offset:         156
        .size:           2
        .value_kind:     hidden_group_size_x
      - .offset:         158
        .size:           2
        .value_kind:     hidden_group_size_y
      - .offset:         160
        .size:           2
        .value_kind:     hidden_group_size_z
      - .offset:         162
        .size:           2
        .value_kind:     hidden_remainder_x
      - .offset:         164
        .size:           2
        .value_kind:     hidden_remainder_y
      - .offset:         166
        .size:           2
        .value_kind:     hidden_remainder_z
      - .offset:         184
        .size:           8
        .value_kind:     hidden_global_offset_x
      - .offset:         192
        .size:           8
        .value_kind:     hidden_global_offset_y
      - .offset:         200
        .size:           8
        .value_kind:     hidden_global_offset_z
      - .offset:         208
        .size:           2
        .value_kind:     hidden_grid_dims
      - .offset:         224
        .size:           8
        .value_kind:     hidden_hostcall_buffer
    .group_segment_fixed_size: 0
    .kernarg_segment_align: 8
    .kernarg_segment_size: 400
    .language:       OpenCL C
    .language_version:
      - 2
      - 0
    .max_flat_workgroup_size: 256
    .name:           _Z39paged_attention_ll4mi_QKV_mfma16_kernelI14__hip_bfloat16S0_LN4vllm18Fp8KVCacheDataTypeE0ES0_Li32ELi128ELi256ELb1ELi11EEvPKT_PKT0_S8_ifPKiSA_SA_iPKfiiiPfSD_PS3_PT2_iSC_SC_
    .private_segment_fixed_size: 64
    .sgpr_count:     36
    .sgpr_spill_count: 0
    .symbol:         _Z39paged_attention_ll4mi_QKV_mfma16_kernelI14__hip_bfloat16S0_LN4vllm18Fp8KVCacheDataTypeE0ES0_Li32ELi128ELi256ELb1ELi11EEvPKT_PKT0_S8_ifPKiSA_SA_iPKfiiiPfSD_PS3_PT2_iSC_SC_.kd
    .uniform_work_group_size: 1
    .uses_dynamic_stack: false
    .vgpr_count:     51
    .vgpr_spill_count: 0
    .wavefront_size: 32
  - .args:
      - .actual_access:  read_only
        .address_space:  global
        .offset:         0
        .size:           8
        .value_kind:     global_buffer
      - .actual_access:  read_only
        .address_space:  global
        .offset:         8
        .size:           8
        .value_kind:     global_buffer
      - .actual_access:  read_only
        .address_space:  global
        .offset:         16
        .size:           8
        .value_kind:     global_buffer
      - .offset:         24
        .size:           4
        .value_kind:     by_value
      - .offset:         28
        .size:           4
        .value_kind:     by_value
      - .actual_access:  read_only
        .address_space:  global
        .offset:         32
        .size:           8
        .value_kind:     global_buffer
      - .actual_access:  read_only
        .address_space:  global
        .offset:         40
        .size:           8
        .value_kind:     global_buffer
      - .actual_access:  read_only
        .address_space:  global
        .offset:         48
        .size:           8
        .value_kind:     global_buffer
      - .offset:         56
        .size:           4
        .value_kind:     by_value
      - .actual_access:  read_only
        .address_space:  global
        .offset:         64
        .size:           8
        .value_kind:     global_buffer
      - .offset:         72
        .size:           4
        .value_kind:     by_value
      - .offset:         76
        .size:           4
        .value_kind:     by_value
      - .offset:         80
        .size:           4
        .value_kind:     by_value
      - .actual_access:  read_only
        .address_space:  global
        .offset:         88
        .size:           8
        .value_kind:     global_buffer
      - .actual_access:  read_only
        .address_space:  global
        .offset:         96
        .size:           8
        .value_kind:     global_buffer
      - .actual_access:  read_only
        .address_space:  global
        .offset:         104
        .size:           8
        .value_kind:     global_buffer
      - .actual_access:  read_only
        .address_space:  global
        .offset:         112
        .size:           8
        .value_kind:     global_buffer
      - .offset:         120
        .size:           4
        .value_kind:     by_value
      - .address_space:  global
        .offset:         128
        .size:           8
        .value_kind:     global_buffer
      - .address_space:  global
        .offset:         136
        .size:           8
        .value_kind:     global_buffer
      - .offset:         144
        .size:           4
        .value_kind:     hidden_block_count_x
      - .offset:         148
        .size:           4
        .value_kind:     hidden_block_count_y
      - .offset:         152
        .size:           4
        .value_kind:     hidden_block_count_z
      - .offset:         156
        .size:           2
        .value_kind:     hidden_group_size_x
      - .offset:         158
        .size:           2
        .value_kind:     hidden_group_size_y
      - .offset:         160
        .size:           2
        .value_kind:     hidden_group_size_z
      - .offset:         162
        .size:           2
        .value_kind:     hidden_remainder_x
      - .offset:         164
        .size:           2
        .value_kind:     hidden_remainder_y
      - .offset:         166
        .size:           2
        .value_kind:     hidden_remainder_z
      - .offset:         184
        .size:           8
        .value_kind:     hidden_global_offset_x
      - .offset:         192
        .size:           8
        .value_kind:     hidden_global_offset_y
      - .offset:         200
        .size:           8
        .value_kind:     hidden_global_offset_z
      - .offset:         208
        .size:           2
        .value_kind:     hidden_grid_dims
      - .offset:         224
        .size:           8
        .value_kind:     hidden_hostcall_buffer
    .group_segment_fixed_size: 0
    .kernarg_segment_align: 8
    .kernarg_segment_size: 400
    .language:       OpenCL C
    .language_version:
      - 2
      - 0
    .max_flat_workgroup_size: 256
    .name:           _Z39paged_attention_ll4mi_QKV_mfma16_kernelI14__hip_bfloat16S0_LN4vllm18Fp8KVCacheDataTypeE0ES0_Li32ELi128ELi256ELb1ELi12EEvPKT_PKT0_S8_ifPKiSA_SA_iPKfiiiPfSD_PS3_PT2_iSC_SC_
    .private_segment_fixed_size: 64
    .sgpr_count:     36
    .sgpr_spill_count: 0
    .symbol:         _Z39paged_attention_ll4mi_QKV_mfma16_kernelI14__hip_bfloat16S0_LN4vllm18Fp8KVCacheDataTypeE0ES0_Li32ELi128ELi256ELb1ELi12EEvPKT_PKT0_S8_ifPKiSA_SA_iPKfiiiPfSD_PS3_PT2_iSC_SC_.kd
    .uniform_work_group_size: 1
    .uses_dynamic_stack: false
    .vgpr_count:     51
    .vgpr_spill_count: 0
    .wavefront_size: 32
  - .args:
      - .actual_access:  read_only
        .address_space:  global
        .offset:         0
        .size:           8
        .value_kind:     global_buffer
      - .actual_access:  read_only
        .address_space:  global
        .offset:         8
        .size:           8
        .value_kind:     global_buffer
      - .actual_access:  read_only
        .address_space:  global
        .offset:         16
        .size:           8
        .value_kind:     global_buffer
      - .offset:         24
        .size:           4
        .value_kind:     by_value
      - .offset:         28
        .size:           4
        .value_kind:     by_value
      - .actual_access:  read_only
        .address_space:  global
        .offset:         32
        .size:           8
        .value_kind:     global_buffer
      - .actual_access:  read_only
        .address_space:  global
        .offset:         40
        .size:           8
        .value_kind:     global_buffer
      - .actual_access:  read_only
        .address_space:  global
        .offset:         48
        .size:           8
        .value_kind:     global_buffer
      - .offset:         56
        .size:           4
        .value_kind:     by_value
      - .actual_access:  read_only
        .address_space:  global
        .offset:         64
        .size:           8
        .value_kind:     global_buffer
      - .offset:         72
        .size:           4
        .value_kind:     by_value
      - .offset:         76
        .size:           4
        .value_kind:     by_value
      - .offset:         80
        .size:           4
        .value_kind:     by_value
      - .actual_access:  read_only
        .address_space:  global
        .offset:         88
        .size:           8
        .value_kind:     global_buffer
      - .actual_access:  read_only
        .address_space:  global
        .offset:         96
        .size:           8
        .value_kind:     global_buffer
      - .actual_access:  read_only
        .address_space:  global
        .offset:         104
        .size:           8
        .value_kind:     global_buffer
      - .actual_access:  read_only
        .address_space:  global
        .offset:         112
        .size:           8
        .value_kind:     global_buffer
      - .offset:         120
        .size:           4
        .value_kind:     by_value
      - .address_space:  global
        .offset:         128
        .size:           8
        .value_kind:     global_buffer
      - .address_space:  global
        .offset:         136
        .size:           8
        .value_kind:     global_buffer
      - .offset:         144
        .size:           4
        .value_kind:     hidden_block_count_x
      - .offset:         148
        .size:           4
        .value_kind:     hidden_block_count_y
      - .offset:         152
        .size:           4
        .value_kind:     hidden_block_count_z
      - .offset:         156
        .size:           2
        .value_kind:     hidden_group_size_x
      - .offset:         158
        .size:           2
        .value_kind:     hidden_group_size_y
      - .offset:         160
        .size:           2
        .value_kind:     hidden_group_size_z
      - .offset:         162
        .size:           2
        .value_kind:     hidden_remainder_x
      - .offset:         164
        .size:           2
        .value_kind:     hidden_remainder_y
      - .offset:         166
        .size:           2
        .value_kind:     hidden_remainder_z
      - .offset:         184
        .size:           8
        .value_kind:     hidden_global_offset_x
      - .offset:         192
        .size:           8
        .value_kind:     hidden_global_offset_y
      - .offset:         200
        .size:           8
        .value_kind:     hidden_global_offset_z
      - .offset:         208
        .size:           2
        .value_kind:     hidden_grid_dims
      - .offset:         224
        .size:           8
        .value_kind:     hidden_hostcall_buffer
    .group_segment_fixed_size: 0
    .kernarg_segment_align: 8
    .kernarg_segment_size: 400
    .language:       OpenCL C
    .language_version:
      - 2
      - 0
    .max_flat_workgroup_size: 256
    .name:           _Z39paged_attention_ll4mi_QKV_mfma16_kernelI14__hip_bfloat16S0_LN4vllm18Fp8KVCacheDataTypeE0ES0_Li32ELi128ELi256ELb1ELi13EEvPKT_PKT0_S8_ifPKiSA_SA_iPKfiiiPfSD_PS3_PT2_iSC_SC_
    .private_segment_fixed_size: 64
    .sgpr_count:     36
    .sgpr_spill_count: 0
    .symbol:         _Z39paged_attention_ll4mi_QKV_mfma16_kernelI14__hip_bfloat16S0_LN4vllm18Fp8KVCacheDataTypeE0ES0_Li32ELi128ELi256ELb1ELi13EEvPKT_PKT0_S8_ifPKiSA_SA_iPKfiiiPfSD_PS3_PT2_iSC_SC_.kd
    .uniform_work_group_size: 1
    .uses_dynamic_stack: false
    .vgpr_count:     51
    .vgpr_spill_count: 0
    .wavefront_size: 32
  - .args:
      - .actual_access:  read_only
        .address_space:  global
        .offset:         0
        .size:           8
        .value_kind:     global_buffer
      - .actual_access:  read_only
        .address_space:  global
        .offset:         8
        .size:           8
        .value_kind:     global_buffer
      - .actual_access:  read_only
        .address_space:  global
        .offset:         16
        .size:           8
        .value_kind:     global_buffer
      - .offset:         24
        .size:           4
        .value_kind:     by_value
      - .offset:         28
        .size:           4
        .value_kind:     by_value
      - .actual_access:  read_only
        .address_space:  global
        .offset:         32
        .size:           8
        .value_kind:     global_buffer
      - .actual_access:  read_only
        .address_space:  global
        .offset:         40
        .size:           8
        .value_kind:     global_buffer
      - .actual_access:  read_only
        .address_space:  global
        .offset:         48
        .size:           8
        .value_kind:     global_buffer
      - .offset:         56
        .size:           4
        .value_kind:     by_value
      - .actual_access:  read_only
        .address_space:  global
        .offset:         64
        .size:           8
        .value_kind:     global_buffer
      - .offset:         72
        .size:           4
        .value_kind:     by_value
      - .offset:         76
        .size:           4
        .value_kind:     by_value
      - .offset:         80
        .size:           4
        .value_kind:     by_value
      - .actual_access:  read_only
        .address_space:  global
        .offset:         88
        .size:           8
        .value_kind:     global_buffer
      - .actual_access:  read_only
        .address_space:  global
        .offset:         96
        .size:           8
        .value_kind:     global_buffer
      - .actual_access:  read_only
        .address_space:  global
        .offset:         104
        .size:           8
        .value_kind:     global_buffer
      - .actual_access:  read_only
        .address_space:  global
        .offset:         112
        .size:           8
        .value_kind:     global_buffer
      - .offset:         120
        .size:           4
        .value_kind:     by_value
      - .address_space:  global
        .offset:         128
        .size:           8
        .value_kind:     global_buffer
      - .address_space:  global
        .offset:         136
        .size:           8
        .value_kind:     global_buffer
      - .offset:         144
        .size:           4
        .value_kind:     hidden_block_count_x
      - .offset:         148
        .size:           4
        .value_kind:     hidden_block_count_y
      - .offset:         152
        .size:           4
        .value_kind:     hidden_block_count_z
      - .offset:         156
        .size:           2
        .value_kind:     hidden_group_size_x
      - .offset:         158
        .size:           2
        .value_kind:     hidden_group_size_y
      - .offset:         160
        .size:           2
        .value_kind:     hidden_group_size_z
      - .offset:         162
        .size:           2
        .value_kind:     hidden_remainder_x
      - .offset:         164
        .size:           2
        .value_kind:     hidden_remainder_y
      - .offset:         166
        .size:           2
        .value_kind:     hidden_remainder_z
      - .offset:         184
        .size:           8
        .value_kind:     hidden_global_offset_x
      - .offset:         192
        .size:           8
        .value_kind:     hidden_global_offset_y
      - .offset:         200
        .size:           8
        .value_kind:     hidden_global_offset_z
      - .offset:         208
        .size:           2
        .value_kind:     hidden_grid_dims
      - .offset:         224
        .size:           8
        .value_kind:     hidden_hostcall_buffer
    .group_segment_fixed_size: 0
    .kernarg_segment_align: 8
    .kernarg_segment_size: 400
    .language:       OpenCL C
    .language_version:
      - 2
      - 0
    .max_flat_workgroup_size: 256
    .name:           _Z39paged_attention_ll4mi_QKV_mfma16_kernelI14__hip_bfloat16S0_LN4vllm18Fp8KVCacheDataTypeE0ES0_Li32ELi128ELi256ELb1ELi14EEvPKT_PKT0_S8_ifPKiSA_SA_iPKfiiiPfSD_PS3_PT2_iSC_SC_
    .private_segment_fixed_size: 64
    .sgpr_count:     36
    .sgpr_spill_count: 0
    .symbol:         _Z39paged_attention_ll4mi_QKV_mfma16_kernelI14__hip_bfloat16S0_LN4vllm18Fp8KVCacheDataTypeE0ES0_Li32ELi128ELi256ELb1ELi14EEvPKT_PKT0_S8_ifPKiSA_SA_iPKfiiiPfSD_PS3_PT2_iSC_SC_.kd
    .uniform_work_group_size: 1
    .uses_dynamic_stack: false
    .vgpr_count:     51
    .vgpr_spill_count: 0
    .wavefront_size: 32
  - .args:
      - .actual_access:  read_only
        .address_space:  global
        .offset:         0
        .size:           8
        .value_kind:     global_buffer
      - .actual_access:  read_only
        .address_space:  global
        .offset:         8
        .size:           8
        .value_kind:     global_buffer
      - .actual_access:  read_only
        .address_space:  global
        .offset:         16
        .size:           8
        .value_kind:     global_buffer
      - .offset:         24
        .size:           4
        .value_kind:     by_value
      - .offset:         28
        .size:           4
        .value_kind:     by_value
      - .actual_access:  read_only
        .address_space:  global
        .offset:         32
        .size:           8
        .value_kind:     global_buffer
      - .actual_access:  read_only
        .address_space:  global
        .offset:         40
        .size:           8
        .value_kind:     global_buffer
      - .actual_access:  read_only
        .address_space:  global
        .offset:         48
        .size:           8
        .value_kind:     global_buffer
      - .offset:         56
        .size:           4
        .value_kind:     by_value
      - .actual_access:  read_only
        .address_space:  global
        .offset:         64
        .size:           8
        .value_kind:     global_buffer
      - .offset:         72
        .size:           4
        .value_kind:     by_value
      - .offset:         76
        .size:           4
        .value_kind:     by_value
      - .offset:         80
        .size:           4
        .value_kind:     by_value
      - .actual_access:  read_only
        .address_space:  global
        .offset:         88
        .size:           8
        .value_kind:     global_buffer
      - .actual_access:  read_only
        .address_space:  global
        .offset:         96
        .size:           8
        .value_kind:     global_buffer
      - .actual_access:  read_only
        .address_space:  global
        .offset:         104
        .size:           8
        .value_kind:     global_buffer
      - .actual_access:  read_only
        .address_space:  global
        .offset:         112
        .size:           8
        .value_kind:     global_buffer
      - .offset:         120
        .size:           4
        .value_kind:     by_value
      - .address_space:  global
        .offset:         128
        .size:           8
        .value_kind:     global_buffer
      - .address_space:  global
        .offset:         136
        .size:           8
        .value_kind:     global_buffer
      - .offset:         144
        .size:           4
        .value_kind:     hidden_block_count_x
      - .offset:         148
        .size:           4
        .value_kind:     hidden_block_count_y
      - .offset:         152
        .size:           4
        .value_kind:     hidden_block_count_z
      - .offset:         156
        .size:           2
        .value_kind:     hidden_group_size_x
      - .offset:         158
        .size:           2
        .value_kind:     hidden_group_size_y
      - .offset:         160
        .size:           2
        .value_kind:     hidden_group_size_z
      - .offset:         162
        .size:           2
        .value_kind:     hidden_remainder_x
      - .offset:         164
        .size:           2
        .value_kind:     hidden_remainder_y
      - .offset:         166
        .size:           2
        .value_kind:     hidden_remainder_z
      - .offset:         184
        .size:           8
        .value_kind:     hidden_global_offset_x
      - .offset:         192
        .size:           8
        .value_kind:     hidden_global_offset_y
      - .offset:         200
        .size:           8
        .value_kind:     hidden_global_offset_z
      - .offset:         208
        .size:           2
        .value_kind:     hidden_grid_dims
      - .offset:         224
        .size:           8
        .value_kind:     hidden_hostcall_buffer
    .group_segment_fixed_size: 0
    .kernarg_segment_align: 8
    .kernarg_segment_size: 400
    .language:       OpenCL C
    .language_version:
      - 2
      - 0
    .max_flat_workgroup_size: 256
    .name:           _Z39paged_attention_ll4mi_QKV_mfma16_kernelI14__hip_bfloat16S0_LN4vllm18Fp8KVCacheDataTypeE0ES0_Li32ELi128ELi256ELb1ELi15EEvPKT_PKT0_S8_ifPKiSA_SA_iPKfiiiPfSD_PS3_PT2_iSC_SC_
    .private_segment_fixed_size: 64
    .sgpr_count:     36
    .sgpr_spill_count: 0
    .symbol:         _Z39paged_attention_ll4mi_QKV_mfma16_kernelI14__hip_bfloat16S0_LN4vllm18Fp8KVCacheDataTypeE0ES0_Li32ELi128ELi256ELb1ELi15EEvPKT_PKT0_S8_ifPKiSA_SA_iPKfiiiPfSD_PS3_PT2_iSC_SC_.kd
    .uniform_work_group_size: 1
    .uses_dynamic_stack: false
    .vgpr_count:     51
    .vgpr_spill_count: 0
    .wavefront_size: 32
  - .args:
      - .actual_access:  read_only
        .address_space:  global
        .offset:         0
        .size:           8
        .value_kind:     global_buffer
      - .actual_access:  read_only
        .address_space:  global
        .offset:         8
        .size:           8
        .value_kind:     global_buffer
      - .actual_access:  read_only
        .address_space:  global
        .offset:         16
        .size:           8
        .value_kind:     global_buffer
      - .offset:         24
        .size:           4
        .value_kind:     by_value
      - .offset:         28
        .size:           4
        .value_kind:     by_value
      - .actual_access:  read_only
        .address_space:  global
        .offset:         32
        .size:           8
        .value_kind:     global_buffer
      - .actual_access:  read_only
        .address_space:  global
        .offset:         40
        .size:           8
        .value_kind:     global_buffer
      - .actual_access:  read_only
        .address_space:  global
        .offset:         48
        .size:           8
        .value_kind:     global_buffer
      - .offset:         56
        .size:           4
        .value_kind:     by_value
      - .actual_access:  read_only
        .address_space:  global
        .offset:         64
        .size:           8
        .value_kind:     global_buffer
      - .offset:         72
        .size:           4
        .value_kind:     by_value
      - .offset:         76
        .size:           4
        .value_kind:     by_value
      - .offset:         80
        .size:           4
        .value_kind:     by_value
      - .actual_access:  read_only
        .address_space:  global
        .offset:         88
        .size:           8
        .value_kind:     global_buffer
      - .actual_access:  read_only
        .address_space:  global
        .offset:         96
        .size:           8
        .value_kind:     global_buffer
      - .actual_access:  read_only
        .address_space:  global
        .offset:         104
        .size:           8
        .value_kind:     global_buffer
      - .actual_access:  read_only
        .address_space:  global
        .offset:         112
        .size:           8
        .value_kind:     global_buffer
      - .offset:         120
        .size:           4
        .value_kind:     by_value
      - .address_space:  global
        .offset:         128
        .size:           8
        .value_kind:     global_buffer
      - .address_space:  global
        .offset:         136
        .size:           8
        .value_kind:     global_buffer
      - .offset:         144
        .size:           4
        .value_kind:     hidden_block_count_x
      - .offset:         148
        .size:           4
        .value_kind:     hidden_block_count_y
      - .offset:         152
        .size:           4
        .value_kind:     hidden_block_count_z
      - .offset:         156
        .size:           2
        .value_kind:     hidden_group_size_x
      - .offset:         158
        .size:           2
        .value_kind:     hidden_group_size_y
      - .offset:         160
        .size:           2
        .value_kind:     hidden_group_size_z
      - .offset:         162
        .size:           2
        .value_kind:     hidden_remainder_x
      - .offset:         164
        .size:           2
        .value_kind:     hidden_remainder_y
      - .offset:         166
        .size:           2
        .value_kind:     hidden_remainder_z
      - .offset:         184
        .size:           8
        .value_kind:     hidden_global_offset_x
      - .offset:         192
        .size:           8
        .value_kind:     hidden_global_offset_y
      - .offset:         200
        .size:           8
        .value_kind:     hidden_global_offset_z
      - .offset:         208
        .size:           2
        .value_kind:     hidden_grid_dims
      - .offset:         224
        .size:           8
        .value_kind:     hidden_hostcall_buffer
    .group_segment_fixed_size: 0
    .kernarg_segment_align: 8
    .kernarg_segment_size: 400
    .language:       OpenCL C
    .language_version:
      - 2
      - 0
    .max_flat_workgroup_size: 256
    .name:           _Z39paged_attention_ll4mi_QKV_mfma16_kernelI14__hip_bfloat16S0_LN4vllm18Fp8KVCacheDataTypeE0ES0_Li32ELi128ELi256ELb1ELi16EEvPKT_PKT0_S8_ifPKiSA_SA_iPKfiiiPfSD_PS3_PT2_iSC_SC_
    .private_segment_fixed_size: 64
    .sgpr_count:     36
    .sgpr_spill_count: 0
    .symbol:         _Z39paged_attention_ll4mi_QKV_mfma16_kernelI14__hip_bfloat16S0_LN4vllm18Fp8KVCacheDataTypeE0ES0_Li32ELi128ELi256ELb1ELi16EEvPKT_PKT0_S8_ifPKiSA_SA_iPKfiiiPfSD_PS3_PT2_iSC_SC_.kd
    .uniform_work_group_size: 1
    .uses_dynamic_stack: false
    .vgpr_count:     51
    .vgpr_spill_count: 0
    .wavefront_size: 32
  - .args:
      - .actual_access:  read_only
        .address_space:  global
        .offset:         0
        .size:           8
        .value_kind:     global_buffer
      - .actual_access:  read_only
        .address_space:  global
        .offset:         8
        .size:           8
        .value_kind:     global_buffer
      - .actual_access:  read_only
        .address_space:  global
        .offset:         16
        .size:           8
        .value_kind:     global_buffer
      - .offset:         24
        .size:           4
        .value_kind:     by_value
      - .offset:         28
        .size:           4
        .value_kind:     by_value
      - .actual_access:  read_only
        .address_space:  global
        .offset:         32
        .size:           8
        .value_kind:     global_buffer
      - .actual_access:  read_only
        .address_space:  global
        .offset:         40
        .size:           8
        .value_kind:     global_buffer
      - .actual_access:  read_only
        .address_space:  global
        .offset:         48
        .size:           8
        .value_kind:     global_buffer
      - .offset:         56
        .size:           4
        .value_kind:     by_value
      - .actual_access:  read_only
        .address_space:  global
        .offset:         64
        .size:           8
        .value_kind:     global_buffer
      - .offset:         72
        .size:           4
        .value_kind:     by_value
      - .offset:         76
        .size:           4
        .value_kind:     by_value
      - .offset:         80
        .size:           4
        .value_kind:     by_value
      - .actual_access:  read_only
        .address_space:  global
        .offset:         88
        .size:           8
        .value_kind:     global_buffer
      - .actual_access:  read_only
        .address_space:  global
        .offset:         96
        .size:           8
        .value_kind:     global_buffer
      - .actual_access:  read_only
        .address_space:  global
        .offset:         104
        .size:           8
        .value_kind:     global_buffer
      - .actual_access:  read_only
        .address_space:  global
        .offset:         112
        .size:           8
        .value_kind:     global_buffer
      - .offset:         120
        .size:           4
        .value_kind:     by_value
      - .address_space:  global
        .offset:         128
        .size:           8
        .value_kind:     global_buffer
      - .address_space:  global
        .offset:         136
        .size:           8
        .value_kind:     global_buffer
      - .offset:         144
        .size:           4
        .value_kind:     hidden_block_count_x
      - .offset:         148
        .size:           4
        .value_kind:     hidden_block_count_y
      - .offset:         152
        .size:           4
        .value_kind:     hidden_block_count_z
      - .offset:         156
        .size:           2
        .value_kind:     hidden_group_size_x
      - .offset:         158
        .size:           2
        .value_kind:     hidden_group_size_y
      - .offset:         160
        .size:           2
        .value_kind:     hidden_group_size_z
      - .offset:         162
        .size:           2
        .value_kind:     hidden_remainder_x
      - .offset:         164
        .size:           2
        .value_kind:     hidden_remainder_y
      - .offset:         166
        .size:           2
        .value_kind:     hidden_remainder_z
      - .offset:         184
        .size:           8
        .value_kind:     hidden_global_offset_x
      - .offset:         192
        .size:           8
        .value_kind:     hidden_global_offset_y
      - .offset:         200
        .size:           8
        .value_kind:     hidden_global_offset_z
      - .offset:         208
        .size:           2
        .value_kind:     hidden_grid_dims
      - .offset:         224
        .size:           8
        .value_kind:     hidden_hostcall_buffer
    .group_segment_fixed_size: 0
    .kernarg_segment_align: 8
    .kernarg_segment_size: 400
    .language:       OpenCL C
    .language_version:
      - 2
      - 0
    .max_flat_workgroup_size: 256
    .name:           _Z39paged_attention_ll4mi_QKV_mfma16_kernelI14__hip_bfloat16S0_LN4vllm18Fp8KVCacheDataTypeE0ES0_Li32ELi128ELi256ELb1ELi1EEvPKT_PKT0_S8_ifPKiSA_SA_iPKfiiiPfSD_PS3_PT2_iSC_SC_
    .private_segment_fixed_size: 64
    .sgpr_count:     36
    .sgpr_spill_count: 0
    .symbol:         _Z39paged_attention_ll4mi_QKV_mfma16_kernelI14__hip_bfloat16S0_LN4vllm18Fp8KVCacheDataTypeE0ES0_Li32ELi128ELi256ELb1ELi1EEvPKT_PKT0_S8_ifPKiSA_SA_iPKfiiiPfSD_PS3_PT2_iSC_SC_.kd
    .uniform_work_group_size: 1
    .uses_dynamic_stack: false
    .vgpr_count:     51
    .vgpr_spill_count: 0
    .wavefront_size: 32
  - .args:
      - .actual_access:  read_only
        .address_space:  global
        .offset:         0
        .size:           8
        .value_kind:     global_buffer
      - .actual_access:  read_only
        .address_space:  global
        .offset:         8
        .size:           8
        .value_kind:     global_buffer
      - .actual_access:  read_only
        .address_space:  global
        .offset:         16
        .size:           8
        .value_kind:     global_buffer
      - .offset:         24
        .size:           4
        .value_kind:     by_value
      - .offset:         28
        .size:           4
        .value_kind:     by_value
      - .actual_access:  read_only
        .address_space:  global
        .offset:         32
        .size:           8
        .value_kind:     global_buffer
      - .actual_access:  read_only
        .address_space:  global
        .offset:         40
        .size:           8
        .value_kind:     global_buffer
      - .actual_access:  read_only
        .address_space:  global
        .offset:         48
        .size:           8
        .value_kind:     global_buffer
      - .offset:         56
        .size:           4
        .value_kind:     by_value
      - .actual_access:  read_only
        .address_space:  global
        .offset:         64
        .size:           8
        .value_kind:     global_buffer
      - .offset:         72
        .size:           4
        .value_kind:     by_value
      - .offset:         76
        .size:           4
        .value_kind:     by_value
      - .offset:         80
        .size:           4
        .value_kind:     by_value
      - .actual_access:  read_only
        .address_space:  global
        .offset:         88
        .size:           8
        .value_kind:     global_buffer
      - .actual_access:  read_only
        .address_space:  global
        .offset:         96
        .size:           8
        .value_kind:     global_buffer
      - .actual_access:  read_only
        .address_space:  global
        .offset:         104
        .size:           8
        .value_kind:     global_buffer
      - .actual_access:  read_only
        .address_space:  global
        .offset:         112
        .size:           8
        .value_kind:     global_buffer
      - .offset:         120
        .size:           4
        .value_kind:     by_value
      - .address_space:  global
        .offset:         128
        .size:           8
        .value_kind:     global_buffer
      - .address_space:  global
        .offset:         136
        .size:           8
        .value_kind:     global_buffer
      - .offset:         144
        .size:           4
        .value_kind:     hidden_block_count_x
      - .offset:         148
        .size:           4
        .value_kind:     hidden_block_count_y
      - .offset:         152
        .size:           4
        .value_kind:     hidden_block_count_z
      - .offset:         156
        .size:           2
        .value_kind:     hidden_group_size_x
      - .offset:         158
        .size:           2
        .value_kind:     hidden_group_size_y
      - .offset:         160
        .size:           2
        .value_kind:     hidden_group_size_z
      - .offset:         162
        .size:           2
        .value_kind:     hidden_remainder_x
      - .offset:         164
        .size:           2
        .value_kind:     hidden_remainder_y
      - .offset:         166
        .size:           2
        .value_kind:     hidden_remainder_z
      - .offset:         184
        .size:           8
        .value_kind:     hidden_global_offset_x
      - .offset:         192
        .size:           8
        .value_kind:     hidden_global_offset_y
      - .offset:         200
        .size:           8
        .value_kind:     hidden_global_offset_z
      - .offset:         208
        .size:           2
        .value_kind:     hidden_grid_dims
      - .offset:         224
        .size:           8
        .value_kind:     hidden_hostcall_buffer
    .group_segment_fixed_size: 0
    .kernarg_segment_align: 8
    .kernarg_segment_size: 400
    .language:       OpenCL C
    .language_version:
      - 2
      - 0
    .max_flat_workgroup_size: 256
    .name:           _Z39paged_attention_ll4mi_QKV_mfma16_kernelI14__hip_bfloat16S0_LN4vllm18Fp8KVCacheDataTypeE0ES0_Li32ELi128ELi256ELb1ELi2EEvPKT_PKT0_S8_ifPKiSA_SA_iPKfiiiPfSD_PS3_PT2_iSC_SC_
    .private_segment_fixed_size: 64
    .sgpr_count:     36
    .sgpr_spill_count: 0
    .symbol:         _Z39paged_attention_ll4mi_QKV_mfma16_kernelI14__hip_bfloat16S0_LN4vllm18Fp8KVCacheDataTypeE0ES0_Li32ELi128ELi256ELb1ELi2EEvPKT_PKT0_S8_ifPKiSA_SA_iPKfiiiPfSD_PS3_PT2_iSC_SC_.kd
    .uniform_work_group_size: 1
    .uses_dynamic_stack: false
    .vgpr_count:     51
    .vgpr_spill_count: 0
    .wavefront_size: 32
  - .args:
      - .actual_access:  read_only
        .address_space:  global
        .offset:         0
        .size:           8
        .value_kind:     global_buffer
      - .actual_access:  read_only
        .address_space:  global
        .offset:         8
        .size:           8
        .value_kind:     global_buffer
      - .actual_access:  read_only
        .address_space:  global
        .offset:         16
        .size:           8
        .value_kind:     global_buffer
      - .offset:         24
        .size:           4
        .value_kind:     by_value
      - .offset:         28
        .size:           4
        .value_kind:     by_value
      - .actual_access:  read_only
        .address_space:  global
        .offset:         32
        .size:           8
        .value_kind:     global_buffer
      - .actual_access:  read_only
        .address_space:  global
        .offset:         40
        .size:           8
        .value_kind:     global_buffer
      - .actual_access:  read_only
        .address_space:  global
        .offset:         48
        .size:           8
        .value_kind:     global_buffer
      - .offset:         56
        .size:           4
        .value_kind:     by_value
      - .actual_access:  read_only
        .address_space:  global
        .offset:         64
        .size:           8
        .value_kind:     global_buffer
      - .offset:         72
        .size:           4
        .value_kind:     by_value
      - .offset:         76
        .size:           4
        .value_kind:     by_value
      - .offset:         80
        .size:           4
        .value_kind:     by_value
      - .actual_access:  read_only
        .address_space:  global
        .offset:         88
        .size:           8
        .value_kind:     global_buffer
      - .actual_access:  read_only
        .address_space:  global
        .offset:         96
        .size:           8
        .value_kind:     global_buffer
      - .actual_access:  read_only
        .address_space:  global
        .offset:         104
        .size:           8
        .value_kind:     global_buffer
      - .actual_access:  read_only
        .address_space:  global
        .offset:         112
        .size:           8
        .value_kind:     global_buffer
      - .offset:         120
        .size:           4
        .value_kind:     by_value
      - .address_space:  global
        .offset:         128
        .size:           8
        .value_kind:     global_buffer
      - .address_space:  global
        .offset:         136
        .size:           8
        .value_kind:     global_buffer
      - .offset:         144
        .size:           4
        .value_kind:     hidden_block_count_x
      - .offset:         148
        .size:           4
        .value_kind:     hidden_block_count_y
      - .offset:         152
        .size:           4
        .value_kind:     hidden_block_count_z
      - .offset:         156
        .size:           2
        .value_kind:     hidden_group_size_x
      - .offset:         158
        .size:           2
        .value_kind:     hidden_group_size_y
      - .offset:         160
        .size:           2
        .value_kind:     hidden_group_size_z
      - .offset:         162
        .size:           2
        .value_kind:     hidden_remainder_x
      - .offset:         164
        .size:           2
        .value_kind:     hidden_remainder_y
      - .offset:         166
        .size:           2
        .value_kind:     hidden_remainder_z
      - .offset:         184
        .size:           8
        .value_kind:     hidden_global_offset_x
      - .offset:         192
        .size:           8
        .value_kind:     hidden_global_offset_y
      - .offset:         200
        .size:           8
        .value_kind:     hidden_global_offset_z
      - .offset:         208
        .size:           2
        .value_kind:     hidden_grid_dims
      - .offset:         224
        .size:           8
        .value_kind:     hidden_hostcall_buffer
    .group_segment_fixed_size: 0
    .kernarg_segment_align: 8
    .kernarg_segment_size: 400
    .language:       OpenCL C
    .language_version:
      - 2
      - 0
    .max_flat_workgroup_size: 256
    .name:           _Z39paged_attention_ll4mi_QKV_mfma16_kernelI14__hip_bfloat16S0_LN4vllm18Fp8KVCacheDataTypeE0ES0_Li32ELi128ELi256ELb1ELi3EEvPKT_PKT0_S8_ifPKiSA_SA_iPKfiiiPfSD_PS3_PT2_iSC_SC_
    .private_segment_fixed_size: 64
    .sgpr_count:     36
    .sgpr_spill_count: 0
    .symbol:         _Z39paged_attention_ll4mi_QKV_mfma16_kernelI14__hip_bfloat16S0_LN4vllm18Fp8KVCacheDataTypeE0ES0_Li32ELi128ELi256ELb1ELi3EEvPKT_PKT0_S8_ifPKiSA_SA_iPKfiiiPfSD_PS3_PT2_iSC_SC_.kd
    .uniform_work_group_size: 1
    .uses_dynamic_stack: false
    .vgpr_count:     51
    .vgpr_spill_count: 0
    .wavefront_size: 32
  - .args:
      - .actual_access:  read_only
        .address_space:  global
        .offset:         0
        .size:           8
        .value_kind:     global_buffer
      - .actual_access:  read_only
        .address_space:  global
        .offset:         8
        .size:           8
        .value_kind:     global_buffer
      - .actual_access:  read_only
        .address_space:  global
        .offset:         16
        .size:           8
        .value_kind:     global_buffer
      - .offset:         24
        .size:           4
        .value_kind:     by_value
      - .offset:         28
        .size:           4
        .value_kind:     by_value
      - .actual_access:  read_only
        .address_space:  global
        .offset:         32
        .size:           8
        .value_kind:     global_buffer
      - .actual_access:  read_only
        .address_space:  global
        .offset:         40
        .size:           8
        .value_kind:     global_buffer
      - .actual_access:  read_only
        .address_space:  global
        .offset:         48
        .size:           8
        .value_kind:     global_buffer
      - .offset:         56
        .size:           4
        .value_kind:     by_value
      - .actual_access:  read_only
        .address_space:  global
        .offset:         64
        .size:           8
        .value_kind:     global_buffer
      - .offset:         72
        .size:           4
        .value_kind:     by_value
      - .offset:         76
        .size:           4
        .value_kind:     by_value
      - .offset:         80
        .size:           4
        .value_kind:     by_value
      - .actual_access:  read_only
        .address_space:  global
        .offset:         88
        .size:           8
        .value_kind:     global_buffer
      - .actual_access:  read_only
        .address_space:  global
        .offset:         96
        .size:           8
        .value_kind:     global_buffer
      - .actual_access:  read_only
        .address_space:  global
        .offset:         104
        .size:           8
        .value_kind:     global_buffer
      - .actual_access:  read_only
        .address_space:  global
        .offset:         112
        .size:           8
        .value_kind:     global_buffer
      - .offset:         120
        .size:           4
        .value_kind:     by_value
      - .address_space:  global
        .offset:         128
        .size:           8
        .value_kind:     global_buffer
      - .address_space:  global
        .offset:         136
        .size:           8
        .value_kind:     global_buffer
      - .offset:         144
        .size:           4
        .value_kind:     hidden_block_count_x
      - .offset:         148
        .size:           4
        .value_kind:     hidden_block_count_y
      - .offset:         152
        .size:           4
        .value_kind:     hidden_block_count_z
      - .offset:         156
        .size:           2
        .value_kind:     hidden_group_size_x
      - .offset:         158
        .size:           2
        .value_kind:     hidden_group_size_y
      - .offset:         160
        .size:           2
        .value_kind:     hidden_group_size_z
      - .offset:         162
        .size:           2
        .value_kind:     hidden_remainder_x
      - .offset:         164
        .size:           2
        .value_kind:     hidden_remainder_y
      - .offset:         166
        .size:           2
        .value_kind:     hidden_remainder_z
      - .offset:         184
        .size:           8
        .value_kind:     hidden_global_offset_x
      - .offset:         192
        .size:           8
        .value_kind:     hidden_global_offset_y
      - .offset:         200
        .size:           8
        .value_kind:     hidden_global_offset_z
      - .offset:         208
        .size:           2
        .value_kind:     hidden_grid_dims
      - .offset:         224
        .size:           8
        .value_kind:     hidden_hostcall_buffer
    .group_segment_fixed_size: 0
    .kernarg_segment_align: 8
    .kernarg_segment_size: 400
    .language:       OpenCL C
    .language_version:
      - 2
      - 0
    .max_flat_workgroup_size: 256
    .name:           _Z39paged_attention_ll4mi_QKV_mfma16_kernelI14__hip_bfloat16S0_LN4vllm18Fp8KVCacheDataTypeE0ES0_Li32ELi128ELi256ELb1ELi4EEvPKT_PKT0_S8_ifPKiSA_SA_iPKfiiiPfSD_PS3_PT2_iSC_SC_
    .private_segment_fixed_size: 64
    .sgpr_count:     36
    .sgpr_spill_count: 0
    .symbol:         _Z39paged_attention_ll4mi_QKV_mfma16_kernelI14__hip_bfloat16S0_LN4vllm18Fp8KVCacheDataTypeE0ES0_Li32ELi128ELi256ELb1ELi4EEvPKT_PKT0_S8_ifPKiSA_SA_iPKfiiiPfSD_PS3_PT2_iSC_SC_.kd
    .uniform_work_group_size: 1
    .uses_dynamic_stack: false
    .vgpr_count:     51
    .vgpr_spill_count: 0
    .wavefront_size: 32
  - .args:
      - .actual_access:  read_only
        .address_space:  global
        .offset:         0
        .size:           8
        .value_kind:     global_buffer
      - .actual_access:  read_only
        .address_space:  global
        .offset:         8
        .size:           8
        .value_kind:     global_buffer
      - .actual_access:  read_only
        .address_space:  global
        .offset:         16
        .size:           8
        .value_kind:     global_buffer
      - .offset:         24
        .size:           4
        .value_kind:     by_value
      - .offset:         28
        .size:           4
        .value_kind:     by_value
      - .actual_access:  read_only
        .address_space:  global
        .offset:         32
        .size:           8
        .value_kind:     global_buffer
      - .actual_access:  read_only
        .address_space:  global
        .offset:         40
        .size:           8
        .value_kind:     global_buffer
      - .actual_access:  read_only
        .address_space:  global
        .offset:         48
        .size:           8
        .value_kind:     global_buffer
      - .offset:         56
        .size:           4
        .value_kind:     by_value
      - .actual_access:  read_only
        .address_space:  global
        .offset:         64
        .size:           8
        .value_kind:     global_buffer
      - .offset:         72
        .size:           4
        .value_kind:     by_value
      - .offset:         76
        .size:           4
        .value_kind:     by_value
      - .offset:         80
        .size:           4
        .value_kind:     by_value
      - .actual_access:  read_only
        .address_space:  global
        .offset:         88
        .size:           8
        .value_kind:     global_buffer
      - .actual_access:  read_only
        .address_space:  global
        .offset:         96
        .size:           8
        .value_kind:     global_buffer
      - .actual_access:  read_only
        .address_space:  global
        .offset:         104
        .size:           8
        .value_kind:     global_buffer
      - .actual_access:  read_only
        .address_space:  global
        .offset:         112
        .size:           8
        .value_kind:     global_buffer
      - .offset:         120
        .size:           4
        .value_kind:     by_value
      - .address_space:  global
        .offset:         128
        .size:           8
        .value_kind:     global_buffer
      - .address_space:  global
        .offset:         136
        .size:           8
        .value_kind:     global_buffer
      - .offset:         144
        .size:           4
        .value_kind:     hidden_block_count_x
      - .offset:         148
        .size:           4
        .value_kind:     hidden_block_count_y
      - .offset:         152
        .size:           4
        .value_kind:     hidden_block_count_z
      - .offset:         156
        .size:           2
        .value_kind:     hidden_group_size_x
      - .offset:         158
        .size:           2
        .value_kind:     hidden_group_size_y
      - .offset:         160
        .size:           2
        .value_kind:     hidden_group_size_z
      - .offset:         162
        .size:           2
        .value_kind:     hidden_remainder_x
      - .offset:         164
        .size:           2
        .value_kind:     hidden_remainder_y
      - .offset:         166
        .size:           2
        .value_kind:     hidden_remainder_z
      - .offset:         184
        .size:           8
        .value_kind:     hidden_global_offset_x
      - .offset:         192
        .size:           8
        .value_kind:     hidden_global_offset_y
      - .offset:         200
        .size:           8
        .value_kind:     hidden_global_offset_z
      - .offset:         208
        .size:           2
        .value_kind:     hidden_grid_dims
      - .offset:         224
        .size:           8
        .value_kind:     hidden_hostcall_buffer
    .group_segment_fixed_size: 0
    .kernarg_segment_align: 8
    .kernarg_segment_size: 400
    .language:       OpenCL C
    .language_version:
      - 2
      - 0
    .max_flat_workgroup_size: 256
    .name:           _Z38paged_attention_ll4mi_QKV_mfma4_kernelI14__hip_bfloat16S0_LN4vllm18Fp8KVCacheDataTypeE0ES0_Li32ELi128ELi256ELb0ELi1EEvPKT_PKT0_S8_ifPKiSA_SA_iPKfiiiPfSD_PS3_PT2_iSC_SC_
    .private_segment_fixed_size: 64
    .sgpr_count:     36
    .sgpr_spill_count: 0
    .symbol:         _Z38paged_attention_ll4mi_QKV_mfma4_kernelI14__hip_bfloat16S0_LN4vllm18Fp8KVCacheDataTypeE0ES0_Li32ELi128ELi256ELb0ELi1EEvPKT_PKT0_S8_ifPKiSA_SA_iPKfiiiPfSD_PS3_PT2_iSC_SC_.kd
    .uniform_work_group_size: 1
    .uses_dynamic_stack: false
    .vgpr_count:     51
    .vgpr_spill_count: 0
    .wavefront_size: 32
  - .args:
      - .actual_access:  read_only
        .address_space:  global
        .offset:         0
        .size:           8
        .value_kind:     global_buffer
      - .actual_access:  read_only
        .address_space:  global
        .offset:         8
        .size:           8
        .value_kind:     global_buffer
      - .actual_access:  read_only
        .address_space:  global
        .offset:         16
        .size:           8
        .value_kind:     global_buffer
      - .offset:         24
        .size:           4
        .value_kind:     by_value
      - .offset:         28
        .size:           4
        .value_kind:     by_value
      - .actual_access:  read_only
        .address_space:  global
        .offset:         32
        .size:           8
        .value_kind:     global_buffer
      - .actual_access:  read_only
        .address_space:  global
        .offset:         40
        .size:           8
        .value_kind:     global_buffer
      - .actual_access:  read_only
        .address_space:  global
        .offset:         48
        .size:           8
        .value_kind:     global_buffer
      - .offset:         56
        .size:           4
        .value_kind:     by_value
      - .actual_access:  read_only
        .address_space:  global
        .offset:         64
        .size:           8
        .value_kind:     global_buffer
      - .offset:         72
        .size:           4
        .value_kind:     by_value
      - .offset:         76
        .size:           4
        .value_kind:     by_value
      - .offset:         80
        .size:           4
        .value_kind:     by_value
      - .actual_access:  read_only
        .address_space:  global
        .offset:         88
        .size:           8
        .value_kind:     global_buffer
      - .actual_access:  read_only
        .address_space:  global
        .offset:         96
        .size:           8
        .value_kind:     global_buffer
      - .actual_access:  read_only
        .address_space:  global
        .offset:         104
        .size:           8
        .value_kind:     global_buffer
      - .actual_access:  read_only
        .address_space:  global
        .offset:         112
        .size:           8
        .value_kind:     global_buffer
      - .offset:         120
        .size:           4
        .value_kind:     by_value
      - .address_space:  global
        .offset:         128
        .size:           8
        .value_kind:     global_buffer
      - .address_space:  global
        .offset:         136
        .size:           8
        .value_kind:     global_buffer
      - .offset:         144
        .size:           4
        .value_kind:     hidden_block_count_x
      - .offset:         148
        .size:           4
        .value_kind:     hidden_block_count_y
      - .offset:         152
        .size:           4
        .value_kind:     hidden_block_count_z
      - .offset:         156
        .size:           2
        .value_kind:     hidden_group_size_x
      - .offset:         158
        .size:           2
        .value_kind:     hidden_group_size_y
      - .offset:         160
        .size:           2
        .value_kind:     hidden_group_size_z
      - .offset:         162
        .size:           2
        .value_kind:     hidden_remainder_x
      - .offset:         164
        .size:           2
        .value_kind:     hidden_remainder_y
      - .offset:         166
        .size:           2
        .value_kind:     hidden_remainder_z
      - .offset:         184
        .size:           8
        .value_kind:     hidden_global_offset_x
      - .offset:         192
        .size:           8
        .value_kind:     hidden_global_offset_y
      - .offset:         200
        .size:           8
        .value_kind:     hidden_global_offset_z
      - .offset:         208
        .size:           2
        .value_kind:     hidden_grid_dims
      - .offset:         224
        .size:           8
        .value_kind:     hidden_hostcall_buffer
    .group_segment_fixed_size: 0
    .kernarg_segment_align: 8
    .kernarg_segment_size: 400
    .language:       OpenCL C
    .language_version:
      - 2
      - 0
    .max_flat_workgroup_size: 256
    .name:           _Z38paged_attention_ll4mi_QKV_mfma4_kernelI14__hip_bfloat16S0_LN4vllm18Fp8KVCacheDataTypeE0ES0_Li32ELi128ELi256ELb0ELi2EEvPKT_PKT0_S8_ifPKiSA_SA_iPKfiiiPfSD_PS3_PT2_iSC_SC_
    .private_segment_fixed_size: 64
    .sgpr_count:     36
    .sgpr_spill_count: 0
    .symbol:         _Z38paged_attention_ll4mi_QKV_mfma4_kernelI14__hip_bfloat16S0_LN4vllm18Fp8KVCacheDataTypeE0ES0_Li32ELi128ELi256ELb0ELi2EEvPKT_PKT0_S8_ifPKiSA_SA_iPKfiiiPfSD_PS3_PT2_iSC_SC_.kd
    .uniform_work_group_size: 1
    .uses_dynamic_stack: false
    .vgpr_count:     51
    .vgpr_spill_count: 0
    .wavefront_size: 32
  - .args:
      - .actual_access:  read_only
        .address_space:  global
        .offset:         0
        .size:           8
        .value_kind:     global_buffer
      - .actual_access:  read_only
        .address_space:  global
        .offset:         8
        .size:           8
        .value_kind:     global_buffer
      - .actual_access:  read_only
        .address_space:  global
        .offset:         16
        .size:           8
        .value_kind:     global_buffer
      - .offset:         24
        .size:           4
        .value_kind:     by_value
      - .offset:         28
        .size:           4
        .value_kind:     by_value
      - .actual_access:  read_only
        .address_space:  global
        .offset:         32
        .size:           8
        .value_kind:     global_buffer
      - .actual_access:  read_only
        .address_space:  global
        .offset:         40
        .size:           8
        .value_kind:     global_buffer
      - .actual_access:  read_only
        .address_space:  global
        .offset:         48
        .size:           8
        .value_kind:     global_buffer
      - .offset:         56
        .size:           4
        .value_kind:     by_value
      - .actual_access:  read_only
        .address_space:  global
        .offset:         64
        .size:           8
        .value_kind:     global_buffer
      - .offset:         72
        .size:           4
        .value_kind:     by_value
      - .offset:         76
        .size:           4
        .value_kind:     by_value
      - .offset:         80
        .size:           4
        .value_kind:     by_value
      - .actual_access:  read_only
        .address_space:  global
        .offset:         88
        .size:           8
        .value_kind:     global_buffer
      - .actual_access:  read_only
        .address_space:  global
        .offset:         96
        .size:           8
        .value_kind:     global_buffer
      - .actual_access:  read_only
        .address_space:  global
        .offset:         104
        .size:           8
        .value_kind:     global_buffer
      - .actual_access:  read_only
        .address_space:  global
        .offset:         112
        .size:           8
        .value_kind:     global_buffer
      - .offset:         120
        .size:           4
        .value_kind:     by_value
      - .address_space:  global
        .offset:         128
        .size:           8
        .value_kind:     global_buffer
      - .address_space:  global
        .offset:         136
        .size:           8
        .value_kind:     global_buffer
      - .offset:         144
        .size:           4
        .value_kind:     hidden_block_count_x
      - .offset:         148
        .size:           4
        .value_kind:     hidden_block_count_y
      - .offset:         152
        .size:           4
        .value_kind:     hidden_block_count_z
      - .offset:         156
        .size:           2
        .value_kind:     hidden_group_size_x
      - .offset:         158
        .size:           2
        .value_kind:     hidden_group_size_y
      - .offset:         160
        .size:           2
        .value_kind:     hidden_group_size_z
      - .offset:         162
        .size:           2
        .value_kind:     hidden_remainder_x
      - .offset:         164
        .size:           2
        .value_kind:     hidden_remainder_y
      - .offset:         166
        .size:           2
        .value_kind:     hidden_remainder_z
      - .offset:         184
        .size:           8
        .value_kind:     hidden_global_offset_x
      - .offset:         192
        .size:           8
        .value_kind:     hidden_global_offset_y
      - .offset:         200
        .size:           8
        .value_kind:     hidden_global_offset_z
      - .offset:         208
        .size:           2
        .value_kind:     hidden_grid_dims
      - .offset:         224
        .size:           8
        .value_kind:     hidden_hostcall_buffer
    .group_segment_fixed_size: 0
    .kernarg_segment_align: 8
    .kernarg_segment_size: 400
    .language:       OpenCL C
    .language_version:
      - 2
      - 0
    .max_flat_workgroup_size: 256
    .name:           _Z38paged_attention_ll4mi_QKV_mfma4_kernelI14__hip_bfloat16S0_LN4vllm18Fp8KVCacheDataTypeE0ES0_Li32ELi128ELi256ELb0ELi3EEvPKT_PKT0_S8_ifPKiSA_SA_iPKfiiiPfSD_PS3_PT2_iSC_SC_
    .private_segment_fixed_size: 64
    .sgpr_count:     36
    .sgpr_spill_count: 0
    .symbol:         _Z38paged_attention_ll4mi_QKV_mfma4_kernelI14__hip_bfloat16S0_LN4vllm18Fp8KVCacheDataTypeE0ES0_Li32ELi128ELi256ELb0ELi3EEvPKT_PKT0_S8_ifPKiSA_SA_iPKfiiiPfSD_PS3_PT2_iSC_SC_.kd
    .uniform_work_group_size: 1
    .uses_dynamic_stack: false
    .vgpr_count:     51
    .vgpr_spill_count: 0
    .wavefront_size: 32
  - .args:
      - .actual_access:  read_only
        .address_space:  global
        .offset:         0
        .size:           8
        .value_kind:     global_buffer
      - .actual_access:  read_only
        .address_space:  global
        .offset:         8
        .size:           8
        .value_kind:     global_buffer
      - .actual_access:  read_only
        .address_space:  global
        .offset:         16
        .size:           8
        .value_kind:     global_buffer
      - .offset:         24
        .size:           4
        .value_kind:     by_value
      - .offset:         28
        .size:           4
        .value_kind:     by_value
      - .actual_access:  read_only
        .address_space:  global
        .offset:         32
        .size:           8
        .value_kind:     global_buffer
      - .actual_access:  read_only
        .address_space:  global
        .offset:         40
        .size:           8
        .value_kind:     global_buffer
      - .actual_access:  read_only
        .address_space:  global
        .offset:         48
        .size:           8
        .value_kind:     global_buffer
      - .offset:         56
        .size:           4
        .value_kind:     by_value
      - .actual_access:  read_only
        .address_space:  global
        .offset:         64
        .size:           8
        .value_kind:     global_buffer
      - .offset:         72
        .size:           4
        .value_kind:     by_value
      - .offset:         76
        .size:           4
        .value_kind:     by_value
      - .offset:         80
        .size:           4
        .value_kind:     by_value
      - .actual_access:  read_only
        .address_space:  global
        .offset:         88
        .size:           8
        .value_kind:     global_buffer
      - .actual_access:  read_only
        .address_space:  global
        .offset:         96
        .size:           8
        .value_kind:     global_buffer
      - .actual_access:  read_only
        .address_space:  global
        .offset:         104
        .size:           8
        .value_kind:     global_buffer
      - .actual_access:  read_only
        .address_space:  global
        .offset:         112
        .size:           8
        .value_kind:     global_buffer
      - .offset:         120
        .size:           4
        .value_kind:     by_value
      - .address_space:  global
        .offset:         128
        .size:           8
        .value_kind:     global_buffer
      - .address_space:  global
        .offset:         136
        .size:           8
        .value_kind:     global_buffer
      - .offset:         144
        .size:           4
        .value_kind:     hidden_block_count_x
      - .offset:         148
        .size:           4
        .value_kind:     hidden_block_count_y
      - .offset:         152
        .size:           4
        .value_kind:     hidden_block_count_z
      - .offset:         156
        .size:           2
        .value_kind:     hidden_group_size_x
      - .offset:         158
        .size:           2
        .value_kind:     hidden_group_size_y
      - .offset:         160
        .size:           2
        .value_kind:     hidden_group_size_z
      - .offset:         162
        .size:           2
        .value_kind:     hidden_remainder_x
      - .offset:         164
        .size:           2
        .value_kind:     hidden_remainder_y
      - .offset:         166
        .size:           2
        .value_kind:     hidden_remainder_z
      - .offset:         184
        .size:           8
        .value_kind:     hidden_global_offset_x
      - .offset:         192
        .size:           8
        .value_kind:     hidden_global_offset_y
      - .offset:         200
        .size:           8
        .value_kind:     hidden_global_offset_z
      - .offset:         208
        .size:           2
        .value_kind:     hidden_grid_dims
      - .offset:         224
        .size:           8
        .value_kind:     hidden_hostcall_buffer
    .group_segment_fixed_size: 0
    .kernarg_segment_align: 8
    .kernarg_segment_size: 400
    .language:       OpenCL C
    .language_version:
      - 2
      - 0
    .max_flat_workgroup_size: 256
    .name:           _Z38paged_attention_ll4mi_QKV_mfma4_kernelI14__hip_bfloat16S0_LN4vllm18Fp8KVCacheDataTypeE0ES0_Li32ELi128ELi256ELb0ELi4EEvPKT_PKT0_S8_ifPKiSA_SA_iPKfiiiPfSD_PS3_PT2_iSC_SC_
    .private_segment_fixed_size: 64
    .sgpr_count:     36
    .sgpr_spill_count: 0
    .symbol:         _Z38paged_attention_ll4mi_QKV_mfma4_kernelI14__hip_bfloat16S0_LN4vllm18Fp8KVCacheDataTypeE0ES0_Li32ELi128ELi256ELb0ELi4EEvPKT_PKT0_S8_ifPKiSA_SA_iPKfiiiPfSD_PS3_PT2_iSC_SC_.kd
    .uniform_work_group_size: 1
    .uses_dynamic_stack: false
    .vgpr_count:     51
    .vgpr_spill_count: 0
    .wavefront_size: 32
  - .args:
      - .actual_access:  read_only
        .address_space:  global
        .offset:         0
        .size:           8
        .value_kind:     global_buffer
      - .actual_access:  read_only
        .address_space:  global
        .offset:         8
        .size:           8
        .value_kind:     global_buffer
      - .actual_access:  read_only
        .address_space:  global
        .offset:         16
        .size:           8
        .value_kind:     global_buffer
      - .offset:         24
        .size:           4
        .value_kind:     by_value
      - .offset:         28
        .size:           4
        .value_kind:     by_value
      - .actual_access:  read_only
        .address_space:  global
        .offset:         32
        .size:           8
        .value_kind:     global_buffer
      - .actual_access:  read_only
        .address_space:  global
        .offset:         40
        .size:           8
        .value_kind:     global_buffer
      - .actual_access:  read_only
        .address_space:  global
        .offset:         48
        .size:           8
        .value_kind:     global_buffer
      - .offset:         56
        .size:           4
        .value_kind:     by_value
      - .actual_access:  read_only
        .address_space:  global
        .offset:         64
        .size:           8
        .value_kind:     global_buffer
      - .offset:         72
        .size:           4
        .value_kind:     by_value
      - .offset:         76
        .size:           4
        .value_kind:     by_value
      - .offset:         80
        .size:           4
        .value_kind:     by_value
      - .actual_access:  read_only
        .address_space:  global
        .offset:         88
        .size:           8
        .value_kind:     global_buffer
      - .actual_access:  read_only
        .address_space:  global
        .offset:         96
        .size:           8
        .value_kind:     global_buffer
      - .actual_access:  read_only
        .address_space:  global
        .offset:         104
        .size:           8
        .value_kind:     global_buffer
      - .actual_access:  read_only
        .address_space:  global
        .offset:         112
        .size:           8
        .value_kind:     global_buffer
      - .offset:         120
        .size:           4
        .value_kind:     by_value
      - .address_space:  global
        .offset:         128
        .size:           8
        .value_kind:     global_buffer
      - .address_space:  global
        .offset:         136
        .size:           8
        .value_kind:     global_buffer
      - .offset:         144
        .size:           4
        .value_kind:     hidden_block_count_x
      - .offset:         148
        .size:           4
        .value_kind:     hidden_block_count_y
      - .offset:         152
        .size:           4
        .value_kind:     hidden_block_count_z
      - .offset:         156
        .size:           2
        .value_kind:     hidden_group_size_x
      - .offset:         158
        .size:           2
        .value_kind:     hidden_group_size_y
      - .offset:         160
        .size:           2
        .value_kind:     hidden_group_size_z
      - .offset:         162
        .size:           2
        .value_kind:     hidden_remainder_x
      - .offset:         164
        .size:           2
        .value_kind:     hidden_remainder_y
      - .offset:         166
        .size:           2
        .value_kind:     hidden_remainder_z
      - .offset:         184
        .size:           8
        .value_kind:     hidden_global_offset_x
      - .offset:         192
        .size:           8
        .value_kind:     hidden_global_offset_y
      - .offset:         200
        .size:           8
        .value_kind:     hidden_global_offset_z
      - .offset:         208
        .size:           2
        .value_kind:     hidden_grid_dims
      - .offset:         224
        .size:           8
        .value_kind:     hidden_hostcall_buffer
    .group_segment_fixed_size: 0
    .kernarg_segment_align: 8
    .kernarg_segment_size: 400
    .language:       OpenCL C
    .language_version:
      - 2
      - 0
    .max_flat_workgroup_size: 256
    .name:           _Z39paged_attention_ll4mi_QKV_mfma16_kernelI14__hip_bfloat16S0_LN4vllm18Fp8KVCacheDataTypeE0ES0_Li32ELi128ELi256ELb0ELi5EEvPKT_PKT0_S8_ifPKiSA_SA_iPKfiiiPfSD_PS3_PT2_iSC_SC_
    .private_segment_fixed_size: 64
    .sgpr_count:     36
    .sgpr_spill_count: 0
    .symbol:         _Z39paged_attention_ll4mi_QKV_mfma16_kernelI14__hip_bfloat16S0_LN4vllm18Fp8KVCacheDataTypeE0ES0_Li32ELi128ELi256ELb0ELi5EEvPKT_PKT0_S8_ifPKiSA_SA_iPKfiiiPfSD_PS3_PT2_iSC_SC_.kd
    .uniform_work_group_size: 1
    .uses_dynamic_stack: false
    .vgpr_count:     51
    .vgpr_spill_count: 0
    .wavefront_size: 32
  - .args:
      - .actual_access:  read_only
        .address_space:  global
        .offset:         0
        .size:           8
        .value_kind:     global_buffer
      - .actual_access:  read_only
        .address_space:  global
        .offset:         8
        .size:           8
        .value_kind:     global_buffer
      - .actual_access:  read_only
        .address_space:  global
        .offset:         16
        .size:           8
        .value_kind:     global_buffer
      - .offset:         24
        .size:           4
        .value_kind:     by_value
      - .offset:         28
        .size:           4
        .value_kind:     by_value
      - .actual_access:  read_only
        .address_space:  global
        .offset:         32
        .size:           8
        .value_kind:     global_buffer
      - .actual_access:  read_only
        .address_space:  global
        .offset:         40
        .size:           8
        .value_kind:     global_buffer
      - .actual_access:  read_only
        .address_space:  global
        .offset:         48
        .size:           8
        .value_kind:     global_buffer
      - .offset:         56
        .size:           4
        .value_kind:     by_value
      - .actual_access:  read_only
        .address_space:  global
        .offset:         64
        .size:           8
        .value_kind:     global_buffer
      - .offset:         72
        .size:           4
        .value_kind:     by_value
      - .offset:         76
        .size:           4
        .value_kind:     by_value
      - .offset:         80
        .size:           4
        .value_kind:     by_value
      - .actual_access:  read_only
        .address_space:  global
        .offset:         88
        .size:           8
        .value_kind:     global_buffer
      - .actual_access:  read_only
        .address_space:  global
        .offset:         96
        .size:           8
        .value_kind:     global_buffer
      - .actual_access:  read_only
        .address_space:  global
        .offset:         104
        .size:           8
        .value_kind:     global_buffer
      - .actual_access:  read_only
        .address_space:  global
        .offset:         112
        .size:           8
        .value_kind:     global_buffer
      - .offset:         120
        .size:           4
        .value_kind:     by_value
      - .address_space:  global
        .offset:         128
        .size:           8
        .value_kind:     global_buffer
      - .address_space:  global
        .offset:         136
        .size:           8
        .value_kind:     global_buffer
      - .offset:         144
        .size:           4
        .value_kind:     hidden_block_count_x
      - .offset:         148
        .size:           4
        .value_kind:     hidden_block_count_y
      - .offset:         152
        .size:           4
        .value_kind:     hidden_block_count_z
      - .offset:         156
        .size:           2
        .value_kind:     hidden_group_size_x
      - .offset:         158
        .size:           2
        .value_kind:     hidden_group_size_y
      - .offset:         160
        .size:           2
        .value_kind:     hidden_group_size_z
      - .offset:         162
        .size:           2
        .value_kind:     hidden_remainder_x
      - .offset:         164
        .size:           2
        .value_kind:     hidden_remainder_y
      - .offset:         166
        .size:           2
        .value_kind:     hidden_remainder_z
      - .offset:         184
        .size:           8
        .value_kind:     hidden_global_offset_x
      - .offset:         192
        .size:           8
        .value_kind:     hidden_global_offset_y
      - .offset:         200
        .size:           8
        .value_kind:     hidden_global_offset_z
      - .offset:         208
        .size:           2
        .value_kind:     hidden_grid_dims
      - .offset:         224
        .size:           8
        .value_kind:     hidden_hostcall_buffer
    .group_segment_fixed_size: 0
    .kernarg_segment_align: 8
    .kernarg_segment_size: 400
    .language:       OpenCL C
    .language_version:
      - 2
      - 0
    .max_flat_workgroup_size: 256
    .name:           _Z39paged_attention_ll4mi_QKV_mfma16_kernelI14__hip_bfloat16S0_LN4vllm18Fp8KVCacheDataTypeE0ES0_Li32ELi128ELi256ELb0ELi6EEvPKT_PKT0_S8_ifPKiSA_SA_iPKfiiiPfSD_PS3_PT2_iSC_SC_
    .private_segment_fixed_size: 64
    .sgpr_count:     36
    .sgpr_spill_count: 0
    .symbol:         _Z39paged_attention_ll4mi_QKV_mfma16_kernelI14__hip_bfloat16S0_LN4vllm18Fp8KVCacheDataTypeE0ES0_Li32ELi128ELi256ELb0ELi6EEvPKT_PKT0_S8_ifPKiSA_SA_iPKfiiiPfSD_PS3_PT2_iSC_SC_.kd
    .uniform_work_group_size: 1
    .uses_dynamic_stack: false
    .vgpr_count:     51
    .vgpr_spill_count: 0
    .wavefront_size: 32
  - .args:
      - .actual_access:  read_only
        .address_space:  global
        .offset:         0
        .size:           8
        .value_kind:     global_buffer
      - .actual_access:  read_only
        .address_space:  global
        .offset:         8
        .size:           8
        .value_kind:     global_buffer
      - .actual_access:  read_only
        .address_space:  global
        .offset:         16
        .size:           8
        .value_kind:     global_buffer
      - .offset:         24
        .size:           4
        .value_kind:     by_value
      - .offset:         28
        .size:           4
        .value_kind:     by_value
      - .actual_access:  read_only
        .address_space:  global
        .offset:         32
        .size:           8
        .value_kind:     global_buffer
      - .actual_access:  read_only
        .address_space:  global
        .offset:         40
        .size:           8
        .value_kind:     global_buffer
      - .actual_access:  read_only
        .address_space:  global
        .offset:         48
        .size:           8
        .value_kind:     global_buffer
      - .offset:         56
        .size:           4
        .value_kind:     by_value
      - .actual_access:  read_only
        .address_space:  global
        .offset:         64
        .size:           8
        .value_kind:     global_buffer
      - .offset:         72
        .size:           4
        .value_kind:     by_value
      - .offset:         76
        .size:           4
        .value_kind:     by_value
      - .offset:         80
        .size:           4
        .value_kind:     by_value
      - .actual_access:  read_only
        .address_space:  global
        .offset:         88
        .size:           8
        .value_kind:     global_buffer
      - .actual_access:  read_only
        .address_space:  global
        .offset:         96
        .size:           8
        .value_kind:     global_buffer
      - .actual_access:  read_only
        .address_space:  global
        .offset:         104
        .size:           8
        .value_kind:     global_buffer
      - .actual_access:  read_only
        .address_space:  global
        .offset:         112
        .size:           8
        .value_kind:     global_buffer
      - .offset:         120
        .size:           4
        .value_kind:     by_value
      - .address_space:  global
        .offset:         128
        .size:           8
        .value_kind:     global_buffer
      - .address_space:  global
        .offset:         136
        .size:           8
        .value_kind:     global_buffer
      - .offset:         144
        .size:           4
        .value_kind:     hidden_block_count_x
      - .offset:         148
        .size:           4
        .value_kind:     hidden_block_count_y
      - .offset:         152
        .size:           4
        .value_kind:     hidden_block_count_z
      - .offset:         156
        .size:           2
        .value_kind:     hidden_group_size_x
      - .offset:         158
        .size:           2
        .value_kind:     hidden_group_size_y
      - .offset:         160
        .size:           2
        .value_kind:     hidden_group_size_z
      - .offset:         162
        .size:           2
        .value_kind:     hidden_remainder_x
      - .offset:         164
        .size:           2
        .value_kind:     hidden_remainder_y
      - .offset:         166
        .size:           2
        .value_kind:     hidden_remainder_z
      - .offset:         184
        .size:           8
        .value_kind:     hidden_global_offset_x
      - .offset:         192
        .size:           8
        .value_kind:     hidden_global_offset_y
      - .offset:         200
        .size:           8
        .value_kind:     hidden_global_offset_z
      - .offset:         208
        .size:           2
        .value_kind:     hidden_grid_dims
      - .offset:         224
        .size:           8
        .value_kind:     hidden_hostcall_buffer
    .group_segment_fixed_size: 0
    .kernarg_segment_align: 8
    .kernarg_segment_size: 400
    .language:       OpenCL C
    .language_version:
      - 2
      - 0
    .max_flat_workgroup_size: 256
    .name:           _Z39paged_attention_ll4mi_QKV_mfma16_kernelI14__hip_bfloat16S0_LN4vllm18Fp8KVCacheDataTypeE0ES0_Li32ELi128ELi256ELb0ELi7EEvPKT_PKT0_S8_ifPKiSA_SA_iPKfiiiPfSD_PS3_PT2_iSC_SC_
    .private_segment_fixed_size: 64
    .sgpr_count:     36
    .sgpr_spill_count: 0
    .symbol:         _Z39paged_attention_ll4mi_QKV_mfma16_kernelI14__hip_bfloat16S0_LN4vllm18Fp8KVCacheDataTypeE0ES0_Li32ELi128ELi256ELb0ELi7EEvPKT_PKT0_S8_ifPKiSA_SA_iPKfiiiPfSD_PS3_PT2_iSC_SC_.kd
    .uniform_work_group_size: 1
    .uses_dynamic_stack: false
    .vgpr_count:     51
    .vgpr_spill_count: 0
    .wavefront_size: 32
  - .args:
      - .actual_access:  read_only
        .address_space:  global
        .offset:         0
        .size:           8
        .value_kind:     global_buffer
      - .actual_access:  read_only
        .address_space:  global
        .offset:         8
        .size:           8
        .value_kind:     global_buffer
      - .actual_access:  read_only
        .address_space:  global
        .offset:         16
        .size:           8
        .value_kind:     global_buffer
      - .offset:         24
        .size:           4
        .value_kind:     by_value
      - .offset:         28
        .size:           4
        .value_kind:     by_value
      - .actual_access:  read_only
        .address_space:  global
        .offset:         32
        .size:           8
        .value_kind:     global_buffer
      - .actual_access:  read_only
        .address_space:  global
        .offset:         40
        .size:           8
        .value_kind:     global_buffer
      - .actual_access:  read_only
        .address_space:  global
        .offset:         48
        .size:           8
        .value_kind:     global_buffer
      - .offset:         56
        .size:           4
        .value_kind:     by_value
      - .actual_access:  read_only
        .address_space:  global
        .offset:         64
        .size:           8
        .value_kind:     global_buffer
      - .offset:         72
        .size:           4
        .value_kind:     by_value
      - .offset:         76
        .size:           4
        .value_kind:     by_value
      - .offset:         80
        .size:           4
        .value_kind:     by_value
      - .actual_access:  read_only
        .address_space:  global
        .offset:         88
        .size:           8
        .value_kind:     global_buffer
      - .actual_access:  read_only
        .address_space:  global
        .offset:         96
        .size:           8
        .value_kind:     global_buffer
      - .actual_access:  read_only
        .address_space:  global
        .offset:         104
        .size:           8
        .value_kind:     global_buffer
      - .actual_access:  read_only
        .address_space:  global
        .offset:         112
        .size:           8
        .value_kind:     global_buffer
      - .offset:         120
        .size:           4
        .value_kind:     by_value
      - .address_space:  global
        .offset:         128
        .size:           8
        .value_kind:     global_buffer
      - .address_space:  global
        .offset:         136
        .size:           8
        .value_kind:     global_buffer
      - .offset:         144
        .size:           4
        .value_kind:     hidden_block_count_x
      - .offset:         148
        .size:           4
        .value_kind:     hidden_block_count_y
      - .offset:         152
        .size:           4
        .value_kind:     hidden_block_count_z
      - .offset:         156
        .size:           2
        .value_kind:     hidden_group_size_x
      - .offset:         158
        .size:           2
        .value_kind:     hidden_group_size_y
      - .offset:         160
        .size:           2
        .value_kind:     hidden_group_size_z
      - .offset:         162
        .size:           2
        .value_kind:     hidden_remainder_x
      - .offset:         164
        .size:           2
        .value_kind:     hidden_remainder_y
      - .offset:         166
        .size:           2
        .value_kind:     hidden_remainder_z
      - .offset:         184
        .size:           8
        .value_kind:     hidden_global_offset_x
      - .offset:         192
        .size:           8
        .value_kind:     hidden_global_offset_y
      - .offset:         200
        .size:           8
        .value_kind:     hidden_global_offset_z
      - .offset:         208
        .size:           2
        .value_kind:     hidden_grid_dims
      - .offset:         224
        .size:           8
        .value_kind:     hidden_hostcall_buffer
    .group_segment_fixed_size: 0
    .kernarg_segment_align: 8
    .kernarg_segment_size: 400
    .language:       OpenCL C
    .language_version:
      - 2
      - 0
    .max_flat_workgroup_size: 256
    .name:           _Z39paged_attention_ll4mi_QKV_mfma16_kernelI14__hip_bfloat16S0_LN4vllm18Fp8KVCacheDataTypeE0ES0_Li32ELi128ELi256ELb0ELi8EEvPKT_PKT0_S8_ifPKiSA_SA_iPKfiiiPfSD_PS3_PT2_iSC_SC_
    .private_segment_fixed_size: 64
    .sgpr_count:     36
    .sgpr_spill_count: 0
    .symbol:         _Z39paged_attention_ll4mi_QKV_mfma16_kernelI14__hip_bfloat16S0_LN4vllm18Fp8KVCacheDataTypeE0ES0_Li32ELi128ELi256ELb0ELi8EEvPKT_PKT0_S8_ifPKiSA_SA_iPKfiiiPfSD_PS3_PT2_iSC_SC_.kd
    .uniform_work_group_size: 1
    .uses_dynamic_stack: false
    .vgpr_count:     51
    .vgpr_spill_count: 0
    .wavefront_size: 32
  - .args:
      - .actual_access:  read_only
        .address_space:  global
        .offset:         0
        .size:           8
        .value_kind:     global_buffer
      - .actual_access:  read_only
        .address_space:  global
        .offset:         8
        .size:           8
        .value_kind:     global_buffer
      - .actual_access:  read_only
        .address_space:  global
        .offset:         16
        .size:           8
        .value_kind:     global_buffer
      - .offset:         24
        .size:           4
        .value_kind:     by_value
      - .offset:         28
        .size:           4
        .value_kind:     by_value
      - .actual_access:  read_only
        .address_space:  global
        .offset:         32
        .size:           8
        .value_kind:     global_buffer
      - .actual_access:  read_only
        .address_space:  global
        .offset:         40
        .size:           8
        .value_kind:     global_buffer
      - .actual_access:  read_only
        .address_space:  global
        .offset:         48
        .size:           8
        .value_kind:     global_buffer
      - .offset:         56
        .size:           4
        .value_kind:     by_value
      - .actual_access:  read_only
        .address_space:  global
        .offset:         64
        .size:           8
        .value_kind:     global_buffer
      - .offset:         72
        .size:           4
        .value_kind:     by_value
      - .offset:         76
        .size:           4
        .value_kind:     by_value
      - .offset:         80
        .size:           4
        .value_kind:     by_value
      - .actual_access:  read_only
        .address_space:  global
        .offset:         88
        .size:           8
        .value_kind:     global_buffer
      - .actual_access:  read_only
        .address_space:  global
        .offset:         96
        .size:           8
        .value_kind:     global_buffer
      - .actual_access:  read_only
        .address_space:  global
        .offset:         104
        .size:           8
        .value_kind:     global_buffer
      - .actual_access:  read_only
        .address_space:  global
        .offset:         112
        .size:           8
        .value_kind:     global_buffer
      - .offset:         120
        .size:           4
        .value_kind:     by_value
      - .address_space:  global
        .offset:         128
        .size:           8
        .value_kind:     global_buffer
      - .address_space:  global
        .offset:         136
        .size:           8
        .value_kind:     global_buffer
      - .offset:         144
        .size:           4
        .value_kind:     hidden_block_count_x
      - .offset:         148
        .size:           4
        .value_kind:     hidden_block_count_y
      - .offset:         152
        .size:           4
        .value_kind:     hidden_block_count_z
      - .offset:         156
        .size:           2
        .value_kind:     hidden_group_size_x
      - .offset:         158
        .size:           2
        .value_kind:     hidden_group_size_y
      - .offset:         160
        .size:           2
        .value_kind:     hidden_group_size_z
      - .offset:         162
        .size:           2
        .value_kind:     hidden_remainder_x
      - .offset:         164
        .size:           2
        .value_kind:     hidden_remainder_y
      - .offset:         166
        .size:           2
        .value_kind:     hidden_remainder_z
      - .offset:         184
        .size:           8
        .value_kind:     hidden_global_offset_x
      - .offset:         192
        .size:           8
        .value_kind:     hidden_global_offset_y
      - .offset:         200
        .size:           8
        .value_kind:     hidden_global_offset_z
      - .offset:         208
        .size:           2
        .value_kind:     hidden_grid_dims
      - .offset:         224
        .size:           8
        .value_kind:     hidden_hostcall_buffer
    .group_segment_fixed_size: 0
    .kernarg_segment_align: 8
    .kernarg_segment_size: 400
    .language:       OpenCL C
    .language_version:
      - 2
      - 0
    .max_flat_workgroup_size: 256
    .name:           _Z39paged_attention_ll4mi_QKV_mfma16_kernelI14__hip_bfloat16S0_LN4vllm18Fp8KVCacheDataTypeE0ES0_Li32ELi128ELi256ELb0ELi9EEvPKT_PKT0_S8_ifPKiSA_SA_iPKfiiiPfSD_PS3_PT2_iSC_SC_
    .private_segment_fixed_size: 64
    .sgpr_count:     36
    .sgpr_spill_count: 0
    .symbol:         _Z39paged_attention_ll4mi_QKV_mfma16_kernelI14__hip_bfloat16S0_LN4vllm18Fp8KVCacheDataTypeE0ES0_Li32ELi128ELi256ELb0ELi9EEvPKT_PKT0_S8_ifPKiSA_SA_iPKfiiiPfSD_PS3_PT2_iSC_SC_.kd
    .uniform_work_group_size: 1
    .uses_dynamic_stack: false
    .vgpr_count:     51
    .vgpr_spill_count: 0
    .wavefront_size: 32
  - .args:
      - .actual_access:  read_only
        .address_space:  global
        .offset:         0
        .size:           8
        .value_kind:     global_buffer
      - .actual_access:  read_only
        .address_space:  global
        .offset:         8
        .size:           8
        .value_kind:     global_buffer
      - .actual_access:  read_only
        .address_space:  global
        .offset:         16
        .size:           8
        .value_kind:     global_buffer
      - .offset:         24
        .size:           4
        .value_kind:     by_value
      - .offset:         28
        .size:           4
        .value_kind:     by_value
      - .actual_access:  read_only
        .address_space:  global
        .offset:         32
        .size:           8
        .value_kind:     global_buffer
      - .actual_access:  read_only
        .address_space:  global
        .offset:         40
        .size:           8
        .value_kind:     global_buffer
      - .actual_access:  read_only
        .address_space:  global
        .offset:         48
        .size:           8
        .value_kind:     global_buffer
      - .offset:         56
        .size:           4
        .value_kind:     by_value
      - .actual_access:  read_only
        .address_space:  global
        .offset:         64
        .size:           8
        .value_kind:     global_buffer
      - .offset:         72
        .size:           4
        .value_kind:     by_value
      - .offset:         76
        .size:           4
        .value_kind:     by_value
      - .offset:         80
        .size:           4
        .value_kind:     by_value
      - .actual_access:  read_only
        .address_space:  global
        .offset:         88
        .size:           8
        .value_kind:     global_buffer
      - .actual_access:  read_only
        .address_space:  global
        .offset:         96
        .size:           8
        .value_kind:     global_buffer
      - .actual_access:  read_only
        .address_space:  global
        .offset:         104
        .size:           8
        .value_kind:     global_buffer
      - .actual_access:  read_only
        .address_space:  global
        .offset:         112
        .size:           8
        .value_kind:     global_buffer
      - .offset:         120
        .size:           4
        .value_kind:     by_value
      - .address_space:  global
        .offset:         128
        .size:           8
        .value_kind:     global_buffer
      - .address_space:  global
        .offset:         136
        .size:           8
        .value_kind:     global_buffer
      - .offset:         144
        .size:           4
        .value_kind:     hidden_block_count_x
      - .offset:         148
        .size:           4
        .value_kind:     hidden_block_count_y
      - .offset:         152
        .size:           4
        .value_kind:     hidden_block_count_z
      - .offset:         156
        .size:           2
        .value_kind:     hidden_group_size_x
      - .offset:         158
        .size:           2
        .value_kind:     hidden_group_size_y
      - .offset:         160
        .size:           2
        .value_kind:     hidden_group_size_z
      - .offset:         162
        .size:           2
        .value_kind:     hidden_remainder_x
      - .offset:         164
        .size:           2
        .value_kind:     hidden_remainder_y
      - .offset:         166
        .size:           2
        .value_kind:     hidden_remainder_z
      - .offset:         184
        .size:           8
        .value_kind:     hidden_global_offset_x
      - .offset:         192
        .size:           8
        .value_kind:     hidden_global_offset_y
      - .offset:         200
        .size:           8
        .value_kind:     hidden_global_offset_z
      - .offset:         208
        .size:           2
        .value_kind:     hidden_grid_dims
      - .offset:         224
        .size:           8
        .value_kind:     hidden_hostcall_buffer
    .group_segment_fixed_size: 0
    .kernarg_segment_align: 8
    .kernarg_segment_size: 400
    .language:       OpenCL C
    .language_version:
      - 2
      - 0
    .max_flat_workgroup_size: 256
    .name:           _Z39paged_attention_ll4mi_QKV_mfma16_kernelI14__hip_bfloat16S0_LN4vllm18Fp8KVCacheDataTypeE0ES0_Li32ELi128ELi256ELb0ELi10EEvPKT_PKT0_S8_ifPKiSA_SA_iPKfiiiPfSD_PS3_PT2_iSC_SC_
    .private_segment_fixed_size: 64
    .sgpr_count:     36
    .sgpr_spill_count: 0
    .symbol:         _Z39paged_attention_ll4mi_QKV_mfma16_kernelI14__hip_bfloat16S0_LN4vllm18Fp8KVCacheDataTypeE0ES0_Li32ELi128ELi256ELb0ELi10EEvPKT_PKT0_S8_ifPKiSA_SA_iPKfiiiPfSD_PS3_PT2_iSC_SC_.kd
    .uniform_work_group_size: 1
    .uses_dynamic_stack: false
    .vgpr_count:     51
    .vgpr_spill_count: 0
    .wavefront_size: 32
  - .args:
      - .actual_access:  read_only
        .address_space:  global
        .offset:         0
        .size:           8
        .value_kind:     global_buffer
      - .actual_access:  read_only
        .address_space:  global
        .offset:         8
        .size:           8
        .value_kind:     global_buffer
      - .actual_access:  read_only
        .address_space:  global
        .offset:         16
        .size:           8
        .value_kind:     global_buffer
      - .offset:         24
        .size:           4
        .value_kind:     by_value
      - .offset:         28
        .size:           4
        .value_kind:     by_value
      - .actual_access:  read_only
        .address_space:  global
        .offset:         32
        .size:           8
        .value_kind:     global_buffer
      - .actual_access:  read_only
        .address_space:  global
        .offset:         40
        .size:           8
        .value_kind:     global_buffer
      - .actual_access:  read_only
        .address_space:  global
        .offset:         48
        .size:           8
        .value_kind:     global_buffer
      - .offset:         56
        .size:           4
        .value_kind:     by_value
      - .actual_access:  read_only
        .address_space:  global
        .offset:         64
        .size:           8
        .value_kind:     global_buffer
      - .offset:         72
        .size:           4
        .value_kind:     by_value
      - .offset:         76
        .size:           4
        .value_kind:     by_value
      - .offset:         80
        .size:           4
        .value_kind:     by_value
      - .actual_access:  read_only
        .address_space:  global
        .offset:         88
        .size:           8
        .value_kind:     global_buffer
      - .actual_access:  read_only
        .address_space:  global
        .offset:         96
        .size:           8
        .value_kind:     global_buffer
      - .actual_access:  read_only
        .address_space:  global
        .offset:         104
        .size:           8
        .value_kind:     global_buffer
      - .actual_access:  read_only
        .address_space:  global
        .offset:         112
        .size:           8
        .value_kind:     global_buffer
      - .offset:         120
        .size:           4
        .value_kind:     by_value
      - .address_space:  global
        .offset:         128
        .size:           8
        .value_kind:     global_buffer
      - .address_space:  global
        .offset:         136
        .size:           8
        .value_kind:     global_buffer
      - .offset:         144
        .size:           4
        .value_kind:     hidden_block_count_x
      - .offset:         148
        .size:           4
        .value_kind:     hidden_block_count_y
      - .offset:         152
        .size:           4
        .value_kind:     hidden_block_count_z
      - .offset:         156
        .size:           2
        .value_kind:     hidden_group_size_x
      - .offset:         158
        .size:           2
        .value_kind:     hidden_group_size_y
      - .offset:         160
        .size:           2
        .value_kind:     hidden_group_size_z
      - .offset:         162
        .size:           2
        .value_kind:     hidden_remainder_x
      - .offset:         164
        .size:           2
        .value_kind:     hidden_remainder_y
      - .offset:         166
        .size:           2
        .value_kind:     hidden_remainder_z
      - .offset:         184
        .size:           8
        .value_kind:     hidden_global_offset_x
      - .offset:         192
        .size:           8
        .value_kind:     hidden_global_offset_y
      - .offset:         200
        .size:           8
        .value_kind:     hidden_global_offset_z
      - .offset:         208
        .size:           2
        .value_kind:     hidden_grid_dims
      - .offset:         224
        .size:           8
        .value_kind:     hidden_hostcall_buffer
    .group_segment_fixed_size: 0
    .kernarg_segment_align: 8
    .kernarg_segment_size: 400
    .language:       OpenCL C
    .language_version:
      - 2
      - 0
    .max_flat_workgroup_size: 256
    .name:           _Z39paged_attention_ll4mi_QKV_mfma16_kernelI14__hip_bfloat16S0_LN4vllm18Fp8KVCacheDataTypeE0ES0_Li32ELi128ELi256ELb0ELi11EEvPKT_PKT0_S8_ifPKiSA_SA_iPKfiiiPfSD_PS3_PT2_iSC_SC_
    .private_segment_fixed_size: 64
    .sgpr_count:     36
    .sgpr_spill_count: 0
    .symbol:         _Z39paged_attention_ll4mi_QKV_mfma16_kernelI14__hip_bfloat16S0_LN4vllm18Fp8KVCacheDataTypeE0ES0_Li32ELi128ELi256ELb0ELi11EEvPKT_PKT0_S8_ifPKiSA_SA_iPKfiiiPfSD_PS3_PT2_iSC_SC_.kd
    .uniform_work_group_size: 1
    .uses_dynamic_stack: false
    .vgpr_count:     51
    .vgpr_spill_count: 0
    .wavefront_size: 32
  - .args:
      - .actual_access:  read_only
        .address_space:  global
        .offset:         0
        .size:           8
        .value_kind:     global_buffer
      - .actual_access:  read_only
        .address_space:  global
        .offset:         8
        .size:           8
        .value_kind:     global_buffer
      - .actual_access:  read_only
        .address_space:  global
        .offset:         16
        .size:           8
        .value_kind:     global_buffer
      - .offset:         24
        .size:           4
        .value_kind:     by_value
      - .offset:         28
        .size:           4
        .value_kind:     by_value
      - .actual_access:  read_only
        .address_space:  global
        .offset:         32
        .size:           8
        .value_kind:     global_buffer
      - .actual_access:  read_only
        .address_space:  global
        .offset:         40
        .size:           8
        .value_kind:     global_buffer
      - .actual_access:  read_only
        .address_space:  global
        .offset:         48
        .size:           8
        .value_kind:     global_buffer
      - .offset:         56
        .size:           4
        .value_kind:     by_value
      - .actual_access:  read_only
        .address_space:  global
        .offset:         64
        .size:           8
        .value_kind:     global_buffer
      - .offset:         72
        .size:           4
        .value_kind:     by_value
      - .offset:         76
        .size:           4
        .value_kind:     by_value
      - .offset:         80
        .size:           4
        .value_kind:     by_value
      - .actual_access:  read_only
        .address_space:  global
        .offset:         88
        .size:           8
        .value_kind:     global_buffer
      - .actual_access:  read_only
        .address_space:  global
        .offset:         96
        .size:           8
        .value_kind:     global_buffer
      - .actual_access:  read_only
        .address_space:  global
        .offset:         104
        .size:           8
        .value_kind:     global_buffer
      - .actual_access:  read_only
        .address_space:  global
        .offset:         112
        .size:           8
        .value_kind:     global_buffer
      - .offset:         120
        .size:           4
        .value_kind:     by_value
      - .address_space:  global
        .offset:         128
        .size:           8
        .value_kind:     global_buffer
      - .address_space:  global
        .offset:         136
        .size:           8
        .value_kind:     global_buffer
      - .offset:         144
        .size:           4
        .value_kind:     hidden_block_count_x
      - .offset:         148
        .size:           4
        .value_kind:     hidden_block_count_y
      - .offset:         152
        .size:           4
        .value_kind:     hidden_block_count_z
      - .offset:         156
        .size:           2
        .value_kind:     hidden_group_size_x
      - .offset:         158
        .size:           2
        .value_kind:     hidden_group_size_y
      - .offset:         160
        .size:           2
        .value_kind:     hidden_group_size_z
      - .offset:         162
        .size:           2
        .value_kind:     hidden_remainder_x
      - .offset:         164
        .size:           2
        .value_kind:     hidden_remainder_y
      - .offset:         166
        .size:           2
        .value_kind:     hidden_remainder_z
      - .offset:         184
        .size:           8
        .value_kind:     hidden_global_offset_x
      - .offset:         192
        .size:           8
        .value_kind:     hidden_global_offset_y
      - .offset:         200
        .size:           8
        .value_kind:     hidden_global_offset_z
      - .offset:         208
        .size:           2
        .value_kind:     hidden_grid_dims
      - .offset:         224
        .size:           8
        .value_kind:     hidden_hostcall_buffer
    .group_segment_fixed_size: 0
    .kernarg_segment_align: 8
    .kernarg_segment_size: 400
    .language:       OpenCL C
    .language_version:
      - 2
      - 0
    .max_flat_workgroup_size: 256
    .name:           _Z39paged_attention_ll4mi_QKV_mfma16_kernelI14__hip_bfloat16S0_LN4vllm18Fp8KVCacheDataTypeE0ES0_Li32ELi128ELi256ELb0ELi12EEvPKT_PKT0_S8_ifPKiSA_SA_iPKfiiiPfSD_PS3_PT2_iSC_SC_
    .private_segment_fixed_size: 64
    .sgpr_count:     36
    .sgpr_spill_count: 0
    .symbol:         _Z39paged_attention_ll4mi_QKV_mfma16_kernelI14__hip_bfloat16S0_LN4vllm18Fp8KVCacheDataTypeE0ES0_Li32ELi128ELi256ELb0ELi12EEvPKT_PKT0_S8_ifPKiSA_SA_iPKfiiiPfSD_PS3_PT2_iSC_SC_.kd
    .uniform_work_group_size: 1
    .uses_dynamic_stack: false
    .vgpr_count:     51
    .vgpr_spill_count: 0
    .wavefront_size: 32
  - .args:
      - .actual_access:  read_only
        .address_space:  global
        .offset:         0
        .size:           8
        .value_kind:     global_buffer
      - .actual_access:  read_only
        .address_space:  global
        .offset:         8
        .size:           8
        .value_kind:     global_buffer
      - .actual_access:  read_only
        .address_space:  global
        .offset:         16
        .size:           8
        .value_kind:     global_buffer
      - .offset:         24
        .size:           4
        .value_kind:     by_value
      - .offset:         28
        .size:           4
        .value_kind:     by_value
      - .actual_access:  read_only
        .address_space:  global
        .offset:         32
        .size:           8
        .value_kind:     global_buffer
      - .actual_access:  read_only
        .address_space:  global
        .offset:         40
        .size:           8
        .value_kind:     global_buffer
      - .actual_access:  read_only
        .address_space:  global
        .offset:         48
        .size:           8
        .value_kind:     global_buffer
      - .offset:         56
        .size:           4
        .value_kind:     by_value
      - .actual_access:  read_only
        .address_space:  global
        .offset:         64
        .size:           8
        .value_kind:     global_buffer
      - .offset:         72
        .size:           4
        .value_kind:     by_value
      - .offset:         76
        .size:           4
        .value_kind:     by_value
      - .offset:         80
        .size:           4
        .value_kind:     by_value
      - .actual_access:  read_only
        .address_space:  global
        .offset:         88
        .size:           8
        .value_kind:     global_buffer
      - .actual_access:  read_only
        .address_space:  global
        .offset:         96
        .size:           8
        .value_kind:     global_buffer
      - .actual_access:  read_only
        .address_space:  global
        .offset:         104
        .size:           8
        .value_kind:     global_buffer
      - .actual_access:  read_only
        .address_space:  global
        .offset:         112
        .size:           8
        .value_kind:     global_buffer
      - .offset:         120
        .size:           4
        .value_kind:     by_value
      - .address_space:  global
        .offset:         128
        .size:           8
        .value_kind:     global_buffer
      - .address_space:  global
        .offset:         136
        .size:           8
        .value_kind:     global_buffer
      - .offset:         144
        .size:           4
        .value_kind:     hidden_block_count_x
      - .offset:         148
        .size:           4
        .value_kind:     hidden_block_count_y
      - .offset:         152
        .size:           4
        .value_kind:     hidden_block_count_z
      - .offset:         156
        .size:           2
        .value_kind:     hidden_group_size_x
      - .offset:         158
        .size:           2
        .value_kind:     hidden_group_size_y
      - .offset:         160
        .size:           2
        .value_kind:     hidden_group_size_z
      - .offset:         162
        .size:           2
        .value_kind:     hidden_remainder_x
      - .offset:         164
        .size:           2
        .value_kind:     hidden_remainder_y
      - .offset:         166
        .size:           2
        .value_kind:     hidden_remainder_z
      - .offset:         184
        .size:           8
        .value_kind:     hidden_global_offset_x
      - .offset:         192
        .size:           8
        .value_kind:     hidden_global_offset_y
      - .offset:         200
        .size:           8
        .value_kind:     hidden_global_offset_z
      - .offset:         208
        .size:           2
        .value_kind:     hidden_grid_dims
      - .offset:         224
        .size:           8
        .value_kind:     hidden_hostcall_buffer
    .group_segment_fixed_size: 0
    .kernarg_segment_align: 8
    .kernarg_segment_size: 400
    .language:       OpenCL C
    .language_version:
      - 2
      - 0
    .max_flat_workgroup_size: 256
    .name:           _Z39paged_attention_ll4mi_QKV_mfma16_kernelI14__hip_bfloat16S0_LN4vllm18Fp8KVCacheDataTypeE0ES0_Li32ELi128ELi256ELb0ELi13EEvPKT_PKT0_S8_ifPKiSA_SA_iPKfiiiPfSD_PS3_PT2_iSC_SC_
    .private_segment_fixed_size: 64
    .sgpr_count:     36
    .sgpr_spill_count: 0
    .symbol:         _Z39paged_attention_ll4mi_QKV_mfma16_kernelI14__hip_bfloat16S0_LN4vllm18Fp8KVCacheDataTypeE0ES0_Li32ELi128ELi256ELb0ELi13EEvPKT_PKT0_S8_ifPKiSA_SA_iPKfiiiPfSD_PS3_PT2_iSC_SC_.kd
    .uniform_work_group_size: 1
    .uses_dynamic_stack: false
    .vgpr_count:     51
    .vgpr_spill_count: 0
    .wavefront_size: 32
  - .args:
      - .actual_access:  read_only
        .address_space:  global
        .offset:         0
        .size:           8
        .value_kind:     global_buffer
      - .actual_access:  read_only
        .address_space:  global
        .offset:         8
        .size:           8
        .value_kind:     global_buffer
      - .actual_access:  read_only
        .address_space:  global
        .offset:         16
        .size:           8
        .value_kind:     global_buffer
      - .offset:         24
        .size:           4
        .value_kind:     by_value
      - .offset:         28
        .size:           4
        .value_kind:     by_value
      - .actual_access:  read_only
        .address_space:  global
        .offset:         32
        .size:           8
        .value_kind:     global_buffer
      - .actual_access:  read_only
        .address_space:  global
        .offset:         40
        .size:           8
        .value_kind:     global_buffer
      - .actual_access:  read_only
        .address_space:  global
        .offset:         48
        .size:           8
        .value_kind:     global_buffer
      - .offset:         56
        .size:           4
        .value_kind:     by_value
      - .actual_access:  read_only
        .address_space:  global
        .offset:         64
        .size:           8
        .value_kind:     global_buffer
      - .offset:         72
        .size:           4
        .value_kind:     by_value
      - .offset:         76
        .size:           4
        .value_kind:     by_value
      - .offset:         80
        .size:           4
        .value_kind:     by_value
      - .actual_access:  read_only
        .address_space:  global
        .offset:         88
        .size:           8
        .value_kind:     global_buffer
      - .actual_access:  read_only
        .address_space:  global
        .offset:         96
        .size:           8
        .value_kind:     global_buffer
      - .actual_access:  read_only
        .address_space:  global
        .offset:         104
        .size:           8
        .value_kind:     global_buffer
      - .actual_access:  read_only
        .address_space:  global
        .offset:         112
        .size:           8
        .value_kind:     global_buffer
      - .offset:         120
        .size:           4
        .value_kind:     by_value
      - .address_space:  global
        .offset:         128
        .size:           8
        .value_kind:     global_buffer
      - .address_space:  global
        .offset:         136
        .size:           8
        .value_kind:     global_buffer
      - .offset:         144
        .size:           4
        .value_kind:     hidden_block_count_x
      - .offset:         148
        .size:           4
        .value_kind:     hidden_block_count_y
      - .offset:         152
        .size:           4
        .value_kind:     hidden_block_count_z
      - .offset:         156
        .size:           2
        .value_kind:     hidden_group_size_x
      - .offset:         158
        .size:           2
        .value_kind:     hidden_group_size_y
      - .offset:         160
        .size:           2
        .value_kind:     hidden_group_size_z
      - .offset:         162
        .size:           2
        .value_kind:     hidden_remainder_x
      - .offset:         164
        .size:           2
        .value_kind:     hidden_remainder_y
      - .offset:         166
        .size:           2
        .value_kind:     hidden_remainder_z
      - .offset:         184
        .size:           8
        .value_kind:     hidden_global_offset_x
      - .offset:         192
        .size:           8
        .value_kind:     hidden_global_offset_y
      - .offset:         200
        .size:           8
        .value_kind:     hidden_global_offset_z
      - .offset:         208
        .size:           2
        .value_kind:     hidden_grid_dims
      - .offset:         224
        .size:           8
        .value_kind:     hidden_hostcall_buffer
    .group_segment_fixed_size: 0
    .kernarg_segment_align: 8
    .kernarg_segment_size: 400
    .language:       OpenCL C
    .language_version:
      - 2
      - 0
    .max_flat_workgroup_size: 256
    .name:           _Z39paged_attention_ll4mi_QKV_mfma16_kernelI14__hip_bfloat16S0_LN4vllm18Fp8KVCacheDataTypeE0ES0_Li32ELi128ELi256ELb0ELi14EEvPKT_PKT0_S8_ifPKiSA_SA_iPKfiiiPfSD_PS3_PT2_iSC_SC_
    .private_segment_fixed_size: 64
    .sgpr_count:     36
    .sgpr_spill_count: 0
    .symbol:         _Z39paged_attention_ll4mi_QKV_mfma16_kernelI14__hip_bfloat16S0_LN4vllm18Fp8KVCacheDataTypeE0ES0_Li32ELi128ELi256ELb0ELi14EEvPKT_PKT0_S8_ifPKiSA_SA_iPKfiiiPfSD_PS3_PT2_iSC_SC_.kd
    .uniform_work_group_size: 1
    .uses_dynamic_stack: false
    .vgpr_count:     51
    .vgpr_spill_count: 0
    .wavefront_size: 32
  - .args:
      - .actual_access:  read_only
        .address_space:  global
        .offset:         0
        .size:           8
        .value_kind:     global_buffer
      - .actual_access:  read_only
        .address_space:  global
        .offset:         8
        .size:           8
        .value_kind:     global_buffer
      - .actual_access:  read_only
        .address_space:  global
        .offset:         16
        .size:           8
        .value_kind:     global_buffer
      - .offset:         24
        .size:           4
        .value_kind:     by_value
      - .offset:         28
        .size:           4
        .value_kind:     by_value
      - .actual_access:  read_only
        .address_space:  global
        .offset:         32
        .size:           8
        .value_kind:     global_buffer
      - .actual_access:  read_only
        .address_space:  global
        .offset:         40
        .size:           8
        .value_kind:     global_buffer
      - .actual_access:  read_only
        .address_space:  global
        .offset:         48
        .size:           8
        .value_kind:     global_buffer
      - .offset:         56
        .size:           4
        .value_kind:     by_value
      - .actual_access:  read_only
        .address_space:  global
        .offset:         64
        .size:           8
        .value_kind:     global_buffer
      - .offset:         72
        .size:           4
        .value_kind:     by_value
      - .offset:         76
        .size:           4
        .value_kind:     by_value
      - .offset:         80
        .size:           4
        .value_kind:     by_value
      - .actual_access:  read_only
        .address_space:  global
        .offset:         88
        .size:           8
        .value_kind:     global_buffer
      - .actual_access:  read_only
        .address_space:  global
        .offset:         96
        .size:           8
        .value_kind:     global_buffer
      - .actual_access:  read_only
        .address_space:  global
        .offset:         104
        .size:           8
        .value_kind:     global_buffer
      - .actual_access:  read_only
        .address_space:  global
        .offset:         112
        .size:           8
        .value_kind:     global_buffer
      - .offset:         120
        .size:           4
        .value_kind:     by_value
      - .address_space:  global
        .offset:         128
        .size:           8
        .value_kind:     global_buffer
      - .address_space:  global
        .offset:         136
        .size:           8
        .value_kind:     global_buffer
      - .offset:         144
        .size:           4
        .value_kind:     hidden_block_count_x
      - .offset:         148
        .size:           4
        .value_kind:     hidden_block_count_y
      - .offset:         152
        .size:           4
        .value_kind:     hidden_block_count_z
      - .offset:         156
        .size:           2
        .value_kind:     hidden_group_size_x
      - .offset:         158
        .size:           2
        .value_kind:     hidden_group_size_y
      - .offset:         160
        .size:           2
        .value_kind:     hidden_group_size_z
      - .offset:         162
        .size:           2
        .value_kind:     hidden_remainder_x
      - .offset:         164
        .size:           2
        .value_kind:     hidden_remainder_y
      - .offset:         166
        .size:           2
        .value_kind:     hidden_remainder_z
      - .offset:         184
        .size:           8
        .value_kind:     hidden_global_offset_x
      - .offset:         192
        .size:           8
        .value_kind:     hidden_global_offset_y
      - .offset:         200
        .size:           8
        .value_kind:     hidden_global_offset_z
      - .offset:         208
        .size:           2
        .value_kind:     hidden_grid_dims
      - .offset:         224
        .size:           8
        .value_kind:     hidden_hostcall_buffer
    .group_segment_fixed_size: 0
    .kernarg_segment_align: 8
    .kernarg_segment_size: 400
    .language:       OpenCL C
    .language_version:
      - 2
      - 0
    .max_flat_workgroup_size: 256
    .name:           _Z39paged_attention_ll4mi_QKV_mfma16_kernelI14__hip_bfloat16S0_LN4vllm18Fp8KVCacheDataTypeE0ES0_Li32ELi128ELi256ELb0ELi15EEvPKT_PKT0_S8_ifPKiSA_SA_iPKfiiiPfSD_PS3_PT2_iSC_SC_
    .private_segment_fixed_size: 64
    .sgpr_count:     36
    .sgpr_spill_count: 0
    .symbol:         _Z39paged_attention_ll4mi_QKV_mfma16_kernelI14__hip_bfloat16S0_LN4vllm18Fp8KVCacheDataTypeE0ES0_Li32ELi128ELi256ELb0ELi15EEvPKT_PKT0_S8_ifPKiSA_SA_iPKfiiiPfSD_PS3_PT2_iSC_SC_.kd
    .uniform_work_group_size: 1
    .uses_dynamic_stack: false
    .vgpr_count:     51
    .vgpr_spill_count: 0
    .wavefront_size: 32
  - .args:
      - .actual_access:  read_only
        .address_space:  global
        .offset:         0
        .size:           8
        .value_kind:     global_buffer
      - .actual_access:  read_only
        .address_space:  global
        .offset:         8
        .size:           8
        .value_kind:     global_buffer
      - .actual_access:  read_only
        .address_space:  global
        .offset:         16
        .size:           8
        .value_kind:     global_buffer
      - .offset:         24
        .size:           4
        .value_kind:     by_value
      - .offset:         28
        .size:           4
        .value_kind:     by_value
      - .actual_access:  read_only
        .address_space:  global
        .offset:         32
        .size:           8
        .value_kind:     global_buffer
      - .actual_access:  read_only
        .address_space:  global
        .offset:         40
        .size:           8
        .value_kind:     global_buffer
      - .actual_access:  read_only
        .address_space:  global
        .offset:         48
        .size:           8
        .value_kind:     global_buffer
      - .offset:         56
        .size:           4
        .value_kind:     by_value
      - .actual_access:  read_only
        .address_space:  global
        .offset:         64
        .size:           8
        .value_kind:     global_buffer
      - .offset:         72
        .size:           4
        .value_kind:     by_value
      - .offset:         76
        .size:           4
        .value_kind:     by_value
      - .offset:         80
        .size:           4
        .value_kind:     by_value
      - .actual_access:  read_only
        .address_space:  global
        .offset:         88
        .size:           8
        .value_kind:     global_buffer
      - .actual_access:  read_only
        .address_space:  global
        .offset:         96
        .size:           8
        .value_kind:     global_buffer
      - .actual_access:  read_only
        .address_space:  global
        .offset:         104
        .size:           8
        .value_kind:     global_buffer
      - .actual_access:  read_only
        .address_space:  global
        .offset:         112
        .size:           8
        .value_kind:     global_buffer
      - .offset:         120
        .size:           4
        .value_kind:     by_value
      - .address_space:  global
        .offset:         128
        .size:           8
        .value_kind:     global_buffer
      - .address_space:  global
        .offset:         136
        .size:           8
        .value_kind:     global_buffer
      - .offset:         144
        .size:           4
        .value_kind:     hidden_block_count_x
      - .offset:         148
        .size:           4
        .value_kind:     hidden_block_count_y
      - .offset:         152
        .size:           4
        .value_kind:     hidden_block_count_z
      - .offset:         156
        .size:           2
        .value_kind:     hidden_group_size_x
      - .offset:         158
        .size:           2
        .value_kind:     hidden_group_size_y
      - .offset:         160
        .size:           2
        .value_kind:     hidden_group_size_z
      - .offset:         162
        .size:           2
        .value_kind:     hidden_remainder_x
      - .offset:         164
        .size:           2
        .value_kind:     hidden_remainder_y
      - .offset:         166
        .size:           2
        .value_kind:     hidden_remainder_z
      - .offset:         184
        .size:           8
        .value_kind:     hidden_global_offset_x
      - .offset:         192
        .size:           8
        .value_kind:     hidden_global_offset_y
      - .offset:         200
        .size:           8
        .value_kind:     hidden_global_offset_z
      - .offset:         208
        .size:           2
        .value_kind:     hidden_grid_dims
      - .offset:         224
        .size:           8
        .value_kind:     hidden_hostcall_buffer
    .group_segment_fixed_size: 0
    .kernarg_segment_align: 8
    .kernarg_segment_size: 400
    .language:       OpenCL C
    .language_version:
      - 2
      - 0
    .max_flat_workgroup_size: 256
    .name:           _Z39paged_attention_ll4mi_QKV_mfma16_kernelI14__hip_bfloat16S0_LN4vllm18Fp8KVCacheDataTypeE0ES0_Li32ELi128ELi256ELb0ELi16EEvPKT_PKT0_S8_ifPKiSA_SA_iPKfiiiPfSD_PS3_PT2_iSC_SC_
    .private_segment_fixed_size: 64
    .sgpr_count:     36
    .sgpr_spill_count: 0
    .symbol:         _Z39paged_attention_ll4mi_QKV_mfma16_kernelI14__hip_bfloat16S0_LN4vllm18Fp8KVCacheDataTypeE0ES0_Li32ELi128ELi256ELb0ELi16EEvPKT_PKT0_S8_ifPKiSA_SA_iPKfiiiPfSD_PS3_PT2_iSC_SC_.kd
    .uniform_work_group_size: 1
    .uses_dynamic_stack: false
    .vgpr_count:     51
    .vgpr_spill_count: 0
    .wavefront_size: 32
  - .args:
      - .actual_access:  read_only
        .address_space:  global
        .offset:         0
        .size:           8
        .value_kind:     global_buffer
      - .actual_access:  read_only
        .address_space:  global
        .offset:         8
        .size:           8
        .value_kind:     global_buffer
      - .actual_access:  read_only
        .address_space:  global
        .offset:         16
        .size:           8
        .value_kind:     global_buffer
      - .offset:         24
        .size:           4
        .value_kind:     by_value
      - .offset:         28
        .size:           4
        .value_kind:     by_value
      - .actual_access:  read_only
        .address_space:  global
        .offset:         32
        .size:           8
        .value_kind:     global_buffer
      - .actual_access:  read_only
        .address_space:  global
        .offset:         40
        .size:           8
        .value_kind:     global_buffer
      - .actual_access:  read_only
        .address_space:  global
        .offset:         48
        .size:           8
        .value_kind:     global_buffer
      - .offset:         56
        .size:           4
        .value_kind:     by_value
      - .actual_access:  read_only
        .address_space:  global
        .offset:         64
        .size:           8
        .value_kind:     global_buffer
      - .offset:         72
        .size:           4
        .value_kind:     by_value
      - .offset:         76
        .size:           4
        .value_kind:     by_value
      - .offset:         80
        .size:           4
        .value_kind:     by_value
      - .actual_access:  read_only
        .address_space:  global
        .offset:         88
        .size:           8
        .value_kind:     global_buffer
      - .actual_access:  read_only
        .address_space:  global
        .offset:         96
        .size:           8
        .value_kind:     global_buffer
      - .actual_access:  read_only
        .address_space:  global
        .offset:         104
        .size:           8
        .value_kind:     global_buffer
      - .actual_access:  read_only
        .address_space:  global
        .offset:         112
        .size:           8
        .value_kind:     global_buffer
      - .offset:         120
        .size:           4
        .value_kind:     by_value
      - .address_space:  global
        .offset:         128
        .size:           8
        .value_kind:     global_buffer
      - .address_space:  global
        .offset:         136
        .size:           8
        .value_kind:     global_buffer
      - .offset:         144
        .size:           4
        .value_kind:     hidden_block_count_x
      - .offset:         148
        .size:           4
        .value_kind:     hidden_block_count_y
      - .offset:         152
        .size:           4
        .value_kind:     hidden_block_count_z
      - .offset:         156
        .size:           2
        .value_kind:     hidden_group_size_x
      - .offset:         158
        .size:           2
        .value_kind:     hidden_group_size_y
      - .offset:         160
        .size:           2
        .value_kind:     hidden_group_size_z
      - .offset:         162
        .size:           2
        .value_kind:     hidden_remainder_x
      - .offset:         164
        .size:           2
        .value_kind:     hidden_remainder_y
      - .offset:         166
        .size:           2
        .value_kind:     hidden_remainder_z
      - .offset:         184
        .size:           8
        .value_kind:     hidden_global_offset_x
      - .offset:         192
        .size:           8
        .value_kind:     hidden_global_offset_y
      - .offset:         200
        .size:           8
        .value_kind:     hidden_global_offset_z
      - .offset:         208
        .size:           2
        .value_kind:     hidden_grid_dims
      - .offset:         224
        .size:           8
        .value_kind:     hidden_hostcall_buffer
    .group_segment_fixed_size: 0
    .kernarg_segment_align: 8
    .kernarg_segment_size: 400
    .language:       OpenCL C
    .language_version:
      - 2
      - 0
    .max_flat_workgroup_size: 256
    .name:           _Z39paged_attention_ll4mi_QKV_mfma16_kernelI14__hip_bfloat16S0_LN4vllm18Fp8KVCacheDataTypeE0ES0_Li32ELi128ELi256ELb0ELi1EEvPKT_PKT0_S8_ifPKiSA_SA_iPKfiiiPfSD_PS3_PT2_iSC_SC_
    .private_segment_fixed_size: 64
    .sgpr_count:     36
    .sgpr_spill_count: 0
    .symbol:         _Z39paged_attention_ll4mi_QKV_mfma16_kernelI14__hip_bfloat16S0_LN4vllm18Fp8KVCacheDataTypeE0ES0_Li32ELi128ELi256ELb0ELi1EEvPKT_PKT0_S8_ifPKiSA_SA_iPKfiiiPfSD_PS3_PT2_iSC_SC_.kd
    .uniform_work_group_size: 1
    .uses_dynamic_stack: false
    .vgpr_count:     51
    .vgpr_spill_count: 0
    .wavefront_size: 32
  - .args:
      - .actual_access:  read_only
        .address_space:  global
        .offset:         0
        .size:           8
        .value_kind:     global_buffer
      - .actual_access:  read_only
        .address_space:  global
        .offset:         8
        .size:           8
        .value_kind:     global_buffer
      - .actual_access:  read_only
        .address_space:  global
        .offset:         16
        .size:           8
        .value_kind:     global_buffer
      - .offset:         24
        .size:           4
        .value_kind:     by_value
      - .offset:         28
        .size:           4
        .value_kind:     by_value
      - .actual_access:  read_only
        .address_space:  global
        .offset:         32
        .size:           8
        .value_kind:     global_buffer
      - .actual_access:  read_only
        .address_space:  global
        .offset:         40
        .size:           8
        .value_kind:     global_buffer
      - .actual_access:  read_only
        .address_space:  global
        .offset:         48
        .size:           8
        .value_kind:     global_buffer
      - .offset:         56
        .size:           4
        .value_kind:     by_value
      - .actual_access:  read_only
        .address_space:  global
        .offset:         64
        .size:           8
        .value_kind:     global_buffer
      - .offset:         72
        .size:           4
        .value_kind:     by_value
      - .offset:         76
        .size:           4
        .value_kind:     by_value
      - .offset:         80
        .size:           4
        .value_kind:     by_value
      - .actual_access:  read_only
        .address_space:  global
        .offset:         88
        .size:           8
        .value_kind:     global_buffer
      - .actual_access:  read_only
        .address_space:  global
        .offset:         96
        .size:           8
        .value_kind:     global_buffer
      - .actual_access:  read_only
        .address_space:  global
        .offset:         104
        .size:           8
        .value_kind:     global_buffer
      - .actual_access:  read_only
        .address_space:  global
        .offset:         112
        .size:           8
        .value_kind:     global_buffer
      - .offset:         120
        .size:           4
        .value_kind:     by_value
      - .address_space:  global
        .offset:         128
        .size:           8
        .value_kind:     global_buffer
      - .address_space:  global
        .offset:         136
        .size:           8
        .value_kind:     global_buffer
      - .offset:         144
        .size:           4
        .value_kind:     hidden_block_count_x
      - .offset:         148
        .size:           4
        .value_kind:     hidden_block_count_y
      - .offset:         152
        .size:           4
        .value_kind:     hidden_block_count_z
      - .offset:         156
        .size:           2
        .value_kind:     hidden_group_size_x
      - .offset:         158
        .size:           2
        .value_kind:     hidden_group_size_y
      - .offset:         160
        .size:           2
        .value_kind:     hidden_group_size_z
      - .offset:         162
        .size:           2
        .value_kind:     hidden_remainder_x
      - .offset:         164
        .size:           2
        .value_kind:     hidden_remainder_y
      - .offset:         166
        .size:           2
        .value_kind:     hidden_remainder_z
      - .offset:         184
        .size:           8
        .value_kind:     hidden_global_offset_x
      - .offset:         192
        .size:           8
        .value_kind:     hidden_global_offset_y
      - .offset:         200
        .size:           8
        .value_kind:     hidden_global_offset_z
      - .offset:         208
        .size:           2
        .value_kind:     hidden_grid_dims
      - .offset:         224
        .size:           8
        .value_kind:     hidden_hostcall_buffer
    .group_segment_fixed_size: 0
    .kernarg_segment_align: 8
    .kernarg_segment_size: 400
    .language:       OpenCL C
    .language_version:
      - 2
      - 0
    .max_flat_workgroup_size: 256
    .name:           _Z39paged_attention_ll4mi_QKV_mfma16_kernelI14__hip_bfloat16S0_LN4vllm18Fp8KVCacheDataTypeE0ES0_Li32ELi128ELi256ELb0ELi2EEvPKT_PKT0_S8_ifPKiSA_SA_iPKfiiiPfSD_PS3_PT2_iSC_SC_
    .private_segment_fixed_size: 64
    .sgpr_count:     36
    .sgpr_spill_count: 0
    .symbol:         _Z39paged_attention_ll4mi_QKV_mfma16_kernelI14__hip_bfloat16S0_LN4vllm18Fp8KVCacheDataTypeE0ES0_Li32ELi128ELi256ELb0ELi2EEvPKT_PKT0_S8_ifPKiSA_SA_iPKfiiiPfSD_PS3_PT2_iSC_SC_.kd
    .uniform_work_group_size: 1
    .uses_dynamic_stack: false
    .vgpr_count:     51
    .vgpr_spill_count: 0
    .wavefront_size: 32
  - .args:
      - .actual_access:  read_only
        .address_space:  global
        .offset:         0
        .size:           8
        .value_kind:     global_buffer
      - .actual_access:  read_only
        .address_space:  global
        .offset:         8
        .size:           8
        .value_kind:     global_buffer
      - .actual_access:  read_only
        .address_space:  global
        .offset:         16
        .size:           8
        .value_kind:     global_buffer
      - .offset:         24
        .size:           4
        .value_kind:     by_value
      - .offset:         28
        .size:           4
        .value_kind:     by_value
      - .actual_access:  read_only
        .address_space:  global
        .offset:         32
        .size:           8
        .value_kind:     global_buffer
      - .actual_access:  read_only
        .address_space:  global
        .offset:         40
        .size:           8
        .value_kind:     global_buffer
      - .actual_access:  read_only
        .address_space:  global
        .offset:         48
        .size:           8
        .value_kind:     global_buffer
      - .offset:         56
        .size:           4
        .value_kind:     by_value
      - .actual_access:  read_only
        .address_space:  global
        .offset:         64
        .size:           8
        .value_kind:     global_buffer
      - .offset:         72
        .size:           4
        .value_kind:     by_value
      - .offset:         76
        .size:           4
        .value_kind:     by_value
      - .offset:         80
        .size:           4
        .value_kind:     by_value
      - .actual_access:  read_only
        .address_space:  global
        .offset:         88
        .size:           8
        .value_kind:     global_buffer
      - .actual_access:  read_only
        .address_space:  global
        .offset:         96
        .size:           8
        .value_kind:     global_buffer
      - .actual_access:  read_only
        .address_space:  global
        .offset:         104
        .size:           8
        .value_kind:     global_buffer
      - .actual_access:  read_only
        .address_space:  global
        .offset:         112
        .size:           8
        .value_kind:     global_buffer
      - .offset:         120
        .size:           4
        .value_kind:     by_value
      - .address_space:  global
        .offset:         128
        .size:           8
        .value_kind:     global_buffer
      - .address_space:  global
        .offset:         136
        .size:           8
        .value_kind:     global_buffer
      - .offset:         144
        .size:           4
        .value_kind:     hidden_block_count_x
      - .offset:         148
        .size:           4
        .value_kind:     hidden_block_count_y
      - .offset:         152
        .size:           4
        .value_kind:     hidden_block_count_z
      - .offset:         156
        .size:           2
        .value_kind:     hidden_group_size_x
      - .offset:         158
        .size:           2
        .value_kind:     hidden_group_size_y
      - .offset:         160
        .size:           2
        .value_kind:     hidden_group_size_z
      - .offset:         162
        .size:           2
        .value_kind:     hidden_remainder_x
      - .offset:         164
        .size:           2
        .value_kind:     hidden_remainder_y
      - .offset:         166
        .size:           2
        .value_kind:     hidden_remainder_z
      - .offset:         184
        .size:           8
        .value_kind:     hidden_global_offset_x
      - .offset:         192
        .size:           8
        .value_kind:     hidden_global_offset_y
      - .offset:         200
        .size:           8
        .value_kind:     hidden_global_offset_z
      - .offset:         208
        .size:           2
        .value_kind:     hidden_grid_dims
      - .offset:         224
        .size:           8
        .value_kind:     hidden_hostcall_buffer
    .group_segment_fixed_size: 0
    .kernarg_segment_align: 8
    .kernarg_segment_size: 400
    .language:       OpenCL C
    .language_version:
      - 2
      - 0
    .max_flat_workgroup_size: 256
    .name:           _Z39paged_attention_ll4mi_QKV_mfma16_kernelI14__hip_bfloat16S0_LN4vllm18Fp8KVCacheDataTypeE0ES0_Li32ELi128ELi256ELb0ELi3EEvPKT_PKT0_S8_ifPKiSA_SA_iPKfiiiPfSD_PS3_PT2_iSC_SC_
    .private_segment_fixed_size: 64
    .sgpr_count:     36
    .sgpr_spill_count: 0
    .symbol:         _Z39paged_attention_ll4mi_QKV_mfma16_kernelI14__hip_bfloat16S0_LN4vllm18Fp8KVCacheDataTypeE0ES0_Li32ELi128ELi256ELb0ELi3EEvPKT_PKT0_S8_ifPKiSA_SA_iPKfiiiPfSD_PS3_PT2_iSC_SC_.kd
    .uniform_work_group_size: 1
    .uses_dynamic_stack: false
    .vgpr_count:     51
    .vgpr_spill_count: 0
    .wavefront_size: 32
  - .args:
      - .actual_access:  read_only
        .address_space:  global
        .offset:         0
        .size:           8
        .value_kind:     global_buffer
      - .actual_access:  read_only
        .address_space:  global
        .offset:         8
        .size:           8
        .value_kind:     global_buffer
      - .actual_access:  read_only
        .address_space:  global
        .offset:         16
        .size:           8
        .value_kind:     global_buffer
      - .offset:         24
        .size:           4
        .value_kind:     by_value
      - .offset:         28
        .size:           4
        .value_kind:     by_value
      - .actual_access:  read_only
        .address_space:  global
        .offset:         32
        .size:           8
        .value_kind:     global_buffer
      - .actual_access:  read_only
        .address_space:  global
        .offset:         40
        .size:           8
        .value_kind:     global_buffer
      - .actual_access:  read_only
        .address_space:  global
        .offset:         48
        .size:           8
        .value_kind:     global_buffer
      - .offset:         56
        .size:           4
        .value_kind:     by_value
      - .actual_access:  read_only
        .address_space:  global
        .offset:         64
        .size:           8
        .value_kind:     global_buffer
      - .offset:         72
        .size:           4
        .value_kind:     by_value
      - .offset:         76
        .size:           4
        .value_kind:     by_value
      - .offset:         80
        .size:           4
        .value_kind:     by_value
      - .actual_access:  read_only
        .address_space:  global
        .offset:         88
        .size:           8
        .value_kind:     global_buffer
      - .actual_access:  read_only
        .address_space:  global
        .offset:         96
        .size:           8
        .value_kind:     global_buffer
      - .actual_access:  read_only
        .address_space:  global
        .offset:         104
        .size:           8
        .value_kind:     global_buffer
      - .actual_access:  read_only
        .address_space:  global
        .offset:         112
        .size:           8
        .value_kind:     global_buffer
      - .offset:         120
        .size:           4
        .value_kind:     by_value
      - .address_space:  global
        .offset:         128
        .size:           8
        .value_kind:     global_buffer
      - .address_space:  global
        .offset:         136
        .size:           8
        .value_kind:     global_buffer
      - .offset:         144
        .size:           4
        .value_kind:     hidden_block_count_x
      - .offset:         148
        .size:           4
        .value_kind:     hidden_block_count_y
      - .offset:         152
        .size:           4
        .value_kind:     hidden_block_count_z
      - .offset:         156
        .size:           2
        .value_kind:     hidden_group_size_x
      - .offset:         158
        .size:           2
        .value_kind:     hidden_group_size_y
      - .offset:         160
        .size:           2
        .value_kind:     hidden_group_size_z
      - .offset:         162
        .size:           2
        .value_kind:     hidden_remainder_x
      - .offset:         164
        .size:           2
        .value_kind:     hidden_remainder_y
      - .offset:         166
        .size:           2
        .value_kind:     hidden_remainder_z
      - .offset:         184
        .size:           8
        .value_kind:     hidden_global_offset_x
      - .offset:         192
        .size:           8
        .value_kind:     hidden_global_offset_y
      - .offset:         200
        .size:           8
        .value_kind:     hidden_global_offset_z
      - .offset:         208
        .size:           2
        .value_kind:     hidden_grid_dims
      - .offset:         224
        .size:           8
        .value_kind:     hidden_hostcall_buffer
    .group_segment_fixed_size: 0
    .kernarg_segment_align: 8
    .kernarg_segment_size: 400
    .language:       OpenCL C
    .language_version:
      - 2
      - 0
    .max_flat_workgroup_size: 256
    .name:           _Z39paged_attention_ll4mi_QKV_mfma16_kernelI14__hip_bfloat16S0_LN4vllm18Fp8KVCacheDataTypeE0ES0_Li32ELi128ELi256ELb0ELi4EEvPKT_PKT0_S8_ifPKiSA_SA_iPKfiiiPfSD_PS3_PT2_iSC_SC_
    .private_segment_fixed_size: 64
    .sgpr_count:     36
    .sgpr_spill_count: 0
    .symbol:         _Z39paged_attention_ll4mi_QKV_mfma16_kernelI14__hip_bfloat16S0_LN4vllm18Fp8KVCacheDataTypeE0ES0_Li32ELi128ELi256ELb0ELi4EEvPKT_PKT0_S8_ifPKiSA_SA_iPKfiiiPfSD_PS3_PT2_iSC_SC_.kd
    .uniform_work_group_size: 1
    .uses_dynamic_stack: false
    .vgpr_count:     51
    .vgpr_spill_count: 0
    .wavefront_size: 32
  - .args:
      - .actual_access:  read_only
        .address_space:  global
        .offset:         0
        .size:           8
        .value_kind:     global_buffer
      - .actual_access:  read_only
        .address_space:  global
        .offset:         8
        .size:           8
        .value_kind:     global_buffer
      - .actual_access:  read_only
        .address_space:  global
        .offset:         16
        .size:           8
        .value_kind:     global_buffer
      - .offset:         24
        .size:           4
        .value_kind:     by_value
      - .offset:         28
        .size:           4
        .value_kind:     by_value
      - .actual_access:  read_only
        .address_space:  global
        .offset:         32
        .size:           8
        .value_kind:     global_buffer
      - .actual_access:  read_only
        .address_space:  global
        .offset:         40
        .size:           8
        .value_kind:     global_buffer
      - .actual_access:  read_only
        .address_space:  global
        .offset:         48
        .size:           8
        .value_kind:     global_buffer
      - .offset:         56
        .size:           4
        .value_kind:     by_value
      - .actual_access:  read_only
        .address_space:  global
        .offset:         64
        .size:           8
        .value_kind:     global_buffer
      - .offset:         72
        .size:           4
        .value_kind:     by_value
      - .offset:         76
        .size:           4
        .value_kind:     by_value
      - .offset:         80
        .size:           4
        .value_kind:     by_value
      - .actual_access:  read_only
        .address_space:  global
        .offset:         88
        .size:           8
        .value_kind:     global_buffer
      - .actual_access:  read_only
        .address_space:  global
        .offset:         96
        .size:           8
        .value_kind:     global_buffer
      - .actual_access:  read_only
        .address_space:  global
        .offset:         104
        .size:           8
        .value_kind:     global_buffer
      - .actual_access:  read_only
        .address_space:  global
        .offset:         112
        .size:           8
        .value_kind:     global_buffer
      - .offset:         120
        .size:           4
        .value_kind:     by_value
      - .address_space:  global
        .offset:         128
        .size:           8
        .value_kind:     global_buffer
      - .address_space:  global
        .offset:         136
        .size:           8
        .value_kind:     global_buffer
      - .offset:         144
        .size:           4
        .value_kind:     hidden_block_count_x
      - .offset:         148
        .size:           4
        .value_kind:     hidden_block_count_y
      - .offset:         152
        .size:           4
        .value_kind:     hidden_block_count_z
      - .offset:         156
        .size:           2
        .value_kind:     hidden_group_size_x
      - .offset:         158
        .size:           2
        .value_kind:     hidden_group_size_y
      - .offset:         160
        .size:           2
        .value_kind:     hidden_group_size_z
      - .offset:         162
        .size:           2
        .value_kind:     hidden_remainder_x
      - .offset:         164
        .size:           2
        .value_kind:     hidden_remainder_y
      - .offset:         166
        .size:           2
        .value_kind:     hidden_remainder_z
      - .offset:         184
        .size:           8
        .value_kind:     hidden_global_offset_x
      - .offset:         192
        .size:           8
        .value_kind:     hidden_global_offset_y
      - .offset:         200
        .size:           8
        .value_kind:     hidden_global_offset_z
      - .offset:         208
        .size:           2
        .value_kind:     hidden_grid_dims
      - .offset:         224
        .size:           8
        .value_kind:     hidden_hostcall_buffer
    .group_segment_fixed_size: 0
    .kernarg_segment_align: 8
    .kernarg_segment_size: 400
    .language:       OpenCL C
    .language_version:
      - 2
      - 0
    .max_flat_workgroup_size: 256
    .name:           _Z38paged_attention_ll4mi_QKV_mfma4_kernelIDF16_hLN4vllm18Fp8KVCacheDataTypeE1EhLi16ELi64ELi256ELb1ELi1EEvPKT_PKT0_S7_ifPKiS9_S9_iPKfiiiPfSC_PS2_PT2_iSB_SB_
    .private_segment_fixed_size: 64
    .sgpr_count:     36
    .sgpr_spill_count: 0
    .symbol:         _Z38paged_attention_ll4mi_QKV_mfma4_kernelIDF16_hLN4vllm18Fp8KVCacheDataTypeE1EhLi16ELi64ELi256ELb1ELi1EEvPKT_PKT0_S7_ifPKiS9_S9_iPKfiiiPfSC_PS2_PT2_iSB_SB_.kd
    .uniform_work_group_size: 1
    .uses_dynamic_stack: false
    .vgpr_count:     51
    .vgpr_spill_count: 0
    .wavefront_size: 32
  - .args:
      - .actual_access:  read_only
        .address_space:  global
        .offset:         0
        .size:           8
        .value_kind:     global_buffer
      - .actual_access:  read_only
        .address_space:  global
        .offset:         8
        .size:           8
        .value_kind:     global_buffer
      - .actual_access:  read_only
        .address_space:  global
        .offset:         16
        .size:           8
        .value_kind:     global_buffer
      - .offset:         24
        .size:           4
        .value_kind:     by_value
      - .offset:         28
        .size:           4
        .value_kind:     by_value
      - .actual_access:  read_only
        .address_space:  global
        .offset:         32
        .size:           8
        .value_kind:     global_buffer
      - .actual_access:  read_only
        .address_space:  global
        .offset:         40
        .size:           8
        .value_kind:     global_buffer
      - .actual_access:  read_only
        .address_space:  global
        .offset:         48
        .size:           8
        .value_kind:     global_buffer
      - .offset:         56
        .size:           4
        .value_kind:     by_value
      - .actual_access:  read_only
        .address_space:  global
        .offset:         64
        .size:           8
        .value_kind:     global_buffer
      - .offset:         72
        .size:           4
        .value_kind:     by_value
      - .offset:         76
        .size:           4
        .value_kind:     by_value
      - .offset:         80
        .size:           4
        .value_kind:     by_value
      - .actual_access:  read_only
        .address_space:  global
        .offset:         88
        .size:           8
        .value_kind:     global_buffer
      - .actual_access:  read_only
        .address_space:  global
        .offset:         96
        .size:           8
        .value_kind:     global_buffer
      - .actual_access:  read_only
        .address_space:  global
        .offset:         104
        .size:           8
        .value_kind:     global_buffer
      - .actual_access:  read_only
        .address_space:  global
        .offset:         112
        .size:           8
        .value_kind:     global_buffer
      - .offset:         120
        .size:           4
        .value_kind:     by_value
      - .address_space:  global
        .offset:         128
        .size:           8
        .value_kind:     global_buffer
      - .address_space:  global
        .offset:         136
        .size:           8
        .value_kind:     global_buffer
      - .offset:         144
        .size:           4
        .value_kind:     hidden_block_count_x
      - .offset:         148
        .size:           4
        .value_kind:     hidden_block_count_y
      - .offset:         152
        .size:           4
        .value_kind:     hidden_block_count_z
      - .offset:         156
        .size:           2
        .value_kind:     hidden_group_size_x
      - .offset:         158
        .size:           2
        .value_kind:     hidden_group_size_y
      - .offset:         160
        .size:           2
        .value_kind:     hidden_group_size_z
      - .offset:         162
        .size:           2
        .value_kind:     hidden_remainder_x
      - .offset:         164
        .size:           2
        .value_kind:     hidden_remainder_y
      - .offset:         166
        .size:           2
        .value_kind:     hidden_remainder_z
      - .offset:         184
        .size:           8
        .value_kind:     hidden_global_offset_x
      - .offset:         192
        .size:           8
        .value_kind:     hidden_global_offset_y
      - .offset:         200
        .size:           8
        .value_kind:     hidden_global_offset_z
      - .offset:         208
        .size:           2
        .value_kind:     hidden_grid_dims
      - .offset:         224
        .size:           8
        .value_kind:     hidden_hostcall_buffer
    .group_segment_fixed_size: 0
    .kernarg_segment_align: 8
    .kernarg_segment_size: 400
    .language:       OpenCL C
    .language_version:
      - 2
      - 0
    .max_flat_workgroup_size: 256
    .name:           _Z38paged_attention_ll4mi_QKV_mfma4_kernelIDF16_hLN4vllm18Fp8KVCacheDataTypeE1EhLi16ELi64ELi256ELb1ELi2EEvPKT_PKT0_S7_ifPKiS9_S9_iPKfiiiPfSC_PS2_PT2_iSB_SB_
    .private_segment_fixed_size: 64
    .sgpr_count:     36
    .sgpr_spill_count: 0
    .symbol:         _Z38paged_attention_ll4mi_QKV_mfma4_kernelIDF16_hLN4vllm18Fp8KVCacheDataTypeE1EhLi16ELi64ELi256ELb1ELi2EEvPKT_PKT0_S7_ifPKiS9_S9_iPKfiiiPfSC_PS2_PT2_iSB_SB_.kd
    .uniform_work_group_size: 1
    .uses_dynamic_stack: false
    .vgpr_count:     51
    .vgpr_spill_count: 0
    .wavefront_size: 32
  - .args:
      - .actual_access:  read_only
        .address_space:  global
        .offset:         0
        .size:           8
        .value_kind:     global_buffer
      - .actual_access:  read_only
        .address_space:  global
        .offset:         8
        .size:           8
        .value_kind:     global_buffer
      - .actual_access:  read_only
        .address_space:  global
        .offset:         16
        .size:           8
        .value_kind:     global_buffer
      - .offset:         24
        .size:           4
        .value_kind:     by_value
      - .offset:         28
        .size:           4
        .value_kind:     by_value
      - .actual_access:  read_only
        .address_space:  global
        .offset:         32
        .size:           8
        .value_kind:     global_buffer
      - .actual_access:  read_only
        .address_space:  global
        .offset:         40
        .size:           8
        .value_kind:     global_buffer
      - .actual_access:  read_only
        .address_space:  global
        .offset:         48
        .size:           8
        .value_kind:     global_buffer
      - .offset:         56
        .size:           4
        .value_kind:     by_value
      - .actual_access:  read_only
        .address_space:  global
        .offset:         64
        .size:           8
        .value_kind:     global_buffer
      - .offset:         72
        .size:           4
        .value_kind:     by_value
      - .offset:         76
        .size:           4
        .value_kind:     by_value
      - .offset:         80
        .size:           4
        .value_kind:     by_value
      - .actual_access:  read_only
        .address_space:  global
        .offset:         88
        .size:           8
        .value_kind:     global_buffer
      - .actual_access:  read_only
        .address_space:  global
        .offset:         96
        .size:           8
        .value_kind:     global_buffer
      - .actual_access:  read_only
        .address_space:  global
        .offset:         104
        .size:           8
        .value_kind:     global_buffer
      - .actual_access:  read_only
        .address_space:  global
        .offset:         112
        .size:           8
        .value_kind:     global_buffer
      - .offset:         120
        .size:           4
        .value_kind:     by_value
      - .address_space:  global
        .offset:         128
        .size:           8
        .value_kind:     global_buffer
      - .address_space:  global
        .offset:         136
        .size:           8
        .value_kind:     global_buffer
      - .offset:         144
        .size:           4
        .value_kind:     hidden_block_count_x
      - .offset:         148
        .size:           4
        .value_kind:     hidden_block_count_y
      - .offset:         152
        .size:           4
        .value_kind:     hidden_block_count_z
      - .offset:         156
        .size:           2
        .value_kind:     hidden_group_size_x
      - .offset:         158
        .size:           2
        .value_kind:     hidden_group_size_y
      - .offset:         160
        .size:           2
        .value_kind:     hidden_group_size_z
      - .offset:         162
        .size:           2
        .value_kind:     hidden_remainder_x
      - .offset:         164
        .size:           2
        .value_kind:     hidden_remainder_y
      - .offset:         166
        .size:           2
        .value_kind:     hidden_remainder_z
      - .offset:         184
        .size:           8
        .value_kind:     hidden_global_offset_x
      - .offset:         192
        .size:           8
        .value_kind:     hidden_global_offset_y
      - .offset:         200
        .size:           8
        .value_kind:     hidden_global_offset_z
      - .offset:         208
        .size:           2
        .value_kind:     hidden_grid_dims
      - .offset:         224
        .size:           8
        .value_kind:     hidden_hostcall_buffer
    .group_segment_fixed_size: 0
    .kernarg_segment_align: 8
    .kernarg_segment_size: 400
    .language:       OpenCL C
    .language_version:
      - 2
      - 0
    .max_flat_workgroup_size: 256
    .name:           _Z38paged_attention_ll4mi_QKV_mfma4_kernelIDF16_hLN4vllm18Fp8KVCacheDataTypeE1EhLi16ELi64ELi256ELb1ELi3EEvPKT_PKT0_S7_ifPKiS9_S9_iPKfiiiPfSC_PS2_PT2_iSB_SB_
    .private_segment_fixed_size: 64
    .sgpr_count:     36
    .sgpr_spill_count: 0
    .symbol:         _Z38paged_attention_ll4mi_QKV_mfma4_kernelIDF16_hLN4vllm18Fp8KVCacheDataTypeE1EhLi16ELi64ELi256ELb1ELi3EEvPKT_PKT0_S7_ifPKiS9_S9_iPKfiiiPfSC_PS2_PT2_iSB_SB_.kd
    .uniform_work_group_size: 1
    .uses_dynamic_stack: false
    .vgpr_count:     51
    .vgpr_spill_count: 0
    .wavefront_size: 32
  - .args:
      - .actual_access:  read_only
        .address_space:  global
        .offset:         0
        .size:           8
        .value_kind:     global_buffer
      - .actual_access:  read_only
        .address_space:  global
        .offset:         8
        .size:           8
        .value_kind:     global_buffer
      - .actual_access:  read_only
        .address_space:  global
        .offset:         16
        .size:           8
        .value_kind:     global_buffer
      - .offset:         24
        .size:           4
        .value_kind:     by_value
      - .offset:         28
        .size:           4
        .value_kind:     by_value
      - .actual_access:  read_only
        .address_space:  global
        .offset:         32
        .size:           8
        .value_kind:     global_buffer
      - .actual_access:  read_only
        .address_space:  global
        .offset:         40
        .size:           8
        .value_kind:     global_buffer
      - .actual_access:  read_only
        .address_space:  global
        .offset:         48
        .size:           8
        .value_kind:     global_buffer
      - .offset:         56
        .size:           4
        .value_kind:     by_value
      - .actual_access:  read_only
        .address_space:  global
        .offset:         64
        .size:           8
        .value_kind:     global_buffer
      - .offset:         72
        .size:           4
        .value_kind:     by_value
      - .offset:         76
        .size:           4
        .value_kind:     by_value
      - .offset:         80
        .size:           4
        .value_kind:     by_value
      - .actual_access:  read_only
        .address_space:  global
        .offset:         88
        .size:           8
        .value_kind:     global_buffer
      - .actual_access:  read_only
        .address_space:  global
        .offset:         96
        .size:           8
        .value_kind:     global_buffer
      - .actual_access:  read_only
        .address_space:  global
        .offset:         104
        .size:           8
        .value_kind:     global_buffer
      - .actual_access:  read_only
        .address_space:  global
        .offset:         112
        .size:           8
        .value_kind:     global_buffer
      - .offset:         120
        .size:           4
        .value_kind:     by_value
      - .address_space:  global
        .offset:         128
        .size:           8
        .value_kind:     global_buffer
      - .address_space:  global
        .offset:         136
        .size:           8
        .value_kind:     global_buffer
      - .offset:         144
        .size:           4
        .value_kind:     hidden_block_count_x
      - .offset:         148
        .size:           4
        .value_kind:     hidden_block_count_y
      - .offset:         152
        .size:           4
        .value_kind:     hidden_block_count_z
      - .offset:         156
        .size:           2
        .value_kind:     hidden_group_size_x
      - .offset:         158
        .size:           2
        .value_kind:     hidden_group_size_y
      - .offset:         160
        .size:           2
        .value_kind:     hidden_group_size_z
      - .offset:         162
        .size:           2
        .value_kind:     hidden_remainder_x
      - .offset:         164
        .size:           2
        .value_kind:     hidden_remainder_y
      - .offset:         166
        .size:           2
        .value_kind:     hidden_remainder_z
      - .offset:         184
        .size:           8
        .value_kind:     hidden_global_offset_x
      - .offset:         192
        .size:           8
        .value_kind:     hidden_global_offset_y
      - .offset:         200
        .size:           8
        .value_kind:     hidden_global_offset_z
      - .offset:         208
        .size:           2
        .value_kind:     hidden_grid_dims
      - .offset:         224
        .size:           8
        .value_kind:     hidden_hostcall_buffer
    .group_segment_fixed_size: 0
    .kernarg_segment_align: 8
    .kernarg_segment_size: 400
    .language:       OpenCL C
    .language_version:
      - 2
      - 0
    .max_flat_workgroup_size: 256
    .name:           _Z38paged_attention_ll4mi_QKV_mfma4_kernelIDF16_hLN4vllm18Fp8KVCacheDataTypeE1EhLi16ELi64ELi256ELb1ELi4EEvPKT_PKT0_S7_ifPKiS9_S9_iPKfiiiPfSC_PS2_PT2_iSB_SB_
    .private_segment_fixed_size: 64
    .sgpr_count:     36
    .sgpr_spill_count: 0
    .symbol:         _Z38paged_attention_ll4mi_QKV_mfma4_kernelIDF16_hLN4vllm18Fp8KVCacheDataTypeE1EhLi16ELi64ELi256ELb1ELi4EEvPKT_PKT0_S7_ifPKiS9_S9_iPKfiiiPfSC_PS2_PT2_iSB_SB_.kd
    .uniform_work_group_size: 1
    .uses_dynamic_stack: false
    .vgpr_count:     51
    .vgpr_spill_count: 0
    .wavefront_size: 32
  - .args:
      - .actual_access:  read_only
        .address_space:  global
        .offset:         0
        .size:           8
        .value_kind:     global_buffer
      - .actual_access:  read_only
        .address_space:  global
        .offset:         8
        .size:           8
        .value_kind:     global_buffer
      - .actual_access:  read_only
        .address_space:  global
        .offset:         16
        .size:           8
        .value_kind:     global_buffer
      - .offset:         24
        .size:           4
        .value_kind:     by_value
      - .offset:         28
        .size:           4
        .value_kind:     by_value
      - .actual_access:  read_only
        .address_space:  global
        .offset:         32
        .size:           8
        .value_kind:     global_buffer
      - .actual_access:  read_only
        .address_space:  global
        .offset:         40
        .size:           8
        .value_kind:     global_buffer
      - .actual_access:  read_only
        .address_space:  global
        .offset:         48
        .size:           8
        .value_kind:     global_buffer
      - .offset:         56
        .size:           4
        .value_kind:     by_value
      - .actual_access:  read_only
        .address_space:  global
        .offset:         64
        .size:           8
        .value_kind:     global_buffer
      - .offset:         72
        .size:           4
        .value_kind:     by_value
      - .offset:         76
        .size:           4
        .value_kind:     by_value
      - .offset:         80
        .size:           4
        .value_kind:     by_value
      - .actual_access:  read_only
        .address_space:  global
        .offset:         88
        .size:           8
        .value_kind:     global_buffer
      - .actual_access:  read_only
        .address_space:  global
        .offset:         96
        .size:           8
        .value_kind:     global_buffer
      - .actual_access:  read_only
        .address_space:  global
        .offset:         104
        .size:           8
        .value_kind:     global_buffer
      - .actual_access:  read_only
        .address_space:  global
        .offset:         112
        .size:           8
        .value_kind:     global_buffer
      - .offset:         120
        .size:           4
        .value_kind:     by_value
      - .address_space:  global
        .offset:         128
        .size:           8
        .value_kind:     global_buffer
      - .address_space:  global
        .offset:         136
        .size:           8
        .value_kind:     global_buffer
      - .offset:         144
        .size:           4
        .value_kind:     hidden_block_count_x
      - .offset:         148
        .size:           4
        .value_kind:     hidden_block_count_y
      - .offset:         152
        .size:           4
        .value_kind:     hidden_block_count_z
      - .offset:         156
        .size:           2
        .value_kind:     hidden_group_size_x
      - .offset:         158
        .size:           2
        .value_kind:     hidden_group_size_y
      - .offset:         160
        .size:           2
        .value_kind:     hidden_group_size_z
      - .offset:         162
        .size:           2
        .value_kind:     hidden_remainder_x
      - .offset:         164
        .size:           2
        .value_kind:     hidden_remainder_y
      - .offset:         166
        .size:           2
        .value_kind:     hidden_remainder_z
      - .offset:         184
        .size:           8
        .value_kind:     hidden_global_offset_x
      - .offset:         192
        .size:           8
        .value_kind:     hidden_global_offset_y
      - .offset:         200
        .size:           8
        .value_kind:     hidden_global_offset_z
      - .offset:         208
        .size:           2
        .value_kind:     hidden_grid_dims
      - .offset:         224
        .size:           8
        .value_kind:     hidden_hostcall_buffer
    .group_segment_fixed_size: 0
    .kernarg_segment_align: 8
    .kernarg_segment_size: 400
    .language:       OpenCL C
    .language_version:
      - 2
      - 0
    .max_flat_workgroup_size: 256
    .name:           _Z39paged_attention_ll4mi_QKV_mfma16_kernelIDF16_hLN4vllm18Fp8KVCacheDataTypeE1EhLi16ELi64ELi256ELb1ELi5EEvPKT_PKT0_S7_ifPKiS9_S9_iPKfiiiPfSC_PS2_PT2_iSB_SB_
    .private_segment_fixed_size: 64
    .sgpr_count:     36
    .sgpr_spill_count: 0
    .symbol:         _Z39paged_attention_ll4mi_QKV_mfma16_kernelIDF16_hLN4vllm18Fp8KVCacheDataTypeE1EhLi16ELi64ELi256ELb1ELi5EEvPKT_PKT0_S7_ifPKiS9_S9_iPKfiiiPfSC_PS2_PT2_iSB_SB_.kd
    .uniform_work_group_size: 1
    .uses_dynamic_stack: false
    .vgpr_count:     51
    .vgpr_spill_count: 0
    .wavefront_size: 32
  - .args:
      - .actual_access:  read_only
        .address_space:  global
        .offset:         0
        .size:           8
        .value_kind:     global_buffer
      - .actual_access:  read_only
        .address_space:  global
        .offset:         8
        .size:           8
        .value_kind:     global_buffer
      - .actual_access:  read_only
        .address_space:  global
        .offset:         16
        .size:           8
        .value_kind:     global_buffer
      - .offset:         24
        .size:           4
        .value_kind:     by_value
      - .offset:         28
        .size:           4
        .value_kind:     by_value
      - .actual_access:  read_only
        .address_space:  global
        .offset:         32
        .size:           8
        .value_kind:     global_buffer
      - .actual_access:  read_only
        .address_space:  global
        .offset:         40
        .size:           8
        .value_kind:     global_buffer
      - .actual_access:  read_only
        .address_space:  global
        .offset:         48
        .size:           8
        .value_kind:     global_buffer
      - .offset:         56
        .size:           4
        .value_kind:     by_value
      - .actual_access:  read_only
        .address_space:  global
        .offset:         64
        .size:           8
        .value_kind:     global_buffer
      - .offset:         72
        .size:           4
        .value_kind:     by_value
      - .offset:         76
        .size:           4
        .value_kind:     by_value
      - .offset:         80
        .size:           4
        .value_kind:     by_value
      - .actual_access:  read_only
        .address_space:  global
        .offset:         88
        .size:           8
        .value_kind:     global_buffer
      - .actual_access:  read_only
        .address_space:  global
        .offset:         96
        .size:           8
        .value_kind:     global_buffer
      - .actual_access:  read_only
        .address_space:  global
        .offset:         104
        .size:           8
        .value_kind:     global_buffer
      - .actual_access:  read_only
        .address_space:  global
        .offset:         112
        .size:           8
        .value_kind:     global_buffer
      - .offset:         120
        .size:           4
        .value_kind:     by_value
      - .address_space:  global
        .offset:         128
        .size:           8
        .value_kind:     global_buffer
      - .address_space:  global
        .offset:         136
        .size:           8
        .value_kind:     global_buffer
      - .offset:         144
        .size:           4
        .value_kind:     hidden_block_count_x
      - .offset:         148
        .size:           4
        .value_kind:     hidden_block_count_y
      - .offset:         152
        .size:           4
        .value_kind:     hidden_block_count_z
      - .offset:         156
        .size:           2
        .value_kind:     hidden_group_size_x
      - .offset:         158
        .size:           2
        .value_kind:     hidden_group_size_y
      - .offset:         160
        .size:           2
        .value_kind:     hidden_group_size_z
      - .offset:         162
        .size:           2
        .value_kind:     hidden_remainder_x
      - .offset:         164
        .size:           2
        .value_kind:     hidden_remainder_y
      - .offset:         166
        .size:           2
        .value_kind:     hidden_remainder_z
      - .offset:         184
        .size:           8
        .value_kind:     hidden_global_offset_x
      - .offset:         192
        .size:           8
        .value_kind:     hidden_global_offset_y
      - .offset:         200
        .size:           8
        .value_kind:     hidden_global_offset_z
      - .offset:         208
        .size:           2
        .value_kind:     hidden_grid_dims
      - .offset:         224
        .size:           8
        .value_kind:     hidden_hostcall_buffer
    .group_segment_fixed_size: 0
    .kernarg_segment_align: 8
    .kernarg_segment_size: 400
    .language:       OpenCL C
    .language_version:
      - 2
      - 0
    .max_flat_workgroup_size: 256
    .name:           _Z39paged_attention_ll4mi_QKV_mfma16_kernelIDF16_hLN4vllm18Fp8KVCacheDataTypeE1EhLi16ELi64ELi256ELb1ELi6EEvPKT_PKT0_S7_ifPKiS9_S9_iPKfiiiPfSC_PS2_PT2_iSB_SB_
    .private_segment_fixed_size: 64
    .sgpr_count:     36
    .sgpr_spill_count: 0
    .symbol:         _Z39paged_attention_ll4mi_QKV_mfma16_kernelIDF16_hLN4vllm18Fp8KVCacheDataTypeE1EhLi16ELi64ELi256ELb1ELi6EEvPKT_PKT0_S7_ifPKiS9_S9_iPKfiiiPfSC_PS2_PT2_iSB_SB_.kd
    .uniform_work_group_size: 1
    .uses_dynamic_stack: false
    .vgpr_count:     51
    .vgpr_spill_count: 0
    .wavefront_size: 32
  - .args:
      - .actual_access:  read_only
        .address_space:  global
        .offset:         0
        .size:           8
        .value_kind:     global_buffer
      - .actual_access:  read_only
        .address_space:  global
        .offset:         8
        .size:           8
        .value_kind:     global_buffer
      - .actual_access:  read_only
        .address_space:  global
        .offset:         16
        .size:           8
        .value_kind:     global_buffer
      - .offset:         24
        .size:           4
        .value_kind:     by_value
      - .offset:         28
        .size:           4
        .value_kind:     by_value
      - .actual_access:  read_only
        .address_space:  global
        .offset:         32
        .size:           8
        .value_kind:     global_buffer
      - .actual_access:  read_only
        .address_space:  global
        .offset:         40
        .size:           8
        .value_kind:     global_buffer
      - .actual_access:  read_only
        .address_space:  global
        .offset:         48
        .size:           8
        .value_kind:     global_buffer
      - .offset:         56
        .size:           4
        .value_kind:     by_value
      - .actual_access:  read_only
        .address_space:  global
        .offset:         64
        .size:           8
        .value_kind:     global_buffer
      - .offset:         72
        .size:           4
        .value_kind:     by_value
      - .offset:         76
        .size:           4
        .value_kind:     by_value
      - .offset:         80
        .size:           4
        .value_kind:     by_value
      - .actual_access:  read_only
        .address_space:  global
        .offset:         88
        .size:           8
        .value_kind:     global_buffer
      - .actual_access:  read_only
        .address_space:  global
        .offset:         96
        .size:           8
        .value_kind:     global_buffer
      - .actual_access:  read_only
        .address_space:  global
        .offset:         104
        .size:           8
        .value_kind:     global_buffer
      - .actual_access:  read_only
        .address_space:  global
        .offset:         112
        .size:           8
        .value_kind:     global_buffer
      - .offset:         120
        .size:           4
        .value_kind:     by_value
      - .address_space:  global
        .offset:         128
        .size:           8
        .value_kind:     global_buffer
      - .address_space:  global
        .offset:         136
        .size:           8
        .value_kind:     global_buffer
      - .offset:         144
        .size:           4
        .value_kind:     hidden_block_count_x
      - .offset:         148
        .size:           4
        .value_kind:     hidden_block_count_y
      - .offset:         152
        .size:           4
        .value_kind:     hidden_block_count_z
      - .offset:         156
        .size:           2
        .value_kind:     hidden_group_size_x
      - .offset:         158
        .size:           2
        .value_kind:     hidden_group_size_y
      - .offset:         160
        .size:           2
        .value_kind:     hidden_group_size_z
      - .offset:         162
        .size:           2
        .value_kind:     hidden_remainder_x
      - .offset:         164
        .size:           2
        .value_kind:     hidden_remainder_y
      - .offset:         166
        .size:           2
        .value_kind:     hidden_remainder_z
      - .offset:         184
        .size:           8
        .value_kind:     hidden_global_offset_x
      - .offset:         192
        .size:           8
        .value_kind:     hidden_global_offset_y
      - .offset:         200
        .size:           8
        .value_kind:     hidden_global_offset_z
      - .offset:         208
        .size:           2
        .value_kind:     hidden_grid_dims
      - .offset:         224
        .size:           8
        .value_kind:     hidden_hostcall_buffer
    .group_segment_fixed_size: 0
    .kernarg_segment_align: 8
    .kernarg_segment_size: 400
    .language:       OpenCL C
    .language_version:
      - 2
      - 0
    .max_flat_workgroup_size: 256
    .name:           _Z39paged_attention_ll4mi_QKV_mfma16_kernelIDF16_hLN4vllm18Fp8KVCacheDataTypeE1EhLi16ELi64ELi256ELb1ELi7EEvPKT_PKT0_S7_ifPKiS9_S9_iPKfiiiPfSC_PS2_PT2_iSB_SB_
    .private_segment_fixed_size: 64
    .sgpr_count:     36
    .sgpr_spill_count: 0
    .symbol:         _Z39paged_attention_ll4mi_QKV_mfma16_kernelIDF16_hLN4vllm18Fp8KVCacheDataTypeE1EhLi16ELi64ELi256ELb1ELi7EEvPKT_PKT0_S7_ifPKiS9_S9_iPKfiiiPfSC_PS2_PT2_iSB_SB_.kd
    .uniform_work_group_size: 1
    .uses_dynamic_stack: false
    .vgpr_count:     51
    .vgpr_spill_count: 0
    .wavefront_size: 32
  - .args:
      - .actual_access:  read_only
        .address_space:  global
        .offset:         0
        .size:           8
        .value_kind:     global_buffer
      - .actual_access:  read_only
        .address_space:  global
        .offset:         8
        .size:           8
        .value_kind:     global_buffer
      - .actual_access:  read_only
        .address_space:  global
        .offset:         16
        .size:           8
        .value_kind:     global_buffer
      - .offset:         24
        .size:           4
        .value_kind:     by_value
      - .offset:         28
        .size:           4
        .value_kind:     by_value
      - .actual_access:  read_only
        .address_space:  global
        .offset:         32
        .size:           8
        .value_kind:     global_buffer
      - .actual_access:  read_only
        .address_space:  global
        .offset:         40
        .size:           8
        .value_kind:     global_buffer
      - .actual_access:  read_only
        .address_space:  global
        .offset:         48
        .size:           8
        .value_kind:     global_buffer
      - .offset:         56
        .size:           4
        .value_kind:     by_value
      - .actual_access:  read_only
        .address_space:  global
        .offset:         64
        .size:           8
        .value_kind:     global_buffer
      - .offset:         72
        .size:           4
        .value_kind:     by_value
      - .offset:         76
        .size:           4
        .value_kind:     by_value
      - .offset:         80
        .size:           4
        .value_kind:     by_value
      - .actual_access:  read_only
        .address_space:  global
        .offset:         88
        .size:           8
        .value_kind:     global_buffer
      - .actual_access:  read_only
        .address_space:  global
        .offset:         96
        .size:           8
        .value_kind:     global_buffer
      - .actual_access:  read_only
        .address_space:  global
        .offset:         104
        .size:           8
        .value_kind:     global_buffer
      - .actual_access:  read_only
        .address_space:  global
        .offset:         112
        .size:           8
        .value_kind:     global_buffer
      - .offset:         120
        .size:           4
        .value_kind:     by_value
      - .address_space:  global
        .offset:         128
        .size:           8
        .value_kind:     global_buffer
      - .address_space:  global
        .offset:         136
        .size:           8
        .value_kind:     global_buffer
      - .offset:         144
        .size:           4
        .value_kind:     hidden_block_count_x
      - .offset:         148
        .size:           4
        .value_kind:     hidden_block_count_y
      - .offset:         152
        .size:           4
        .value_kind:     hidden_block_count_z
      - .offset:         156
        .size:           2
        .value_kind:     hidden_group_size_x
      - .offset:         158
        .size:           2
        .value_kind:     hidden_group_size_y
      - .offset:         160
        .size:           2
        .value_kind:     hidden_group_size_z
      - .offset:         162
        .size:           2
        .value_kind:     hidden_remainder_x
      - .offset:         164
        .size:           2
        .value_kind:     hidden_remainder_y
      - .offset:         166
        .size:           2
        .value_kind:     hidden_remainder_z
      - .offset:         184
        .size:           8
        .value_kind:     hidden_global_offset_x
      - .offset:         192
        .size:           8
        .value_kind:     hidden_global_offset_y
      - .offset:         200
        .size:           8
        .value_kind:     hidden_global_offset_z
      - .offset:         208
        .size:           2
        .value_kind:     hidden_grid_dims
      - .offset:         224
        .size:           8
        .value_kind:     hidden_hostcall_buffer
    .group_segment_fixed_size: 0
    .kernarg_segment_align: 8
    .kernarg_segment_size: 400
    .language:       OpenCL C
    .language_version:
      - 2
      - 0
    .max_flat_workgroup_size: 256
    .name:           _Z39paged_attention_ll4mi_QKV_mfma16_kernelIDF16_hLN4vllm18Fp8KVCacheDataTypeE1EhLi16ELi64ELi256ELb1ELi8EEvPKT_PKT0_S7_ifPKiS9_S9_iPKfiiiPfSC_PS2_PT2_iSB_SB_
    .private_segment_fixed_size: 64
    .sgpr_count:     36
    .sgpr_spill_count: 0
    .symbol:         _Z39paged_attention_ll4mi_QKV_mfma16_kernelIDF16_hLN4vllm18Fp8KVCacheDataTypeE1EhLi16ELi64ELi256ELb1ELi8EEvPKT_PKT0_S7_ifPKiS9_S9_iPKfiiiPfSC_PS2_PT2_iSB_SB_.kd
    .uniform_work_group_size: 1
    .uses_dynamic_stack: false
    .vgpr_count:     51
    .vgpr_spill_count: 0
    .wavefront_size: 32
  - .args:
      - .actual_access:  read_only
        .address_space:  global
        .offset:         0
        .size:           8
        .value_kind:     global_buffer
      - .actual_access:  read_only
        .address_space:  global
        .offset:         8
        .size:           8
        .value_kind:     global_buffer
      - .actual_access:  read_only
        .address_space:  global
        .offset:         16
        .size:           8
        .value_kind:     global_buffer
      - .offset:         24
        .size:           4
        .value_kind:     by_value
      - .offset:         28
        .size:           4
        .value_kind:     by_value
      - .actual_access:  read_only
        .address_space:  global
        .offset:         32
        .size:           8
        .value_kind:     global_buffer
      - .actual_access:  read_only
        .address_space:  global
        .offset:         40
        .size:           8
        .value_kind:     global_buffer
      - .actual_access:  read_only
        .address_space:  global
        .offset:         48
        .size:           8
        .value_kind:     global_buffer
      - .offset:         56
        .size:           4
        .value_kind:     by_value
      - .actual_access:  read_only
        .address_space:  global
        .offset:         64
        .size:           8
        .value_kind:     global_buffer
      - .offset:         72
        .size:           4
        .value_kind:     by_value
      - .offset:         76
        .size:           4
        .value_kind:     by_value
      - .offset:         80
        .size:           4
        .value_kind:     by_value
      - .actual_access:  read_only
        .address_space:  global
        .offset:         88
        .size:           8
        .value_kind:     global_buffer
      - .actual_access:  read_only
        .address_space:  global
        .offset:         96
        .size:           8
        .value_kind:     global_buffer
      - .actual_access:  read_only
        .address_space:  global
        .offset:         104
        .size:           8
        .value_kind:     global_buffer
      - .actual_access:  read_only
        .address_space:  global
        .offset:         112
        .size:           8
        .value_kind:     global_buffer
      - .offset:         120
        .size:           4
        .value_kind:     by_value
      - .address_space:  global
        .offset:         128
        .size:           8
        .value_kind:     global_buffer
      - .address_space:  global
        .offset:         136
        .size:           8
        .value_kind:     global_buffer
      - .offset:         144
        .size:           4
        .value_kind:     hidden_block_count_x
      - .offset:         148
        .size:           4
        .value_kind:     hidden_block_count_y
      - .offset:         152
        .size:           4
        .value_kind:     hidden_block_count_z
      - .offset:         156
        .size:           2
        .value_kind:     hidden_group_size_x
      - .offset:         158
        .size:           2
        .value_kind:     hidden_group_size_y
      - .offset:         160
        .size:           2
        .value_kind:     hidden_group_size_z
      - .offset:         162
        .size:           2
        .value_kind:     hidden_remainder_x
      - .offset:         164
        .size:           2
        .value_kind:     hidden_remainder_y
      - .offset:         166
        .size:           2
        .value_kind:     hidden_remainder_z
      - .offset:         184
        .size:           8
        .value_kind:     hidden_global_offset_x
      - .offset:         192
        .size:           8
        .value_kind:     hidden_global_offset_y
      - .offset:         200
        .size:           8
        .value_kind:     hidden_global_offset_z
      - .offset:         208
        .size:           2
        .value_kind:     hidden_grid_dims
      - .offset:         224
        .size:           8
        .value_kind:     hidden_hostcall_buffer
    .group_segment_fixed_size: 0
    .kernarg_segment_align: 8
    .kernarg_segment_size: 400
    .language:       OpenCL C
    .language_version:
      - 2
      - 0
    .max_flat_workgroup_size: 256
    .name:           _Z39paged_attention_ll4mi_QKV_mfma16_kernelIDF16_hLN4vllm18Fp8KVCacheDataTypeE1EhLi16ELi64ELi256ELb1ELi9EEvPKT_PKT0_S7_ifPKiS9_S9_iPKfiiiPfSC_PS2_PT2_iSB_SB_
    .private_segment_fixed_size: 64
    .sgpr_count:     36
    .sgpr_spill_count: 0
    .symbol:         _Z39paged_attention_ll4mi_QKV_mfma16_kernelIDF16_hLN4vllm18Fp8KVCacheDataTypeE1EhLi16ELi64ELi256ELb1ELi9EEvPKT_PKT0_S7_ifPKiS9_S9_iPKfiiiPfSC_PS2_PT2_iSB_SB_.kd
    .uniform_work_group_size: 1
    .uses_dynamic_stack: false
    .vgpr_count:     51
    .vgpr_spill_count: 0
    .wavefront_size: 32
  - .args:
      - .actual_access:  read_only
        .address_space:  global
        .offset:         0
        .size:           8
        .value_kind:     global_buffer
      - .actual_access:  read_only
        .address_space:  global
        .offset:         8
        .size:           8
        .value_kind:     global_buffer
      - .actual_access:  read_only
        .address_space:  global
        .offset:         16
        .size:           8
        .value_kind:     global_buffer
      - .offset:         24
        .size:           4
        .value_kind:     by_value
      - .offset:         28
        .size:           4
        .value_kind:     by_value
      - .actual_access:  read_only
        .address_space:  global
        .offset:         32
        .size:           8
        .value_kind:     global_buffer
      - .actual_access:  read_only
        .address_space:  global
        .offset:         40
        .size:           8
        .value_kind:     global_buffer
      - .actual_access:  read_only
        .address_space:  global
        .offset:         48
        .size:           8
        .value_kind:     global_buffer
      - .offset:         56
        .size:           4
        .value_kind:     by_value
      - .actual_access:  read_only
        .address_space:  global
        .offset:         64
        .size:           8
        .value_kind:     global_buffer
      - .offset:         72
        .size:           4
        .value_kind:     by_value
      - .offset:         76
        .size:           4
        .value_kind:     by_value
      - .offset:         80
        .size:           4
        .value_kind:     by_value
      - .actual_access:  read_only
        .address_space:  global
        .offset:         88
        .size:           8
        .value_kind:     global_buffer
      - .actual_access:  read_only
        .address_space:  global
        .offset:         96
        .size:           8
        .value_kind:     global_buffer
      - .actual_access:  read_only
        .address_space:  global
        .offset:         104
        .size:           8
        .value_kind:     global_buffer
      - .actual_access:  read_only
        .address_space:  global
        .offset:         112
        .size:           8
        .value_kind:     global_buffer
      - .offset:         120
        .size:           4
        .value_kind:     by_value
      - .address_space:  global
        .offset:         128
        .size:           8
        .value_kind:     global_buffer
      - .address_space:  global
        .offset:         136
        .size:           8
        .value_kind:     global_buffer
      - .offset:         144
        .size:           4
        .value_kind:     hidden_block_count_x
      - .offset:         148
        .size:           4
        .value_kind:     hidden_block_count_y
      - .offset:         152
        .size:           4
        .value_kind:     hidden_block_count_z
      - .offset:         156
        .size:           2
        .value_kind:     hidden_group_size_x
      - .offset:         158
        .size:           2
        .value_kind:     hidden_group_size_y
      - .offset:         160
        .size:           2
        .value_kind:     hidden_group_size_z
      - .offset:         162
        .size:           2
        .value_kind:     hidden_remainder_x
      - .offset:         164
        .size:           2
        .value_kind:     hidden_remainder_y
      - .offset:         166
        .size:           2
        .value_kind:     hidden_remainder_z
      - .offset:         184
        .size:           8
        .value_kind:     hidden_global_offset_x
      - .offset:         192
        .size:           8
        .value_kind:     hidden_global_offset_y
      - .offset:         200
        .size:           8
        .value_kind:     hidden_global_offset_z
      - .offset:         208
        .size:           2
        .value_kind:     hidden_grid_dims
      - .offset:         224
        .size:           8
        .value_kind:     hidden_hostcall_buffer
    .group_segment_fixed_size: 0
    .kernarg_segment_align: 8
    .kernarg_segment_size: 400
    .language:       OpenCL C
    .language_version:
      - 2
      - 0
    .max_flat_workgroup_size: 256
    .name:           _Z39paged_attention_ll4mi_QKV_mfma16_kernelIDF16_hLN4vllm18Fp8KVCacheDataTypeE1EhLi16ELi64ELi256ELb1ELi10EEvPKT_PKT0_S7_ifPKiS9_S9_iPKfiiiPfSC_PS2_PT2_iSB_SB_
    .private_segment_fixed_size: 64
    .sgpr_count:     36
    .sgpr_spill_count: 0
    .symbol:         _Z39paged_attention_ll4mi_QKV_mfma16_kernelIDF16_hLN4vllm18Fp8KVCacheDataTypeE1EhLi16ELi64ELi256ELb1ELi10EEvPKT_PKT0_S7_ifPKiS9_S9_iPKfiiiPfSC_PS2_PT2_iSB_SB_.kd
    .uniform_work_group_size: 1
    .uses_dynamic_stack: false
    .vgpr_count:     51
    .vgpr_spill_count: 0
    .wavefront_size: 32
  - .args:
      - .actual_access:  read_only
        .address_space:  global
        .offset:         0
        .size:           8
        .value_kind:     global_buffer
      - .actual_access:  read_only
        .address_space:  global
        .offset:         8
        .size:           8
        .value_kind:     global_buffer
      - .actual_access:  read_only
        .address_space:  global
        .offset:         16
        .size:           8
        .value_kind:     global_buffer
      - .offset:         24
        .size:           4
        .value_kind:     by_value
      - .offset:         28
        .size:           4
        .value_kind:     by_value
      - .actual_access:  read_only
        .address_space:  global
        .offset:         32
        .size:           8
        .value_kind:     global_buffer
      - .actual_access:  read_only
        .address_space:  global
        .offset:         40
        .size:           8
        .value_kind:     global_buffer
      - .actual_access:  read_only
        .address_space:  global
        .offset:         48
        .size:           8
        .value_kind:     global_buffer
      - .offset:         56
        .size:           4
        .value_kind:     by_value
      - .actual_access:  read_only
        .address_space:  global
        .offset:         64
        .size:           8
        .value_kind:     global_buffer
      - .offset:         72
        .size:           4
        .value_kind:     by_value
      - .offset:         76
        .size:           4
        .value_kind:     by_value
      - .offset:         80
        .size:           4
        .value_kind:     by_value
      - .actual_access:  read_only
        .address_space:  global
        .offset:         88
        .size:           8
        .value_kind:     global_buffer
      - .actual_access:  read_only
        .address_space:  global
        .offset:         96
        .size:           8
        .value_kind:     global_buffer
      - .actual_access:  read_only
        .address_space:  global
        .offset:         104
        .size:           8
        .value_kind:     global_buffer
      - .actual_access:  read_only
        .address_space:  global
        .offset:         112
        .size:           8
        .value_kind:     global_buffer
      - .offset:         120
        .size:           4
        .value_kind:     by_value
      - .address_space:  global
        .offset:         128
        .size:           8
        .value_kind:     global_buffer
      - .address_space:  global
        .offset:         136
        .size:           8
        .value_kind:     global_buffer
      - .offset:         144
        .size:           4
        .value_kind:     hidden_block_count_x
      - .offset:         148
        .size:           4
        .value_kind:     hidden_block_count_y
      - .offset:         152
        .size:           4
        .value_kind:     hidden_block_count_z
      - .offset:         156
        .size:           2
        .value_kind:     hidden_group_size_x
      - .offset:         158
        .size:           2
        .value_kind:     hidden_group_size_y
      - .offset:         160
        .size:           2
        .value_kind:     hidden_group_size_z
      - .offset:         162
        .size:           2
        .value_kind:     hidden_remainder_x
      - .offset:         164
        .size:           2
        .value_kind:     hidden_remainder_y
      - .offset:         166
        .size:           2
        .value_kind:     hidden_remainder_z
      - .offset:         184
        .size:           8
        .value_kind:     hidden_global_offset_x
      - .offset:         192
        .size:           8
        .value_kind:     hidden_global_offset_y
      - .offset:         200
        .size:           8
        .value_kind:     hidden_global_offset_z
      - .offset:         208
        .size:           2
        .value_kind:     hidden_grid_dims
      - .offset:         224
        .size:           8
        .value_kind:     hidden_hostcall_buffer
    .group_segment_fixed_size: 0
    .kernarg_segment_align: 8
    .kernarg_segment_size: 400
    .language:       OpenCL C
    .language_version:
      - 2
      - 0
    .max_flat_workgroup_size: 256
    .name:           _Z39paged_attention_ll4mi_QKV_mfma16_kernelIDF16_hLN4vllm18Fp8KVCacheDataTypeE1EhLi16ELi64ELi256ELb1ELi11EEvPKT_PKT0_S7_ifPKiS9_S9_iPKfiiiPfSC_PS2_PT2_iSB_SB_
    .private_segment_fixed_size: 64
    .sgpr_count:     36
    .sgpr_spill_count: 0
    .symbol:         _Z39paged_attention_ll4mi_QKV_mfma16_kernelIDF16_hLN4vllm18Fp8KVCacheDataTypeE1EhLi16ELi64ELi256ELb1ELi11EEvPKT_PKT0_S7_ifPKiS9_S9_iPKfiiiPfSC_PS2_PT2_iSB_SB_.kd
    .uniform_work_group_size: 1
    .uses_dynamic_stack: false
    .vgpr_count:     51
    .vgpr_spill_count: 0
    .wavefront_size: 32
  - .args:
      - .actual_access:  read_only
        .address_space:  global
        .offset:         0
        .size:           8
        .value_kind:     global_buffer
      - .actual_access:  read_only
        .address_space:  global
        .offset:         8
        .size:           8
        .value_kind:     global_buffer
      - .actual_access:  read_only
        .address_space:  global
        .offset:         16
        .size:           8
        .value_kind:     global_buffer
      - .offset:         24
        .size:           4
        .value_kind:     by_value
      - .offset:         28
        .size:           4
        .value_kind:     by_value
      - .actual_access:  read_only
        .address_space:  global
        .offset:         32
        .size:           8
        .value_kind:     global_buffer
      - .actual_access:  read_only
        .address_space:  global
        .offset:         40
        .size:           8
        .value_kind:     global_buffer
      - .actual_access:  read_only
        .address_space:  global
        .offset:         48
        .size:           8
        .value_kind:     global_buffer
      - .offset:         56
        .size:           4
        .value_kind:     by_value
      - .actual_access:  read_only
        .address_space:  global
        .offset:         64
        .size:           8
        .value_kind:     global_buffer
      - .offset:         72
        .size:           4
        .value_kind:     by_value
      - .offset:         76
        .size:           4
        .value_kind:     by_value
      - .offset:         80
        .size:           4
        .value_kind:     by_value
      - .actual_access:  read_only
        .address_space:  global
        .offset:         88
        .size:           8
        .value_kind:     global_buffer
      - .actual_access:  read_only
        .address_space:  global
        .offset:         96
        .size:           8
        .value_kind:     global_buffer
      - .actual_access:  read_only
        .address_space:  global
        .offset:         104
        .size:           8
        .value_kind:     global_buffer
      - .actual_access:  read_only
        .address_space:  global
        .offset:         112
        .size:           8
        .value_kind:     global_buffer
      - .offset:         120
        .size:           4
        .value_kind:     by_value
      - .address_space:  global
        .offset:         128
        .size:           8
        .value_kind:     global_buffer
      - .address_space:  global
        .offset:         136
        .size:           8
        .value_kind:     global_buffer
      - .offset:         144
        .size:           4
        .value_kind:     hidden_block_count_x
      - .offset:         148
        .size:           4
        .value_kind:     hidden_block_count_y
      - .offset:         152
        .size:           4
        .value_kind:     hidden_block_count_z
      - .offset:         156
        .size:           2
        .value_kind:     hidden_group_size_x
      - .offset:         158
        .size:           2
        .value_kind:     hidden_group_size_y
      - .offset:         160
        .size:           2
        .value_kind:     hidden_group_size_z
      - .offset:         162
        .size:           2
        .value_kind:     hidden_remainder_x
      - .offset:         164
        .size:           2
        .value_kind:     hidden_remainder_y
      - .offset:         166
        .size:           2
        .value_kind:     hidden_remainder_z
      - .offset:         184
        .size:           8
        .value_kind:     hidden_global_offset_x
      - .offset:         192
        .size:           8
        .value_kind:     hidden_global_offset_y
      - .offset:         200
        .size:           8
        .value_kind:     hidden_global_offset_z
      - .offset:         208
        .size:           2
        .value_kind:     hidden_grid_dims
      - .offset:         224
        .size:           8
        .value_kind:     hidden_hostcall_buffer
    .group_segment_fixed_size: 0
    .kernarg_segment_align: 8
    .kernarg_segment_size: 400
    .language:       OpenCL C
    .language_version:
      - 2
      - 0
    .max_flat_workgroup_size: 256
    .name:           _Z39paged_attention_ll4mi_QKV_mfma16_kernelIDF16_hLN4vllm18Fp8KVCacheDataTypeE1EhLi16ELi64ELi256ELb1ELi12EEvPKT_PKT0_S7_ifPKiS9_S9_iPKfiiiPfSC_PS2_PT2_iSB_SB_
    .private_segment_fixed_size: 64
    .sgpr_count:     36
    .sgpr_spill_count: 0
    .symbol:         _Z39paged_attention_ll4mi_QKV_mfma16_kernelIDF16_hLN4vllm18Fp8KVCacheDataTypeE1EhLi16ELi64ELi256ELb1ELi12EEvPKT_PKT0_S7_ifPKiS9_S9_iPKfiiiPfSC_PS2_PT2_iSB_SB_.kd
    .uniform_work_group_size: 1
    .uses_dynamic_stack: false
    .vgpr_count:     51
    .vgpr_spill_count: 0
    .wavefront_size: 32
  - .args:
      - .actual_access:  read_only
        .address_space:  global
        .offset:         0
        .size:           8
        .value_kind:     global_buffer
      - .actual_access:  read_only
        .address_space:  global
        .offset:         8
        .size:           8
        .value_kind:     global_buffer
      - .actual_access:  read_only
        .address_space:  global
        .offset:         16
        .size:           8
        .value_kind:     global_buffer
      - .offset:         24
        .size:           4
        .value_kind:     by_value
      - .offset:         28
        .size:           4
        .value_kind:     by_value
      - .actual_access:  read_only
        .address_space:  global
        .offset:         32
        .size:           8
        .value_kind:     global_buffer
      - .actual_access:  read_only
        .address_space:  global
        .offset:         40
        .size:           8
        .value_kind:     global_buffer
      - .actual_access:  read_only
        .address_space:  global
        .offset:         48
        .size:           8
        .value_kind:     global_buffer
      - .offset:         56
        .size:           4
        .value_kind:     by_value
      - .actual_access:  read_only
        .address_space:  global
        .offset:         64
        .size:           8
        .value_kind:     global_buffer
      - .offset:         72
        .size:           4
        .value_kind:     by_value
      - .offset:         76
        .size:           4
        .value_kind:     by_value
      - .offset:         80
        .size:           4
        .value_kind:     by_value
      - .actual_access:  read_only
        .address_space:  global
        .offset:         88
        .size:           8
        .value_kind:     global_buffer
      - .actual_access:  read_only
        .address_space:  global
        .offset:         96
        .size:           8
        .value_kind:     global_buffer
      - .actual_access:  read_only
        .address_space:  global
        .offset:         104
        .size:           8
        .value_kind:     global_buffer
      - .actual_access:  read_only
        .address_space:  global
        .offset:         112
        .size:           8
        .value_kind:     global_buffer
      - .offset:         120
        .size:           4
        .value_kind:     by_value
      - .address_space:  global
        .offset:         128
        .size:           8
        .value_kind:     global_buffer
      - .address_space:  global
        .offset:         136
        .size:           8
        .value_kind:     global_buffer
      - .offset:         144
        .size:           4
        .value_kind:     hidden_block_count_x
      - .offset:         148
        .size:           4
        .value_kind:     hidden_block_count_y
      - .offset:         152
        .size:           4
        .value_kind:     hidden_block_count_z
      - .offset:         156
        .size:           2
        .value_kind:     hidden_group_size_x
      - .offset:         158
        .size:           2
        .value_kind:     hidden_group_size_y
      - .offset:         160
        .size:           2
        .value_kind:     hidden_group_size_z
      - .offset:         162
        .size:           2
        .value_kind:     hidden_remainder_x
      - .offset:         164
        .size:           2
        .value_kind:     hidden_remainder_y
      - .offset:         166
        .size:           2
        .value_kind:     hidden_remainder_z
      - .offset:         184
        .size:           8
        .value_kind:     hidden_global_offset_x
      - .offset:         192
        .size:           8
        .value_kind:     hidden_global_offset_y
      - .offset:         200
        .size:           8
        .value_kind:     hidden_global_offset_z
      - .offset:         208
        .size:           2
        .value_kind:     hidden_grid_dims
      - .offset:         224
        .size:           8
        .value_kind:     hidden_hostcall_buffer
    .group_segment_fixed_size: 0
    .kernarg_segment_align: 8
    .kernarg_segment_size: 400
    .language:       OpenCL C
    .language_version:
      - 2
      - 0
    .max_flat_workgroup_size: 256
    .name:           _Z39paged_attention_ll4mi_QKV_mfma16_kernelIDF16_hLN4vllm18Fp8KVCacheDataTypeE1EhLi16ELi64ELi256ELb1ELi13EEvPKT_PKT0_S7_ifPKiS9_S9_iPKfiiiPfSC_PS2_PT2_iSB_SB_
    .private_segment_fixed_size: 64
    .sgpr_count:     36
    .sgpr_spill_count: 0
    .symbol:         _Z39paged_attention_ll4mi_QKV_mfma16_kernelIDF16_hLN4vllm18Fp8KVCacheDataTypeE1EhLi16ELi64ELi256ELb1ELi13EEvPKT_PKT0_S7_ifPKiS9_S9_iPKfiiiPfSC_PS2_PT2_iSB_SB_.kd
    .uniform_work_group_size: 1
    .uses_dynamic_stack: false
    .vgpr_count:     51
    .vgpr_spill_count: 0
    .wavefront_size: 32
  - .args:
      - .actual_access:  read_only
        .address_space:  global
        .offset:         0
        .size:           8
        .value_kind:     global_buffer
      - .actual_access:  read_only
        .address_space:  global
        .offset:         8
        .size:           8
        .value_kind:     global_buffer
      - .actual_access:  read_only
        .address_space:  global
        .offset:         16
        .size:           8
        .value_kind:     global_buffer
      - .offset:         24
        .size:           4
        .value_kind:     by_value
      - .offset:         28
        .size:           4
        .value_kind:     by_value
      - .actual_access:  read_only
        .address_space:  global
        .offset:         32
        .size:           8
        .value_kind:     global_buffer
      - .actual_access:  read_only
        .address_space:  global
        .offset:         40
        .size:           8
        .value_kind:     global_buffer
      - .actual_access:  read_only
        .address_space:  global
        .offset:         48
        .size:           8
        .value_kind:     global_buffer
      - .offset:         56
        .size:           4
        .value_kind:     by_value
      - .actual_access:  read_only
        .address_space:  global
        .offset:         64
        .size:           8
        .value_kind:     global_buffer
      - .offset:         72
        .size:           4
        .value_kind:     by_value
      - .offset:         76
        .size:           4
        .value_kind:     by_value
      - .offset:         80
        .size:           4
        .value_kind:     by_value
      - .actual_access:  read_only
        .address_space:  global
        .offset:         88
        .size:           8
        .value_kind:     global_buffer
      - .actual_access:  read_only
        .address_space:  global
        .offset:         96
        .size:           8
        .value_kind:     global_buffer
      - .actual_access:  read_only
        .address_space:  global
        .offset:         104
        .size:           8
        .value_kind:     global_buffer
      - .actual_access:  read_only
        .address_space:  global
        .offset:         112
        .size:           8
        .value_kind:     global_buffer
      - .offset:         120
        .size:           4
        .value_kind:     by_value
      - .address_space:  global
        .offset:         128
        .size:           8
        .value_kind:     global_buffer
      - .address_space:  global
        .offset:         136
        .size:           8
        .value_kind:     global_buffer
      - .offset:         144
        .size:           4
        .value_kind:     hidden_block_count_x
      - .offset:         148
        .size:           4
        .value_kind:     hidden_block_count_y
      - .offset:         152
        .size:           4
        .value_kind:     hidden_block_count_z
      - .offset:         156
        .size:           2
        .value_kind:     hidden_group_size_x
      - .offset:         158
        .size:           2
        .value_kind:     hidden_group_size_y
      - .offset:         160
        .size:           2
        .value_kind:     hidden_group_size_z
      - .offset:         162
        .size:           2
        .value_kind:     hidden_remainder_x
      - .offset:         164
        .size:           2
        .value_kind:     hidden_remainder_y
      - .offset:         166
        .size:           2
        .value_kind:     hidden_remainder_z
      - .offset:         184
        .size:           8
        .value_kind:     hidden_global_offset_x
      - .offset:         192
        .size:           8
        .value_kind:     hidden_global_offset_y
      - .offset:         200
        .size:           8
        .value_kind:     hidden_global_offset_z
      - .offset:         208
        .size:           2
        .value_kind:     hidden_grid_dims
      - .offset:         224
        .size:           8
        .value_kind:     hidden_hostcall_buffer
    .group_segment_fixed_size: 0
    .kernarg_segment_align: 8
    .kernarg_segment_size: 400
    .language:       OpenCL C
    .language_version:
      - 2
      - 0
    .max_flat_workgroup_size: 256
    .name:           _Z39paged_attention_ll4mi_QKV_mfma16_kernelIDF16_hLN4vllm18Fp8KVCacheDataTypeE1EhLi16ELi64ELi256ELb1ELi14EEvPKT_PKT0_S7_ifPKiS9_S9_iPKfiiiPfSC_PS2_PT2_iSB_SB_
    .private_segment_fixed_size: 64
    .sgpr_count:     36
    .sgpr_spill_count: 0
    .symbol:         _Z39paged_attention_ll4mi_QKV_mfma16_kernelIDF16_hLN4vllm18Fp8KVCacheDataTypeE1EhLi16ELi64ELi256ELb1ELi14EEvPKT_PKT0_S7_ifPKiS9_S9_iPKfiiiPfSC_PS2_PT2_iSB_SB_.kd
    .uniform_work_group_size: 1
    .uses_dynamic_stack: false
    .vgpr_count:     51
    .vgpr_spill_count: 0
    .wavefront_size: 32
  - .args:
      - .actual_access:  read_only
        .address_space:  global
        .offset:         0
        .size:           8
        .value_kind:     global_buffer
      - .actual_access:  read_only
        .address_space:  global
        .offset:         8
        .size:           8
        .value_kind:     global_buffer
      - .actual_access:  read_only
        .address_space:  global
        .offset:         16
        .size:           8
        .value_kind:     global_buffer
      - .offset:         24
        .size:           4
        .value_kind:     by_value
      - .offset:         28
        .size:           4
        .value_kind:     by_value
      - .actual_access:  read_only
        .address_space:  global
        .offset:         32
        .size:           8
        .value_kind:     global_buffer
      - .actual_access:  read_only
        .address_space:  global
        .offset:         40
        .size:           8
        .value_kind:     global_buffer
      - .actual_access:  read_only
        .address_space:  global
        .offset:         48
        .size:           8
        .value_kind:     global_buffer
      - .offset:         56
        .size:           4
        .value_kind:     by_value
      - .actual_access:  read_only
        .address_space:  global
        .offset:         64
        .size:           8
        .value_kind:     global_buffer
      - .offset:         72
        .size:           4
        .value_kind:     by_value
      - .offset:         76
        .size:           4
        .value_kind:     by_value
      - .offset:         80
        .size:           4
        .value_kind:     by_value
      - .actual_access:  read_only
        .address_space:  global
        .offset:         88
        .size:           8
        .value_kind:     global_buffer
      - .actual_access:  read_only
        .address_space:  global
        .offset:         96
        .size:           8
        .value_kind:     global_buffer
      - .actual_access:  read_only
        .address_space:  global
        .offset:         104
        .size:           8
        .value_kind:     global_buffer
      - .actual_access:  read_only
        .address_space:  global
        .offset:         112
        .size:           8
        .value_kind:     global_buffer
      - .offset:         120
        .size:           4
        .value_kind:     by_value
      - .address_space:  global
        .offset:         128
        .size:           8
        .value_kind:     global_buffer
      - .address_space:  global
        .offset:         136
        .size:           8
        .value_kind:     global_buffer
      - .offset:         144
        .size:           4
        .value_kind:     hidden_block_count_x
      - .offset:         148
        .size:           4
        .value_kind:     hidden_block_count_y
      - .offset:         152
        .size:           4
        .value_kind:     hidden_block_count_z
      - .offset:         156
        .size:           2
        .value_kind:     hidden_group_size_x
      - .offset:         158
        .size:           2
        .value_kind:     hidden_group_size_y
      - .offset:         160
        .size:           2
        .value_kind:     hidden_group_size_z
      - .offset:         162
        .size:           2
        .value_kind:     hidden_remainder_x
      - .offset:         164
        .size:           2
        .value_kind:     hidden_remainder_y
      - .offset:         166
        .size:           2
        .value_kind:     hidden_remainder_z
      - .offset:         184
        .size:           8
        .value_kind:     hidden_global_offset_x
      - .offset:         192
        .size:           8
        .value_kind:     hidden_global_offset_y
      - .offset:         200
        .size:           8
        .value_kind:     hidden_global_offset_z
      - .offset:         208
        .size:           2
        .value_kind:     hidden_grid_dims
      - .offset:         224
        .size:           8
        .value_kind:     hidden_hostcall_buffer
    .group_segment_fixed_size: 0
    .kernarg_segment_align: 8
    .kernarg_segment_size: 400
    .language:       OpenCL C
    .language_version:
      - 2
      - 0
    .max_flat_workgroup_size: 256
    .name:           _Z39paged_attention_ll4mi_QKV_mfma16_kernelIDF16_hLN4vllm18Fp8KVCacheDataTypeE1EhLi16ELi64ELi256ELb1ELi15EEvPKT_PKT0_S7_ifPKiS9_S9_iPKfiiiPfSC_PS2_PT2_iSB_SB_
    .private_segment_fixed_size: 64
    .sgpr_count:     36
    .sgpr_spill_count: 0
    .symbol:         _Z39paged_attention_ll4mi_QKV_mfma16_kernelIDF16_hLN4vllm18Fp8KVCacheDataTypeE1EhLi16ELi64ELi256ELb1ELi15EEvPKT_PKT0_S7_ifPKiS9_S9_iPKfiiiPfSC_PS2_PT2_iSB_SB_.kd
    .uniform_work_group_size: 1
    .uses_dynamic_stack: false
    .vgpr_count:     51
    .vgpr_spill_count: 0
    .wavefront_size: 32
  - .args:
      - .actual_access:  read_only
        .address_space:  global
        .offset:         0
        .size:           8
        .value_kind:     global_buffer
      - .actual_access:  read_only
        .address_space:  global
        .offset:         8
        .size:           8
        .value_kind:     global_buffer
      - .actual_access:  read_only
        .address_space:  global
        .offset:         16
        .size:           8
        .value_kind:     global_buffer
      - .offset:         24
        .size:           4
        .value_kind:     by_value
      - .offset:         28
        .size:           4
        .value_kind:     by_value
      - .actual_access:  read_only
        .address_space:  global
        .offset:         32
        .size:           8
        .value_kind:     global_buffer
      - .actual_access:  read_only
        .address_space:  global
        .offset:         40
        .size:           8
        .value_kind:     global_buffer
      - .actual_access:  read_only
        .address_space:  global
        .offset:         48
        .size:           8
        .value_kind:     global_buffer
      - .offset:         56
        .size:           4
        .value_kind:     by_value
      - .actual_access:  read_only
        .address_space:  global
        .offset:         64
        .size:           8
        .value_kind:     global_buffer
      - .offset:         72
        .size:           4
        .value_kind:     by_value
      - .offset:         76
        .size:           4
        .value_kind:     by_value
      - .offset:         80
        .size:           4
        .value_kind:     by_value
      - .actual_access:  read_only
        .address_space:  global
        .offset:         88
        .size:           8
        .value_kind:     global_buffer
      - .actual_access:  read_only
        .address_space:  global
        .offset:         96
        .size:           8
        .value_kind:     global_buffer
      - .actual_access:  read_only
        .address_space:  global
        .offset:         104
        .size:           8
        .value_kind:     global_buffer
      - .actual_access:  read_only
        .address_space:  global
        .offset:         112
        .size:           8
        .value_kind:     global_buffer
      - .offset:         120
        .size:           4
        .value_kind:     by_value
      - .address_space:  global
        .offset:         128
        .size:           8
        .value_kind:     global_buffer
      - .address_space:  global
        .offset:         136
        .size:           8
        .value_kind:     global_buffer
      - .offset:         144
        .size:           4
        .value_kind:     hidden_block_count_x
      - .offset:         148
        .size:           4
        .value_kind:     hidden_block_count_y
      - .offset:         152
        .size:           4
        .value_kind:     hidden_block_count_z
      - .offset:         156
        .size:           2
        .value_kind:     hidden_group_size_x
      - .offset:         158
        .size:           2
        .value_kind:     hidden_group_size_y
      - .offset:         160
        .size:           2
        .value_kind:     hidden_group_size_z
      - .offset:         162
        .size:           2
        .value_kind:     hidden_remainder_x
      - .offset:         164
        .size:           2
        .value_kind:     hidden_remainder_y
      - .offset:         166
        .size:           2
        .value_kind:     hidden_remainder_z
      - .offset:         184
        .size:           8
        .value_kind:     hidden_global_offset_x
      - .offset:         192
        .size:           8
        .value_kind:     hidden_global_offset_y
      - .offset:         200
        .size:           8
        .value_kind:     hidden_global_offset_z
      - .offset:         208
        .size:           2
        .value_kind:     hidden_grid_dims
      - .offset:         224
        .size:           8
        .value_kind:     hidden_hostcall_buffer
    .group_segment_fixed_size: 0
    .kernarg_segment_align: 8
    .kernarg_segment_size: 400
    .language:       OpenCL C
    .language_version:
      - 2
      - 0
    .max_flat_workgroup_size: 256
    .name:           _Z39paged_attention_ll4mi_QKV_mfma16_kernelIDF16_hLN4vllm18Fp8KVCacheDataTypeE1EhLi16ELi64ELi256ELb1ELi16EEvPKT_PKT0_S7_ifPKiS9_S9_iPKfiiiPfSC_PS2_PT2_iSB_SB_
    .private_segment_fixed_size: 64
    .sgpr_count:     36
    .sgpr_spill_count: 0
    .symbol:         _Z39paged_attention_ll4mi_QKV_mfma16_kernelIDF16_hLN4vllm18Fp8KVCacheDataTypeE1EhLi16ELi64ELi256ELb1ELi16EEvPKT_PKT0_S7_ifPKiS9_S9_iPKfiiiPfSC_PS2_PT2_iSB_SB_.kd
    .uniform_work_group_size: 1
    .uses_dynamic_stack: false
    .vgpr_count:     51
    .vgpr_spill_count: 0
    .wavefront_size: 32
  - .args:
      - .actual_access:  read_only
        .address_space:  global
        .offset:         0
        .size:           8
        .value_kind:     global_buffer
      - .actual_access:  read_only
        .address_space:  global
        .offset:         8
        .size:           8
        .value_kind:     global_buffer
      - .actual_access:  read_only
        .address_space:  global
        .offset:         16
        .size:           8
        .value_kind:     global_buffer
      - .offset:         24
        .size:           4
        .value_kind:     by_value
      - .offset:         28
        .size:           4
        .value_kind:     by_value
      - .actual_access:  read_only
        .address_space:  global
        .offset:         32
        .size:           8
        .value_kind:     global_buffer
      - .actual_access:  read_only
        .address_space:  global
        .offset:         40
        .size:           8
        .value_kind:     global_buffer
      - .actual_access:  read_only
        .address_space:  global
        .offset:         48
        .size:           8
        .value_kind:     global_buffer
      - .offset:         56
        .size:           4
        .value_kind:     by_value
      - .actual_access:  read_only
        .address_space:  global
        .offset:         64
        .size:           8
        .value_kind:     global_buffer
      - .offset:         72
        .size:           4
        .value_kind:     by_value
      - .offset:         76
        .size:           4
        .value_kind:     by_value
      - .offset:         80
        .size:           4
        .value_kind:     by_value
      - .actual_access:  read_only
        .address_space:  global
        .offset:         88
        .size:           8
        .value_kind:     global_buffer
      - .actual_access:  read_only
        .address_space:  global
        .offset:         96
        .size:           8
        .value_kind:     global_buffer
      - .actual_access:  read_only
        .address_space:  global
        .offset:         104
        .size:           8
        .value_kind:     global_buffer
      - .actual_access:  read_only
        .address_space:  global
        .offset:         112
        .size:           8
        .value_kind:     global_buffer
      - .offset:         120
        .size:           4
        .value_kind:     by_value
      - .address_space:  global
        .offset:         128
        .size:           8
        .value_kind:     global_buffer
      - .address_space:  global
        .offset:         136
        .size:           8
        .value_kind:     global_buffer
      - .offset:         144
        .size:           4
        .value_kind:     hidden_block_count_x
      - .offset:         148
        .size:           4
        .value_kind:     hidden_block_count_y
      - .offset:         152
        .size:           4
        .value_kind:     hidden_block_count_z
      - .offset:         156
        .size:           2
        .value_kind:     hidden_group_size_x
      - .offset:         158
        .size:           2
        .value_kind:     hidden_group_size_y
      - .offset:         160
        .size:           2
        .value_kind:     hidden_group_size_z
      - .offset:         162
        .size:           2
        .value_kind:     hidden_remainder_x
      - .offset:         164
        .size:           2
        .value_kind:     hidden_remainder_y
      - .offset:         166
        .size:           2
        .value_kind:     hidden_remainder_z
      - .offset:         184
        .size:           8
        .value_kind:     hidden_global_offset_x
      - .offset:         192
        .size:           8
        .value_kind:     hidden_global_offset_y
      - .offset:         200
        .size:           8
        .value_kind:     hidden_global_offset_z
      - .offset:         208
        .size:           2
        .value_kind:     hidden_grid_dims
      - .offset:         224
        .size:           8
        .value_kind:     hidden_hostcall_buffer
    .group_segment_fixed_size: 0
    .kernarg_segment_align: 8
    .kernarg_segment_size: 400
    .language:       OpenCL C
    .language_version:
      - 2
      - 0
    .max_flat_workgroup_size: 256
    .name:           _Z39paged_attention_ll4mi_QKV_mfma16_kernelIDF16_hLN4vllm18Fp8KVCacheDataTypeE1EhLi16ELi64ELi256ELb1ELi1EEvPKT_PKT0_S7_ifPKiS9_S9_iPKfiiiPfSC_PS2_PT2_iSB_SB_
    .private_segment_fixed_size: 64
    .sgpr_count:     36
    .sgpr_spill_count: 0
    .symbol:         _Z39paged_attention_ll4mi_QKV_mfma16_kernelIDF16_hLN4vllm18Fp8KVCacheDataTypeE1EhLi16ELi64ELi256ELb1ELi1EEvPKT_PKT0_S7_ifPKiS9_S9_iPKfiiiPfSC_PS2_PT2_iSB_SB_.kd
    .uniform_work_group_size: 1
    .uses_dynamic_stack: false
    .vgpr_count:     51
    .vgpr_spill_count: 0
    .wavefront_size: 32
  - .args:
      - .actual_access:  read_only
        .address_space:  global
        .offset:         0
        .size:           8
        .value_kind:     global_buffer
      - .actual_access:  read_only
        .address_space:  global
        .offset:         8
        .size:           8
        .value_kind:     global_buffer
      - .actual_access:  read_only
        .address_space:  global
        .offset:         16
        .size:           8
        .value_kind:     global_buffer
      - .offset:         24
        .size:           4
        .value_kind:     by_value
      - .offset:         28
        .size:           4
        .value_kind:     by_value
      - .actual_access:  read_only
        .address_space:  global
        .offset:         32
        .size:           8
        .value_kind:     global_buffer
      - .actual_access:  read_only
        .address_space:  global
        .offset:         40
        .size:           8
        .value_kind:     global_buffer
      - .actual_access:  read_only
        .address_space:  global
        .offset:         48
        .size:           8
        .value_kind:     global_buffer
      - .offset:         56
        .size:           4
        .value_kind:     by_value
      - .actual_access:  read_only
        .address_space:  global
        .offset:         64
        .size:           8
        .value_kind:     global_buffer
      - .offset:         72
        .size:           4
        .value_kind:     by_value
      - .offset:         76
        .size:           4
        .value_kind:     by_value
      - .offset:         80
        .size:           4
        .value_kind:     by_value
      - .actual_access:  read_only
        .address_space:  global
        .offset:         88
        .size:           8
        .value_kind:     global_buffer
      - .actual_access:  read_only
        .address_space:  global
        .offset:         96
        .size:           8
        .value_kind:     global_buffer
      - .actual_access:  read_only
        .address_space:  global
        .offset:         104
        .size:           8
        .value_kind:     global_buffer
      - .actual_access:  read_only
        .address_space:  global
        .offset:         112
        .size:           8
        .value_kind:     global_buffer
      - .offset:         120
        .size:           4
        .value_kind:     by_value
      - .address_space:  global
        .offset:         128
        .size:           8
        .value_kind:     global_buffer
      - .address_space:  global
        .offset:         136
        .size:           8
        .value_kind:     global_buffer
      - .offset:         144
        .size:           4
        .value_kind:     hidden_block_count_x
      - .offset:         148
        .size:           4
        .value_kind:     hidden_block_count_y
      - .offset:         152
        .size:           4
        .value_kind:     hidden_block_count_z
      - .offset:         156
        .size:           2
        .value_kind:     hidden_group_size_x
      - .offset:         158
        .size:           2
        .value_kind:     hidden_group_size_y
      - .offset:         160
        .size:           2
        .value_kind:     hidden_group_size_z
      - .offset:         162
        .size:           2
        .value_kind:     hidden_remainder_x
      - .offset:         164
        .size:           2
        .value_kind:     hidden_remainder_y
      - .offset:         166
        .size:           2
        .value_kind:     hidden_remainder_z
      - .offset:         184
        .size:           8
        .value_kind:     hidden_global_offset_x
      - .offset:         192
        .size:           8
        .value_kind:     hidden_global_offset_y
      - .offset:         200
        .size:           8
        .value_kind:     hidden_global_offset_z
      - .offset:         208
        .size:           2
        .value_kind:     hidden_grid_dims
      - .offset:         224
        .size:           8
        .value_kind:     hidden_hostcall_buffer
    .group_segment_fixed_size: 0
    .kernarg_segment_align: 8
    .kernarg_segment_size: 400
    .language:       OpenCL C
    .language_version:
      - 2
      - 0
    .max_flat_workgroup_size: 256
    .name:           _Z39paged_attention_ll4mi_QKV_mfma16_kernelIDF16_hLN4vllm18Fp8KVCacheDataTypeE1EhLi16ELi64ELi256ELb1ELi2EEvPKT_PKT0_S7_ifPKiS9_S9_iPKfiiiPfSC_PS2_PT2_iSB_SB_
    .private_segment_fixed_size: 64
    .sgpr_count:     36
    .sgpr_spill_count: 0
    .symbol:         _Z39paged_attention_ll4mi_QKV_mfma16_kernelIDF16_hLN4vllm18Fp8KVCacheDataTypeE1EhLi16ELi64ELi256ELb1ELi2EEvPKT_PKT0_S7_ifPKiS9_S9_iPKfiiiPfSC_PS2_PT2_iSB_SB_.kd
    .uniform_work_group_size: 1
    .uses_dynamic_stack: false
    .vgpr_count:     51
    .vgpr_spill_count: 0
    .wavefront_size: 32
  - .args:
      - .actual_access:  read_only
        .address_space:  global
        .offset:         0
        .size:           8
        .value_kind:     global_buffer
      - .actual_access:  read_only
        .address_space:  global
        .offset:         8
        .size:           8
        .value_kind:     global_buffer
      - .actual_access:  read_only
        .address_space:  global
        .offset:         16
        .size:           8
        .value_kind:     global_buffer
      - .offset:         24
        .size:           4
        .value_kind:     by_value
      - .offset:         28
        .size:           4
        .value_kind:     by_value
      - .actual_access:  read_only
        .address_space:  global
        .offset:         32
        .size:           8
        .value_kind:     global_buffer
      - .actual_access:  read_only
        .address_space:  global
        .offset:         40
        .size:           8
        .value_kind:     global_buffer
      - .actual_access:  read_only
        .address_space:  global
        .offset:         48
        .size:           8
        .value_kind:     global_buffer
      - .offset:         56
        .size:           4
        .value_kind:     by_value
      - .actual_access:  read_only
        .address_space:  global
        .offset:         64
        .size:           8
        .value_kind:     global_buffer
      - .offset:         72
        .size:           4
        .value_kind:     by_value
      - .offset:         76
        .size:           4
        .value_kind:     by_value
      - .offset:         80
        .size:           4
        .value_kind:     by_value
      - .actual_access:  read_only
        .address_space:  global
        .offset:         88
        .size:           8
        .value_kind:     global_buffer
      - .actual_access:  read_only
        .address_space:  global
        .offset:         96
        .size:           8
        .value_kind:     global_buffer
      - .actual_access:  read_only
        .address_space:  global
        .offset:         104
        .size:           8
        .value_kind:     global_buffer
      - .actual_access:  read_only
        .address_space:  global
        .offset:         112
        .size:           8
        .value_kind:     global_buffer
      - .offset:         120
        .size:           4
        .value_kind:     by_value
      - .address_space:  global
        .offset:         128
        .size:           8
        .value_kind:     global_buffer
      - .address_space:  global
        .offset:         136
        .size:           8
        .value_kind:     global_buffer
      - .offset:         144
        .size:           4
        .value_kind:     hidden_block_count_x
      - .offset:         148
        .size:           4
        .value_kind:     hidden_block_count_y
      - .offset:         152
        .size:           4
        .value_kind:     hidden_block_count_z
      - .offset:         156
        .size:           2
        .value_kind:     hidden_group_size_x
      - .offset:         158
        .size:           2
        .value_kind:     hidden_group_size_y
      - .offset:         160
        .size:           2
        .value_kind:     hidden_group_size_z
      - .offset:         162
        .size:           2
        .value_kind:     hidden_remainder_x
      - .offset:         164
        .size:           2
        .value_kind:     hidden_remainder_y
      - .offset:         166
        .size:           2
        .value_kind:     hidden_remainder_z
      - .offset:         184
        .size:           8
        .value_kind:     hidden_global_offset_x
      - .offset:         192
        .size:           8
        .value_kind:     hidden_global_offset_y
      - .offset:         200
        .size:           8
        .value_kind:     hidden_global_offset_z
      - .offset:         208
        .size:           2
        .value_kind:     hidden_grid_dims
      - .offset:         224
        .size:           8
        .value_kind:     hidden_hostcall_buffer
    .group_segment_fixed_size: 0
    .kernarg_segment_align: 8
    .kernarg_segment_size: 400
    .language:       OpenCL C
    .language_version:
      - 2
      - 0
    .max_flat_workgroup_size: 256
    .name:           _Z39paged_attention_ll4mi_QKV_mfma16_kernelIDF16_hLN4vllm18Fp8KVCacheDataTypeE1EhLi16ELi64ELi256ELb1ELi3EEvPKT_PKT0_S7_ifPKiS9_S9_iPKfiiiPfSC_PS2_PT2_iSB_SB_
    .private_segment_fixed_size: 64
    .sgpr_count:     36
    .sgpr_spill_count: 0
    .symbol:         _Z39paged_attention_ll4mi_QKV_mfma16_kernelIDF16_hLN4vllm18Fp8KVCacheDataTypeE1EhLi16ELi64ELi256ELb1ELi3EEvPKT_PKT0_S7_ifPKiS9_S9_iPKfiiiPfSC_PS2_PT2_iSB_SB_.kd
    .uniform_work_group_size: 1
    .uses_dynamic_stack: false
    .vgpr_count:     51
    .vgpr_spill_count: 0
    .wavefront_size: 32
  - .args:
      - .actual_access:  read_only
        .address_space:  global
        .offset:         0
        .size:           8
        .value_kind:     global_buffer
      - .actual_access:  read_only
        .address_space:  global
        .offset:         8
        .size:           8
        .value_kind:     global_buffer
      - .actual_access:  read_only
        .address_space:  global
        .offset:         16
        .size:           8
        .value_kind:     global_buffer
      - .offset:         24
        .size:           4
        .value_kind:     by_value
      - .offset:         28
        .size:           4
        .value_kind:     by_value
      - .actual_access:  read_only
        .address_space:  global
        .offset:         32
        .size:           8
        .value_kind:     global_buffer
      - .actual_access:  read_only
        .address_space:  global
        .offset:         40
        .size:           8
        .value_kind:     global_buffer
      - .actual_access:  read_only
        .address_space:  global
        .offset:         48
        .size:           8
        .value_kind:     global_buffer
      - .offset:         56
        .size:           4
        .value_kind:     by_value
      - .actual_access:  read_only
        .address_space:  global
        .offset:         64
        .size:           8
        .value_kind:     global_buffer
      - .offset:         72
        .size:           4
        .value_kind:     by_value
      - .offset:         76
        .size:           4
        .value_kind:     by_value
      - .offset:         80
        .size:           4
        .value_kind:     by_value
      - .actual_access:  read_only
        .address_space:  global
        .offset:         88
        .size:           8
        .value_kind:     global_buffer
      - .actual_access:  read_only
        .address_space:  global
        .offset:         96
        .size:           8
        .value_kind:     global_buffer
      - .actual_access:  read_only
        .address_space:  global
        .offset:         104
        .size:           8
        .value_kind:     global_buffer
      - .actual_access:  read_only
        .address_space:  global
        .offset:         112
        .size:           8
        .value_kind:     global_buffer
      - .offset:         120
        .size:           4
        .value_kind:     by_value
      - .address_space:  global
        .offset:         128
        .size:           8
        .value_kind:     global_buffer
      - .address_space:  global
        .offset:         136
        .size:           8
        .value_kind:     global_buffer
      - .offset:         144
        .size:           4
        .value_kind:     hidden_block_count_x
      - .offset:         148
        .size:           4
        .value_kind:     hidden_block_count_y
      - .offset:         152
        .size:           4
        .value_kind:     hidden_block_count_z
      - .offset:         156
        .size:           2
        .value_kind:     hidden_group_size_x
      - .offset:         158
        .size:           2
        .value_kind:     hidden_group_size_y
      - .offset:         160
        .size:           2
        .value_kind:     hidden_group_size_z
      - .offset:         162
        .size:           2
        .value_kind:     hidden_remainder_x
      - .offset:         164
        .size:           2
        .value_kind:     hidden_remainder_y
      - .offset:         166
        .size:           2
        .value_kind:     hidden_remainder_z
      - .offset:         184
        .size:           8
        .value_kind:     hidden_global_offset_x
      - .offset:         192
        .size:           8
        .value_kind:     hidden_global_offset_y
      - .offset:         200
        .size:           8
        .value_kind:     hidden_global_offset_z
      - .offset:         208
        .size:           2
        .value_kind:     hidden_grid_dims
      - .offset:         224
        .size:           8
        .value_kind:     hidden_hostcall_buffer
    .group_segment_fixed_size: 0
    .kernarg_segment_align: 8
    .kernarg_segment_size: 400
    .language:       OpenCL C
    .language_version:
      - 2
      - 0
    .max_flat_workgroup_size: 256
    .name:           _Z39paged_attention_ll4mi_QKV_mfma16_kernelIDF16_hLN4vllm18Fp8KVCacheDataTypeE1EhLi16ELi64ELi256ELb1ELi4EEvPKT_PKT0_S7_ifPKiS9_S9_iPKfiiiPfSC_PS2_PT2_iSB_SB_
    .private_segment_fixed_size: 64
    .sgpr_count:     36
    .sgpr_spill_count: 0
    .symbol:         _Z39paged_attention_ll4mi_QKV_mfma16_kernelIDF16_hLN4vllm18Fp8KVCacheDataTypeE1EhLi16ELi64ELi256ELb1ELi4EEvPKT_PKT0_S7_ifPKiS9_S9_iPKfiiiPfSC_PS2_PT2_iSB_SB_.kd
    .uniform_work_group_size: 1
    .uses_dynamic_stack: false
    .vgpr_count:     51
    .vgpr_spill_count: 0
    .wavefront_size: 32
  - .args:
      - .actual_access:  read_only
        .address_space:  global
        .offset:         0
        .size:           8
        .value_kind:     global_buffer
      - .actual_access:  read_only
        .address_space:  global
        .offset:         8
        .size:           8
        .value_kind:     global_buffer
      - .actual_access:  read_only
        .address_space:  global
        .offset:         16
        .size:           8
        .value_kind:     global_buffer
      - .offset:         24
        .size:           4
        .value_kind:     by_value
      - .offset:         28
        .size:           4
        .value_kind:     by_value
      - .actual_access:  read_only
        .address_space:  global
        .offset:         32
        .size:           8
        .value_kind:     global_buffer
      - .actual_access:  read_only
        .address_space:  global
        .offset:         40
        .size:           8
        .value_kind:     global_buffer
      - .actual_access:  read_only
        .address_space:  global
        .offset:         48
        .size:           8
        .value_kind:     global_buffer
      - .offset:         56
        .size:           4
        .value_kind:     by_value
      - .actual_access:  read_only
        .address_space:  global
        .offset:         64
        .size:           8
        .value_kind:     global_buffer
      - .offset:         72
        .size:           4
        .value_kind:     by_value
      - .offset:         76
        .size:           4
        .value_kind:     by_value
      - .offset:         80
        .size:           4
        .value_kind:     by_value
      - .actual_access:  read_only
        .address_space:  global
        .offset:         88
        .size:           8
        .value_kind:     global_buffer
      - .actual_access:  read_only
        .address_space:  global
        .offset:         96
        .size:           8
        .value_kind:     global_buffer
      - .actual_access:  read_only
        .address_space:  global
        .offset:         104
        .size:           8
        .value_kind:     global_buffer
      - .actual_access:  read_only
        .address_space:  global
        .offset:         112
        .size:           8
        .value_kind:     global_buffer
      - .offset:         120
        .size:           4
        .value_kind:     by_value
      - .address_space:  global
        .offset:         128
        .size:           8
        .value_kind:     global_buffer
      - .address_space:  global
        .offset:         136
        .size:           8
        .value_kind:     global_buffer
      - .offset:         144
        .size:           4
        .value_kind:     hidden_block_count_x
      - .offset:         148
        .size:           4
        .value_kind:     hidden_block_count_y
      - .offset:         152
        .size:           4
        .value_kind:     hidden_block_count_z
      - .offset:         156
        .size:           2
        .value_kind:     hidden_group_size_x
      - .offset:         158
        .size:           2
        .value_kind:     hidden_group_size_y
      - .offset:         160
        .size:           2
        .value_kind:     hidden_group_size_z
      - .offset:         162
        .size:           2
        .value_kind:     hidden_remainder_x
      - .offset:         164
        .size:           2
        .value_kind:     hidden_remainder_y
      - .offset:         166
        .size:           2
        .value_kind:     hidden_remainder_z
      - .offset:         184
        .size:           8
        .value_kind:     hidden_global_offset_x
      - .offset:         192
        .size:           8
        .value_kind:     hidden_global_offset_y
      - .offset:         200
        .size:           8
        .value_kind:     hidden_global_offset_z
      - .offset:         208
        .size:           2
        .value_kind:     hidden_grid_dims
      - .offset:         224
        .size:           8
        .value_kind:     hidden_hostcall_buffer
    .group_segment_fixed_size: 0
    .kernarg_segment_align: 8
    .kernarg_segment_size: 400
    .language:       OpenCL C
    .language_version:
      - 2
      - 0
    .max_flat_workgroup_size: 256
    .name:           _Z38paged_attention_ll4mi_QKV_mfma4_kernelIDF16_hLN4vllm18Fp8KVCacheDataTypeE1EhLi16ELi64ELi256ELb0ELi1EEvPKT_PKT0_S7_ifPKiS9_S9_iPKfiiiPfSC_PS2_PT2_iSB_SB_
    .private_segment_fixed_size: 64
    .sgpr_count:     36
    .sgpr_spill_count: 0
    .symbol:         _Z38paged_attention_ll4mi_QKV_mfma4_kernelIDF16_hLN4vllm18Fp8KVCacheDataTypeE1EhLi16ELi64ELi256ELb0ELi1EEvPKT_PKT0_S7_ifPKiS9_S9_iPKfiiiPfSC_PS2_PT2_iSB_SB_.kd
    .uniform_work_group_size: 1
    .uses_dynamic_stack: false
    .vgpr_count:     51
    .vgpr_spill_count: 0
    .wavefront_size: 32
  - .args:
      - .actual_access:  read_only
        .address_space:  global
        .offset:         0
        .size:           8
        .value_kind:     global_buffer
      - .actual_access:  read_only
        .address_space:  global
        .offset:         8
        .size:           8
        .value_kind:     global_buffer
      - .actual_access:  read_only
        .address_space:  global
        .offset:         16
        .size:           8
        .value_kind:     global_buffer
      - .offset:         24
        .size:           4
        .value_kind:     by_value
      - .offset:         28
        .size:           4
        .value_kind:     by_value
      - .actual_access:  read_only
        .address_space:  global
        .offset:         32
        .size:           8
        .value_kind:     global_buffer
      - .actual_access:  read_only
        .address_space:  global
        .offset:         40
        .size:           8
        .value_kind:     global_buffer
      - .actual_access:  read_only
        .address_space:  global
        .offset:         48
        .size:           8
        .value_kind:     global_buffer
      - .offset:         56
        .size:           4
        .value_kind:     by_value
      - .actual_access:  read_only
        .address_space:  global
        .offset:         64
        .size:           8
        .value_kind:     global_buffer
      - .offset:         72
        .size:           4
        .value_kind:     by_value
      - .offset:         76
        .size:           4
        .value_kind:     by_value
      - .offset:         80
        .size:           4
        .value_kind:     by_value
      - .actual_access:  read_only
        .address_space:  global
        .offset:         88
        .size:           8
        .value_kind:     global_buffer
      - .actual_access:  read_only
        .address_space:  global
        .offset:         96
        .size:           8
        .value_kind:     global_buffer
      - .actual_access:  read_only
        .address_space:  global
        .offset:         104
        .size:           8
        .value_kind:     global_buffer
      - .actual_access:  read_only
        .address_space:  global
        .offset:         112
        .size:           8
        .value_kind:     global_buffer
      - .offset:         120
        .size:           4
        .value_kind:     by_value
      - .address_space:  global
        .offset:         128
        .size:           8
        .value_kind:     global_buffer
      - .address_space:  global
        .offset:         136
        .size:           8
        .value_kind:     global_buffer
      - .offset:         144
        .size:           4
        .value_kind:     hidden_block_count_x
      - .offset:         148
        .size:           4
        .value_kind:     hidden_block_count_y
      - .offset:         152
        .size:           4
        .value_kind:     hidden_block_count_z
      - .offset:         156
        .size:           2
        .value_kind:     hidden_group_size_x
      - .offset:         158
        .size:           2
        .value_kind:     hidden_group_size_y
      - .offset:         160
        .size:           2
        .value_kind:     hidden_group_size_z
      - .offset:         162
        .size:           2
        .value_kind:     hidden_remainder_x
      - .offset:         164
        .size:           2
        .value_kind:     hidden_remainder_y
      - .offset:         166
        .size:           2
        .value_kind:     hidden_remainder_z
      - .offset:         184
        .size:           8
        .value_kind:     hidden_global_offset_x
      - .offset:         192
        .size:           8
        .value_kind:     hidden_global_offset_y
      - .offset:         200
        .size:           8
        .value_kind:     hidden_global_offset_z
      - .offset:         208
        .size:           2
        .value_kind:     hidden_grid_dims
      - .offset:         224
        .size:           8
        .value_kind:     hidden_hostcall_buffer
    .group_segment_fixed_size: 0
    .kernarg_segment_align: 8
    .kernarg_segment_size: 400
    .language:       OpenCL C
    .language_version:
      - 2
      - 0
    .max_flat_workgroup_size: 256
    .name:           _Z38paged_attention_ll4mi_QKV_mfma4_kernelIDF16_hLN4vllm18Fp8KVCacheDataTypeE1EhLi16ELi64ELi256ELb0ELi2EEvPKT_PKT0_S7_ifPKiS9_S9_iPKfiiiPfSC_PS2_PT2_iSB_SB_
    .private_segment_fixed_size: 64
    .sgpr_count:     36
    .sgpr_spill_count: 0
    .symbol:         _Z38paged_attention_ll4mi_QKV_mfma4_kernelIDF16_hLN4vllm18Fp8KVCacheDataTypeE1EhLi16ELi64ELi256ELb0ELi2EEvPKT_PKT0_S7_ifPKiS9_S9_iPKfiiiPfSC_PS2_PT2_iSB_SB_.kd
    .uniform_work_group_size: 1
    .uses_dynamic_stack: false
    .vgpr_count:     51
    .vgpr_spill_count: 0
    .wavefront_size: 32
  - .args:
      - .actual_access:  read_only
        .address_space:  global
        .offset:         0
        .size:           8
        .value_kind:     global_buffer
      - .actual_access:  read_only
        .address_space:  global
        .offset:         8
        .size:           8
        .value_kind:     global_buffer
      - .actual_access:  read_only
        .address_space:  global
        .offset:         16
        .size:           8
        .value_kind:     global_buffer
      - .offset:         24
        .size:           4
        .value_kind:     by_value
      - .offset:         28
        .size:           4
        .value_kind:     by_value
      - .actual_access:  read_only
        .address_space:  global
        .offset:         32
        .size:           8
        .value_kind:     global_buffer
      - .actual_access:  read_only
        .address_space:  global
        .offset:         40
        .size:           8
        .value_kind:     global_buffer
      - .actual_access:  read_only
        .address_space:  global
        .offset:         48
        .size:           8
        .value_kind:     global_buffer
      - .offset:         56
        .size:           4
        .value_kind:     by_value
      - .actual_access:  read_only
        .address_space:  global
        .offset:         64
        .size:           8
        .value_kind:     global_buffer
      - .offset:         72
        .size:           4
        .value_kind:     by_value
      - .offset:         76
        .size:           4
        .value_kind:     by_value
      - .offset:         80
        .size:           4
        .value_kind:     by_value
      - .actual_access:  read_only
        .address_space:  global
        .offset:         88
        .size:           8
        .value_kind:     global_buffer
      - .actual_access:  read_only
        .address_space:  global
        .offset:         96
        .size:           8
        .value_kind:     global_buffer
      - .actual_access:  read_only
        .address_space:  global
        .offset:         104
        .size:           8
        .value_kind:     global_buffer
      - .actual_access:  read_only
        .address_space:  global
        .offset:         112
        .size:           8
        .value_kind:     global_buffer
      - .offset:         120
        .size:           4
        .value_kind:     by_value
      - .address_space:  global
        .offset:         128
        .size:           8
        .value_kind:     global_buffer
      - .address_space:  global
        .offset:         136
        .size:           8
        .value_kind:     global_buffer
      - .offset:         144
        .size:           4
        .value_kind:     hidden_block_count_x
      - .offset:         148
        .size:           4
        .value_kind:     hidden_block_count_y
      - .offset:         152
        .size:           4
        .value_kind:     hidden_block_count_z
      - .offset:         156
        .size:           2
        .value_kind:     hidden_group_size_x
      - .offset:         158
        .size:           2
        .value_kind:     hidden_group_size_y
      - .offset:         160
        .size:           2
        .value_kind:     hidden_group_size_z
      - .offset:         162
        .size:           2
        .value_kind:     hidden_remainder_x
      - .offset:         164
        .size:           2
        .value_kind:     hidden_remainder_y
      - .offset:         166
        .size:           2
        .value_kind:     hidden_remainder_z
      - .offset:         184
        .size:           8
        .value_kind:     hidden_global_offset_x
      - .offset:         192
        .size:           8
        .value_kind:     hidden_global_offset_y
      - .offset:         200
        .size:           8
        .value_kind:     hidden_global_offset_z
      - .offset:         208
        .size:           2
        .value_kind:     hidden_grid_dims
      - .offset:         224
        .size:           8
        .value_kind:     hidden_hostcall_buffer
    .group_segment_fixed_size: 0
    .kernarg_segment_align: 8
    .kernarg_segment_size: 400
    .language:       OpenCL C
    .language_version:
      - 2
      - 0
    .max_flat_workgroup_size: 256
    .name:           _Z38paged_attention_ll4mi_QKV_mfma4_kernelIDF16_hLN4vllm18Fp8KVCacheDataTypeE1EhLi16ELi64ELi256ELb0ELi3EEvPKT_PKT0_S7_ifPKiS9_S9_iPKfiiiPfSC_PS2_PT2_iSB_SB_
    .private_segment_fixed_size: 64
    .sgpr_count:     36
    .sgpr_spill_count: 0
    .symbol:         _Z38paged_attention_ll4mi_QKV_mfma4_kernelIDF16_hLN4vllm18Fp8KVCacheDataTypeE1EhLi16ELi64ELi256ELb0ELi3EEvPKT_PKT0_S7_ifPKiS9_S9_iPKfiiiPfSC_PS2_PT2_iSB_SB_.kd
    .uniform_work_group_size: 1
    .uses_dynamic_stack: false
    .vgpr_count:     51
    .vgpr_spill_count: 0
    .wavefront_size: 32
  - .args:
      - .actual_access:  read_only
        .address_space:  global
        .offset:         0
        .size:           8
        .value_kind:     global_buffer
      - .actual_access:  read_only
        .address_space:  global
        .offset:         8
        .size:           8
        .value_kind:     global_buffer
      - .actual_access:  read_only
        .address_space:  global
        .offset:         16
        .size:           8
        .value_kind:     global_buffer
      - .offset:         24
        .size:           4
        .value_kind:     by_value
      - .offset:         28
        .size:           4
        .value_kind:     by_value
      - .actual_access:  read_only
        .address_space:  global
        .offset:         32
        .size:           8
        .value_kind:     global_buffer
      - .actual_access:  read_only
        .address_space:  global
        .offset:         40
        .size:           8
        .value_kind:     global_buffer
      - .actual_access:  read_only
        .address_space:  global
        .offset:         48
        .size:           8
        .value_kind:     global_buffer
      - .offset:         56
        .size:           4
        .value_kind:     by_value
      - .actual_access:  read_only
        .address_space:  global
        .offset:         64
        .size:           8
        .value_kind:     global_buffer
      - .offset:         72
        .size:           4
        .value_kind:     by_value
      - .offset:         76
        .size:           4
        .value_kind:     by_value
      - .offset:         80
        .size:           4
        .value_kind:     by_value
      - .actual_access:  read_only
        .address_space:  global
        .offset:         88
        .size:           8
        .value_kind:     global_buffer
      - .actual_access:  read_only
        .address_space:  global
        .offset:         96
        .size:           8
        .value_kind:     global_buffer
      - .actual_access:  read_only
        .address_space:  global
        .offset:         104
        .size:           8
        .value_kind:     global_buffer
      - .actual_access:  read_only
        .address_space:  global
        .offset:         112
        .size:           8
        .value_kind:     global_buffer
      - .offset:         120
        .size:           4
        .value_kind:     by_value
      - .address_space:  global
        .offset:         128
        .size:           8
        .value_kind:     global_buffer
      - .address_space:  global
        .offset:         136
        .size:           8
        .value_kind:     global_buffer
      - .offset:         144
        .size:           4
        .value_kind:     hidden_block_count_x
      - .offset:         148
        .size:           4
        .value_kind:     hidden_block_count_y
      - .offset:         152
        .size:           4
        .value_kind:     hidden_block_count_z
      - .offset:         156
        .size:           2
        .value_kind:     hidden_group_size_x
      - .offset:         158
        .size:           2
        .value_kind:     hidden_group_size_y
      - .offset:         160
        .size:           2
        .value_kind:     hidden_group_size_z
      - .offset:         162
        .size:           2
        .value_kind:     hidden_remainder_x
      - .offset:         164
        .size:           2
        .value_kind:     hidden_remainder_y
      - .offset:         166
        .size:           2
        .value_kind:     hidden_remainder_z
      - .offset:         184
        .size:           8
        .value_kind:     hidden_global_offset_x
      - .offset:         192
        .size:           8
        .value_kind:     hidden_global_offset_y
      - .offset:         200
        .size:           8
        .value_kind:     hidden_global_offset_z
      - .offset:         208
        .size:           2
        .value_kind:     hidden_grid_dims
      - .offset:         224
        .size:           8
        .value_kind:     hidden_hostcall_buffer
    .group_segment_fixed_size: 0
    .kernarg_segment_align: 8
    .kernarg_segment_size: 400
    .language:       OpenCL C
    .language_version:
      - 2
      - 0
    .max_flat_workgroup_size: 256
    .name:           _Z38paged_attention_ll4mi_QKV_mfma4_kernelIDF16_hLN4vllm18Fp8KVCacheDataTypeE1EhLi16ELi64ELi256ELb0ELi4EEvPKT_PKT0_S7_ifPKiS9_S9_iPKfiiiPfSC_PS2_PT2_iSB_SB_
    .private_segment_fixed_size: 64
    .sgpr_count:     36
    .sgpr_spill_count: 0
    .symbol:         _Z38paged_attention_ll4mi_QKV_mfma4_kernelIDF16_hLN4vllm18Fp8KVCacheDataTypeE1EhLi16ELi64ELi256ELb0ELi4EEvPKT_PKT0_S7_ifPKiS9_S9_iPKfiiiPfSC_PS2_PT2_iSB_SB_.kd
    .uniform_work_group_size: 1
    .uses_dynamic_stack: false
    .vgpr_count:     51
    .vgpr_spill_count: 0
    .wavefront_size: 32
  - .args:
      - .actual_access:  read_only
        .address_space:  global
        .offset:         0
        .size:           8
        .value_kind:     global_buffer
      - .actual_access:  read_only
        .address_space:  global
        .offset:         8
        .size:           8
        .value_kind:     global_buffer
      - .actual_access:  read_only
        .address_space:  global
        .offset:         16
        .size:           8
        .value_kind:     global_buffer
      - .offset:         24
        .size:           4
        .value_kind:     by_value
      - .offset:         28
        .size:           4
        .value_kind:     by_value
      - .actual_access:  read_only
        .address_space:  global
        .offset:         32
        .size:           8
        .value_kind:     global_buffer
      - .actual_access:  read_only
        .address_space:  global
        .offset:         40
        .size:           8
        .value_kind:     global_buffer
      - .actual_access:  read_only
        .address_space:  global
        .offset:         48
        .size:           8
        .value_kind:     global_buffer
      - .offset:         56
        .size:           4
        .value_kind:     by_value
      - .actual_access:  read_only
        .address_space:  global
        .offset:         64
        .size:           8
        .value_kind:     global_buffer
      - .offset:         72
        .size:           4
        .value_kind:     by_value
      - .offset:         76
        .size:           4
        .value_kind:     by_value
      - .offset:         80
        .size:           4
        .value_kind:     by_value
      - .actual_access:  read_only
        .address_space:  global
        .offset:         88
        .size:           8
        .value_kind:     global_buffer
      - .actual_access:  read_only
        .address_space:  global
        .offset:         96
        .size:           8
        .value_kind:     global_buffer
      - .actual_access:  read_only
        .address_space:  global
        .offset:         104
        .size:           8
        .value_kind:     global_buffer
      - .actual_access:  read_only
        .address_space:  global
        .offset:         112
        .size:           8
        .value_kind:     global_buffer
      - .offset:         120
        .size:           4
        .value_kind:     by_value
      - .address_space:  global
        .offset:         128
        .size:           8
        .value_kind:     global_buffer
      - .address_space:  global
        .offset:         136
        .size:           8
        .value_kind:     global_buffer
      - .offset:         144
        .size:           4
        .value_kind:     hidden_block_count_x
      - .offset:         148
        .size:           4
        .value_kind:     hidden_block_count_y
      - .offset:         152
        .size:           4
        .value_kind:     hidden_block_count_z
      - .offset:         156
        .size:           2
        .value_kind:     hidden_group_size_x
      - .offset:         158
        .size:           2
        .value_kind:     hidden_group_size_y
      - .offset:         160
        .size:           2
        .value_kind:     hidden_group_size_z
      - .offset:         162
        .size:           2
        .value_kind:     hidden_remainder_x
      - .offset:         164
        .size:           2
        .value_kind:     hidden_remainder_y
      - .offset:         166
        .size:           2
        .value_kind:     hidden_remainder_z
      - .offset:         184
        .size:           8
        .value_kind:     hidden_global_offset_x
      - .offset:         192
        .size:           8
        .value_kind:     hidden_global_offset_y
      - .offset:         200
        .size:           8
        .value_kind:     hidden_global_offset_z
      - .offset:         208
        .size:           2
        .value_kind:     hidden_grid_dims
      - .offset:         224
        .size:           8
        .value_kind:     hidden_hostcall_buffer
    .group_segment_fixed_size: 0
    .kernarg_segment_align: 8
    .kernarg_segment_size: 400
    .language:       OpenCL C
    .language_version:
      - 2
      - 0
    .max_flat_workgroup_size: 256
    .name:           _Z39paged_attention_ll4mi_QKV_mfma16_kernelIDF16_hLN4vllm18Fp8KVCacheDataTypeE1EhLi16ELi64ELi256ELb0ELi5EEvPKT_PKT0_S7_ifPKiS9_S9_iPKfiiiPfSC_PS2_PT2_iSB_SB_
    .private_segment_fixed_size: 64
    .sgpr_count:     36
    .sgpr_spill_count: 0
    .symbol:         _Z39paged_attention_ll4mi_QKV_mfma16_kernelIDF16_hLN4vllm18Fp8KVCacheDataTypeE1EhLi16ELi64ELi256ELb0ELi5EEvPKT_PKT0_S7_ifPKiS9_S9_iPKfiiiPfSC_PS2_PT2_iSB_SB_.kd
    .uniform_work_group_size: 1
    .uses_dynamic_stack: false
    .vgpr_count:     51
    .vgpr_spill_count: 0
    .wavefront_size: 32
  - .args:
      - .actual_access:  read_only
        .address_space:  global
        .offset:         0
        .size:           8
        .value_kind:     global_buffer
      - .actual_access:  read_only
        .address_space:  global
        .offset:         8
        .size:           8
        .value_kind:     global_buffer
      - .actual_access:  read_only
        .address_space:  global
        .offset:         16
        .size:           8
        .value_kind:     global_buffer
      - .offset:         24
        .size:           4
        .value_kind:     by_value
      - .offset:         28
        .size:           4
        .value_kind:     by_value
      - .actual_access:  read_only
        .address_space:  global
        .offset:         32
        .size:           8
        .value_kind:     global_buffer
      - .actual_access:  read_only
        .address_space:  global
        .offset:         40
        .size:           8
        .value_kind:     global_buffer
      - .actual_access:  read_only
        .address_space:  global
        .offset:         48
        .size:           8
        .value_kind:     global_buffer
      - .offset:         56
        .size:           4
        .value_kind:     by_value
      - .actual_access:  read_only
        .address_space:  global
        .offset:         64
        .size:           8
        .value_kind:     global_buffer
      - .offset:         72
        .size:           4
        .value_kind:     by_value
      - .offset:         76
        .size:           4
        .value_kind:     by_value
      - .offset:         80
        .size:           4
        .value_kind:     by_value
      - .actual_access:  read_only
        .address_space:  global
        .offset:         88
        .size:           8
        .value_kind:     global_buffer
      - .actual_access:  read_only
        .address_space:  global
        .offset:         96
        .size:           8
        .value_kind:     global_buffer
      - .actual_access:  read_only
        .address_space:  global
        .offset:         104
        .size:           8
        .value_kind:     global_buffer
      - .actual_access:  read_only
        .address_space:  global
        .offset:         112
        .size:           8
        .value_kind:     global_buffer
      - .offset:         120
        .size:           4
        .value_kind:     by_value
      - .address_space:  global
        .offset:         128
        .size:           8
        .value_kind:     global_buffer
      - .address_space:  global
        .offset:         136
        .size:           8
        .value_kind:     global_buffer
      - .offset:         144
        .size:           4
        .value_kind:     hidden_block_count_x
      - .offset:         148
        .size:           4
        .value_kind:     hidden_block_count_y
      - .offset:         152
        .size:           4
        .value_kind:     hidden_block_count_z
      - .offset:         156
        .size:           2
        .value_kind:     hidden_group_size_x
      - .offset:         158
        .size:           2
        .value_kind:     hidden_group_size_y
      - .offset:         160
        .size:           2
        .value_kind:     hidden_group_size_z
      - .offset:         162
        .size:           2
        .value_kind:     hidden_remainder_x
      - .offset:         164
        .size:           2
        .value_kind:     hidden_remainder_y
      - .offset:         166
        .size:           2
        .value_kind:     hidden_remainder_z
      - .offset:         184
        .size:           8
        .value_kind:     hidden_global_offset_x
      - .offset:         192
        .size:           8
        .value_kind:     hidden_global_offset_y
      - .offset:         200
        .size:           8
        .value_kind:     hidden_global_offset_z
      - .offset:         208
        .size:           2
        .value_kind:     hidden_grid_dims
      - .offset:         224
        .size:           8
        .value_kind:     hidden_hostcall_buffer
    .group_segment_fixed_size: 0
    .kernarg_segment_align: 8
    .kernarg_segment_size: 400
    .language:       OpenCL C
    .language_version:
      - 2
      - 0
    .max_flat_workgroup_size: 256
    .name:           _Z39paged_attention_ll4mi_QKV_mfma16_kernelIDF16_hLN4vllm18Fp8KVCacheDataTypeE1EhLi16ELi64ELi256ELb0ELi6EEvPKT_PKT0_S7_ifPKiS9_S9_iPKfiiiPfSC_PS2_PT2_iSB_SB_
    .private_segment_fixed_size: 64
    .sgpr_count:     36
    .sgpr_spill_count: 0
    .symbol:         _Z39paged_attention_ll4mi_QKV_mfma16_kernelIDF16_hLN4vllm18Fp8KVCacheDataTypeE1EhLi16ELi64ELi256ELb0ELi6EEvPKT_PKT0_S7_ifPKiS9_S9_iPKfiiiPfSC_PS2_PT2_iSB_SB_.kd
    .uniform_work_group_size: 1
    .uses_dynamic_stack: false
    .vgpr_count:     51
    .vgpr_spill_count: 0
    .wavefront_size: 32
  - .args:
      - .actual_access:  read_only
        .address_space:  global
        .offset:         0
        .size:           8
        .value_kind:     global_buffer
      - .actual_access:  read_only
        .address_space:  global
        .offset:         8
        .size:           8
        .value_kind:     global_buffer
      - .actual_access:  read_only
        .address_space:  global
        .offset:         16
        .size:           8
        .value_kind:     global_buffer
      - .offset:         24
        .size:           4
        .value_kind:     by_value
      - .offset:         28
        .size:           4
        .value_kind:     by_value
      - .actual_access:  read_only
        .address_space:  global
        .offset:         32
        .size:           8
        .value_kind:     global_buffer
      - .actual_access:  read_only
        .address_space:  global
        .offset:         40
        .size:           8
        .value_kind:     global_buffer
      - .actual_access:  read_only
        .address_space:  global
        .offset:         48
        .size:           8
        .value_kind:     global_buffer
      - .offset:         56
        .size:           4
        .value_kind:     by_value
      - .actual_access:  read_only
        .address_space:  global
        .offset:         64
        .size:           8
        .value_kind:     global_buffer
      - .offset:         72
        .size:           4
        .value_kind:     by_value
      - .offset:         76
        .size:           4
        .value_kind:     by_value
      - .offset:         80
        .size:           4
        .value_kind:     by_value
      - .actual_access:  read_only
        .address_space:  global
        .offset:         88
        .size:           8
        .value_kind:     global_buffer
      - .actual_access:  read_only
        .address_space:  global
        .offset:         96
        .size:           8
        .value_kind:     global_buffer
      - .actual_access:  read_only
        .address_space:  global
        .offset:         104
        .size:           8
        .value_kind:     global_buffer
      - .actual_access:  read_only
        .address_space:  global
        .offset:         112
        .size:           8
        .value_kind:     global_buffer
      - .offset:         120
        .size:           4
        .value_kind:     by_value
      - .address_space:  global
        .offset:         128
        .size:           8
        .value_kind:     global_buffer
      - .address_space:  global
        .offset:         136
        .size:           8
        .value_kind:     global_buffer
      - .offset:         144
        .size:           4
        .value_kind:     hidden_block_count_x
      - .offset:         148
        .size:           4
        .value_kind:     hidden_block_count_y
      - .offset:         152
        .size:           4
        .value_kind:     hidden_block_count_z
      - .offset:         156
        .size:           2
        .value_kind:     hidden_group_size_x
      - .offset:         158
        .size:           2
        .value_kind:     hidden_group_size_y
      - .offset:         160
        .size:           2
        .value_kind:     hidden_group_size_z
      - .offset:         162
        .size:           2
        .value_kind:     hidden_remainder_x
      - .offset:         164
        .size:           2
        .value_kind:     hidden_remainder_y
      - .offset:         166
        .size:           2
        .value_kind:     hidden_remainder_z
      - .offset:         184
        .size:           8
        .value_kind:     hidden_global_offset_x
      - .offset:         192
        .size:           8
        .value_kind:     hidden_global_offset_y
      - .offset:         200
        .size:           8
        .value_kind:     hidden_global_offset_z
      - .offset:         208
        .size:           2
        .value_kind:     hidden_grid_dims
      - .offset:         224
        .size:           8
        .value_kind:     hidden_hostcall_buffer
    .group_segment_fixed_size: 0
    .kernarg_segment_align: 8
    .kernarg_segment_size: 400
    .language:       OpenCL C
    .language_version:
      - 2
      - 0
    .max_flat_workgroup_size: 256
    .name:           _Z39paged_attention_ll4mi_QKV_mfma16_kernelIDF16_hLN4vllm18Fp8KVCacheDataTypeE1EhLi16ELi64ELi256ELb0ELi7EEvPKT_PKT0_S7_ifPKiS9_S9_iPKfiiiPfSC_PS2_PT2_iSB_SB_
    .private_segment_fixed_size: 64
    .sgpr_count:     36
    .sgpr_spill_count: 0
    .symbol:         _Z39paged_attention_ll4mi_QKV_mfma16_kernelIDF16_hLN4vllm18Fp8KVCacheDataTypeE1EhLi16ELi64ELi256ELb0ELi7EEvPKT_PKT0_S7_ifPKiS9_S9_iPKfiiiPfSC_PS2_PT2_iSB_SB_.kd
    .uniform_work_group_size: 1
    .uses_dynamic_stack: false
    .vgpr_count:     51
    .vgpr_spill_count: 0
    .wavefront_size: 32
  - .args:
      - .actual_access:  read_only
        .address_space:  global
        .offset:         0
        .size:           8
        .value_kind:     global_buffer
      - .actual_access:  read_only
        .address_space:  global
        .offset:         8
        .size:           8
        .value_kind:     global_buffer
      - .actual_access:  read_only
        .address_space:  global
        .offset:         16
        .size:           8
        .value_kind:     global_buffer
      - .offset:         24
        .size:           4
        .value_kind:     by_value
      - .offset:         28
        .size:           4
        .value_kind:     by_value
      - .actual_access:  read_only
        .address_space:  global
        .offset:         32
        .size:           8
        .value_kind:     global_buffer
      - .actual_access:  read_only
        .address_space:  global
        .offset:         40
        .size:           8
        .value_kind:     global_buffer
      - .actual_access:  read_only
        .address_space:  global
        .offset:         48
        .size:           8
        .value_kind:     global_buffer
      - .offset:         56
        .size:           4
        .value_kind:     by_value
      - .actual_access:  read_only
        .address_space:  global
        .offset:         64
        .size:           8
        .value_kind:     global_buffer
      - .offset:         72
        .size:           4
        .value_kind:     by_value
      - .offset:         76
        .size:           4
        .value_kind:     by_value
      - .offset:         80
        .size:           4
        .value_kind:     by_value
      - .actual_access:  read_only
        .address_space:  global
        .offset:         88
        .size:           8
        .value_kind:     global_buffer
      - .actual_access:  read_only
        .address_space:  global
        .offset:         96
        .size:           8
        .value_kind:     global_buffer
      - .actual_access:  read_only
        .address_space:  global
        .offset:         104
        .size:           8
        .value_kind:     global_buffer
      - .actual_access:  read_only
        .address_space:  global
        .offset:         112
        .size:           8
        .value_kind:     global_buffer
      - .offset:         120
        .size:           4
        .value_kind:     by_value
      - .address_space:  global
        .offset:         128
        .size:           8
        .value_kind:     global_buffer
      - .address_space:  global
        .offset:         136
        .size:           8
        .value_kind:     global_buffer
      - .offset:         144
        .size:           4
        .value_kind:     hidden_block_count_x
      - .offset:         148
        .size:           4
        .value_kind:     hidden_block_count_y
      - .offset:         152
        .size:           4
        .value_kind:     hidden_block_count_z
      - .offset:         156
        .size:           2
        .value_kind:     hidden_group_size_x
      - .offset:         158
        .size:           2
        .value_kind:     hidden_group_size_y
      - .offset:         160
        .size:           2
        .value_kind:     hidden_group_size_z
      - .offset:         162
        .size:           2
        .value_kind:     hidden_remainder_x
      - .offset:         164
        .size:           2
        .value_kind:     hidden_remainder_y
      - .offset:         166
        .size:           2
        .value_kind:     hidden_remainder_z
      - .offset:         184
        .size:           8
        .value_kind:     hidden_global_offset_x
      - .offset:         192
        .size:           8
        .value_kind:     hidden_global_offset_y
      - .offset:         200
        .size:           8
        .value_kind:     hidden_global_offset_z
      - .offset:         208
        .size:           2
        .value_kind:     hidden_grid_dims
      - .offset:         224
        .size:           8
        .value_kind:     hidden_hostcall_buffer
    .group_segment_fixed_size: 0
    .kernarg_segment_align: 8
    .kernarg_segment_size: 400
    .language:       OpenCL C
    .language_version:
      - 2
      - 0
    .max_flat_workgroup_size: 256
    .name:           _Z39paged_attention_ll4mi_QKV_mfma16_kernelIDF16_hLN4vllm18Fp8KVCacheDataTypeE1EhLi16ELi64ELi256ELb0ELi8EEvPKT_PKT0_S7_ifPKiS9_S9_iPKfiiiPfSC_PS2_PT2_iSB_SB_
    .private_segment_fixed_size: 64
    .sgpr_count:     36
    .sgpr_spill_count: 0
    .symbol:         _Z39paged_attention_ll4mi_QKV_mfma16_kernelIDF16_hLN4vllm18Fp8KVCacheDataTypeE1EhLi16ELi64ELi256ELb0ELi8EEvPKT_PKT0_S7_ifPKiS9_S9_iPKfiiiPfSC_PS2_PT2_iSB_SB_.kd
    .uniform_work_group_size: 1
    .uses_dynamic_stack: false
    .vgpr_count:     51
    .vgpr_spill_count: 0
    .wavefront_size: 32
  - .args:
      - .actual_access:  read_only
        .address_space:  global
        .offset:         0
        .size:           8
        .value_kind:     global_buffer
      - .actual_access:  read_only
        .address_space:  global
        .offset:         8
        .size:           8
        .value_kind:     global_buffer
      - .actual_access:  read_only
        .address_space:  global
        .offset:         16
        .size:           8
        .value_kind:     global_buffer
      - .offset:         24
        .size:           4
        .value_kind:     by_value
      - .offset:         28
        .size:           4
        .value_kind:     by_value
      - .actual_access:  read_only
        .address_space:  global
        .offset:         32
        .size:           8
        .value_kind:     global_buffer
      - .actual_access:  read_only
        .address_space:  global
        .offset:         40
        .size:           8
        .value_kind:     global_buffer
      - .actual_access:  read_only
        .address_space:  global
        .offset:         48
        .size:           8
        .value_kind:     global_buffer
      - .offset:         56
        .size:           4
        .value_kind:     by_value
      - .actual_access:  read_only
        .address_space:  global
        .offset:         64
        .size:           8
        .value_kind:     global_buffer
      - .offset:         72
        .size:           4
        .value_kind:     by_value
      - .offset:         76
        .size:           4
        .value_kind:     by_value
      - .offset:         80
        .size:           4
        .value_kind:     by_value
      - .actual_access:  read_only
        .address_space:  global
        .offset:         88
        .size:           8
        .value_kind:     global_buffer
      - .actual_access:  read_only
        .address_space:  global
        .offset:         96
        .size:           8
        .value_kind:     global_buffer
      - .actual_access:  read_only
        .address_space:  global
        .offset:         104
        .size:           8
        .value_kind:     global_buffer
      - .actual_access:  read_only
        .address_space:  global
        .offset:         112
        .size:           8
        .value_kind:     global_buffer
      - .offset:         120
        .size:           4
        .value_kind:     by_value
      - .address_space:  global
        .offset:         128
        .size:           8
        .value_kind:     global_buffer
      - .address_space:  global
        .offset:         136
        .size:           8
        .value_kind:     global_buffer
      - .offset:         144
        .size:           4
        .value_kind:     hidden_block_count_x
      - .offset:         148
        .size:           4
        .value_kind:     hidden_block_count_y
      - .offset:         152
        .size:           4
        .value_kind:     hidden_block_count_z
      - .offset:         156
        .size:           2
        .value_kind:     hidden_group_size_x
      - .offset:         158
        .size:           2
        .value_kind:     hidden_group_size_y
      - .offset:         160
        .size:           2
        .value_kind:     hidden_group_size_z
      - .offset:         162
        .size:           2
        .value_kind:     hidden_remainder_x
      - .offset:         164
        .size:           2
        .value_kind:     hidden_remainder_y
      - .offset:         166
        .size:           2
        .value_kind:     hidden_remainder_z
      - .offset:         184
        .size:           8
        .value_kind:     hidden_global_offset_x
      - .offset:         192
        .size:           8
        .value_kind:     hidden_global_offset_y
      - .offset:         200
        .size:           8
        .value_kind:     hidden_global_offset_z
      - .offset:         208
        .size:           2
        .value_kind:     hidden_grid_dims
      - .offset:         224
        .size:           8
        .value_kind:     hidden_hostcall_buffer
    .group_segment_fixed_size: 0
    .kernarg_segment_align: 8
    .kernarg_segment_size: 400
    .language:       OpenCL C
    .language_version:
      - 2
      - 0
    .max_flat_workgroup_size: 256
    .name:           _Z39paged_attention_ll4mi_QKV_mfma16_kernelIDF16_hLN4vllm18Fp8KVCacheDataTypeE1EhLi16ELi64ELi256ELb0ELi9EEvPKT_PKT0_S7_ifPKiS9_S9_iPKfiiiPfSC_PS2_PT2_iSB_SB_
    .private_segment_fixed_size: 64
    .sgpr_count:     36
    .sgpr_spill_count: 0
    .symbol:         _Z39paged_attention_ll4mi_QKV_mfma16_kernelIDF16_hLN4vllm18Fp8KVCacheDataTypeE1EhLi16ELi64ELi256ELb0ELi9EEvPKT_PKT0_S7_ifPKiS9_S9_iPKfiiiPfSC_PS2_PT2_iSB_SB_.kd
    .uniform_work_group_size: 1
    .uses_dynamic_stack: false
    .vgpr_count:     51
    .vgpr_spill_count: 0
    .wavefront_size: 32
  - .args:
      - .actual_access:  read_only
        .address_space:  global
        .offset:         0
        .size:           8
        .value_kind:     global_buffer
      - .actual_access:  read_only
        .address_space:  global
        .offset:         8
        .size:           8
        .value_kind:     global_buffer
      - .actual_access:  read_only
        .address_space:  global
        .offset:         16
        .size:           8
        .value_kind:     global_buffer
      - .offset:         24
        .size:           4
        .value_kind:     by_value
      - .offset:         28
        .size:           4
        .value_kind:     by_value
      - .actual_access:  read_only
        .address_space:  global
        .offset:         32
        .size:           8
        .value_kind:     global_buffer
      - .actual_access:  read_only
        .address_space:  global
        .offset:         40
        .size:           8
        .value_kind:     global_buffer
      - .actual_access:  read_only
        .address_space:  global
        .offset:         48
        .size:           8
        .value_kind:     global_buffer
      - .offset:         56
        .size:           4
        .value_kind:     by_value
      - .actual_access:  read_only
        .address_space:  global
        .offset:         64
        .size:           8
        .value_kind:     global_buffer
      - .offset:         72
        .size:           4
        .value_kind:     by_value
      - .offset:         76
        .size:           4
        .value_kind:     by_value
      - .offset:         80
        .size:           4
        .value_kind:     by_value
      - .actual_access:  read_only
        .address_space:  global
        .offset:         88
        .size:           8
        .value_kind:     global_buffer
      - .actual_access:  read_only
        .address_space:  global
        .offset:         96
        .size:           8
        .value_kind:     global_buffer
      - .actual_access:  read_only
        .address_space:  global
        .offset:         104
        .size:           8
        .value_kind:     global_buffer
      - .actual_access:  read_only
        .address_space:  global
        .offset:         112
        .size:           8
        .value_kind:     global_buffer
      - .offset:         120
        .size:           4
        .value_kind:     by_value
      - .address_space:  global
        .offset:         128
        .size:           8
        .value_kind:     global_buffer
      - .address_space:  global
        .offset:         136
        .size:           8
        .value_kind:     global_buffer
      - .offset:         144
        .size:           4
        .value_kind:     hidden_block_count_x
      - .offset:         148
        .size:           4
        .value_kind:     hidden_block_count_y
      - .offset:         152
        .size:           4
        .value_kind:     hidden_block_count_z
      - .offset:         156
        .size:           2
        .value_kind:     hidden_group_size_x
      - .offset:         158
        .size:           2
        .value_kind:     hidden_group_size_y
      - .offset:         160
        .size:           2
        .value_kind:     hidden_group_size_z
      - .offset:         162
        .size:           2
        .value_kind:     hidden_remainder_x
      - .offset:         164
        .size:           2
        .value_kind:     hidden_remainder_y
      - .offset:         166
        .size:           2
        .value_kind:     hidden_remainder_z
      - .offset:         184
        .size:           8
        .value_kind:     hidden_global_offset_x
      - .offset:         192
        .size:           8
        .value_kind:     hidden_global_offset_y
      - .offset:         200
        .size:           8
        .value_kind:     hidden_global_offset_z
      - .offset:         208
        .size:           2
        .value_kind:     hidden_grid_dims
      - .offset:         224
        .size:           8
        .value_kind:     hidden_hostcall_buffer
    .group_segment_fixed_size: 0
    .kernarg_segment_align: 8
    .kernarg_segment_size: 400
    .language:       OpenCL C
    .language_version:
      - 2
      - 0
    .max_flat_workgroup_size: 256
    .name:           _Z39paged_attention_ll4mi_QKV_mfma16_kernelIDF16_hLN4vllm18Fp8KVCacheDataTypeE1EhLi16ELi64ELi256ELb0ELi10EEvPKT_PKT0_S7_ifPKiS9_S9_iPKfiiiPfSC_PS2_PT2_iSB_SB_
    .private_segment_fixed_size: 64
    .sgpr_count:     36
    .sgpr_spill_count: 0
    .symbol:         _Z39paged_attention_ll4mi_QKV_mfma16_kernelIDF16_hLN4vllm18Fp8KVCacheDataTypeE1EhLi16ELi64ELi256ELb0ELi10EEvPKT_PKT0_S7_ifPKiS9_S9_iPKfiiiPfSC_PS2_PT2_iSB_SB_.kd
    .uniform_work_group_size: 1
    .uses_dynamic_stack: false
    .vgpr_count:     51
    .vgpr_spill_count: 0
    .wavefront_size: 32
  - .args:
      - .actual_access:  read_only
        .address_space:  global
        .offset:         0
        .size:           8
        .value_kind:     global_buffer
      - .actual_access:  read_only
        .address_space:  global
        .offset:         8
        .size:           8
        .value_kind:     global_buffer
      - .actual_access:  read_only
        .address_space:  global
        .offset:         16
        .size:           8
        .value_kind:     global_buffer
      - .offset:         24
        .size:           4
        .value_kind:     by_value
      - .offset:         28
        .size:           4
        .value_kind:     by_value
      - .actual_access:  read_only
        .address_space:  global
        .offset:         32
        .size:           8
        .value_kind:     global_buffer
      - .actual_access:  read_only
        .address_space:  global
        .offset:         40
        .size:           8
        .value_kind:     global_buffer
      - .actual_access:  read_only
        .address_space:  global
        .offset:         48
        .size:           8
        .value_kind:     global_buffer
      - .offset:         56
        .size:           4
        .value_kind:     by_value
      - .actual_access:  read_only
        .address_space:  global
        .offset:         64
        .size:           8
        .value_kind:     global_buffer
      - .offset:         72
        .size:           4
        .value_kind:     by_value
      - .offset:         76
        .size:           4
        .value_kind:     by_value
      - .offset:         80
        .size:           4
        .value_kind:     by_value
      - .actual_access:  read_only
        .address_space:  global
        .offset:         88
        .size:           8
        .value_kind:     global_buffer
      - .actual_access:  read_only
        .address_space:  global
        .offset:         96
        .size:           8
        .value_kind:     global_buffer
      - .actual_access:  read_only
        .address_space:  global
        .offset:         104
        .size:           8
        .value_kind:     global_buffer
      - .actual_access:  read_only
        .address_space:  global
        .offset:         112
        .size:           8
        .value_kind:     global_buffer
      - .offset:         120
        .size:           4
        .value_kind:     by_value
      - .address_space:  global
        .offset:         128
        .size:           8
        .value_kind:     global_buffer
      - .address_space:  global
        .offset:         136
        .size:           8
        .value_kind:     global_buffer
      - .offset:         144
        .size:           4
        .value_kind:     hidden_block_count_x
      - .offset:         148
        .size:           4
        .value_kind:     hidden_block_count_y
      - .offset:         152
        .size:           4
        .value_kind:     hidden_block_count_z
      - .offset:         156
        .size:           2
        .value_kind:     hidden_group_size_x
      - .offset:         158
        .size:           2
        .value_kind:     hidden_group_size_y
      - .offset:         160
        .size:           2
        .value_kind:     hidden_group_size_z
      - .offset:         162
        .size:           2
        .value_kind:     hidden_remainder_x
      - .offset:         164
        .size:           2
        .value_kind:     hidden_remainder_y
      - .offset:         166
        .size:           2
        .value_kind:     hidden_remainder_z
      - .offset:         184
        .size:           8
        .value_kind:     hidden_global_offset_x
      - .offset:         192
        .size:           8
        .value_kind:     hidden_global_offset_y
      - .offset:         200
        .size:           8
        .value_kind:     hidden_global_offset_z
      - .offset:         208
        .size:           2
        .value_kind:     hidden_grid_dims
      - .offset:         224
        .size:           8
        .value_kind:     hidden_hostcall_buffer
    .group_segment_fixed_size: 0
    .kernarg_segment_align: 8
    .kernarg_segment_size: 400
    .language:       OpenCL C
    .language_version:
      - 2
      - 0
    .max_flat_workgroup_size: 256
    .name:           _Z39paged_attention_ll4mi_QKV_mfma16_kernelIDF16_hLN4vllm18Fp8KVCacheDataTypeE1EhLi16ELi64ELi256ELb0ELi11EEvPKT_PKT0_S7_ifPKiS9_S9_iPKfiiiPfSC_PS2_PT2_iSB_SB_
    .private_segment_fixed_size: 64
    .sgpr_count:     36
    .sgpr_spill_count: 0
    .symbol:         _Z39paged_attention_ll4mi_QKV_mfma16_kernelIDF16_hLN4vllm18Fp8KVCacheDataTypeE1EhLi16ELi64ELi256ELb0ELi11EEvPKT_PKT0_S7_ifPKiS9_S9_iPKfiiiPfSC_PS2_PT2_iSB_SB_.kd
    .uniform_work_group_size: 1
    .uses_dynamic_stack: false
    .vgpr_count:     51
    .vgpr_spill_count: 0
    .wavefront_size: 32
  - .args:
      - .actual_access:  read_only
        .address_space:  global
        .offset:         0
        .size:           8
        .value_kind:     global_buffer
      - .actual_access:  read_only
        .address_space:  global
        .offset:         8
        .size:           8
        .value_kind:     global_buffer
      - .actual_access:  read_only
        .address_space:  global
        .offset:         16
        .size:           8
        .value_kind:     global_buffer
      - .offset:         24
        .size:           4
        .value_kind:     by_value
      - .offset:         28
        .size:           4
        .value_kind:     by_value
      - .actual_access:  read_only
        .address_space:  global
        .offset:         32
        .size:           8
        .value_kind:     global_buffer
      - .actual_access:  read_only
        .address_space:  global
        .offset:         40
        .size:           8
        .value_kind:     global_buffer
      - .actual_access:  read_only
        .address_space:  global
        .offset:         48
        .size:           8
        .value_kind:     global_buffer
      - .offset:         56
        .size:           4
        .value_kind:     by_value
      - .actual_access:  read_only
        .address_space:  global
        .offset:         64
        .size:           8
        .value_kind:     global_buffer
      - .offset:         72
        .size:           4
        .value_kind:     by_value
      - .offset:         76
        .size:           4
        .value_kind:     by_value
      - .offset:         80
        .size:           4
        .value_kind:     by_value
      - .actual_access:  read_only
        .address_space:  global
        .offset:         88
        .size:           8
        .value_kind:     global_buffer
      - .actual_access:  read_only
        .address_space:  global
        .offset:         96
        .size:           8
        .value_kind:     global_buffer
      - .actual_access:  read_only
        .address_space:  global
        .offset:         104
        .size:           8
        .value_kind:     global_buffer
      - .actual_access:  read_only
        .address_space:  global
        .offset:         112
        .size:           8
        .value_kind:     global_buffer
      - .offset:         120
        .size:           4
        .value_kind:     by_value
      - .address_space:  global
        .offset:         128
        .size:           8
        .value_kind:     global_buffer
      - .address_space:  global
        .offset:         136
        .size:           8
        .value_kind:     global_buffer
      - .offset:         144
        .size:           4
        .value_kind:     hidden_block_count_x
      - .offset:         148
        .size:           4
        .value_kind:     hidden_block_count_y
      - .offset:         152
        .size:           4
        .value_kind:     hidden_block_count_z
      - .offset:         156
        .size:           2
        .value_kind:     hidden_group_size_x
      - .offset:         158
        .size:           2
        .value_kind:     hidden_group_size_y
      - .offset:         160
        .size:           2
        .value_kind:     hidden_group_size_z
      - .offset:         162
        .size:           2
        .value_kind:     hidden_remainder_x
      - .offset:         164
        .size:           2
        .value_kind:     hidden_remainder_y
      - .offset:         166
        .size:           2
        .value_kind:     hidden_remainder_z
      - .offset:         184
        .size:           8
        .value_kind:     hidden_global_offset_x
      - .offset:         192
        .size:           8
        .value_kind:     hidden_global_offset_y
      - .offset:         200
        .size:           8
        .value_kind:     hidden_global_offset_z
      - .offset:         208
        .size:           2
        .value_kind:     hidden_grid_dims
      - .offset:         224
        .size:           8
        .value_kind:     hidden_hostcall_buffer
    .group_segment_fixed_size: 0
    .kernarg_segment_align: 8
    .kernarg_segment_size: 400
    .language:       OpenCL C
    .language_version:
      - 2
      - 0
    .max_flat_workgroup_size: 256
    .name:           _Z39paged_attention_ll4mi_QKV_mfma16_kernelIDF16_hLN4vllm18Fp8KVCacheDataTypeE1EhLi16ELi64ELi256ELb0ELi12EEvPKT_PKT0_S7_ifPKiS9_S9_iPKfiiiPfSC_PS2_PT2_iSB_SB_
    .private_segment_fixed_size: 64
    .sgpr_count:     36
    .sgpr_spill_count: 0
    .symbol:         _Z39paged_attention_ll4mi_QKV_mfma16_kernelIDF16_hLN4vllm18Fp8KVCacheDataTypeE1EhLi16ELi64ELi256ELb0ELi12EEvPKT_PKT0_S7_ifPKiS9_S9_iPKfiiiPfSC_PS2_PT2_iSB_SB_.kd
    .uniform_work_group_size: 1
    .uses_dynamic_stack: false
    .vgpr_count:     51
    .vgpr_spill_count: 0
    .wavefront_size: 32
  - .args:
      - .actual_access:  read_only
        .address_space:  global
        .offset:         0
        .size:           8
        .value_kind:     global_buffer
      - .actual_access:  read_only
        .address_space:  global
        .offset:         8
        .size:           8
        .value_kind:     global_buffer
      - .actual_access:  read_only
        .address_space:  global
        .offset:         16
        .size:           8
        .value_kind:     global_buffer
      - .offset:         24
        .size:           4
        .value_kind:     by_value
      - .offset:         28
        .size:           4
        .value_kind:     by_value
      - .actual_access:  read_only
        .address_space:  global
        .offset:         32
        .size:           8
        .value_kind:     global_buffer
      - .actual_access:  read_only
        .address_space:  global
        .offset:         40
        .size:           8
        .value_kind:     global_buffer
      - .actual_access:  read_only
        .address_space:  global
        .offset:         48
        .size:           8
        .value_kind:     global_buffer
      - .offset:         56
        .size:           4
        .value_kind:     by_value
      - .actual_access:  read_only
        .address_space:  global
        .offset:         64
        .size:           8
        .value_kind:     global_buffer
      - .offset:         72
        .size:           4
        .value_kind:     by_value
      - .offset:         76
        .size:           4
        .value_kind:     by_value
      - .offset:         80
        .size:           4
        .value_kind:     by_value
      - .actual_access:  read_only
        .address_space:  global
        .offset:         88
        .size:           8
        .value_kind:     global_buffer
      - .actual_access:  read_only
        .address_space:  global
        .offset:         96
        .size:           8
        .value_kind:     global_buffer
      - .actual_access:  read_only
        .address_space:  global
        .offset:         104
        .size:           8
        .value_kind:     global_buffer
      - .actual_access:  read_only
        .address_space:  global
        .offset:         112
        .size:           8
        .value_kind:     global_buffer
      - .offset:         120
        .size:           4
        .value_kind:     by_value
      - .address_space:  global
        .offset:         128
        .size:           8
        .value_kind:     global_buffer
      - .address_space:  global
        .offset:         136
        .size:           8
        .value_kind:     global_buffer
      - .offset:         144
        .size:           4
        .value_kind:     hidden_block_count_x
      - .offset:         148
        .size:           4
        .value_kind:     hidden_block_count_y
      - .offset:         152
        .size:           4
        .value_kind:     hidden_block_count_z
      - .offset:         156
        .size:           2
        .value_kind:     hidden_group_size_x
      - .offset:         158
        .size:           2
        .value_kind:     hidden_group_size_y
      - .offset:         160
        .size:           2
        .value_kind:     hidden_group_size_z
      - .offset:         162
        .size:           2
        .value_kind:     hidden_remainder_x
      - .offset:         164
        .size:           2
        .value_kind:     hidden_remainder_y
      - .offset:         166
        .size:           2
        .value_kind:     hidden_remainder_z
      - .offset:         184
        .size:           8
        .value_kind:     hidden_global_offset_x
      - .offset:         192
        .size:           8
        .value_kind:     hidden_global_offset_y
      - .offset:         200
        .size:           8
        .value_kind:     hidden_global_offset_z
      - .offset:         208
        .size:           2
        .value_kind:     hidden_grid_dims
      - .offset:         224
        .size:           8
        .value_kind:     hidden_hostcall_buffer
    .group_segment_fixed_size: 0
    .kernarg_segment_align: 8
    .kernarg_segment_size: 400
    .language:       OpenCL C
    .language_version:
      - 2
      - 0
    .max_flat_workgroup_size: 256
    .name:           _Z39paged_attention_ll4mi_QKV_mfma16_kernelIDF16_hLN4vllm18Fp8KVCacheDataTypeE1EhLi16ELi64ELi256ELb0ELi13EEvPKT_PKT0_S7_ifPKiS9_S9_iPKfiiiPfSC_PS2_PT2_iSB_SB_
    .private_segment_fixed_size: 64
    .sgpr_count:     36
    .sgpr_spill_count: 0
    .symbol:         _Z39paged_attention_ll4mi_QKV_mfma16_kernelIDF16_hLN4vllm18Fp8KVCacheDataTypeE1EhLi16ELi64ELi256ELb0ELi13EEvPKT_PKT0_S7_ifPKiS9_S9_iPKfiiiPfSC_PS2_PT2_iSB_SB_.kd
    .uniform_work_group_size: 1
    .uses_dynamic_stack: false
    .vgpr_count:     51
    .vgpr_spill_count: 0
    .wavefront_size: 32
  - .args:
      - .actual_access:  read_only
        .address_space:  global
        .offset:         0
        .size:           8
        .value_kind:     global_buffer
      - .actual_access:  read_only
        .address_space:  global
        .offset:         8
        .size:           8
        .value_kind:     global_buffer
      - .actual_access:  read_only
        .address_space:  global
        .offset:         16
        .size:           8
        .value_kind:     global_buffer
      - .offset:         24
        .size:           4
        .value_kind:     by_value
      - .offset:         28
        .size:           4
        .value_kind:     by_value
      - .actual_access:  read_only
        .address_space:  global
        .offset:         32
        .size:           8
        .value_kind:     global_buffer
      - .actual_access:  read_only
        .address_space:  global
        .offset:         40
        .size:           8
        .value_kind:     global_buffer
      - .actual_access:  read_only
        .address_space:  global
        .offset:         48
        .size:           8
        .value_kind:     global_buffer
      - .offset:         56
        .size:           4
        .value_kind:     by_value
      - .actual_access:  read_only
        .address_space:  global
        .offset:         64
        .size:           8
        .value_kind:     global_buffer
      - .offset:         72
        .size:           4
        .value_kind:     by_value
      - .offset:         76
        .size:           4
        .value_kind:     by_value
      - .offset:         80
        .size:           4
        .value_kind:     by_value
      - .actual_access:  read_only
        .address_space:  global
        .offset:         88
        .size:           8
        .value_kind:     global_buffer
      - .actual_access:  read_only
        .address_space:  global
        .offset:         96
        .size:           8
        .value_kind:     global_buffer
      - .actual_access:  read_only
        .address_space:  global
        .offset:         104
        .size:           8
        .value_kind:     global_buffer
      - .actual_access:  read_only
        .address_space:  global
        .offset:         112
        .size:           8
        .value_kind:     global_buffer
      - .offset:         120
        .size:           4
        .value_kind:     by_value
      - .address_space:  global
        .offset:         128
        .size:           8
        .value_kind:     global_buffer
      - .address_space:  global
        .offset:         136
        .size:           8
        .value_kind:     global_buffer
      - .offset:         144
        .size:           4
        .value_kind:     hidden_block_count_x
      - .offset:         148
        .size:           4
        .value_kind:     hidden_block_count_y
      - .offset:         152
        .size:           4
        .value_kind:     hidden_block_count_z
      - .offset:         156
        .size:           2
        .value_kind:     hidden_group_size_x
      - .offset:         158
        .size:           2
        .value_kind:     hidden_group_size_y
      - .offset:         160
        .size:           2
        .value_kind:     hidden_group_size_z
      - .offset:         162
        .size:           2
        .value_kind:     hidden_remainder_x
      - .offset:         164
        .size:           2
        .value_kind:     hidden_remainder_y
      - .offset:         166
        .size:           2
        .value_kind:     hidden_remainder_z
      - .offset:         184
        .size:           8
        .value_kind:     hidden_global_offset_x
      - .offset:         192
        .size:           8
        .value_kind:     hidden_global_offset_y
      - .offset:         200
        .size:           8
        .value_kind:     hidden_global_offset_z
      - .offset:         208
        .size:           2
        .value_kind:     hidden_grid_dims
      - .offset:         224
        .size:           8
        .value_kind:     hidden_hostcall_buffer
    .group_segment_fixed_size: 0
    .kernarg_segment_align: 8
    .kernarg_segment_size: 400
    .language:       OpenCL C
    .language_version:
      - 2
      - 0
    .max_flat_workgroup_size: 256
    .name:           _Z39paged_attention_ll4mi_QKV_mfma16_kernelIDF16_hLN4vllm18Fp8KVCacheDataTypeE1EhLi16ELi64ELi256ELb0ELi14EEvPKT_PKT0_S7_ifPKiS9_S9_iPKfiiiPfSC_PS2_PT2_iSB_SB_
    .private_segment_fixed_size: 64
    .sgpr_count:     36
    .sgpr_spill_count: 0
    .symbol:         _Z39paged_attention_ll4mi_QKV_mfma16_kernelIDF16_hLN4vllm18Fp8KVCacheDataTypeE1EhLi16ELi64ELi256ELb0ELi14EEvPKT_PKT0_S7_ifPKiS9_S9_iPKfiiiPfSC_PS2_PT2_iSB_SB_.kd
    .uniform_work_group_size: 1
    .uses_dynamic_stack: false
    .vgpr_count:     51
    .vgpr_spill_count: 0
    .wavefront_size: 32
  - .args:
      - .actual_access:  read_only
        .address_space:  global
        .offset:         0
        .size:           8
        .value_kind:     global_buffer
      - .actual_access:  read_only
        .address_space:  global
        .offset:         8
        .size:           8
        .value_kind:     global_buffer
      - .actual_access:  read_only
        .address_space:  global
        .offset:         16
        .size:           8
        .value_kind:     global_buffer
      - .offset:         24
        .size:           4
        .value_kind:     by_value
      - .offset:         28
        .size:           4
        .value_kind:     by_value
      - .actual_access:  read_only
        .address_space:  global
        .offset:         32
        .size:           8
        .value_kind:     global_buffer
      - .actual_access:  read_only
        .address_space:  global
        .offset:         40
        .size:           8
        .value_kind:     global_buffer
      - .actual_access:  read_only
        .address_space:  global
        .offset:         48
        .size:           8
        .value_kind:     global_buffer
      - .offset:         56
        .size:           4
        .value_kind:     by_value
      - .actual_access:  read_only
        .address_space:  global
        .offset:         64
        .size:           8
        .value_kind:     global_buffer
      - .offset:         72
        .size:           4
        .value_kind:     by_value
      - .offset:         76
        .size:           4
        .value_kind:     by_value
      - .offset:         80
        .size:           4
        .value_kind:     by_value
      - .actual_access:  read_only
        .address_space:  global
        .offset:         88
        .size:           8
        .value_kind:     global_buffer
      - .actual_access:  read_only
        .address_space:  global
        .offset:         96
        .size:           8
        .value_kind:     global_buffer
      - .actual_access:  read_only
        .address_space:  global
        .offset:         104
        .size:           8
        .value_kind:     global_buffer
      - .actual_access:  read_only
        .address_space:  global
        .offset:         112
        .size:           8
        .value_kind:     global_buffer
      - .offset:         120
        .size:           4
        .value_kind:     by_value
      - .address_space:  global
        .offset:         128
        .size:           8
        .value_kind:     global_buffer
      - .address_space:  global
        .offset:         136
        .size:           8
        .value_kind:     global_buffer
      - .offset:         144
        .size:           4
        .value_kind:     hidden_block_count_x
      - .offset:         148
        .size:           4
        .value_kind:     hidden_block_count_y
      - .offset:         152
        .size:           4
        .value_kind:     hidden_block_count_z
      - .offset:         156
        .size:           2
        .value_kind:     hidden_group_size_x
      - .offset:         158
        .size:           2
        .value_kind:     hidden_group_size_y
      - .offset:         160
        .size:           2
        .value_kind:     hidden_group_size_z
      - .offset:         162
        .size:           2
        .value_kind:     hidden_remainder_x
      - .offset:         164
        .size:           2
        .value_kind:     hidden_remainder_y
      - .offset:         166
        .size:           2
        .value_kind:     hidden_remainder_z
      - .offset:         184
        .size:           8
        .value_kind:     hidden_global_offset_x
      - .offset:         192
        .size:           8
        .value_kind:     hidden_global_offset_y
      - .offset:         200
        .size:           8
        .value_kind:     hidden_global_offset_z
      - .offset:         208
        .size:           2
        .value_kind:     hidden_grid_dims
      - .offset:         224
        .size:           8
        .value_kind:     hidden_hostcall_buffer
    .group_segment_fixed_size: 0
    .kernarg_segment_align: 8
    .kernarg_segment_size: 400
    .language:       OpenCL C
    .language_version:
      - 2
      - 0
    .max_flat_workgroup_size: 256
    .name:           _Z39paged_attention_ll4mi_QKV_mfma16_kernelIDF16_hLN4vllm18Fp8KVCacheDataTypeE1EhLi16ELi64ELi256ELb0ELi15EEvPKT_PKT0_S7_ifPKiS9_S9_iPKfiiiPfSC_PS2_PT2_iSB_SB_
    .private_segment_fixed_size: 64
    .sgpr_count:     36
    .sgpr_spill_count: 0
    .symbol:         _Z39paged_attention_ll4mi_QKV_mfma16_kernelIDF16_hLN4vllm18Fp8KVCacheDataTypeE1EhLi16ELi64ELi256ELb0ELi15EEvPKT_PKT0_S7_ifPKiS9_S9_iPKfiiiPfSC_PS2_PT2_iSB_SB_.kd
    .uniform_work_group_size: 1
    .uses_dynamic_stack: false
    .vgpr_count:     51
    .vgpr_spill_count: 0
    .wavefront_size: 32
  - .args:
      - .actual_access:  read_only
        .address_space:  global
        .offset:         0
        .size:           8
        .value_kind:     global_buffer
      - .actual_access:  read_only
        .address_space:  global
        .offset:         8
        .size:           8
        .value_kind:     global_buffer
      - .actual_access:  read_only
        .address_space:  global
        .offset:         16
        .size:           8
        .value_kind:     global_buffer
      - .offset:         24
        .size:           4
        .value_kind:     by_value
      - .offset:         28
        .size:           4
        .value_kind:     by_value
      - .actual_access:  read_only
        .address_space:  global
        .offset:         32
        .size:           8
        .value_kind:     global_buffer
      - .actual_access:  read_only
        .address_space:  global
        .offset:         40
        .size:           8
        .value_kind:     global_buffer
      - .actual_access:  read_only
        .address_space:  global
        .offset:         48
        .size:           8
        .value_kind:     global_buffer
      - .offset:         56
        .size:           4
        .value_kind:     by_value
      - .actual_access:  read_only
        .address_space:  global
        .offset:         64
        .size:           8
        .value_kind:     global_buffer
      - .offset:         72
        .size:           4
        .value_kind:     by_value
      - .offset:         76
        .size:           4
        .value_kind:     by_value
      - .offset:         80
        .size:           4
        .value_kind:     by_value
      - .actual_access:  read_only
        .address_space:  global
        .offset:         88
        .size:           8
        .value_kind:     global_buffer
      - .actual_access:  read_only
        .address_space:  global
        .offset:         96
        .size:           8
        .value_kind:     global_buffer
      - .actual_access:  read_only
        .address_space:  global
        .offset:         104
        .size:           8
        .value_kind:     global_buffer
      - .actual_access:  read_only
        .address_space:  global
        .offset:         112
        .size:           8
        .value_kind:     global_buffer
      - .offset:         120
        .size:           4
        .value_kind:     by_value
      - .address_space:  global
        .offset:         128
        .size:           8
        .value_kind:     global_buffer
      - .address_space:  global
        .offset:         136
        .size:           8
        .value_kind:     global_buffer
      - .offset:         144
        .size:           4
        .value_kind:     hidden_block_count_x
      - .offset:         148
        .size:           4
        .value_kind:     hidden_block_count_y
      - .offset:         152
        .size:           4
        .value_kind:     hidden_block_count_z
      - .offset:         156
        .size:           2
        .value_kind:     hidden_group_size_x
      - .offset:         158
        .size:           2
        .value_kind:     hidden_group_size_y
      - .offset:         160
        .size:           2
        .value_kind:     hidden_group_size_z
      - .offset:         162
        .size:           2
        .value_kind:     hidden_remainder_x
      - .offset:         164
        .size:           2
        .value_kind:     hidden_remainder_y
      - .offset:         166
        .size:           2
        .value_kind:     hidden_remainder_z
      - .offset:         184
        .size:           8
        .value_kind:     hidden_global_offset_x
      - .offset:         192
        .size:           8
        .value_kind:     hidden_global_offset_y
      - .offset:         200
        .size:           8
        .value_kind:     hidden_global_offset_z
      - .offset:         208
        .size:           2
        .value_kind:     hidden_grid_dims
      - .offset:         224
        .size:           8
        .value_kind:     hidden_hostcall_buffer
    .group_segment_fixed_size: 0
    .kernarg_segment_align: 8
    .kernarg_segment_size: 400
    .language:       OpenCL C
    .language_version:
      - 2
      - 0
    .max_flat_workgroup_size: 256
    .name:           _Z39paged_attention_ll4mi_QKV_mfma16_kernelIDF16_hLN4vllm18Fp8KVCacheDataTypeE1EhLi16ELi64ELi256ELb0ELi16EEvPKT_PKT0_S7_ifPKiS9_S9_iPKfiiiPfSC_PS2_PT2_iSB_SB_
    .private_segment_fixed_size: 64
    .sgpr_count:     36
    .sgpr_spill_count: 0
    .symbol:         _Z39paged_attention_ll4mi_QKV_mfma16_kernelIDF16_hLN4vllm18Fp8KVCacheDataTypeE1EhLi16ELi64ELi256ELb0ELi16EEvPKT_PKT0_S7_ifPKiS9_S9_iPKfiiiPfSC_PS2_PT2_iSB_SB_.kd
    .uniform_work_group_size: 1
    .uses_dynamic_stack: false
    .vgpr_count:     51
    .vgpr_spill_count: 0
    .wavefront_size: 32
  - .args:
      - .actual_access:  read_only
        .address_space:  global
        .offset:         0
        .size:           8
        .value_kind:     global_buffer
      - .actual_access:  read_only
        .address_space:  global
        .offset:         8
        .size:           8
        .value_kind:     global_buffer
      - .actual_access:  read_only
        .address_space:  global
        .offset:         16
        .size:           8
        .value_kind:     global_buffer
      - .offset:         24
        .size:           4
        .value_kind:     by_value
      - .offset:         28
        .size:           4
        .value_kind:     by_value
      - .actual_access:  read_only
        .address_space:  global
        .offset:         32
        .size:           8
        .value_kind:     global_buffer
      - .actual_access:  read_only
        .address_space:  global
        .offset:         40
        .size:           8
        .value_kind:     global_buffer
      - .actual_access:  read_only
        .address_space:  global
        .offset:         48
        .size:           8
        .value_kind:     global_buffer
      - .offset:         56
        .size:           4
        .value_kind:     by_value
      - .actual_access:  read_only
        .address_space:  global
        .offset:         64
        .size:           8
        .value_kind:     global_buffer
      - .offset:         72
        .size:           4
        .value_kind:     by_value
      - .offset:         76
        .size:           4
        .value_kind:     by_value
      - .offset:         80
        .size:           4
        .value_kind:     by_value
      - .actual_access:  read_only
        .address_space:  global
        .offset:         88
        .size:           8
        .value_kind:     global_buffer
      - .actual_access:  read_only
        .address_space:  global
        .offset:         96
        .size:           8
        .value_kind:     global_buffer
      - .actual_access:  read_only
        .address_space:  global
        .offset:         104
        .size:           8
        .value_kind:     global_buffer
      - .actual_access:  read_only
        .address_space:  global
        .offset:         112
        .size:           8
        .value_kind:     global_buffer
      - .offset:         120
        .size:           4
        .value_kind:     by_value
      - .address_space:  global
        .offset:         128
        .size:           8
        .value_kind:     global_buffer
      - .address_space:  global
        .offset:         136
        .size:           8
        .value_kind:     global_buffer
      - .offset:         144
        .size:           4
        .value_kind:     hidden_block_count_x
      - .offset:         148
        .size:           4
        .value_kind:     hidden_block_count_y
      - .offset:         152
        .size:           4
        .value_kind:     hidden_block_count_z
      - .offset:         156
        .size:           2
        .value_kind:     hidden_group_size_x
      - .offset:         158
        .size:           2
        .value_kind:     hidden_group_size_y
      - .offset:         160
        .size:           2
        .value_kind:     hidden_group_size_z
      - .offset:         162
        .size:           2
        .value_kind:     hidden_remainder_x
      - .offset:         164
        .size:           2
        .value_kind:     hidden_remainder_y
      - .offset:         166
        .size:           2
        .value_kind:     hidden_remainder_z
      - .offset:         184
        .size:           8
        .value_kind:     hidden_global_offset_x
      - .offset:         192
        .size:           8
        .value_kind:     hidden_global_offset_y
      - .offset:         200
        .size:           8
        .value_kind:     hidden_global_offset_z
      - .offset:         208
        .size:           2
        .value_kind:     hidden_grid_dims
      - .offset:         224
        .size:           8
        .value_kind:     hidden_hostcall_buffer
    .group_segment_fixed_size: 0
    .kernarg_segment_align: 8
    .kernarg_segment_size: 400
    .language:       OpenCL C
    .language_version:
      - 2
      - 0
    .max_flat_workgroup_size: 256
    .name:           _Z39paged_attention_ll4mi_QKV_mfma16_kernelIDF16_hLN4vllm18Fp8KVCacheDataTypeE1EhLi16ELi64ELi256ELb0ELi1EEvPKT_PKT0_S7_ifPKiS9_S9_iPKfiiiPfSC_PS2_PT2_iSB_SB_
    .private_segment_fixed_size: 64
    .sgpr_count:     36
    .sgpr_spill_count: 0
    .symbol:         _Z39paged_attention_ll4mi_QKV_mfma16_kernelIDF16_hLN4vllm18Fp8KVCacheDataTypeE1EhLi16ELi64ELi256ELb0ELi1EEvPKT_PKT0_S7_ifPKiS9_S9_iPKfiiiPfSC_PS2_PT2_iSB_SB_.kd
    .uniform_work_group_size: 1
    .uses_dynamic_stack: false
    .vgpr_count:     51
    .vgpr_spill_count: 0
    .wavefront_size: 32
  - .args:
      - .actual_access:  read_only
        .address_space:  global
        .offset:         0
        .size:           8
        .value_kind:     global_buffer
      - .actual_access:  read_only
        .address_space:  global
        .offset:         8
        .size:           8
        .value_kind:     global_buffer
      - .actual_access:  read_only
        .address_space:  global
        .offset:         16
        .size:           8
        .value_kind:     global_buffer
      - .offset:         24
        .size:           4
        .value_kind:     by_value
      - .offset:         28
        .size:           4
        .value_kind:     by_value
      - .actual_access:  read_only
        .address_space:  global
        .offset:         32
        .size:           8
        .value_kind:     global_buffer
      - .actual_access:  read_only
        .address_space:  global
        .offset:         40
        .size:           8
        .value_kind:     global_buffer
      - .actual_access:  read_only
        .address_space:  global
        .offset:         48
        .size:           8
        .value_kind:     global_buffer
      - .offset:         56
        .size:           4
        .value_kind:     by_value
      - .actual_access:  read_only
        .address_space:  global
        .offset:         64
        .size:           8
        .value_kind:     global_buffer
      - .offset:         72
        .size:           4
        .value_kind:     by_value
      - .offset:         76
        .size:           4
        .value_kind:     by_value
      - .offset:         80
        .size:           4
        .value_kind:     by_value
      - .actual_access:  read_only
        .address_space:  global
        .offset:         88
        .size:           8
        .value_kind:     global_buffer
      - .actual_access:  read_only
        .address_space:  global
        .offset:         96
        .size:           8
        .value_kind:     global_buffer
      - .actual_access:  read_only
        .address_space:  global
        .offset:         104
        .size:           8
        .value_kind:     global_buffer
      - .actual_access:  read_only
        .address_space:  global
        .offset:         112
        .size:           8
        .value_kind:     global_buffer
      - .offset:         120
        .size:           4
        .value_kind:     by_value
      - .address_space:  global
        .offset:         128
        .size:           8
        .value_kind:     global_buffer
      - .address_space:  global
        .offset:         136
        .size:           8
        .value_kind:     global_buffer
      - .offset:         144
        .size:           4
        .value_kind:     hidden_block_count_x
      - .offset:         148
        .size:           4
        .value_kind:     hidden_block_count_y
      - .offset:         152
        .size:           4
        .value_kind:     hidden_block_count_z
      - .offset:         156
        .size:           2
        .value_kind:     hidden_group_size_x
      - .offset:         158
        .size:           2
        .value_kind:     hidden_group_size_y
      - .offset:         160
        .size:           2
        .value_kind:     hidden_group_size_z
      - .offset:         162
        .size:           2
        .value_kind:     hidden_remainder_x
      - .offset:         164
        .size:           2
        .value_kind:     hidden_remainder_y
      - .offset:         166
        .size:           2
        .value_kind:     hidden_remainder_z
      - .offset:         184
        .size:           8
        .value_kind:     hidden_global_offset_x
      - .offset:         192
        .size:           8
        .value_kind:     hidden_global_offset_y
      - .offset:         200
        .size:           8
        .value_kind:     hidden_global_offset_z
      - .offset:         208
        .size:           2
        .value_kind:     hidden_grid_dims
      - .offset:         224
        .size:           8
        .value_kind:     hidden_hostcall_buffer
    .group_segment_fixed_size: 0
    .kernarg_segment_align: 8
    .kernarg_segment_size: 400
    .language:       OpenCL C
    .language_version:
      - 2
      - 0
    .max_flat_workgroup_size: 256
    .name:           _Z39paged_attention_ll4mi_QKV_mfma16_kernelIDF16_hLN4vllm18Fp8KVCacheDataTypeE1EhLi16ELi64ELi256ELb0ELi2EEvPKT_PKT0_S7_ifPKiS9_S9_iPKfiiiPfSC_PS2_PT2_iSB_SB_
    .private_segment_fixed_size: 64
    .sgpr_count:     36
    .sgpr_spill_count: 0
    .symbol:         _Z39paged_attention_ll4mi_QKV_mfma16_kernelIDF16_hLN4vllm18Fp8KVCacheDataTypeE1EhLi16ELi64ELi256ELb0ELi2EEvPKT_PKT0_S7_ifPKiS9_S9_iPKfiiiPfSC_PS2_PT2_iSB_SB_.kd
    .uniform_work_group_size: 1
    .uses_dynamic_stack: false
    .vgpr_count:     51
    .vgpr_spill_count: 0
    .wavefront_size: 32
  - .args:
      - .actual_access:  read_only
        .address_space:  global
        .offset:         0
        .size:           8
        .value_kind:     global_buffer
      - .actual_access:  read_only
        .address_space:  global
        .offset:         8
        .size:           8
        .value_kind:     global_buffer
      - .actual_access:  read_only
        .address_space:  global
        .offset:         16
        .size:           8
        .value_kind:     global_buffer
      - .offset:         24
        .size:           4
        .value_kind:     by_value
      - .offset:         28
        .size:           4
        .value_kind:     by_value
      - .actual_access:  read_only
        .address_space:  global
        .offset:         32
        .size:           8
        .value_kind:     global_buffer
      - .actual_access:  read_only
        .address_space:  global
        .offset:         40
        .size:           8
        .value_kind:     global_buffer
      - .actual_access:  read_only
        .address_space:  global
        .offset:         48
        .size:           8
        .value_kind:     global_buffer
      - .offset:         56
        .size:           4
        .value_kind:     by_value
      - .actual_access:  read_only
        .address_space:  global
        .offset:         64
        .size:           8
        .value_kind:     global_buffer
      - .offset:         72
        .size:           4
        .value_kind:     by_value
      - .offset:         76
        .size:           4
        .value_kind:     by_value
      - .offset:         80
        .size:           4
        .value_kind:     by_value
      - .actual_access:  read_only
        .address_space:  global
        .offset:         88
        .size:           8
        .value_kind:     global_buffer
      - .actual_access:  read_only
        .address_space:  global
        .offset:         96
        .size:           8
        .value_kind:     global_buffer
      - .actual_access:  read_only
        .address_space:  global
        .offset:         104
        .size:           8
        .value_kind:     global_buffer
      - .actual_access:  read_only
        .address_space:  global
        .offset:         112
        .size:           8
        .value_kind:     global_buffer
      - .offset:         120
        .size:           4
        .value_kind:     by_value
      - .address_space:  global
        .offset:         128
        .size:           8
        .value_kind:     global_buffer
      - .address_space:  global
        .offset:         136
        .size:           8
        .value_kind:     global_buffer
      - .offset:         144
        .size:           4
        .value_kind:     hidden_block_count_x
      - .offset:         148
        .size:           4
        .value_kind:     hidden_block_count_y
      - .offset:         152
        .size:           4
        .value_kind:     hidden_block_count_z
      - .offset:         156
        .size:           2
        .value_kind:     hidden_group_size_x
      - .offset:         158
        .size:           2
        .value_kind:     hidden_group_size_y
      - .offset:         160
        .size:           2
        .value_kind:     hidden_group_size_z
      - .offset:         162
        .size:           2
        .value_kind:     hidden_remainder_x
      - .offset:         164
        .size:           2
        .value_kind:     hidden_remainder_y
      - .offset:         166
        .size:           2
        .value_kind:     hidden_remainder_z
      - .offset:         184
        .size:           8
        .value_kind:     hidden_global_offset_x
      - .offset:         192
        .size:           8
        .value_kind:     hidden_global_offset_y
      - .offset:         200
        .size:           8
        .value_kind:     hidden_global_offset_z
      - .offset:         208
        .size:           2
        .value_kind:     hidden_grid_dims
      - .offset:         224
        .size:           8
        .value_kind:     hidden_hostcall_buffer
    .group_segment_fixed_size: 0
    .kernarg_segment_align: 8
    .kernarg_segment_size: 400
    .language:       OpenCL C
    .language_version:
      - 2
      - 0
    .max_flat_workgroup_size: 256
    .name:           _Z39paged_attention_ll4mi_QKV_mfma16_kernelIDF16_hLN4vllm18Fp8KVCacheDataTypeE1EhLi16ELi64ELi256ELb0ELi3EEvPKT_PKT0_S7_ifPKiS9_S9_iPKfiiiPfSC_PS2_PT2_iSB_SB_
    .private_segment_fixed_size: 64
    .sgpr_count:     36
    .sgpr_spill_count: 0
    .symbol:         _Z39paged_attention_ll4mi_QKV_mfma16_kernelIDF16_hLN4vllm18Fp8KVCacheDataTypeE1EhLi16ELi64ELi256ELb0ELi3EEvPKT_PKT0_S7_ifPKiS9_S9_iPKfiiiPfSC_PS2_PT2_iSB_SB_.kd
    .uniform_work_group_size: 1
    .uses_dynamic_stack: false
    .vgpr_count:     51
    .vgpr_spill_count: 0
    .wavefront_size: 32
  - .args:
      - .actual_access:  read_only
        .address_space:  global
        .offset:         0
        .size:           8
        .value_kind:     global_buffer
      - .actual_access:  read_only
        .address_space:  global
        .offset:         8
        .size:           8
        .value_kind:     global_buffer
      - .actual_access:  read_only
        .address_space:  global
        .offset:         16
        .size:           8
        .value_kind:     global_buffer
      - .offset:         24
        .size:           4
        .value_kind:     by_value
      - .offset:         28
        .size:           4
        .value_kind:     by_value
      - .actual_access:  read_only
        .address_space:  global
        .offset:         32
        .size:           8
        .value_kind:     global_buffer
      - .actual_access:  read_only
        .address_space:  global
        .offset:         40
        .size:           8
        .value_kind:     global_buffer
      - .actual_access:  read_only
        .address_space:  global
        .offset:         48
        .size:           8
        .value_kind:     global_buffer
      - .offset:         56
        .size:           4
        .value_kind:     by_value
      - .actual_access:  read_only
        .address_space:  global
        .offset:         64
        .size:           8
        .value_kind:     global_buffer
      - .offset:         72
        .size:           4
        .value_kind:     by_value
      - .offset:         76
        .size:           4
        .value_kind:     by_value
      - .offset:         80
        .size:           4
        .value_kind:     by_value
      - .actual_access:  read_only
        .address_space:  global
        .offset:         88
        .size:           8
        .value_kind:     global_buffer
      - .actual_access:  read_only
        .address_space:  global
        .offset:         96
        .size:           8
        .value_kind:     global_buffer
      - .actual_access:  read_only
        .address_space:  global
        .offset:         104
        .size:           8
        .value_kind:     global_buffer
      - .actual_access:  read_only
        .address_space:  global
        .offset:         112
        .size:           8
        .value_kind:     global_buffer
      - .offset:         120
        .size:           4
        .value_kind:     by_value
      - .address_space:  global
        .offset:         128
        .size:           8
        .value_kind:     global_buffer
      - .address_space:  global
        .offset:         136
        .size:           8
        .value_kind:     global_buffer
      - .offset:         144
        .size:           4
        .value_kind:     hidden_block_count_x
      - .offset:         148
        .size:           4
        .value_kind:     hidden_block_count_y
      - .offset:         152
        .size:           4
        .value_kind:     hidden_block_count_z
      - .offset:         156
        .size:           2
        .value_kind:     hidden_group_size_x
      - .offset:         158
        .size:           2
        .value_kind:     hidden_group_size_y
      - .offset:         160
        .size:           2
        .value_kind:     hidden_group_size_z
      - .offset:         162
        .size:           2
        .value_kind:     hidden_remainder_x
      - .offset:         164
        .size:           2
        .value_kind:     hidden_remainder_y
      - .offset:         166
        .size:           2
        .value_kind:     hidden_remainder_z
      - .offset:         184
        .size:           8
        .value_kind:     hidden_global_offset_x
      - .offset:         192
        .size:           8
        .value_kind:     hidden_global_offset_y
      - .offset:         200
        .size:           8
        .value_kind:     hidden_global_offset_z
      - .offset:         208
        .size:           2
        .value_kind:     hidden_grid_dims
      - .offset:         224
        .size:           8
        .value_kind:     hidden_hostcall_buffer
    .group_segment_fixed_size: 0
    .kernarg_segment_align: 8
    .kernarg_segment_size: 400
    .language:       OpenCL C
    .language_version:
      - 2
      - 0
    .max_flat_workgroup_size: 256
    .name:           _Z39paged_attention_ll4mi_QKV_mfma16_kernelIDF16_hLN4vllm18Fp8KVCacheDataTypeE1EhLi16ELi64ELi256ELb0ELi4EEvPKT_PKT0_S7_ifPKiS9_S9_iPKfiiiPfSC_PS2_PT2_iSB_SB_
    .private_segment_fixed_size: 64
    .sgpr_count:     36
    .sgpr_spill_count: 0
    .symbol:         _Z39paged_attention_ll4mi_QKV_mfma16_kernelIDF16_hLN4vllm18Fp8KVCacheDataTypeE1EhLi16ELi64ELi256ELb0ELi4EEvPKT_PKT0_S7_ifPKiS9_S9_iPKfiiiPfSC_PS2_PT2_iSB_SB_.kd
    .uniform_work_group_size: 1
    .uses_dynamic_stack: false
    .vgpr_count:     51
    .vgpr_spill_count: 0
    .wavefront_size: 32
  - .args:
      - .actual_access:  read_only
        .address_space:  global
        .offset:         0
        .size:           8
        .value_kind:     global_buffer
      - .actual_access:  read_only
        .address_space:  global
        .offset:         8
        .size:           8
        .value_kind:     global_buffer
      - .actual_access:  read_only
        .address_space:  global
        .offset:         16
        .size:           8
        .value_kind:     global_buffer
      - .offset:         24
        .size:           4
        .value_kind:     by_value
      - .offset:         28
        .size:           4
        .value_kind:     by_value
      - .actual_access:  read_only
        .address_space:  global
        .offset:         32
        .size:           8
        .value_kind:     global_buffer
      - .actual_access:  read_only
        .address_space:  global
        .offset:         40
        .size:           8
        .value_kind:     global_buffer
      - .actual_access:  read_only
        .address_space:  global
        .offset:         48
        .size:           8
        .value_kind:     global_buffer
      - .offset:         56
        .size:           4
        .value_kind:     by_value
      - .actual_access:  read_only
        .address_space:  global
        .offset:         64
        .size:           8
        .value_kind:     global_buffer
      - .offset:         72
        .size:           4
        .value_kind:     by_value
      - .offset:         76
        .size:           4
        .value_kind:     by_value
      - .offset:         80
        .size:           4
        .value_kind:     by_value
      - .actual_access:  read_only
        .address_space:  global
        .offset:         88
        .size:           8
        .value_kind:     global_buffer
      - .actual_access:  read_only
        .address_space:  global
        .offset:         96
        .size:           8
        .value_kind:     global_buffer
      - .actual_access:  read_only
        .address_space:  global
        .offset:         104
        .size:           8
        .value_kind:     global_buffer
      - .actual_access:  read_only
        .address_space:  global
        .offset:         112
        .size:           8
        .value_kind:     global_buffer
      - .offset:         120
        .size:           4
        .value_kind:     by_value
      - .address_space:  global
        .offset:         128
        .size:           8
        .value_kind:     global_buffer
      - .address_space:  global
        .offset:         136
        .size:           8
        .value_kind:     global_buffer
      - .offset:         144
        .size:           4
        .value_kind:     hidden_block_count_x
      - .offset:         148
        .size:           4
        .value_kind:     hidden_block_count_y
      - .offset:         152
        .size:           4
        .value_kind:     hidden_block_count_z
      - .offset:         156
        .size:           2
        .value_kind:     hidden_group_size_x
      - .offset:         158
        .size:           2
        .value_kind:     hidden_group_size_y
      - .offset:         160
        .size:           2
        .value_kind:     hidden_group_size_z
      - .offset:         162
        .size:           2
        .value_kind:     hidden_remainder_x
      - .offset:         164
        .size:           2
        .value_kind:     hidden_remainder_y
      - .offset:         166
        .size:           2
        .value_kind:     hidden_remainder_z
      - .offset:         184
        .size:           8
        .value_kind:     hidden_global_offset_x
      - .offset:         192
        .size:           8
        .value_kind:     hidden_global_offset_y
      - .offset:         200
        .size:           8
        .value_kind:     hidden_global_offset_z
      - .offset:         208
        .size:           2
        .value_kind:     hidden_grid_dims
      - .offset:         224
        .size:           8
        .value_kind:     hidden_hostcall_buffer
    .group_segment_fixed_size: 0
    .kernarg_segment_align: 8
    .kernarg_segment_size: 400
    .language:       OpenCL C
    .language_version:
      - 2
      - 0
    .max_flat_workgroup_size: 256
    .name:           _Z38paged_attention_ll4mi_QKV_mfma4_kernelIDF16_hLN4vllm18Fp8KVCacheDataTypeE1EDF16_Li16ELi64ELi256ELb1ELi1EEvPKT_PKT0_S7_ifPKiS9_S9_iPKfiiiPfSC_PS2_PT2_iSB_SB_
    .private_segment_fixed_size: 64
    .sgpr_count:     36
    .sgpr_spill_count: 0
    .symbol:         _Z38paged_attention_ll4mi_QKV_mfma4_kernelIDF16_hLN4vllm18Fp8KVCacheDataTypeE1EDF16_Li16ELi64ELi256ELb1ELi1EEvPKT_PKT0_S7_ifPKiS9_S9_iPKfiiiPfSC_PS2_PT2_iSB_SB_.kd
    .uniform_work_group_size: 1
    .uses_dynamic_stack: false
    .vgpr_count:     51
    .vgpr_spill_count: 0
    .wavefront_size: 32
  - .args:
      - .actual_access:  read_only
        .address_space:  global
        .offset:         0
        .size:           8
        .value_kind:     global_buffer
      - .actual_access:  read_only
        .address_space:  global
        .offset:         8
        .size:           8
        .value_kind:     global_buffer
      - .actual_access:  read_only
        .address_space:  global
        .offset:         16
        .size:           8
        .value_kind:     global_buffer
      - .offset:         24
        .size:           4
        .value_kind:     by_value
      - .offset:         28
        .size:           4
        .value_kind:     by_value
      - .actual_access:  read_only
        .address_space:  global
        .offset:         32
        .size:           8
        .value_kind:     global_buffer
      - .actual_access:  read_only
        .address_space:  global
        .offset:         40
        .size:           8
        .value_kind:     global_buffer
      - .actual_access:  read_only
        .address_space:  global
        .offset:         48
        .size:           8
        .value_kind:     global_buffer
      - .offset:         56
        .size:           4
        .value_kind:     by_value
      - .actual_access:  read_only
        .address_space:  global
        .offset:         64
        .size:           8
        .value_kind:     global_buffer
      - .offset:         72
        .size:           4
        .value_kind:     by_value
      - .offset:         76
        .size:           4
        .value_kind:     by_value
      - .offset:         80
        .size:           4
        .value_kind:     by_value
      - .actual_access:  read_only
        .address_space:  global
        .offset:         88
        .size:           8
        .value_kind:     global_buffer
      - .actual_access:  read_only
        .address_space:  global
        .offset:         96
        .size:           8
        .value_kind:     global_buffer
      - .actual_access:  read_only
        .address_space:  global
        .offset:         104
        .size:           8
        .value_kind:     global_buffer
      - .actual_access:  read_only
        .address_space:  global
        .offset:         112
        .size:           8
        .value_kind:     global_buffer
      - .offset:         120
        .size:           4
        .value_kind:     by_value
      - .address_space:  global
        .offset:         128
        .size:           8
        .value_kind:     global_buffer
      - .address_space:  global
        .offset:         136
        .size:           8
        .value_kind:     global_buffer
      - .offset:         144
        .size:           4
        .value_kind:     hidden_block_count_x
      - .offset:         148
        .size:           4
        .value_kind:     hidden_block_count_y
      - .offset:         152
        .size:           4
        .value_kind:     hidden_block_count_z
      - .offset:         156
        .size:           2
        .value_kind:     hidden_group_size_x
      - .offset:         158
        .size:           2
        .value_kind:     hidden_group_size_y
      - .offset:         160
        .size:           2
        .value_kind:     hidden_group_size_z
      - .offset:         162
        .size:           2
        .value_kind:     hidden_remainder_x
      - .offset:         164
        .size:           2
        .value_kind:     hidden_remainder_y
      - .offset:         166
        .size:           2
        .value_kind:     hidden_remainder_z
      - .offset:         184
        .size:           8
        .value_kind:     hidden_global_offset_x
      - .offset:         192
        .size:           8
        .value_kind:     hidden_global_offset_y
      - .offset:         200
        .size:           8
        .value_kind:     hidden_global_offset_z
      - .offset:         208
        .size:           2
        .value_kind:     hidden_grid_dims
      - .offset:         224
        .size:           8
        .value_kind:     hidden_hostcall_buffer
    .group_segment_fixed_size: 0
    .kernarg_segment_align: 8
    .kernarg_segment_size: 400
    .language:       OpenCL C
    .language_version:
      - 2
      - 0
    .max_flat_workgroup_size: 256
    .name:           _Z38paged_attention_ll4mi_QKV_mfma4_kernelIDF16_hLN4vllm18Fp8KVCacheDataTypeE1EDF16_Li16ELi64ELi256ELb1ELi2EEvPKT_PKT0_S7_ifPKiS9_S9_iPKfiiiPfSC_PS2_PT2_iSB_SB_
    .private_segment_fixed_size: 64
    .sgpr_count:     36
    .sgpr_spill_count: 0
    .symbol:         _Z38paged_attention_ll4mi_QKV_mfma4_kernelIDF16_hLN4vllm18Fp8KVCacheDataTypeE1EDF16_Li16ELi64ELi256ELb1ELi2EEvPKT_PKT0_S7_ifPKiS9_S9_iPKfiiiPfSC_PS2_PT2_iSB_SB_.kd
    .uniform_work_group_size: 1
    .uses_dynamic_stack: false
    .vgpr_count:     51
    .vgpr_spill_count: 0
    .wavefront_size: 32
  - .args:
      - .actual_access:  read_only
        .address_space:  global
        .offset:         0
        .size:           8
        .value_kind:     global_buffer
      - .actual_access:  read_only
        .address_space:  global
        .offset:         8
        .size:           8
        .value_kind:     global_buffer
      - .actual_access:  read_only
        .address_space:  global
        .offset:         16
        .size:           8
        .value_kind:     global_buffer
      - .offset:         24
        .size:           4
        .value_kind:     by_value
      - .offset:         28
        .size:           4
        .value_kind:     by_value
      - .actual_access:  read_only
        .address_space:  global
        .offset:         32
        .size:           8
        .value_kind:     global_buffer
      - .actual_access:  read_only
        .address_space:  global
        .offset:         40
        .size:           8
        .value_kind:     global_buffer
      - .actual_access:  read_only
        .address_space:  global
        .offset:         48
        .size:           8
        .value_kind:     global_buffer
      - .offset:         56
        .size:           4
        .value_kind:     by_value
      - .actual_access:  read_only
        .address_space:  global
        .offset:         64
        .size:           8
        .value_kind:     global_buffer
      - .offset:         72
        .size:           4
        .value_kind:     by_value
      - .offset:         76
        .size:           4
        .value_kind:     by_value
      - .offset:         80
        .size:           4
        .value_kind:     by_value
      - .actual_access:  read_only
        .address_space:  global
        .offset:         88
        .size:           8
        .value_kind:     global_buffer
      - .actual_access:  read_only
        .address_space:  global
        .offset:         96
        .size:           8
        .value_kind:     global_buffer
      - .actual_access:  read_only
        .address_space:  global
        .offset:         104
        .size:           8
        .value_kind:     global_buffer
      - .actual_access:  read_only
        .address_space:  global
        .offset:         112
        .size:           8
        .value_kind:     global_buffer
      - .offset:         120
        .size:           4
        .value_kind:     by_value
      - .address_space:  global
        .offset:         128
        .size:           8
        .value_kind:     global_buffer
      - .address_space:  global
        .offset:         136
        .size:           8
        .value_kind:     global_buffer
      - .offset:         144
        .size:           4
        .value_kind:     hidden_block_count_x
      - .offset:         148
        .size:           4
        .value_kind:     hidden_block_count_y
      - .offset:         152
        .size:           4
        .value_kind:     hidden_block_count_z
      - .offset:         156
        .size:           2
        .value_kind:     hidden_group_size_x
      - .offset:         158
        .size:           2
        .value_kind:     hidden_group_size_y
      - .offset:         160
        .size:           2
        .value_kind:     hidden_group_size_z
      - .offset:         162
        .size:           2
        .value_kind:     hidden_remainder_x
      - .offset:         164
        .size:           2
        .value_kind:     hidden_remainder_y
      - .offset:         166
        .size:           2
        .value_kind:     hidden_remainder_z
      - .offset:         184
        .size:           8
        .value_kind:     hidden_global_offset_x
      - .offset:         192
        .size:           8
        .value_kind:     hidden_global_offset_y
      - .offset:         200
        .size:           8
        .value_kind:     hidden_global_offset_z
      - .offset:         208
        .size:           2
        .value_kind:     hidden_grid_dims
      - .offset:         224
        .size:           8
        .value_kind:     hidden_hostcall_buffer
    .group_segment_fixed_size: 0
    .kernarg_segment_align: 8
    .kernarg_segment_size: 400
    .language:       OpenCL C
    .language_version:
      - 2
      - 0
    .max_flat_workgroup_size: 256
    .name:           _Z38paged_attention_ll4mi_QKV_mfma4_kernelIDF16_hLN4vllm18Fp8KVCacheDataTypeE1EDF16_Li16ELi64ELi256ELb1ELi3EEvPKT_PKT0_S7_ifPKiS9_S9_iPKfiiiPfSC_PS2_PT2_iSB_SB_
    .private_segment_fixed_size: 64
    .sgpr_count:     36
    .sgpr_spill_count: 0
    .symbol:         _Z38paged_attention_ll4mi_QKV_mfma4_kernelIDF16_hLN4vllm18Fp8KVCacheDataTypeE1EDF16_Li16ELi64ELi256ELb1ELi3EEvPKT_PKT0_S7_ifPKiS9_S9_iPKfiiiPfSC_PS2_PT2_iSB_SB_.kd
    .uniform_work_group_size: 1
    .uses_dynamic_stack: false
    .vgpr_count:     51
    .vgpr_spill_count: 0
    .wavefront_size: 32
  - .args:
      - .actual_access:  read_only
        .address_space:  global
        .offset:         0
        .size:           8
        .value_kind:     global_buffer
      - .actual_access:  read_only
        .address_space:  global
        .offset:         8
        .size:           8
        .value_kind:     global_buffer
      - .actual_access:  read_only
        .address_space:  global
        .offset:         16
        .size:           8
        .value_kind:     global_buffer
      - .offset:         24
        .size:           4
        .value_kind:     by_value
      - .offset:         28
        .size:           4
        .value_kind:     by_value
      - .actual_access:  read_only
        .address_space:  global
        .offset:         32
        .size:           8
        .value_kind:     global_buffer
      - .actual_access:  read_only
        .address_space:  global
        .offset:         40
        .size:           8
        .value_kind:     global_buffer
      - .actual_access:  read_only
        .address_space:  global
        .offset:         48
        .size:           8
        .value_kind:     global_buffer
      - .offset:         56
        .size:           4
        .value_kind:     by_value
      - .actual_access:  read_only
        .address_space:  global
        .offset:         64
        .size:           8
        .value_kind:     global_buffer
      - .offset:         72
        .size:           4
        .value_kind:     by_value
      - .offset:         76
        .size:           4
        .value_kind:     by_value
      - .offset:         80
        .size:           4
        .value_kind:     by_value
      - .actual_access:  read_only
        .address_space:  global
        .offset:         88
        .size:           8
        .value_kind:     global_buffer
      - .actual_access:  read_only
        .address_space:  global
        .offset:         96
        .size:           8
        .value_kind:     global_buffer
      - .actual_access:  read_only
        .address_space:  global
        .offset:         104
        .size:           8
        .value_kind:     global_buffer
      - .actual_access:  read_only
        .address_space:  global
        .offset:         112
        .size:           8
        .value_kind:     global_buffer
      - .offset:         120
        .size:           4
        .value_kind:     by_value
      - .address_space:  global
        .offset:         128
        .size:           8
        .value_kind:     global_buffer
      - .address_space:  global
        .offset:         136
        .size:           8
        .value_kind:     global_buffer
      - .offset:         144
        .size:           4
        .value_kind:     hidden_block_count_x
      - .offset:         148
        .size:           4
        .value_kind:     hidden_block_count_y
      - .offset:         152
        .size:           4
        .value_kind:     hidden_block_count_z
      - .offset:         156
        .size:           2
        .value_kind:     hidden_group_size_x
      - .offset:         158
        .size:           2
        .value_kind:     hidden_group_size_y
      - .offset:         160
        .size:           2
        .value_kind:     hidden_group_size_z
      - .offset:         162
        .size:           2
        .value_kind:     hidden_remainder_x
      - .offset:         164
        .size:           2
        .value_kind:     hidden_remainder_y
      - .offset:         166
        .size:           2
        .value_kind:     hidden_remainder_z
      - .offset:         184
        .size:           8
        .value_kind:     hidden_global_offset_x
      - .offset:         192
        .size:           8
        .value_kind:     hidden_global_offset_y
      - .offset:         200
        .size:           8
        .value_kind:     hidden_global_offset_z
      - .offset:         208
        .size:           2
        .value_kind:     hidden_grid_dims
      - .offset:         224
        .size:           8
        .value_kind:     hidden_hostcall_buffer
    .group_segment_fixed_size: 0
    .kernarg_segment_align: 8
    .kernarg_segment_size: 400
    .language:       OpenCL C
    .language_version:
      - 2
      - 0
    .max_flat_workgroup_size: 256
    .name:           _Z38paged_attention_ll4mi_QKV_mfma4_kernelIDF16_hLN4vllm18Fp8KVCacheDataTypeE1EDF16_Li16ELi64ELi256ELb1ELi4EEvPKT_PKT0_S7_ifPKiS9_S9_iPKfiiiPfSC_PS2_PT2_iSB_SB_
    .private_segment_fixed_size: 64
    .sgpr_count:     36
    .sgpr_spill_count: 0
    .symbol:         _Z38paged_attention_ll4mi_QKV_mfma4_kernelIDF16_hLN4vllm18Fp8KVCacheDataTypeE1EDF16_Li16ELi64ELi256ELb1ELi4EEvPKT_PKT0_S7_ifPKiS9_S9_iPKfiiiPfSC_PS2_PT2_iSB_SB_.kd
    .uniform_work_group_size: 1
    .uses_dynamic_stack: false
    .vgpr_count:     51
    .vgpr_spill_count: 0
    .wavefront_size: 32
  - .args:
      - .actual_access:  read_only
        .address_space:  global
        .offset:         0
        .size:           8
        .value_kind:     global_buffer
      - .actual_access:  read_only
        .address_space:  global
        .offset:         8
        .size:           8
        .value_kind:     global_buffer
      - .actual_access:  read_only
        .address_space:  global
        .offset:         16
        .size:           8
        .value_kind:     global_buffer
      - .offset:         24
        .size:           4
        .value_kind:     by_value
      - .offset:         28
        .size:           4
        .value_kind:     by_value
      - .actual_access:  read_only
        .address_space:  global
        .offset:         32
        .size:           8
        .value_kind:     global_buffer
      - .actual_access:  read_only
        .address_space:  global
        .offset:         40
        .size:           8
        .value_kind:     global_buffer
      - .actual_access:  read_only
        .address_space:  global
        .offset:         48
        .size:           8
        .value_kind:     global_buffer
      - .offset:         56
        .size:           4
        .value_kind:     by_value
      - .actual_access:  read_only
        .address_space:  global
        .offset:         64
        .size:           8
        .value_kind:     global_buffer
      - .offset:         72
        .size:           4
        .value_kind:     by_value
      - .offset:         76
        .size:           4
        .value_kind:     by_value
      - .offset:         80
        .size:           4
        .value_kind:     by_value
      - .actual_access:  read_only
        .address_space:  global
        .offset:         88
        .size:           8
        .value_kind:     global_buffer
      - .actual_access:  read_only
        .address_space:  global
        .offset:         96
        .size:           8
        .value_kind:     global_buffer
      - .actual_access:  read_only
        .address_space:  global
        .offset:         104
        .size:           8
        .value_kind:     global_buffer
      - .actual_access:  read_only
        .address_space:  global
        .offset:         112
        .size:           8
        .value_kind:     global_buffer
      - .offset:         120
        .size:           4
        .value_kind:     by_value
      - .address_space:  global
        .offset:         128
        .size:           8
        .value_kind:     global_buffer
      - .address_space:  global
        .offset:         136
        .size:           8
        .value_kind:     global_buffer
      - .offset:         144
        .size:           4
        .value_kind:     hidden_block_count_x
      - .offset:         148
        .size:           4
        .value_kind:     hidden_block_count_y
      - .offset:         152
        .size:           4
        .value_kind:     hidden_block_count_z
      - .offset:         156
        .size:           2
        .value_kind:     hidden_group_size_x
      - .offset:         158
        .size:           2
        .value_kind:     hidden_group_size_y
      - .offset:         160
        .size:           2
        .value_kind:     hidden_group_size_z
      - .offset:         162
        .size:           2
        .value_kind:     hidden_remainder_x
      - .offset:         164
        .size:           2
        .value_kind:     hidden_remainder_y
      - .offset:         166
        .size:           2
        .value_kind:     hidden_remainder_z
      - .offset:         184
        .size:           8
        .value_kind:     hidden_global_offset_x
      - .offset:         192
        .size:           8
        .value_kind:     hidden_global_offset_y
      - .offset:         200
        .size:           8
        .value_kind:     hidden_global_offset_z
      - .offset:         208
        .size:           2
        .value_kind:     hidden_grid_dims
      - .offset:         224
        .size:           8
        .value_kind:     hidden_hostcall_buffer
    .group_segment_fixed_size: 0
    .kernarg_segment_align: 8
    .kernarg_segment_size: 400
    .language:       OpenCL C
    .language_version:
      - 2
      - 0
    .max_flat_workgroup_size: 256
    .name:           _Z39paged_attention_ll4mi_QKV_mfma16_kernelIDF16_hLN4vllm18Fp8KVCacheDataTypeE1EDF16_Li16ELi64ELi256ELb1ELi5EEvPKT_PKT0_S7_ifPKiS9_S9_iPKfiiiPfSC_PS2_PT2_iSB_SB_
    .private_segment_fixed_size: 64
    .sgpr_count:     36
    .sgpr_spill_count: 0
    .symbol:         _Z39paged_attention_ll4mi_QKV_mfma16_kernelIDF16_hLN4vllm18Fp8KVCacheDataTypeE1EDF16_Li16ELi64ELi256ELb1ELi5EEvPKT_PKT0_S7_ifPKiS9_S9_iPKfiiiPfSC_PS2_PT2_iSB_SB_.kd
    .uniform_work_group_size: 1
    .uses_dynamic_stack: false
    .vgpr_count:     51
    .vgpr_spill_count: 0
    .wavefront_size: 32
  - .args:
      - .actual_access:  read_only
        .address_space:  global
        .offset:         0
        .size:           8
        .value_kind:     global_buffer
      - .actual_access:  read_only
        .address_space:  global
        .offset:         8
        .size:           8
        .value_kind:     global_buffer
      - .actual_access:  read_only
        .address_space:  global
        .offset:         16
        .size:           8
        .value_kind:     global_buffer
      - .offset:         24
        .size:           4
        .value_kind:     by_value
      - .offset:         28
        .size:           4
        .value_kind:     by_value
      - .actual_access:  read_only
        .address_space:  global
        .offset:         32
        .size:           8
        .value_kind:     global_buffer
      - .actual_access:  read_only
        .address_space:  global
        .offset:         40
        .size:           8
        .value_kind:     global_buffer
      - .actual_access:  read_only
        .address_space:  global
        .offset:         48
        .size:           8
        .value_kind:     global_buffer
      - .offset:         56
        .size:           4
        .value_kind:     by_value
      - .actual_access:  read_only
        .address_space:  global
        .offset:         64
        .size:           8
        .value_kind:     global_buffer
      - .offset:         72
        .size:           4
        .value_kind:     by_value
      - .offset:         76
        .size:           4
        .value_kind:     by_value
      - .offset:         80
        .size:           4
        .value_kind:     by_value
      - .actual_access:  read_only
        .address_space:  global
        .offset:         88
        .size:           8
        .value_kind:     global_buffer
      - .actual_access:  read_only
        .address_space:  global
        .offset:         96
        .size:           8
        .value_kind:     global_buffer
      - .actual_access:  read_only
        .address_space:  global
        .offset:         104
        .size:           8
        .value_kind:     global_buffer
      - .actual_access:  read_only
        .address_space:  global
        .offset:         112
        .size:           8
        .value_kind:     global_buffer
      - .offset:         120
        .size:           4
        .value_kind:     by_value
      - .address_space:  global
        .offset:         128
        .size:           8
        .value_kind:     global_buffer
      - .address_space:  global
        .offset:         136
        .size:           8
        .value_kind:     global_buffer
      - .offset:         144
        .size:           4
        .value_kind:     hidden_block_count_x
      - .offset:         148
        .size:           4
        .value_kind:     hidden_block_count_y
      - .offset:         152
        .size:           4
        .value_kind:     hidden_block_count_z
      - .offset:         156
        .size:           2
        .value_kind:     hidden_group_size_x
      - .offset:         158
        .size:           2
        .value_kind:     hidden_group_size_y
      - .offset:         160
        .size:           2
        .value_kind:     hidden_group_size_z
      - .offset:         162
        .size:           2
        .value_kind:     hidden_remainder_x
      - .offset:         164
        .size:           2
        .value_kind:     hidden_remainder_y
      - .offset:         166
        .size:           2
        .value_kind:     hidden_remainder_z
      - .offset:         184
        .size:           8
        .value_kind:     hidden_global_offset_x
      - .offset:         192
        .size:           8
        .value_kind:     hidden_global_offset_y
      - .offset:         200
        .size:           8
        .value_kind:     hidden_global_offset_z
      - .offset:         208
        .size:           2
        .value_kind:     hidden_grid_dims
      - .offset:         224
        .size:           8
        .value_kind:     hidden_hostcall_buffer
    .group_segment_fixed_size: 0
    .kernarg_segment_align: 8
    .kernarg_segment_size: 400
    .language:       OpenCL C
    .language_version:
      - 2
      - 0
    .max_flat_workgroup_size: 256
    .name:           _Z39paged_attention_ll4mi_QKV_mfma16_kernelIDF16_hLN4vllm18Fp8KVCacheDataTypeE1EDF16_Li16ELi64ELi256ELb1ELi6EEvPKT_PKT0_S7_ifPKiS9_S9_iPKfiiiPfSC_PS2_PT2_iSB_SB_
    .private_segment_fixed_size: 64
    .sgpr_count:     36
    .sgpr_spill_count: 0
    .symbol:         _Z39paged_attention_ll4mi_QKV_mfma16_kernelIDF16_hLN4vllm18Fp8KVCacheDataTypeE1EDF16_Li16ELi64ELi256ELb1ELi6EEvPKT_PKT0_S7_ifPKiS9_S9_iPKfiiiPfSC_PS2_PT2_iSB_SB_.kd
    .uniform_work_group_size: 1
    .uses_dynamic_stack: false
    .vgpr_count:     51
    .vgpr_spill_count: 0
    .wavefront_size: 32
  - .args:
      - .actual_access:  read_only
        .address_space:  global
        .offset:         0
        .size:           8
        .value_kind:     global_buffer
      - .actual_access:  read_only
        .address_space:  global
        .offset:         8
        .size:           8
        .value_kind:     global_buffer
      - .actual_access:  read_only
        .address_space:  global
        .offset:         16
        .size:           8
        .value_kind:     global_buffer
      - .offset:         24
        .size:           4
        .value_kind:     by_value
      - .offset:         28
        .size:           4
        .value_kind:     by_value
      - .actual_access:  read_only
        .address_space:  global
        .offset:         32
        .size:           8
        .value_kind:     global_buffer
      - .actual_access:  read_only
        .address_space:  global
        .offset:         40
        .size:           8
        .value_kind:     global_buffer
      - .actual_access:  read_only
        .address_space:  global
        .offset:         48
        .size:           8
        .value_kind:     global_buffer
      - .offset:         56
        .size:           4
        .value_kind:     by_value
      - .actual_access:  read_only
        .address_space:  global
        .offset:         64
        .size:           8
        .value_kind:     global_buffer
      - .offset:         72
        .size:           4
        .value_kind:     by_value
      - .offset:         76
        .size:           4
        .value_kind:     by_value
      - .offset:         80
        .size:           4
        .value_kind:     by_value
      - .actual_access:  read_only
        .address_space:  global
        .offset:         88
        .size:           8
        .value_kind:     global_buffer
      - .actual_access:  read_only
        .address_space:  global
        .offset:         96
        .size:           8
        .value_kind:     global_buffer
      - .actual_access:  read_only
        .address_space:  global
        .offset:         104
        .size:           8
        .value_kind:     global_buffer
      - .actual_access:  read_only
        .address_space:  global
        .offset:         112
        .size:           8
        .value_kind:     global_buffer
      - .offset:         120
        .size:           4
        .value_kind:     by_value
      - .address_space:  global
        .offset:         128
        .size:           8
        .value_kind:     global_buffer
      - .address_space:  global
        .offset:         136
        .size:           8
        .value_kind:     global_buffer
      - .offset:         144
        .size:           4
        .value_kind:     hidden_block_count_x
      - .offset:         148
        .size:           4
        .value_kind:     hidden_block_count_y
      - .offset:         152
        .size:           4
        .value_kind:     hidden_block_count_z
      - .offset:         156
        .size:           2
        .value_kind:     hidden_group_size_x
      - .offset:         158
        .size:           2
        .value_kind:     hidden_group_size_y
      - .offset:         160
        .size:           2
        .value_kind:     hidden_group_size_z
      - .offset:         162
        .size:           2
        .value_kind:     hidden_remainder_x
      - .offset:         164
        .size:           2
        .value_kind:     hidden_remainder_y
      - .offset:         166
        .size:           2
        .value_kind:     hidden_remainder_z
      - .offset:         184
        .size:           8
        .value_kind:     hidden_global_offset_x
      - .offset:         192
        .size:           8
        .value_kind:     hidden_global_offset_y
      - .offset:         200
        .size:           8
        .value_kind:     hidden_global_offset_z
      - .offset:         208
        .size:           2
        .value_kind:     hidden_grid_dims
      - .offset:         224
        .size:           8
        .value_kind:     hidden_hostcall_buffer
    .group_segment_fixed_size: 0
    .kernarg_segment_align: 8
    .kernarg_segment_size: 400
    .language:       OpenCL C
    .language_version:
      - 2
      - 0
    .max_flat_workgroup_size: 256
    .name:           _Z39paged_attention_ll4mi_QKV_mfma16_kernelIDF16_hLN4vllm18Fp8KVCacheDataTypeE1EDF16_Li16ELi64ELi256ELb1ELi7EEvPKT_PKT0_S7_ifPKiS9_S9_iPKfiiiPfSC_PS2_PT2_iSB_SB_
    .private_segment_fixed_size: 64
    .sgpr_count:     36
    .sgpr_spill_count: 0
    .symbol:         _Z39paged_attention_ll4mi_QKV_mfma16_kernelIDF16_hLN4vllm18Fp8KVCacheDataTypeE1EDF16_Li16ELi64ELi256ELb1ELi7EEvPKT_PKT0_S7_ifPKiS9_S9_iPKfiiiPfSC_PS2_PT2_iSB_SB_.kd
    .uniform_work_group_size: 1
    .uses_dynamic_stack: false
    .vgpr_count:     51
    .vgpr_spill_count: 0
    .wavefront_size: 32
  - .args:
      - .actual_access:  read_only
        .address_space:  global
        .offset:         0
        .size:           8
        .value_kind:     global_buffer
      - .actual_access:  read_only
        .address_space:  global
        .offset:         8
        .size:           8
        .value_kind:     global_buffer
      - .actual_access:  read_only
        .address_space:  global
        .offset:         16
        .size:           8
        .value_kind:     global_buffer
      - .offset:         24
        .size:           4
        .value_kind:     by_value
      - .offset:         28
        .size:           4
        .value_kind:     by_value
      - .actual_access:  read_only
        .address_space:  global
        .offset:         32
        .size:           8
        .value_kind:     global_buffer
      - .actual_access:  read_only
        .address_space:  global
        .offset:         40
        .size:           8
        .value_kind:     global_buffer
      - .actual_access:  read_only
        .address_space:  global
        .offset:         48
        .size:           8
        .value_kind:     global_buffer
      - .offset:         56
        .size:           4
        .value_kind:     by_value
      - .actual_access:  read_only
        .address_space:  global
        .offset:         64
        .size:           8
        .value_kind:     global_buffer
      - .offset:         72
        .size:           4
        .value_kind:     by_value
      - .offset:         76
        .size:           4
        .value_kind:     by_value
      - .offset:         80
        .size:           4
        .value_kind:     by_value
      - .actual_access:  read_only
        .address_space:  global
        .offset:         88
        .size:           8
        .value_kind:     global_buffer
      - .actual_access:  read_only
        .address_space:  global
        .offset:         96
        .size:           8
        .value_kind:     global_buffer
      - .actual_access:  read_only
        .address_space:  global
        .offset:         104
        .size:           8
        .value_kind:     global_buffer
      - .actual_access:  read_only
        .address_space:  global
        .offset:         112
        .size:           8
        .value_kind:     global_buffer
      - .offset:         120
        .size:           4
        .value_kind:     by_value
      - .address_space:  global
        .offset:         128
        .size:           8
        .value_kind:     global_buffer
      - .address_space:  global
        .offset:         136
        .size:           8
        .value_kind:     global_buffer
      - .offset:         144
        .size:           4
        .value_kind:     hidden_block_count_x
      - .offset:         148
        .size:           4
        .value_kind:     hidden_block_count_y
      - .offset:         152
        .size:           4
        .value_kind:     hidden_block_count_z
      - .offset:         156
        .size:           2
        .value_kind:     hidden_group_size_x
      - .offset:         158
        .size:           2
        .value_kind:     hidden_group_size_y
      - .offset:         160
        .size:           2
        .value_kind:     hidden_group_size_z
      - .offset:         162
        .size:           2
        .value_kind:     hidden_remainder_x
      - .offset:         164
        .size:           2
        .value_kind:     hidden_remainder_y
      - .offset:         166
        .size:           2
        .value_kind:     hidden_remainder_z
      - .offset:         184
        .size:           8
        .value_kind:     hidden_global_offset_x
      - .offset:         192
        .size:           8
        .value_kind:     hidden_global_offset_y
      - .offset:         200
        .size:           8
        .value_kind:     hidden_global_offset_z
      - .offset:         208
        .size:           2
        .value_kind:     hidden_grid_dims
      - .offset:         224
        .size:           8
        .value_kind:     hidden_hostcall_buffer
    .group_segment_fixed_size: 0
    .kernarg_segment_align: 8
    .kernarg_segment_size: 400
    .language:       OpenCL C
    .language_version:
      - 2
      - 0
    .max_flat_workgroup_size: 256
    .name:           _Z39paged_attention_ll4mi_QKV_mfma16_kernelIDF16_hLN4vllm18Fp8KVCacheDataTypeE1EDF16_Li16ELi64ELi256ELb1ELi8EEvPKT_PKT0_S7_ifPKiS9_S9_iPKfiiiPfSC_PS2_PT2_iSB_SB_
    .private_segment_fixed_size: 64
    .sgpr_count:     36
    .sgpr_spill_count: 0
    .symbol:         _Z39paged_attention_ll4mi_QKV_mfma16_kernelIDF16_hLN4vllm18Fp8KVCacheDataTypeE1EDF16_Li16ELi64ELi256ELb1ELi8EEvPKT_PKT0_S7_ifPKiS9_S9_iPKfiiiPfSC_PS2_PT2_iSB_SB_.kd
    .uniform_work_group_size: 1
    .uses_dynamic_stack: false
    .vgpr_count:     51
    .vgpr_spill_count: 0
    .wavefront_size: 32
  - .args:
      - .actual_access:  read_only
        .address_space:  global
        .offset:         0
        .size:           8
        .value_kind:     global_buffer
      - .actual_access:  read_only
        .address_space:  global
        .offset:         8
        .size:           8
        .value_kind:     global_buffer
      - .actual_access:  read_only
        .address_space:  global
        .offset:         16
        .size:           8
        .value_kind:     global_buffer
      - .offset:         24
        .size:           4
        .value_kind:     by_value
      - .offset:         28
        .size:           4
        .value_kind:     by_value
      - .actual_access:  read_only
        .address_space:  global
        .offset:         32
        .size:           8
        .value_kind:     global_buffer
      - .actual_access:  read_only
        .address_space:  global
        .offset:         40
        .size:           8
        .value_kind:     global_buffer
      - .actual_access:  read_only
        .address_space:  global
        .offset:         48
        .size:           8
        .value_kind:     global_buffer
      - .offset:         56
        .size:           4
        .value_kind:     by_value
      - .actual_access:  read_only
        .address_space:  global
        .offset:         64
        .size:           8
        .value_kind:     global_buffer
      - .offset:         72
        .size:           4
        .value_kind:     by_value
      - .offset:         76
        .size:           4
        .value_kind:     by_value
      - .offset:         80
        .size:           4
        .value_kind:     by_value
      - .actual_access:  read_only
        .address_space:  global
        .offset:         88
        .size:           8
        .value_kind:     global_buffer
      - .actual_access:  read_only
        .address_space:  global
        .offset:         96
        .size:           8
        .value_kind:     global_buffer
      - .actual_access:  read_only
        .address_space:  global
        .offset:         104
        .size:           8
        .value_kind:     global_buffer
      - .actual_access:  read_only
        .address_space:  global
        .offset:         112
        .size:           8
        .value_kind:     global_buffer
      - .offset:         120
        .size:           4
        .value_kind:     by_value
      - .address_space:  global
        .offset:         128
        .size:           8
        .value_kind:     global_buffer
      - .address_space:  global
        .offset:         136
        .size:           8
        .value_kind:     global_buffer
      - .offset:         144
        .size:           4
        .value_kind:     hidden_block_count_x
      - .offset:         148
        .size:           4
        .value_kind:     hidden_block_count_y
      - .offset:         152
        .size:           4
        .value_kind:     hidden_block_count_z
      - .offset:         156
        .size:           2
        .value_kind:     hidden_group_size_x
      - .offset:         158
        .size:           2
        .value_kind:     hidden_group_size_y
      - .offset:         160
        .size:           2
        .value_kind:     hidden_group_size_z
      - .offset:         162
        .size:           2
        .value_kind:     hidden_remainder_x
      - .offset:         164
        .size:           2
        .value_kind:     hidden_remainder_y
      - .offset:         166
        .size:           2
        .value_kind:     hidden_remainder_z
      - .offset:         184
        .size:           8
        .value_kind:     hidden_global_offset_x
      - .offset:         192
        .size:           8
        .value_kind:     hidden_global_offset_y
      - .offset:         200
        .size:           8
        .value_kind:     hidden_global_offset_z
      - .offset:         208
        .size:           2
        .value_kind:     hidden_grid_dims
      - .offset:         224
        .size:           8
        .value_kind:     hidden_hostcall_buffer
    .group_segment_fixed_size: 0
    .kernarg_segment_align: 8
    .kernarg_segment_size: 400
    .language:       OpenCL C
    .language_version:
      - 2
      - 0
    .max_flat_workgroup_size: 256
    .name:           _Z39paged_attention_ll4mi_QKV_mfma16_kernelIDF16_hLN4vllm18Fp8KVCacheDataTypeE1EDF16_Li16ELi64ELi256ELb1ELi9EEvPKT_PKT0_S7_ifPKiS9_S9_iPKfiiiPfSC_PS2_PT2_iSB_SB_
    .private_segment_fixed_size: 64
    .sgpr_count:     36
    .sgpr_spill_count: 0
    .symbol:         _Z39paged_attention_ll4mi_QKV_mfma16_kernelIDF16_hLN4vllm18Fp8KVCacheDataTypeE1EDF16_Li16ELi64ELi256ELb1ELi9EEvPKT_PKT0_S7_ifPKiS9_S9_iPKfiiiPfSC_PS2_PT2_iSB_SB_.kd
    .uniform_work_group_size: 1
    .uses_dynamic_stack: false
    .vgpr_count:     51
    .vgpr_spill_count: 0
    .wavefront_size: 32
  - .args:
      - .actual_access:  read_only
        .address_space:  global
        .offset:         0
        .size:           8
        .value_kind:     global_buffer
      - .actual_access:  read_only
        .address_space:  global
        .offset:         8
        .size:           8
        .value_kind:     global_buffer
      - .actual_access:  read_only
        .address_space:  global
        .offset:         16
        .size:           8
        .value_kind:     global_buffer
      - .offset:         24
        .size:           4
        .value_kind:     by_value
      - .offset:         28
        .size:           4
        .value_kind:     by_value
      - .actual_access:  read_only
        .address_space:  global
        .offset:         32
        .size:           8
        .value_kind:     global_buffer
      - .actual_access:  read_only
        .address_space:  global
        .offset:         40
        .size:           8
        .value_kind:     global_buffer
      - .actual_access:  read_only
        .address_space:  global
        .offset:         48
        .size:           8
        .value_kind:     global_buffer
      - .offset:         56
        .size:           4
        .value_kind:     by_value
      - .actual_access:  read_only
        .address_space:  global
        .offset:         64
        .size:           8
        .value_kind:     global_buffer
      - .offset:         72
        .size:           4
        .value_kind:     by_value
      - .offset:         76
        .size:           4
        .value_kind:     by_value
      - .offset:         80
        .size:           4
        .value_kind:     by_value
      - .actual_access:  read_only
        .address_space:  global
        .offset:         88
        .size:           8
        .value_kind:     global_buffer
      - .actual_access:  read_only
        .address_space:  global
        .offset:         96
        .size:           8
        .value_kind:     global_buffer
      - .actual_access:  read_only
        .address_space:  global
        .offset:         104
        .size:           8
        .value_kind:     global_buffer
      - .actual_access:  read_only
        .address_space:  global
        .offset:         112
        .size:           8
        .value_kind:     global_buffer
      - .offset:         120
        .size:           4
        .value_kind:     by_value
      - .address_space:  global
        .offset:         128
        .size:           8
        .value_kind:     global_buffer
      - .address_space:  global
        .offset:         136
        .size:           8
        .value_kind:     global_buffer
      - .offset:         144
        .size:           4
        .value_kind:     hidden_block_count_x
      - .offset:         148
        .size:           4
        .value_kind:     hidden_block_count_y
      - .offset:         152
        .size:           4
        .value_kind:     hidden_block_count_z
      - .offset:         156
        .size:           2
        .value_kind:     hidden_group_size_x
      - .offset:         158
        .size:           2
        .value_kind:     hidden_group_size_y
      - .offset:         160
        .size:           2
        .value_kind:     hidden_group_size_z
      - .offset:         162
        .size:           2
        .value_kind:     hidden_remainder_x
      - .offset:         164
        .size:           2
        .value_kind:     hidden_remainder_y
      - .offset:         166
        .size:           2
        .value_kind:     hidden_remainder_z
      - .offset:         184
        .size:           8
        .value_kind:     hidden_global_offset_x
      - .offset:         192
        .size:           8
        .value_kind:     hidden_global_offset_y
      - .offset:         200
        .size:           8
        .value_kind:     hidden_global_offset_z
      - .offset:         208
        .size:           2
        .value_kind:     hidden_grid_dims
      - .offset:         224
        .size:           8
        .value_kind:     hidden_hostcall_buffer
    .group_segment_fixed_size: 0
    .kernarg_segment_align: 8
    .kernarg_segment_size: 400
    .language:       OpenCL C
    .language_version:
      - 2
      - 0
    .max_flat_workgroup_size: 256
    .name:           _Z39paged_attention_ll4mi_QKV_mfma16_kernelIDF16_hLN4vllm18Fp8KVCacheDataTypeE1EDF16_Li16ELi64ELi256ELb1ELi10EEvPKT_PKT0_S7_ifPKiS9_S9_iPKfiiiPfSC_PS2_PT2_iSB_SB_
    .private_segment_fixed_size: 64
    .sgpr_count:     36
    .sgpr_spill_count: 0
    .symbol:         _Z39paged_attention_ll4mi_QKV_mfma16_kernelIDF16_hLN4vllm18Fp8KVCacheDataTypeE1EDF16_Li16ELi64ELi256ELb1ELi10EEvPKT_PKT0_S7_ifPKiS9_S9_iPKfiiiPfSC_PS2_PT2_iSB_SB_.kd
    .uniform_work_group_size: 1
    .uses_dynamic_stack: false
    .vgpr_count:     51
    .vgpr_spill_count: 0
    .wavefront_size: 32
  - .args:
      - .actual_access:  read_only
        .address_space:  global
        .offset:         0
        .size:           8
        .value_kind:     global_buffer
      - .actual_access:  read_only
        .address_space:  global
        .offset:         8
        .size:           8
        .value_kind:     global_buffer
      - .actual_access:  read_only
        .address_space:  global
        .offset:         16
        .size:           8
        .value_kind:     global_buffer
      - .offset:         24
        .size:           4
        .value_kind:     by_value
      - .offset:         28
        .size:           4
        .value_kind:     by_value
      - .actual_access:  read_only
        .address_space:  global
        .offset:         32
        .size:           8
        .value_kind:     global_buffer
      - .actual_access:  read_only
        .address_space:  global
        .offset:         40
        .size:           8
        .value_kind:     global_buffer
      - .actual_access:  read_only
        .address_space:  global
        .offset:         48
        .size:           8
        .value_kind:     global_buffer
      - .offset:         56
        .size:           4
        .value_kind:     by_value
      - .actual_access:  read_only
        .address_space:  global
        .offset:         64
        .size:           8
        .value_kind:     global_buffer
      - .offset:         72
        .size:           4
        .value_kind:     by_value
      - .offset:         76
        .size:           4
        .value_kind:     by_value
      - .offset:         80
        .size:           4
        .value_kind:     by_value
      - .actual_access:  read_only
        .address_space:  global
        .offset:         88
        .size:           8
        .value_kind:     global_buffer
      - .actual_access:  read_only
        .address_space:  global
        .offset:         96
        .size:           8
        .value_kind:     global_buffer
      - .actual_access:  read_only
        .address_space:  global
        .offset:         104
        .size:           8
        .value_kind:     global_buffer
      - .actual_access:  read_only
        .address_space:  global
        .offset:         112
        .size:           8
        .value_kind:     global_buffer
      - .offset:         120
        .size:           4
        .value_kind:     by_value
      - .address_space:  global
        .offset:         128
        .size:           8
        .value_kind:     global_buffer
      - .address_space:  global
        .offset:         136
        .size:           8
        .value_kind:     global_buffer
      - .offset:         144
        .size:           4
        .value_kind:     hidden_block_count_x
      - .offset:         148
        .size:           4
        .value_kind:     hidden_block_count_y
      - .offset:         152
        .size:           4
        .value_kind:     hidden_block_count_z
      - .offset:         156
        .size:           2
        .value_kind:     hidden_group_size_x
      - .offset:         158
        .size:           2
        .value_kind:     hidden_group_size_y
      - .offset:         160
        .size:           2
        .value_kind:     hidden_group_size_z
      - .offset:         162
        .size:           2
        .value_kind:     hidden_remainder_x
      - .offset:         164
        .size:           2
        .value_kind:     hidden_remainder_y
      - .offset:         166
        .size:           2
        .value_kind:     hidden_remainder_z
      - .offset:         184
        .size:           8
        .value_kind:     hidden_global_offset_x
      - .offset:         192
        .size:           8
        .value_kind:     hidden_global_offset_y
      - .offset:         200
        .size:           8
        .value_kind:     hidden_global_offset_z
      - .offset:         208
        .size:           2
        .value_kind:     hidden_grid_dims
      - .offset:         224
        .size:           8
        .value_kind:     hidden_hostcall_buffer
    .group_segment_fixed_size: 0
    .kernarg_segment_align: 8
    .kernarg_segment_size: 400
    .language:       OpenCL C
    .language_version:
      - 2
      - 0
    .max_flat_workgroup_size: 256
    .name:           _Z39paged_attention_ll4mi_QKV_mfma16_kernelIDF16_hLN4vllm18Fp8KVCacheDataTypeE1EDF16_Li16ELi64ELi256ELb1ELi11EEvPKT_PKT0_S7_ifPKiS9_S9_iPKfiiiPfSC_PS2_PT2_iSB_SB_
    .private_segment_fixed_size: 64
    .sgpr_count:     36
    .sgpr_spill_count: 0
    .symbol:         _Z39paged_attention_ll4mi_QKV_mfma16_kernelIDF16_hLN4vllm18Fp8KVCacheDataTypeE1EDF16_Li16ELi64ELi256ELb1ELi11EEvPKT_PKT0_S7_ifPKiS9_S9_iPKfiiiPfSC_PS2_PT2_iSB_SB_.kd
    .uniform_work_group_size: 1
    .uses_dynamic_stack: false
    .vgpr_count:     51
    .vgpr_spill_count: 0
    .wavefront_size: 32
  - .args:
      - .actual_access:  read_only
        .address_space:  global
        .offset:         0
        .size:           8
        .value_kind:     global_buffer
      - .actual_access:  read_only
        .address_space:  global
        .offset:         8
        .size:           8
        .value_kind:     global_buffer
      - .actual_access:  read_only
        .address_space:  global
        .offset:         16
        .size:           8
        .value_kind:     global_buffer
      - .offset:         24
        .size:           4
        .value_kind:     by_value
      - .offset:         28
        .size:           4
        .value_kind:     by_value
      - .actual_access:  read_only
        .address_space:  global
        .offset:         32
        .size:           8
        .value_kind:     global_buffer
      - .actual_access:  read_only
        .address_space:  global
        .offset:         40
        .size:           8
        .value_kind:     global_buffer
      - .actual_access:  read_only
        .address_space:  global
        .offset:         48
        .size:           8
        .value_kind:     global_buffer
      - .offset:         56
        .size:           4
        .value_kind:     by_value
      - .actual_access:  read_only
        .address_space:  global
        .offset:         64
        .size:           8
        .value_kind:     global_buffer
      - .offset:         72
        .size:           4
        .value_kind:     by_value
      - .offset:         76
        .size:           4
        .value_kind:     by_value
      - .offset:         80
        .size:           4
        .value_kind:     by_value
      - .actual_access:  read_only
        .address_space:  global
        .offset:         88
        .size:           8
        .value_kind:     global_buffer
      - .actual_access:  read_only
        .address_space:  global
        .offset:         96
        .size:           8
        .value_kind:     global_buffer
      - .actual_access:  read_only
        .address_space:  global
        .offset:         104
        .size:           8
        .value_kind:     global_buffer
      - .actual_access:  read_only
        .address_space:  global
        .offset:         112
        .size:           8
        .value_kind:     global_buffer
      - .offset:         120
        .size:           4
        .value_kind:     by_value
      - .address_space:  global
        .offset:         128
        .size:           8
        .value_kind:     global_buffer
      - .address_space:  global
        .offset:         136
        .size:           8
        .value_kind:     global_buffer
      - .offset:         144
        .size:           4
        .value_kind:     hidden_block_count_x
      - .offset:         148
        .size:           4
        .value_kind:     hidden_block_count_y
      - .offset:         152
        .size:           4
        .value_kind:     hidden_block_count_z
      - .offset:         156
        .size:           2
        .value_kind:     hidden_group_size_x
      - .offset:         158
        .size:           2
        .value_kind:     hidden_group_size_y
      - .offset:         160
        .size:           2
        .value_kind:     hidden_group_size_z
      - .offset:         162
        .size:           2
        .value_kind:     hidden_remainder_x
      - .offset:         164
        .size:           2
        .value_kind:     hidden_remainder_y
      - .offset:         166
        .size:           2
        .value_kind:     hidden_remainder_z
      - .offset:         184
        .size:           8
        .value_kind:     hidden_global_offset_x
      - .offset:         192
        .size:           8
        .value_kind:     hidden_global_offset_y
      - .offset:         200
        .size:           8
        .value_kind:     hidden_global_offset_z
      - .offset:         208
        .size:           2
        .value_kind:     hidden_grid_dims
      - .offset:         224
        .size:           8
        .value_kind:     hidden_hostcall_buffer
    .group_segment_fixed_size: 0
    .kernarg_segment_align: 8
    .kernarg_segment_size: 400
    .language:       OpenCL C
    .language_version:
      - 2
      - 0
    .max_flat_workgroup_size: 256
    .name:           _Z39paged_attention_ll4mi_QKV_mfma16_kernelIDF16_hLN4vllm18Fp8KVCacheDataTypeE1EDF16_Li16ELi64ELi256ELb1ELi12EEvPKT_PKT0_S7_ifPKiS9_S9_iPKfiiiPfSC_PS2_PT2_iSB_SB_
    .private_segment_fixed_size: 64
    .sgpr_count:     36
    .sgpr_spill_count: 0
    .symbol:         _Z39paged_attention_ll4mi_QKV_mfma16_kernelIDF16_hLN4vllm18Fp8KVCacheDataTypeE1EDF16_Li16ELi64ELi256ELb1ELi12EEvPKT_PKT0_S7_ifPKiS9_S9_iPKfiiiPfSC_PS2_PT2_iSB_SB_.kd
    .uniform_work_group_size: 1
    .uses_dynamic_stack: false
    .vgpr_count:     51
    .vgpr_spill_count: 0
    .wavefront_size: 32
  - .args:
      - .actual_access:  read_only
        .address_space:  global
        .offset:         0
        .size:           8
        .value_kind:     global_buffer
      - .actual_access:  read_only
        .address_space:  global
        .offset:         8
        .size:           8
        .value_kind:     global_buffer
      - .actual_access:  read_only
        .address_space:  global
        .offset:         16
        .size:           8
        .value_kind:     global_buffer
      - .offset:         24
        .size:           4
        .value_kind:     by_value
      - .offset:         28
        .size:           4
        .value_kind:     by_value
      - .actual_access:  read_only
        .address_space:  global
        .offset:         32
        .size:           8
        .value_kind:     global_buffer
      - .actual_access:  read_only
        .address_space:  global
        .offset:         40
        .size:           8
        .value_kind:     global_buffer
      - .actual_access:  read_only
        .address_space:  global
        .offset:         48
        .size:           8
        .value_kind:     global_buffer
      - .offset:         56
        .size:           4
        .value_kind:     by_value
      - .actual_access:  read_only
        .address_space:  global
        .offset:         64
        .size:           8
        .value_kind:     global_buffer
      - .offset:         72
        .size:           4
        .value_kind:     by_value
      - .offset:         76
        .size:           4
        .value_kind:     by_value
      - .offset:         80
        .size:           4
        .value_kind:     by_value
      - .actual_access:  read_only
        .address_space:  global
        .offset:         88
        .size:           8
        .value_kind:     global_buffer
      - .actual_access:  read_only
        .address_space:  global
        .offset:         96
        .size:           8
        .value_kind:     global_buffer
      - .actual_access:  read_only
        .address_space:  global
        .offset:         104
        .size:           8
        .value_kind:     global_buffer
      - .actual_access:  read_only
        .address_space:  global
        .offset:         112
        .size:           8
        .value_kind:     global_buffer
      - .offset:         120
        .size:           4
        .value_kind:     by_value
      - .address_space:  global
        .offset:         128
        .size:           8
        .value_kind:     global_buffer
      - .address_space:  global
        .offset:         136
        .size:           8
        .value_kind:     global_buffer
      - .offset:         144
        .size:           4
        .value_kind:     hidden_block_count_x
      - .offset:         148
        .size:           4
        .value_kind:     hidden_block_count_y
      - .offset:         152
        .size:           4
        .value_kind:     hidden_block_count_z
      - .offset:         156
        .size:           2
        .value_kind:     hidden_group_size_x
      - .offset:         158
        .size:           2
        .value_kind:     hidden_group_size_y
      - .offset:         160
        .size:           2
        .value_kind:     hidden_group_size_z
      - .offset:         162
        .size:           2
        .value_kind:     hidden_remainder_x
      - .offset:         164
        .size:           2
        .value_kind:     hidden_remainder_y
      - .offset:         166
        .size:           2
        .value_kind:     hidden_remainder_z
      - .offset:         184
        .size:           8
        .value_kind:     hidden_global_offset_x
      - .offset:         192
        .size:           8
        .value_kind:     hidden_global_offset_y
      - .offset:         200
        .size:           8
        .value_kind:     hidden_global_offset_z
      - .offset:         208
        .size:           2
        .value_kind:     hidden_grid_dims
      - .offset:         224
        .size:           8
        .value_kind:     hidden_hostcall_buffer
    .group_segment_fixed_size: 0
    .kernarg_segment_align: 8
    .kernarg_segment_size: 400
    .language:       OpenCL C
    .language_version:
      - 2
      - 0
    .max_flat_workgroup_size: 256
    .name:           _Z39paged_attention_ll4mi_QKV_mfma16_kernelIDF16_hLN4vllm18Fp8KVCacheDataTypeE1EDF16_Li16ELi64ELi256ELb1ELi13EEvPKT_PKT0_S7_ifPKiS9_S9_iPKfiiiPfSC_PS2_PT2_iSB_SB_
    .private_segment_fixed_size: 64
    .sgpr_count:     36
    .sgpr_spill_count: 0
    .symbol:         _Z39paged_attention_ll4mi_QKV_mfma16_kernelIDF16_hLN4vllm18Fp8KVCacheDataTypeE1EDF16_Li16ELi64ELi256ELb1ELi13EEvPKT_PKT0_S7_ifPKiS9_S9_iPKfiiiPfSC_PS2_PT2_iSB_SB_.kd
    .uniform_work_group_size: 1
    .uses_dynamic_stack: false
    .vgpr_count:     51
    .vgpr_spill_count: 0
    .wavefront_size: 32
  - .args:
      - .actual_access:  read_only
        .address_space:  global
        .offset:         0
        .size:           8
        .value_kind:     global_buffer
      - .actual_access:  read_only
        .address_space:  global
        .offset:         8
        .size:           8
        .value_kind:     global_buffer
      - .actual_access:  read_only
        .address_space:  global
        .offset:         16
        .size:           8
        .value_kind:     global_buffer
      - .offset:         24
        .size:           4
        .value_kind:     by_value
      - .offset:         28
        .size:           4
        .value_kind:     by_value
      - .actual_access:  read_only
        .address_space:  global
        .offset:         32
        .size:           8
        .value_kind:     global_buffer
      - .actual_access:  read_only
        .address_space:  global
        .offset:         40
        .size:           8
        .value_kind:     global_buffer
      - .actual_access:  read_only
        .address_space:  global
        .offset:         48
        .size:           8
        .value_kind:     global_buffer
      - .offset:         56
        .size:           4
        .value_kind:     by_value
      - .actual_access:  read_only
        .address_space:  global
        .offset:         64
        .size:           8
        .value_kind:     global_buffer
      - .offset:         72
        .size:           4
        .value_kind:     by_value
      - .offset:         76
        .size:           4
        .value_kind:     by_value
      - .offset:         80
        .size:           4
        .value_kind:     by_value
      - .actual_access:  read_only
        .address_space:  global
        .offset:         88
        .size:           8
        .value_kind:     global_buffer
      - .actual_access:  read_only
        .address_space:  global
        .offset:         96
        .size:           8
        .value_kind:     global_buffer
      - .actual_access:  read_only
        .address_space:  global
        .offset:         104
        .size:           8
        .value_kind:     global_buffer
      - .actual_access:  read_only
        .address_space:  global
        .offset:         112
        .size:           8
        .value_kind:     global_buffer
      - .offset:         120
        .size:           4
        .value_kind:     by_value
      - .address_space:  global
        .offset:         128
        .size:           8
        .value_kind:     global_buffer
      - .address_space:  global
        .offset:         136
        .size:           8
        .value_kind:     global_buffer
      - .offset:         144
        .size:           4
        .value_kind:     hidden_block_count_x
      - .offset:         148
        .size:           4
        .value_kind:     hidden_block_count_y
      - .offset:         152
        .size:           4
        .value_kind:     hidden_block_count_z
      - .offset:         156
        .size:           2
        .value_kind:     hidden_group_size_x
      - .offset:         158
        .size:           2
        .value_kind:     hidden_group_size_y
      - .offset:         160
        .size:           2
        .value_kind:     hidden_group_size_z
      - .offset:         162
        .size:           2
        .value_kind:     hidden_remainder_x
      - .offset:         164
        .size:           2
        .value_kind:     hidden_remainder_y
      - .offset:         166
        .size:           2
        .value_kind:     hidden_remainder_z
      - .offset:         184
        .size:           8
        .value_kind:     hidden_global_offset_x
      - .offset:         192
        .size:           8
        .value_kind:     hidden_global_offset_y
      - .offset:         200
        .size:           8
        .value_kind:     hidden_global_offset_z
      - .offset:         208
        .size:           2
        .value_kind:     hidden_grid_dims
      - .offset:         224
        .size:           8
        .value_kind:     hidden_hostcall_buffer
    .group_segment_fixed_size: 0
    .kernarg_segment_align: 8
    .kernarg_segment_size: 400
    .language:       OpenCL C
    .language_version:
      - 2
      - 0
    .max_flat_workgroup_size: 256
    .name:           _Z39paged_attention_ll4mi_QKV_mfma16_kernelIDF16_hLN4vllm18Fp8KVCacheDataTypeE1EDF16_Li16ELi64ELi256ELb1ELi14EEvPKT_PKT0_S7_ifPKiS9_S9_iPKfiiiPfSC_PS2_PT2_iSB_SB_
    .private_segment_fixed_size: 64
    .sgpr_count:     36
    .sgpr_spill_count: 0
    .symbol:         _Z39paged_attention_ll4mi_QKV_mfma16_kernelIDF16_hLN4vllm18Fp8KVCacheDataTypeE1EDF16_Li16ELi64ELi256ELb1ELi14EEvPKT_PKT0_S7_ifPKiS9_S9_iPKfiiiPfSC_PS2_PT2_iSB_SB_.kd
    .uniform_work_group_size: 1
    .uses_dynamic_stack: false
    .vgpr_count:     51
    .vgpr_spill_count: 0
    .wavefront_size: 32
  - .args:
      - .actual_access:  read_only
        .address_space:  global
        .offset:         0
        .size:           8
        .value_kind:     global_buffer
      - .actual_access:  read_only
        .address_space:  global
        .offset:         8
        .size:           8
        .value_kind:     global_buffer
      - .actual_access:  read_only
        .address_space:  global
        .offset:         16
        .size:           8
        .value_kind:     global_buffer
      - .offset:         24
        .size:           4
        .value_kind:     by_value
      - .offset:         28
        .size:           4
        .value_kind:     by_value
      - .actual_access:  read_only
        .address_space:  global
        .offset:         32
        .size:           8
        .value_kind:     global_buffer
      - .actual_access:  read_only
        .address_space:  global
        .offset:         40
        .size:           8
        .value_kind:     global_buffer
      - .actual_access:  read_only
        .address_space:  global
        .offset:         48
        .size:           8
        .value_kind:     global_buffer
      - .offset:         56
        .size:           4
        .value_kind:     by_value
      - .actual_access:  read_only
        .address_space:  global
        .offset:         64
        .size:           8
        .value_kind:     global_buffer
      - .offset:         72
        .size:           4
        .value_kind:     by_value
      - .offset:         76
        .size:           4
        .value_kind:     by_value
      - .offset:         80
        .size:           4
        .value_kind:     by_value
      - .actual_access:  read_only
        .address_space:  global
        .offset:         88
        .size:           8
        .value_kind:     global_buffer
      - .actual_access:  read_only
        .address_space:  global
        .offset:         96
        .size:           8
        .value_kind:     global_buffer
      - .actual_access:  read_only
        .address_space:  global
        .offset:         104
        .size:           8
        .value_kind:     global_buffer
      - .actual_access:  read_only
        .address_space:  global
        .offset:         112
        .size:           8
        .value_kind:     global_buffer
      - .offset:         120
        .size:           4
        .value_kind:     by_value
      - .address_space:  global
        .offset:         128
        .size:           8
        .value_kind:     global_buffer
      - .address_space:  global
        .offset:         136
        .size:           8
        .value_kind:     global_buffer
      - .offset:         144
        .size:           4
        .value_kind:     hidden_block_count_x
      - .offset:         148
        .size:           4
        .value_kind:     hidden_block_count_y
      - .offset:         152
        .size:           4
        .value_kind:     hidden_block_count_z
      - .offset:         156
        .size:           2
        .value_kind:     hidden_group_size_x
      - .offset:         158
        .size:           2
        .value_kind:     hidden_group_size_y
      - .offset:         160
        .size:           2
        .value_kind:     hidden_group_size_z
      - .offset:         162
        .size:           2
        .value_kind:     hidden_remainder_x
      - .offset:         164
        .size:           2
        .value_kind:     hidden_remainder_y
      - .offset:         166
        .size:           2
        .value_kind:     hidden_remainder_z
      - .offset:         184
        .size:           8
        .value_kind:     hidden_global_offset_x
      - .offset:         192
        .size:           8
        .value_kind:     hidden_global_offset_y
      - .offset:         200
        .size:           8
        .value_kind:     hidden_global_offset_z
      - .offset:         208
        .size:           2
        .value_kind:     hidden_grid_dims
      - .offset:         224
        .size:           8
        .value_kind:     hidden_hostcall_buffer
    .group_segment_fixed_size: 0
    .kernarg_segment_align: 8
    .kernarg_segment_size: 400
    .language:       OpenCL C
    .language_version:
      - 2
      - 0
    .max_flat_workgroup_size: 256
    .name:           _Z39paged_attention_ll4mi_QKV_mfma16_kernelIDF16_hLN4vllm18Fp8KVCacheDataTypeE1EDF16_Li16ELi64ELi256ELb1ELi15EEvPKT_PKT0_S7_ifPKiS9_S9_iPKfiiiPfSC_PS2_PT2_iSB_SB_
    .private_segment_fixed_size: 64
    .sgpr_count:     36
    .sgpr_spill_count: 0
    .symbol:         _Z39paged_attention_ll4mi_QKV_mfma16_kernelIDF16_hLN4vllm18Fp8KVCacheDataTypeE1EDF16_Li16ELi64ELi256ELb1ELi15EEvPKT_PKT0_S7_ifPKiS9_S9_iPKfiiiPfSC_PS2_PT2_iSB_SB_.kd
    .uniform_work_group_size: 1
    .uses_dynamic_stack: false
    .vgpr_count:     51
    .vgpr_spill_count: 0
    .wavefront_size: 32
  - .args:
      - .actual_access:  read_only
        .address_space:  global
        .offset:         0
        .size:           8
        .value_kind:     global_buffer
      - .actual_access:  read_only
        .address_space:  global
        .offset:         8
        .size:           8
        .value_kind:     global_buffer
      - .actual_access:  read_only
        .address_space:  global
        .offset:         16
        .size:           8
        .value_kind:     global_buffer
      - .offset:         24
        .size:           4
        .value_kind:     by_value
      - .offset:         28
        .size:           4
        .value_kind:     by_value
      - .actual_access:  read_only
        .address_space:  global
        .offset:         32
        .size:           8
        .value_kind:     global_buffer
      - .actual_access:  read_only
        .address_space:  global
        .offset:         40
        .size:           8
        .value_kind:     global_buffer
      - .actual_access:  read_only
        .address_space:  global
        .offset:         48
        .size:           8
        .value_kind:     global_buffer
      - .offset:         56
        .size:           4
        .value_kind:     by_value
      - .actual_access:  read_only
        .address_space:  global
        .offset:         64
        .size:           8
        .value_kind:     global_buffer
      - .offset:         72
        .size:           4
        .value_kind:     by_value
      - .offset:         76
        .size:           4
        .value_kind:     by_value
      - .offset:         80
        .size:           4
        .value_kind:     by_value
      - .actual_access:  read_only
        .address_space:  global
        .offset:         88
        .size:           8
        .value_kind:     global_buffer
      - .actual_access:  read_only
        .address_space:  global
        .offset:         96
        .size:           8
        .value_kind:     global_buffer
      - .actual_access:  read_only
        .address_space:  global
        .offset:         104
        .size:           8
        .value_kind:     global_buffer
      - .actual_access:  read_only
        .address_space:  global
        .offset:         112
        .size:           8
        .value_kind:     global_buffer
      - .offset:         120
        .size:           4
        .value_kind:     by_value
      - .address_space:  global
        .offset:         128
        .size:           8
        .value_kind:     global_buffer
      - .address_space:  global
        .offset:         136
        .size:           8
        .value_kind:     global_buffer
      - .offset:         144
        .size:           4
        .value_kind:     hidden_block_count_x
      - .offset:         148
        .size:           4
        .value_kind:     hidden_block_count_y
      - .offset:         152
        .size:           4
        .value_kind:     hidden_block_count_z
      - .offset:         156
        .size:           2
        .value_kind:     hidden_group_size_x
      - .offset:         158
        .size:           2
        .value_kind:     hidden_group_size_y
      - .offset:         160
        .size:           2
        .value_kind:     hidden_group_size_z
      - .offset:         162
        .size:           2
        .value_kind:     hidden_remainder_x
      - .offset:         164
        .size:           2
        .value_kind:     hidden_remainder_y
      - .offset:         166
        .size:           2
        .value_kind:     hidden_remainder_z
      - .offset:         184
        .size:           8
        .value_kind:     hidden_global_offset_x
      - .offset:         192
        .size:           8
        .value_kind:     hidden_global_offset_y
      - .offset:         200
        .size:           8
        .value_kind:     hidden_global_offset_z
      - .offset:         208
        .size:           2
        .value_kind:     hidden_grid_dims
      - .offset:         224
        .size:           8
        .value_kind:     hidden_hostcall_buffer
    .group_segment_fixed_size: 0
    .kernarg_segment_align: 8
    .kernarg_segment_size: 400
    .language:       OpenCL C
    .language_version:
      - 2
      - 0
    .max_flat_workgroup_size: 256
    .name:           _Z39paged_attention_ll4mi_QKV_mfma16_kernelIDF16_hLN4vllm18Fp8KVCacheDataTypeE1EDF16_Li16ELi64ELi256ELb1ELi16EEvPKT_PKT0_S7_ifPKiS9_S9_iPKfiiiPfSC_PS2_PT2_iSB_SB_
    .private_segment_fixed_size: 64
    .sgpr_count:     36
    .sgpr_spill_count: 0
    .symbol:         _Z39paged_attention_ll4mi_QKV_mfma16_kernelIDF16_hLN4vllm18Fp8KVCacheDataTypeE1EDF16_Li16ELi64ELi256ELb1ELi16EEvPKT_PKT0_S7_ifPKiS9_S9_iPKfiiiPfSC_PS2_PT2_iSB_SB_.kd
    .uniform_work_group_size: 1
    .uses_dynamic_stack: false
    .vgpr_count:     51
    .vgpr_spill_count: 0
    .wavefront_size: 32
  - .args:
      - .actual_access:  read_only
        .address_space:  global
        .offset:         0
        .size:           8
        .value_kind:     global_buffer
      - .actual_access:  read_only
        .address_space:  global
        .offset:         8
        .size:           8
        .value_kind:     global_buffer
      - .actual_access:  read_only
        .address_space:  global
        .offset:         16
        .size:           8
        .value_kind:     global_buffer
      - .offset:         24
        .size:           4
        .value_kind:     by_value
      - .offset:         28
        .size:           4
        .value_kind:     by_value
      - .actual_access:  read_only
        .address_space:  global
        .offset:         32
        .size:           8
        .value_kind:     global_buffer
      - .actual_access:  read_only
        .address_space:  global
        .offset:         40
        .size:           8
        .value_kind:     global_buffer
      - .actual_access:  read_only
        .address_space:  global
        .offset:         48
        .size:           8
        .value_kind:     global_buffer
      - .offset:         56
        .size:           4
        .value_kind:     by_value
      - .actual_access:  read_only
        .address_space:  global
        .offset:         64
        .size:           8
        .value_kind:     global_buffer
      - .offset:         72
        .size:           4
        .value_kind:     by_value
      - .offset:         76
        .size:           4
        .value_kind:     by_value
      - .offset:         80
        .size:           4
        .value_kind:     by_value
      - .actual_access:  read_only
        .address_space:  global
        .offset:         88
        .size:           8
        .value_kind:     global_buffer
      - .actual_access:  read_only
        .address_space:  global
        .offset:         96
        .size:           8
        .value_kind:     global_buffer
      - .actual_access:  read_only
        .address_space:  global
        .offset:         104
        .size:           8
        .value_kind:     global_buffer
      - .actual_access:  read_only
        .address_space:  global
        .offset:         112
        .size:           8
        .value_kind:     global_buffer
      - .offset:         120
        .size:           4
        .value_kind:     by_value
      - .address_space:  global
        .offset:         128
        .size:           8
        .value_kind:     global_buffer
      - .address_space:  global
        .offset:         136
        .size:           8
        .value_kind:     global_buffer
      - .offset:         144
        .size:           4
        .value_kind:     hidden_block_count_x
      - .offset:         148
        .size:           4
        .value_kind:     hidden_block_count_y
      - .offset:         152
        .size:           4
        .value_kind:     hidden_block_count_z
      - .offset:         156
        .size:           2
        .value_kind:     hidden_group_size_x
      - .offset:         158
        .size:           2
        .value_kind:     hidden_group_size_y
      - .offset:         160
        .size:           2
        .value_kind:     hidden_group_size_z
      - .offset:         162
        .size:           2
        .value_kind:     hidden_remainder_x
      - .offset:         164
        .size:           2
        .value_kind:     hidden_remainder_y
      - .offset:         166
        .size:           2
        .value_kind:     hidden_remainder_z
      - .offset:         184
        .size:           8
        .value_kind:     hidden_global_offset_x
      - .offset:         192
        .size:           8
        .value_kind:     hidden_global_offset_y
      - .offset:         200
        .size:           8
        .value_kind:     hidden_global_offset_z
      - .offset:         208
        .size:           2
        .value_kind:     hidden_grid_dims
      - .offset:         224
        .size:           8
        .value_kind:     hidden_hostcall_buffer
    .group_segment_fixed_size: 0
    .kernarg_segment_align: 8
    .kernarg_segment_size: 400
    .language:       OpenCL C
    .language_version:
      - 2
      - 0
    .max_flat_workgroup_size: 256
    .name:           _Z39paged_attention_ll4mi_QKV_mfma16_kernelIDF16_hLN4vllm18Fp8KVCacheDataTypeE1EDF16_Li16ELi64ELi256ELb1ELi1EEvPKT_PKT0_S7_ifPKiS9_S9_iPKfiiiPfSC_PS2_PT2_iSB_SB_
    .private_segment_fixed_size: 64
    .sgpr_count:     36
    .sgpr_spill_count: 0
    .symbol:         _Z39paged_attention_ll4mi_QKV_mfma16_kernelIDF16_hLN4vllm18Fp8KVCacheDataTypeE1EDF16_Li16ELi64ELi256ELb1ELi1EEvPKT_PKT0_S7_ifPKiS9_S9_iPKfiiiPfSC_PS2_PT2_iSB_SB_.kd
    .uniform_work_group_size: 1
    .uses_dynamic_stack: false
    .vgpr_count:     51
    .vgpr_spill_count: 0
    .wavefront_size: 32
  - .args:
      - .actual_access:  read_only
        .address_space:  global
        .offset:         0
        .size:           8
        .value_kind:     global_buffer
      - .actual_access:  read_only
        .address_space:  global
        .offset:         8
        .size:           8
        .value_kind:     global_buffer
      - .actual_access:  read_only
        .address_space:  global
        .offset:         16
        .size:           8
        .value_kind:     global_buffer
      - .offset:         24
        .size:           4
        .value_kind:     by_value
      - .offset:         28
        .size:           4
        .value_kind:     by_value
      - .actual_access:  read_only
        .address_space:  global
        .offset:         32
        .size:           8
        .value_kind:     global_buffer
      - .actual_access:  read_only
        .address_space:  global
        .offset:         40
        .size:           8
        .value_kind:     global_buffer
      - .actual_access:  read_only
        .address_space:  global
        .offset:         48
        .size:           8
        .value_kind:     global_buffer
      - .offset:         56
        .size:           4
        .value_kind:     by_value
      - .actual_access:  read_only
        .address_space:  global
        .offset:         64
        .size:           8
        .value_kind:     global_buffer
      - .offset:         72
        .size:           4
        .value_kind:     by_value
      - .offset:         76
        .size:           4
        .value_kind:     by_value
      - .offset:         80
        .size:           4
        .value_kind:     by_value
      - .actual_access:  read_only
        .address_space:  global
        .offset:         88
        .size:           8
        .value_kind:     global_buffer
      - .actual_access:  read_only
        .address_space:  global
        .offset:         96
        .size:           8
        .value_kind:     global_buffer
      - .actual_access:  read_only
        .address_space:  global
        .offset:         104
        .size:           8
        .value_kind:     global_buffer
      - .actual_access:  read_only
        .address_space:  global
        .offset:         112
        .size:           8
        .value_kind:     global_buffer
      - .offset:         120
        .size:           4
        .value_kind:     by_value
      - .address_space:  global
        .offset:         128
        .size:           8
        .value_kind:     global_buffer
      - .address_space:  global
        .offset:         136
        .size:           8
        .value_kind:     global_buffer
      - .offset:         144
        .size:           4
        .value_kind:     hidden_block_count_x
      - .offset:         148
        .size:           4
        .value_kind:     hidden_block_count_y
      - .offset:         152
        .size:           4
        .value_kind:     hidden_block_count_z
      - .offset:         156
        .size:           2
        .value_kind:     hidden_group_size_x
      - .offset:         158
        .size:           2
        .value_kind:     hidden_group_size_y
      - .offset:         160
        .size:           2
        .value_kind:     hidden_group_size_z
      - .offset:         162
        .size:           2
        .value_kind:     hidden_remainder_x
      - .offset:         164
        .size:           2
        .value_kind:     hidden_remainder_y
      - .offset:         166
        .size:           2
        .value_kind:     hidden_remainder_z
      - .offset:         184
        .size:           8
        .value_kind:     hidden_global_offset_x
      - .offset:         192
        .size:           8
        .value_kind:     hidden_global_offset_y
      - .offset:         200
        .size:           8
        .value_kind:     hidden_global_offset_z
      - .offset:         208
        .size:           2
        .value_kind:     hidden_grid_dims
      - .offset:         224
        .size:           8
        .value_kind:     hidden_hostcall_buffer
    .group_segment_fixed_size: 0
    .kernarg_segment_align: 8
    .kernarg_segment_size: 400
    .language:       OpenCL C
    .language_version:
      - 2
      - 0
    .max_flat_workgroup_size: 256
    .name:           _Z39paged_attention_ll4mi_QKV_mfma16_kernelIDF16_hLN4vllm18Fp8KVCacheDataTypeE1EDF16_Li16ELi64ELi256ELb1ELi2EEvPKT_PKT0_S7_ifPKiS9_S9_iPKfiiiPfSC_PS2_PT2_iSB_SB_
    .private_segment_fixed_size: 64
    .sgpr_count:     36
    .sgpr_spill_count: 0
    .symbol:         _Z39paged_attention_ll4mi_QKV_mfma16_kernelIDF16_hLN4vllm18Fp8KVCacheDataTypeE1EDF16_Li16ELi64ELi256ELb1ELi2EEvPKT_PKT0_S7_ifPKiS9_S9_iPKfiiiPfSC_PS2_PT2_iSB_SB_.kd
    .uniform_work_group_size: 1
    .uses_dynamic_stack: false
    .vgpr_count:     51
    .vgpr_spill_count: 0
    .wavefront_size: 32
  - .args:
      - .actual_access:  read_only
        .address_space:  global
        .offset:         0
        .size:           8
        .value_kind:     global_buffer
      - .actual_access:  read_only
        .address_space:  global
        .offset:         8
        .size:           8
        .value_kind:     global_buffer
      - .actual_access:  read_only
        .address_space:  global
        .offset:         16
        .size:           8
        .value_kind:     global_buffer
      - .offset:         24
        .size:           4
        .value_kind:     by_value
      - .offset:         28
        .size:           4
        .value_kind:     by_value
      - .actual_access:  read_only
        .address_space:  global
        .offset:         32
        .size:           8
        .value_kind:     global_buffer
      - .actual_access:  read_only
        .address_space:  global
        .offset:         40
        .size:           8
        .value_kind:     global_buffer
      - .actual_access:  read_only
        .address_space:  global
        .offset:         48
        .size:           8
        .value_kind:     global_buffer
      - .offset:         56
        .size:           4
        .value_kind:     by_value
      - .actual_access:  read_only
        .address_space:  global
        .offset:         64
        .size:           8
        .value_kind:     global_buffer
      - .offset:         72
        .size:           4
        .value_kind:     by_value
      - .offset:         76
        .size:           4
        .value_kind:     by_value
      - .offset:         80
        .size:           4
        .value_kind:     by_value
      - .actual_access:  read_only
        .address_space:  global
        .offset:         88
        .size:           8
        .value_kind:     global_buffer
      - .actual_access:  read_only
        .address_space:  global
        .offset:         96
        .size:           8
        .value_kind:     global_buffer
      - .actual_access:  read_only
        .address_space:  global
        .offset:         104
        .size:           8
        .value_kind:     global_buffer
      - .actual_access:  read_only
        .address_space:  global
        .offset:         112
        .size:           8
        .value_kind:     global_buffer
      - .offset:         120
        .size:           4
        .value_kind:     by_value
      - .address_space:  global
        .offset:         128
        .size:           8
        .value_kind:     global_buffer
      - .address_space:  global
        .offset:         136
        .size:           8
        .value_kind:     global_buffer
      - .offset:         144
        .size:           4
        .value_kind:     hidden_block_count_x
      - .offset:         148
        .size:           4
        .value_kind:     hidden_block_count_y
      - .offset:         152
        .size:           4
        .value_kind:     hidden_block_count_z
      - .offset:         156
        .size:           2
        .value_kind:     hidden_group_size_x
      - .offset:         158
        .size:           2
        .value_kind:     hidden_group_size_y
      - .offset:         160
        .size:           2
        .value_kind:     hidden_group_size_z
      - .offset:         162
        .size:           2
        .value_kind:     hidden_remainder_x
      - .offset:         164
        .size:           2
        .value_kind:     hidden_remainder_y
      - .offset:         166
        .size:           2
        .value_kind:     hidden_remainder_z
      - .offset:         184
        .size:           8
        .value_kind:     hidden_global_offset_x
      - .offset:         192
        .size:           8
        .value_kind:     hidden_global_offset_y
      - .offset:         200
        .size:           8
        .value_kind:     hidden_global_offset_z
      - .offset:         208
        .size:           2
        .value_kind:     hidden_grid_dims
      - .offset:         224
        .size:           8
        .value_kind:     hidden_hostcall_buffer
    .group_segment_fixed_size: 0
    .kernarg_segment_align: 8
    .kernarg_segment_size: 400
    .language:       OpenCL C
    .language_version:
      - 2
      - 0
    .max_flat_workgroup_size: 256
    .name:           _Z39paged_attention_ll4mi_QKV_mfma16_kernelIDF16_hLN4vllm18Fp8KVCacheDataTypeE1EDF16_Li16ELi64ELi256ELb1ELi3EEvPKT_PKT0_S7_ifPKiS9_S9_iPKfiiiPfSC_PS2_PT2_iSB_SB_
    .private_segment_fixed_size: 64
    .sgpr_count:     36
    .sgpr_spill_count: 0
    .symbol:         _Z39paged_attention_ll4mi_QKV_mfma16_kernelIDF16_hLN4vllm18Fp8KVCacheDataTypeE1EDF16_Li16ELi64ELi256ELb1ELi3EEvPKT_PKT0_S7_ifPKiS9_S9_iPKfiiiPfSC_PS2_PT2_iSB_SB_.kd
    .uniform_work_group_size: 1
    .uses_dynamic_stack: false
    .vgpr_count:     51
    .vgpr_spill_count: 0
    .wavefront_size: 32
  - .args:
      - .actual_access:  read_only
        .address_space:  global
        .offset:         0
        .size:           8
        .value_kind:     global_buffer
      - .actual_access:  read_only
        .address_space:  global
        .offset:         8
        .size:           8
        .value_kind:     global_buffer
      - .actual_access:  read_only
        .address_space:  global
        .offset:         16
        .size:           8
        .value_kind:     global_buffer
      - .offset:         24
        .size:           4
        .value_kind:     by_value
      - .offset:         28
        .size:           4
        .value_kind:     by_value
      - .actual_access:  read_only
        .address_space:  global
        .offset:         32
        .size:           8
        .value_kind:     global_buffer
      - .actual_access:  read_only
        .address_space:  global
        .offset:         40
        .size:           8
        .value_kind:     global_buffer
      - .actual_access:  read_only
        .address_space:  global
        .offset:         48
        .size:           8
        .value_kind:     global_buffer
      - .offset:         56
        .size:           4
        .value_kind:     by_value
      - .actual_access:  read_only
        .address_space:  global
        .offset:         64
        .size:           8
        .value_kind:     global_buffer
      - .offset:         72
        .size:           4
        .value_kind:     by_value
      - .offset:         76
        .size:           4
        .value_kind:     by_value
      - .offset:         80
        .size:           4
        .value_kind:     by_value
      - .actual_access:  read_only
        .address_space:  global
        .offset:         88
        .size:           8
        .value_kind:     global_buffer
      - .actual_access:  read_only
        .address_space:  global
        .offset:         96
        .size:           8
        .value_kind:     global_buffer
      - .actual_access:  read_only
        .address_space:  global
        .offset:         104
        .size:           8
        .value_kind:     global_buffer
      - .actual_access:  read_only
        .address_space:  global
        .offset:         112
        .size:           8
        .value_kind:     global_buffer
      - .offset:         120
        .size:           4
        .value_kind:     by_value
      - .address_space:  global
        .offset:         128
        .size:           8
        .value_kind:     global_buffer
      - .address_space:  global
        .offset:         136
        .size:           8
        .value_kind:     global_buffer
      - .offset:         144
        .size:           4
        .value_kind:     hidden_block_count_x
      - .offset:         148
        .size:           4
        .value_kind:     hidden_block_count_y
      - .offset:         152
        .size:           4
        .value_kind:     hidden_block_count_z
      - .offset:         156
        .size:           2
        .value_kind:     hidden_group_size_x
      - .offset:         158
        .size:           2
        .value_kind:     hidden_group_size_y
      - .offset:         160
        .size:           2
        .value_kind:     hidden_group_size_z
      - .offset:         162
        .size:           2
        .value_kind:     hidden_remainder_x
      - .offset:         164
        .size:           2
        .value_kind:     hidden_remainder_y
      - .offset:         166
        .size:           2
        .value_kind:     hidden_remainder_z
      - .offset:         184
        .size:           8
        .value_kind:     hidden_global_offset_x
      - .offset:         192
        .size:           8
        .value_kind:     hidden_global_offset_y
      - .offset:         200
        .size:           8
        .value_kind:     hidden_global_offset_z
      - .offset:         208
        .size:           2
        .value_kind:     hidden_grid_dims
      - .offset:         224
        .size:           8
        .value_kind:     hidden_hostcall_buffer
    .group_segment_fixed_size: 0
    .kernarg_segment_align: 8
    .kernarg_segment_size: 400
    .language:       OpenCL C
    .language_version:
      - 2
      - 0
    .max_flat_workgroup_size: 256
    .name:           _Z39paged_attention_ll4mi_QKV_mfma16_kernelIDF16_hLN4vllm18Fp8KVCacheDataTypeE1EDF16_Li16ELi64ELi256ELb1ELi4EEvPKT_PKT0_S7_ifPKiS9_S9_iPKfiiiPfSC_PS2_PT2_iSB_SB_
    .private_segment_fixed_size: 64
    .sgpr_count:     36
    .sgpr_spill_count: 0
    .symbol:         _Z39paged_attention_ll4mi_QKV_mfma16_kernelIDF16_hLN4vllm18Fp8KVCacheDataTypeE1EDF16_Li16ELi64ELi256ELb1ELi4EEvPKT_PKT0_S7_ifPKiS9_S9_iPKfiiiPfSC_PS2_PT2_iSB_SB_.kd
    .uniform_work_group_size: 1
    .uses_dynamic_stack: false
    .vgpr_count:     51
    .vgpr_spill_count: 0
    .wavefront_size: 32
  - .args:
      - .actual_access:  read_only
        .address_space:  global
        .offset:         0
        .size:           8
        .value_kind:     global_buffer
      - .actual_access:  read_only
        .address_space:  global
        .offset:         8
        .size:           8
        .value_kind:     global_buffer
      - .actual_access:  read_only
        .address_space:  global
        .offset:         16
        .size:           8
        .value_kind:     global_buffer
      - .offset:         24
        .size:           4
        .value_kind:     by_value
      - .offset:         28
        .size:           4
        .value_kind:     by_value
      - .actual_access:  read_only
        .address_space:  global
        .offset:         32
        .size:           8
        .value_kind:     global_buffer
      - .actual_access:  read_only
        .address_space:  global
        .offset:         40
        .size:           8
        .value_kind:     global_buffer
      - .actual_access:  read_only
        .address_space:  global
        .offset:         48
        .size:           8
        .value_kind:     global_buffer
      - .offset:         56
        .size:           4
        .value_kind:     by_value
      - .actual_access:  read_only
        .address_space:  global
        .offset:         64
        .size:           8
        .value_kind:     global_buffer
      - .offset:         72
        .size:           4
        .value_kind:     by_value
      - .offset:         76
        .size:           4
        .value_kind:     by_value
      - .offset:         80
        .size:           4
        .value_kind:     by_value
      - .actual_access:  read_only
        .address_space:  global
        .offset:         88
        .size:           8
        .value_kind:     global_buffer
      - .actual_access:  read_only
        .address_space:  global
        .offset:         96
        .size:           8
        .value_kind:     global_buffer
      - .actual_access:  read_only
        .address_space:  global
        .offset:         104
        .size:           8
        .value_kind:     global_buffer
      - .actual_access:  read_only
        .address_space:  global
        .offset:         112
        .size:           8
        .value_kind:     global_buffer
      - .offset:         120
        .size:           4
        .value_kind:     by_value
      - .address_space:  global
        .offset:         128
        .size:           8
        .value_kind:     global_buffer
      - .address_space:  global
        .offset:         136
        .size:           8
        .value_kind:     global_buffer
      - .offset:         144
        .size:           4
        .value_kind:     hidden_block_count_x
      - .offset:         148
        .size:           4
        .value_kind:     hidden_block_count_y
      - .offset:         152
        .size:           4
        .value_kind:     hidden_block_count_z
      - .offset:         156
        .size:           2
        .value_kind:     hidden_group_size_x
      - .offset:         158
        .size:           2
        .value_kind:     hidden_group_size_y
      - .offset:         160
        .size:           2
        .value_kind:     hidden_group_size_z
      - .offset:         162
        .size:           2
        .value_kind:     hidden_remainder_x
      - .offset:         164
        .size:           2
        .value_kind:     hidden_remainder_y
      - .offset:         166
        .size:           2
        .value_kind:     hidden_remainder_z
      - .offset:         184
        .size:           8
        .value_kind:     hidden_global_offset_x
      - .offset:         192
        .size:           8
        .value_kind:     hidden_global_offset_y
      - .offset:         200
        .size:           8
        .value_kind:     hidden_global_offset_z
      - .offset:         208
        .size:           2
        .value_kind:     hidden_grid_dims
      - .offset:         224
        .size:           8
        .value_kind:     hidden_hostcall_buffer
    .group_segment_fixed_size: 0
    .kernarg_segment_align: 8
    .kernarg_segment_size: 400
    .language:       OpenCL C
    .language_version:
      - 2
      - 0
    .max_flat_workgroup_size: 256
    .name:           _Z38paged_attention_ll4mi_QKV_mfma4_kernelIDF16_hLN4vllm18Fp8KVCacheDataTypeE1EDF16_Li16ELi64ELi256ELb0ELi1EEvPKT_PKT0_S7_ifPKiS9_S9_iPKfiiiPfSC_PS2_PT2_iSB_SB_
    .private_segment_fixed_size: 64
    .sgpr_count:     36
    .sgpr_spill_count: 0
    .symbol:         _Z38paged_attention_ll4mi_QKV_mfma4_kernelIDF16_hLN4vllm18Fp8KVCacheDataTypeE1EDF16_Li16ELi64ELi256ELb0ELi1EEvPKT_PKT0_S7_ifPKiS9_S9_iPKfiiiPfSC_PS2_PT2_iSB_SB_.kd
    .uniform_work_group_size: 1
    .uses_dynamic_stack: false
    .vgpr_count:     51
    .vgpr_spill_count: 0
    .wavefront_size: 32
  - .args:
      - .actual_access:  read_only
        .address_space:  global
        .offset:         0
        .size:           8
        .value_kind:     global_buffer
      - .actual_access:  read_only
        .address_space:  global
        .offset:         8
        .size:           8
        .value_kind:     global_buffer
      - .actual_access:  read_only
        .address_space:  global
        .offset:         16
        .size:           8
        .value_kind:     global_buffer
      - .offset:         24
        .size:           4
        .value_kind:     by_value
      - .offset:         28
        .size:           4
        .value_kind:     by_value
      - .actual_access:  read_only
        .address_space:  global
        .offset:         32
        .size:           8
        .value_kind:     global_buffer
      - .actual_access:  read_only
        .address_space:  global
        .offset:         40
        .size:           8
        .value_kind:     global_buffer
      - .actual_access:  read_only
        .address_space:  global
        .offset:         48
        .size:           8
        .value_kind:     global_buffer
      - .offset:         56
        .size:           4
        .value_kind:     by_value
      - .actual_access:  read_only
        .address_space:  global
        .offset:         64
        .size:           8
        .value_kind:     global_buffer
      - .offset:         72
        .size:           4
        .value_kind:     by_value
      - .offset:         76
        .size:           4
        .value_kind:     by_value
      - .offset:         80
        .size:           4
        .value_kind:     by_value
      - .actual_access:  read_only
        .address_space:  global
        .offset:         88
        .size:           8
        .value_kind:     global_buffer
      - .actual_access:  read_only
        .address_space:  global
        .offset:         96
        .size:           8
        .value_kind:     global_buffer
      - .actual_access:  read_only
        .address_space:  global
        .offset:         104
        .size:           8
        .value_kind:     global_buffer
      - .actual_access:  read_only
        .address_space:  global
        .offset:         112
        .size:           8
        .value_kind:     global_buffer
      - .offset:         120
        .size:           4
        .value_kind:     by_value
      - .address_space:  global
        .offset:         128
        .size:           8
        .value_kind:     global_buffer
      - .address_space:  global
        .offset:         136
        .size:           8
        .value_kind:     global_buffer
      - .offset:         144
        .size:           4
        .value_kind:     hidden_block_count_x
      - .offset:         148
        .size:           4
        .value_kind:     hidden_block_count_y
      - .offset:         152
        .size:           4
        .value_kind:     hidden_block_count_z
      - .offset:         156
        .size:           2
        .value_kind:     hidden_group_size_x
      - .offset:         158
        .size:           2
        .value_kind:     hidden_group_size_y
      - .offset:         160
        .size:           2
        .value_kind:     hidden_group_size_z
      - .offset:         162
        .size:           2
        .value_kind:     hidden_remainder_x
      - .offset:         164
        .size:           2
        .value_kind:     hidden_remainder_y
      - .offset:         166
        .size:           2
        .value_kind:     hidden_remainder_z
      - .offset:         184
        .size:           8
        .value_kind:     hidden_global_offset_x
      - .offset:         192
        .size:           8
        .value_kind:     hidden_global_offset_y
      - .offset:         200
        .size:           8
        .value_kind:     hidden_global_offset_z
      - .offset:         208
        .size:           2
        .value_kind:     hidden_grid_dims
      - .offset:         224
        .size:           8
        .value_kind:     hidden_hostcall_buffer
    .group_segment_fixed_size: 0
    .kernarg_segment_align: 8
    .kernarg_segment_size: 400
    .language:       OpenCL C
    .language_version:
      - 2
      - 0
    .max_flat_workgroup_size: 256
    .name:           _Z38paged_attention_ll4mi_QKV_mfma4_kernelIDF16_hLN4vllm18Fp8KVCacheDataTypeE1EDF16_Li16ELi64ELi256ELb0ELi2EEvPKT_PKT0_S7_ifPKiS9_S9_iPKfiiiPfSC_PS2_PT2_iSB_SB_
    .private_segment_fixed_size: 64
    .sgpr_count:     36
    .sgpr_spill_count: 0
    .symbol:         _Z38paged_attention_ll4mi_QKV_mfma4_kernelIDF16_hLN4vllm18Fp8KVCacheDataTypeE1EDF16_Li16ELi64ELi256ELb0ELi2EEvPKT_PKT0_S7_ifPKiS9_S9_iPKfiiiPfSC_PS2_PT2_iSB_SB_.kd
    .uniform_work_group_size: 1
    .uses_dynamic_stack: false
    .vgpr_count:     51
    .vgpr_spill_count: 0
    .wavefront_size: 32
  - .args:
      - .actual_access:  read_only
        .address_space:  global
        .offset:         0
        .size:           8
        .value_kind:     global_buffer
      - .actual_access:  read_only
        .address_space:  global
        .offset:         8
        .size:           8
        .value_kind:     global_buffer
      - .actual_access:  read_only
        .address_space:  global
        .offset:         16
        .size:           8
        .value_kind:     global_buffer
      - .offset:         24
        .size:           4
        .value_kind:     by_value
      - .offset:         28
        .size:           4
        .value_kind:     by_value
      - .actual_access:  read_only
        .address_space:  global
        .offset:         32
        .size:           8
        .value_kind:     global_buffer
      - .actual_access:  read_only
        .address_space:  global
        .offset:         40
        .size:           8
        .value_kind:     global_buffer
      - .actual_access:  read_only
        .address_space:  global
        .offset:         48
        .size:           8
        .value_kind:     global_buffer
      - .offset:         56
        .size:           4
        .value_kind:     by_value
      - .actual_access:  read_only
        .address_space:  global
        .offset:         64
        .size:           8
        .value_kind:     global_buffer
      - .offset:         72
        .size:           4
        .value_kind:     by_value
      - .offset:         76
        .size:           4
        .value_kind:     by_value
      - .offset:         80
        .size:           4
        .value_kind:     by_value
      - .actual_access:  read_only
        .address_space:  global
        .offset:         88
        .size:           8
        .value_kind:     global_buffer
      - .actual_access:  read_only
        .address_space:  global
        .offset:         96
        .size:           8
        .value_kind:     global_buffer
      - .actual_access:  read_only
        .address_space:  global
        .offset:         104
        .size:           8
        .value_kind:     global_buffer
      - .actual_access:  read_only
        .address_space:  global
        .offset:         112
        .size:           8
        .value_kind:     global_buffer
      - .offset:         120
        .size:           4
        .value_kind:     by_value
      - .address_space:  global
        .offset:         128
        .size:           8
        .value_kind:     global_buffer
      - .address_space:  global
        .offset:         136
        .size:           8
        .value_kind:     global_buffer
      - .offset:         144
        .size:           4
        .value_kind:     hidden_block_count_x
      - .offset:         148
        .size:           4
        .value_kind:     hidden_block_count_y
      - .offset:         152
        .size:           4
        .value_kind:     hidden_block_count_z
      - .offset:         156
        .size:           2
        .value_kind:     hidden_group_size_x
      - .offset:         158
        .size:           2
        .value_kind:     hidden_group_size_y
      - .offset:         160
        .size:           2
        .value_kind:     hidden_group_size_z
      - .offset:         162
        .size:           2
        .value_kind:     hidden_remainder_x
      - .offset:         164
        .size:           2
        .value_kind:     hidden_remainder_y
      - .offset:         166
        .size:           2
        .value_kind:     hidden_remainder_z
      - .offset:         184
        .size:           8
        .value_kind:     hidden_global_offset_x
      - .offset:         192
        .size:           8
        .value_kind:     hidden_global_offset_y
      - .offset:         200
        .size:           8
        .value_kind:     hidden_global_offset_z
      - .offset:         208
        .size:           2
        .value_kind:     hidden_grid_dims
      - .offset:         224
        .size:           8
        .value_kind:     hidden_hostcall_buffer
    .group_segment_fixed_size: 0
    .kernarg_segment_align: 8
    .kernarg_segment_size: 400
    .language:       OpenCL C
    .language_version:
      - 2
      - 0
    .max_flat_workgroup_size: 256
    .name:           _Z38paged_attention_ll4mi_QKV_mfma4_kernelIDF16_hLN4vllm18Fp8KVCacheDataTypeE1EDF16_Li16ELi64ELi256ELb0ELi3EEvPKT_PKT0_S7_ifPKiS9_S9_iPKfiiiPfSC_PS2_PT2_iSB_SB_
    .private_segment_fixed_size: 64
    .sgpr_count:     36
    .sgpr_spill_count: 0
    .symbol:         _Z38paged_attention_ll4mi_QKV_mfma4_kernelIDF16_hLN4vllm18Fp8KVCacheDataTypeE1EDF16_Li16ELi64ELi256ELb0ELi3EEvPKT_PKT0_S7_ifPKiS9_S9_iPKfiiiPfSC_PS2_PT2_iSB_SB_.kd
    .uniform_work_group_size: 1
    .uses_dynamic_stack: false
    .vgpr_count:     51
    .vgpr_spill_count: 0
    .wavefront_size: 32
  - .args:
      - .actual_access:  read_only
        .address_space:  global
        .offset:         0
        .size:           8
        .value_kind:     global_buffer
      - .actual_access:  read_only
        .address_space:  global
        .offset:         8
        .size:           8
        .value_kind:     global_buffer
      - .actual_access:  read_only
        .address_space:  global
        .offset:         16
        .size:           8
        .value_kind:     global_buffer
      - .offset:         24
        .size:           4
        .value_kind:     by_value
      - .offset:         28
        .size:           4
        .value_kind:     by_value
      - .actual_access:  read_only
        .address_space:  global
        .offset:         32
        .size:           8
        .value_kind:     global_buffer
      - .actual_access:  read_only
        .address_space:  global
        .offset:         40
        .size:           8
        .value_kind:     global_buffer
      - .actual_access:  read_only
        .address_space:  global
        .offset:         48
        .size:           8
        .value_kind:     global_buffer
      - .offset:         56
        .size:           4
        .value_kind:     by_value
      - .actual_access:  read_only
        .address_space:  global
        .offset:         64
        .size:           8
        .value_kind:     global_buffer
      - .offset:         72
        .size:           4
        .value_kind:     by_value
      - .offset:         76
        .size:           4
        .value_kind:     by_value
      - .offset:         80
        .size:           4
        .value_kind:     by_value
      - .actual_access:  read_only
        .address_space:  global
        .offset:         88
        .size:           8
        .value_kind:     global_buffer
      - .actual_access:  read_only
        .address_space:  global
        .offset:         96
        .size:           8
        .value_kind:     global_buffer
      - .actual_access:  read_only
        .address_space:  global
        .offset:         104
        .size:           8
        .value_kind:     global_buffer
      - .actual_access:  read_only
        .address_space:  global
        .offset:         112
        .size:           8
        .value_kind:     global_buffer
      - .offset:         120
        .size:           4
        .value_kind:     by_value
      - .address_space:  global
        .offset:         128
        .size:           8
        .value_kind:     global_buffer
      - .address_space:  global
        .offset:         136
        .size:           8
        .value_kind:     global_buffer
      - .offset:         144
        .size:           4
        .value_kind:     hidden_block_count_x
      - .offset:         148
        .size:           4
        .value_kind:     hidden_block_count_y
      - .offset:         152
        .size:           4
        .value_kind:     hidden_block_count_z
      - .offset:         156
        .size:           2
        .value_kind:     hidden_group_size_x
      - .offset:         158
        .size:           2
        .value_kind:     hidden_group_size_y
      - .offset:         160
        .size:           2
        .value_kind:     hidden_group_size_z
      - .offset:         162
        .size:           2
        .value_kind:     hidden_remainder_x
      - .offset:         164
        .size:           2
        .value_kind:     hidden_remainder_y
      - .offset:         166
        .size:           2
        .value_kind:     hidden_remainder_z
      - .offset:         184
        .size:           8
        .value_kind:     hidden_global_offset_x
      - .offset:         192
        .size:           8
        .value_kind:     hidden_global_offset_y
      - .offset:         200
        .size:           8
        .value_kind:     hidden_global_offset_z
      - .offset:         208
        .size:           2
        .value_kind:     hidden_grid_dims
      - .offset:         224
        .size:           8
        .value_kind:     hidden_hostcall_buffer
    .group_segment_fixed_size: 0
    .kernarg_segment_align: 8
    .kernarg_segment_size: 400
    .language:       OpenCL C
    .language_version:
      - 2
      - 0
    .max_flat_workgroup_size: 256
    .name:           _Z38paged_attention_ll4mi_QKV_mfma4_kernelIDF16_hLN4vllm18Fp8KVCacheDataTypeE1EDF16_Li16ELi64ELi256ELb0ELi4EEvPKT_PKT0_S7_ifPKiS9_S9_iPKfiiiPfSC_PS2_PT2_iSB_SB_
    .private_segment_fixed_size: 64
    .sgpr_count:     36
    .sgpr_spill_count: 0
    .symbol:         _Z38paged_attention_ll4mi_QKV_mfma4_kernelIDF16_hLN4vllm18Fp8KVCacheDataTypeE1EDF16_Li16ELi64ELi256ELb0ELi4EEvPKT_PKT0_S7_ifPKiS9_S9_iPKfiiiPfSC_PS2_PT2_iSB_SB_.kd
    .uniform_work_group_size: 1
    .uses_dynamic_stack: false
    .vgpr_count:     51
    .vgpr_spill_count: 0
    .wavefront_size: 32
  - .args:
      - .actual_access:  read_only
        .address_space:  global
        .offset:         0
        .size:           8
        .value_kind:     global_buffer
      - .actual_access:  read_only
        .address_space:  global
        .offset:         8
        .size:           8
        .value_kind:     global_buffer
      - .actual_access:  read_only
        .address_space:  global
        .offset:         16
        .size:           8
        .value_kind:     global_buffer
      - .offset:         24
        .size:           4
        .value_kind:     by_value
      - .offset:         28
        .size:           4
        .value_kind:     by_value
      - .actual_access:  read_only
        .address_space:  global
        .offset:         32
        .size:           8
        .value_kind:     global_buffer
      - .actual_access:  read_only
        .address_space:  global
        .offset:         40
        .size:           8
        .value_kind:     global_buffer
      - .actual_access:  read_only
        .address_space:  global
        .offset:         48
        .size:           8
        .value_kind:     global_buffer
      - .offset:         56
        .size:           4
        .value_kind:     by_value
      - .actual_access:  read_only
        .address_space:  global
        .offset:         64
        .size:           8
        .value_kind:     global_buffer
      - .offset:         72
        .size:           4
        .value_kind:     by_value
      - .offset:         76
        .size:           4
        .value_kind:     by_value
      - .offset:         80
        .size:           4
        .value_kind:     by_value
      - .actual_access:  read_only
        .address_space:  global
        .offset:         88
        .size:           8
        .value_kind:     global_buffer
      - .actual_access:  read_only
        .address_space:  global
        .offset:         96
        .size:           8
        .value_kind:     global_buffer
      - .actual_access:  read_only
        .address_space:  global
        .offset:         104
        .size:           8
        .value_kind:     global_buffer
      - .actual_access:  read_only
        .address_space:  global
        .offset:         112
        .size:           8
        .value_kind:     global_buffer
      - .offset:         120
        .size:           4
        .value_kind:     by_value
      - .address_space:  global
        .offset:         128
        .size:           8
        .value_kind:     global_buffer
      - .address_space:  global
        .offset:         136
        .size:           8
        .value_kind:     global_buffer
      - .offset:         144
        .size:           4
        .value_kind:     hidden_block_count_x
      - .offset:         148
        .size:           4
        .value_kind:     hidden_block_count_y
      - .offset:         152
        .size:           4
        .value_kind:     hidden_block_count_z
      - .offset:         156
        .size:           2
        .value_kind:     hidden_group_size_x
      - .offset:         158
        .size:           2
        .value_kind:     hidden_group_size_y
      - .offset:         160
        .size:           2
        .value_kind:     hidden_group_size_z
      - .offset:         162
        .size:           2
        .value_kind:     hidden_remainder_x
      - .offset:         164
        .size:           2
        .value_kind:     hidden_remainder_y
      - .offset:         166
        .size:           2
        .value_kind:     hidden_remainder_z
      - .offset:         184
        .size:           8
        .value_kind:     hidden_global_offset_x
      - .offset:         192
        .size:           8
        .value_kind:     hidden_global_offset_y
      - .offset:         200
        .size:           8
        .value_kind:     hidden_global_offset_z
      - .offset:         208
        .size:           2
        .value_kind:     hidden_grid_dims
      - .offset:         224
        .size:           8
        .value_kind:     hidden_hostcall_buffer
    .group_segment_fixed_size: 0
    .kernarg_segment_align: 8
    .kernarg_segment_size: 400
    .language:       OpenCL C
    .language_version:
      - 2
      - 0
    .max_flat_workgroup_size: 256
    .name:           _Z39paged_attention_ll4mi_QKV_mfma16_kernelIDF16_hLN4vllm18Fp8KVCacheDataTypeE1EDF16_Li16ELi64ELi256ELb0ELi5EEvPKT_PKT0_S7_ifPKiS9_S9_iPKfiiiPfSC_PS2_PT2_iSB_SB_
    .private_segment_fixed_size: 64
    .sgpr_count:     36
    .sgpr_spill_count: 0
    .symbol:         _Z39paged_attention_ll4mi_QKV_mfma16_kernelIDF16_hLN4vllm18Fp8KVCacheDataTypeE1EDF16_Li16ELi64ELi256ELb0ELi5EEvPKT_PKT0_S7_ifPKiS9_S9_iPKfiiiPfSC_PS2_PT2_iSB_SB_.kd
    .uniform_work_group_size: 1
    .uses_dynamic_stack: false
    .vgpr_count:     51
    .vgpr_spill_count: 0
    .wavefront_size: 32
  - .args:
      - .actual_access:  read_only
        .address_space:  global
        .offset:         0
        .size:           8
        .value_kind:     global_buffer
      - .actual_access:  read_only
        .address_space:  global
        .offset:         8
        .size:           8
        .value_kind:     global_buffer
      - .actual_access:  read_only
        .address_space:  global
        .offset:         16
        .size:           8
        .value_kind:     global_buffer
      - .offset:         24
        .size:           4
        .value_kind:     by_value
      - .offset:         28
        .size:           4
        .value_kind:     by_value
      - .actual_access:  read_only
        .address_space:  global
        .offset:         32
        .size:           8
        .value_kind:     global_buffer
      - .actual_access:  read_only
        .address_space:  global
        .offset:         40
        .size:           8
        .value_kind:     global_buffer
      - .actual_access:  read_only
        .address_space:  global
        .offset:         48
        .size:           8
        .value_kind:     global_buffer
      - .offset:         56
        .size:           4
        .value_kind:     by_value
      - .actual_access:  read_only
        .address_space:  global
        .offset:         64
        .size:           8
        .value_kind:     global_buffer
      - .offset:         72
        .size:           4
        .value_kind:     by_value
      - .offset:         76
        .size:           4
        .value_kind:     by_value
      - .offset:         80
        .size:           4
        .value_kind:     by_value
      - .actual_access:  read_only
        .address_space:  global
        .offset:         88
        .size:           8
        .value_kind:     global_buffer
      - .actual_access:  read_only
        .address_space:  global
        .offset:         96
        .size:           8
        .value_kind:     global_buffer
      - .actual_access:  read_only
        .address_space:  global
        .offset:         104
        .size:           8
        .value_kind:     global_buffer
      - .actual_access:  read_only
        .address_space:  global
        .offset:         112
        .size:           8
        .value_kind:     global_buffer
      - .offset:         120
        .size:           4
        .value_kind:     by_value
      - .address_space:  global
        .offset:         128
        .size:           8
        .value_kind:     global_buffer
      - .address_space:  global
        .offset:         136
        .size:           8
        .value_kind:     global_buffer
      - .offset:         144
        .size:           4
        .value_kind:     hidden_block_count_x
      - .offset:         148
        .size:           4
        .value_kind:     hidden_block_count_y
      - .offset:         152
        .size:           4
        .value_kind:     hidden_block_count_z
      - .offset:         156
        .size:           2
        .value_kind:     hidden_group_size_x
      - .offset:         158
        .size:           2
        .value_kind:     hidden_group_size_y
      - .offset:         160
        .size:           2
        .value_kind:     hidden_group_size_z
      - .offset:         162
        .size:           2
        .value_kind:     hidden_remainder_x
      - .offset:         164
        .size:           2
        .value_kind:     hidden_remainder_y
      - .offset:         166
        .size:           2
        .value_kind:     hidden_remainder_z
      - .offset:         184
        .size:           8
        .value_kind:     hidden_global_offset_x
      - .offset:         192
        .size:           8
        .value_kind:     hidden_global_offset_y
      - .offset:         200
        .size:           8
        .value_kind:     hidden_global_offset_z
      - .offset:         208
        .size:           2
        .value_kind:     hidden_grid_dims
      - .offset:         224
        .size:           8
        .value_kind:     hidden_hostcall_buffer
    .group_segment_fixed_size: 0
    .kernarg_segment_align: 8
    .kernarg_segment_size: 400
    .language:       OpenCL C
    .language_version:
      - 2
      - 0
    .max_flat_workgroup_size: 256
    .name:           _Z39paged_attention_ll4mi_QKV_mfma16_kernelIDF16_hLN4vllm18Fp8KVCacheDataTypeE1EDF16_Li16ELi64ELi256ELb0ELi6EEvPKT_PKT0_S7_ifPKiS9_S9_iPKfiiiPfSC_PS2_PT2_iSB_SB_
    .private_segment_fixed_size: 64
    .sgpr_count:     36
    .sgpr_spill_count: 0
    .symbol:         _Z39paged_attention_ll4mi_QKV_mfma16_kernelIDF16_hLN4vllm18Fp8KVCacheDataTypeE1EDF16_Li16ELi64ELi256ELb0ELi6EEvPKT_PKT0_S7_ifPKiS9_S9_iPKfiiiPfSC_PS2_PT2_iSB_SB_.kd
    .uniform_work_group_size: 1
    .uses_dynamic_stack: false
    .vgpr_count:     51
    .vgpr_spill_count: 0
    .wavefront_size: 32
  - .args:
      - .actual_access:  read_only
        .address_space:  global
        .offset:         0
        .size:           8
        .value_kind:     global_buffer
      - .actual_access:  read_only
        .address_space:  global
        .offset:         8
        .size:           8
        .value_kind:     global_buffer
      - .actual_access:  read_only
        .address_space:  global
        .offset:         16
        .size:           8
        .value_kind:     global_buffer
      - .offset:         24
        .size:           4
        .value_kind:     by_value
      - .offset:         28
        .size:           4
        .value_kind:     by_value
      - .actual_access:  read_only
        .address_space:  global
        .offset:         32
        .size:           8
        .value_kind:     global_buffer
      - .actual_access:  read_only
        .address_space:  global
        .offset:         40
        .size:           8
        .value_kind:     global_buffer
      - .actual_access:  read_only
        .address_space:  global
        .offset:         48
        .size:           8
        .value_kind:     global_buffer
      - .offset:         56
        .size:           4
        .value_kind:     by_value
      - .actual_access:  read_only
        .address_space:  global
        .offset:         64
        .size:           8
        .value_kind:     global_buffer
      - .offset:         72
        .size:           4
        .value_kind:     by_value
      - .offset:         76
        .size:           4
        .value_kind:     by_value
      - .offset:         80
        .size:           4
        .value_kind:     by_value
      - .actual_access:  read_only
        .address_space:  global
        .offset:         88
        .size:           8
        .value_kind:     global_buffer
      - .actual_access:  read_only
        .address_space:  global
        .offset:         96
        .size:           8
        .value_kind:     global_buffer
      - .actual_access:  read_only
        .address_space:  global
        .offset:         104
        .size:           8
        .value_kind:     global_buffer
      - .actual_access:  read_only
        .address_space:  global
        .offset:         112
        .size:           8
        .value_kind:     global_buffer
      - .offset:         120
        .size:           4
        .value_kind:     by_value
      - .address_space:  global
        .offset:         128
        .size:           8
        .value_kind:     global_buffer
      - .address_space:  global
        .offset:         136
        .size:           8
        .value_kind:     global_buffer
      - .offset:         144
        .size:           4
        .value_kind:     hidden_block_count_x
      - .offset:         148
        .size:           4
        .value_kind:     hidden_block_count_y
      - .offset:         152
        .size:           4
        .value_kind:     hidden_block_count_z
      - .offset:         156
        .size:           2
        .value_kind:     hidden_group_size_x
      - .offset:         158
        .size:           2
        .value_kind:     hidden_group_size_y
      - .offset:         160
        .size:           2
        .value_kind:     hidden_group_size_z
      - .offset:         162
        .size:           2
        .value_kind:     hidden_remainder_x
      - .offset:         164
        .size:           2
        .value_kind:     hidden_remainder_y
      - .offset:         166
        .size:           2
        .value_kind:     hidden_remainder_z
      - .offset:         184
        .size:           8
        .value_kind:     hidden_global_offset_x
      - .offset:         192
        .size:           8
        .value_kind:     hidden_global_offset_y
      - .offset:         200
        .size:           8
        .value_kind:     hidden_global_offset_z
      - .offset:         208
        .size:           2
        .value_kind:     hidden_grid_dims
      - .offset:         224
        .size:           8
        .value_kind:     hidden_hostcall_buffer
    .group_segment_fixed_size: 0
    .kernarg_segment_align: 8
    .kernarg_segment_size: 400
    .language:       OpenCL C
    .language_version:
      - 2
      - 0
    .max_flat_workgroup_size: 256
    .name:           _Z39paged_attention_ll4mi_QKV_mfma16_kernelIDF16_hLN4vllm18Fp8KVCacheDataTypeE1EDF16_Li16ELi64ELi256ELb0ELi7EEvPKT_PKT0_S7_ifPKiS9_S9_iPKfiiiPfSC_PS2_PT2_iSB_SB_
    .private_segment_fixed_size: 64
    .sgpr_count:     36
    .sgpr_spill_count: 0
    .symbol:         _Z39paged_attention_ll4mi_QKV_mfma16_kernelIDF16_hLN4vllm18Fp8KVCacheDataTypeE1EDF16_Li16ELi64ELi256ELb0ELi7EEvPKT_PKT0_S7_ifPKiS9_S9_iPKfiiiPfSC_PS2_PT2_iSB_SB_.kd
    .uniform_work_group_size: 1
    .uses_dynamic_stack: false
    .vgpr_count:     51
    .vgpr_spill_count: 0
    .wavefront_size: 32
  - .args:
      - .actual_access:  read_only
        .address_space:  global
        .offset:         0
        .size:           8
        .value_kind:     global_buffer
      - .actual_access:  read_only
        .address_space:  global
        .offset:         8
        .size:           8
        .value_kind:     global_buffer
      - .actual_access:  read_only
        .address_space:  global
        .offset:         16
        .size:           8
        .value_kind:     global_buffer
      - .offset:         24
        .size:           4
        .value_kind:     by_value
      - .offset:         28
        .size:           4
        .value_kind:     by_value
      - .actual_access:  read_only
        .address_space:  global
        .offset:         32
        .size:           8
        .value_kind:     global_buffer
      - .actual_access:  read_only
        .address_space:  global
        .offset:         40
        .size:           8
        .value_kind:     global_buffer
      - .actual_access:  read_only
        .address_space:  global
        .offset:         48
        .size:           8
        .value_kind:     global_buffer
      - .offset:         56
        .size:           4
        .value_kind:     by_value
      - .actual_access:  read_only
        .address_space:  global
        .offset:         64
        .size:           8
        .value_kind:     global_buffer
      - .offset:         72
        .size:           4
        .value_kind:     by_value
      - .offset:         76
        .size:           4
        .value_kind:     by_value
      - .offset:         80
        .size:           4
        .value_kind:     by_value
      - .actual_access:  read_only
        .address_space:  global
        .offset:         88
        .size:           8
        .value_kind:     global_buffer
      - .actual_access:  read_only
        .address_space:  global
        .offset:         96
        .size:           8
        .value_kind:     global_buffer
      - .actual_access:  read_only
        .address_space:  global
        .offset:         104
        .size:           8
        .value_kind:     global_buffer
      - .actual_access:  read_only
        .address_space:  global
        .offset:         112
        .size:           8
        .value_kind:     global_buffer
      - .offset:         120
        .size:           4
        .value_kind:     by_value
      - .address_space:  global
        .offset:         128
        .size:           8
        .value_kind:     global_buffer
      - .address_space:  global
        .offset:         136
        .size:           8
        .value_kind:     global_buffer
      - .offset:         144
        .size:           4
        .value_kind:     hidden_block_count_x
      - .offset:         148
        .size:           4
        .value_kind:     hidden_block_count_y
      - .offset:         152
        .size:           4
        .value_kind:     hidden_block_count_z
      - .offset:         156
        .size:           2
        .value_kind:     hidden_group_size_x
      - .offset:         158
        .size:           2
        .value_kind:     hidden_group_size_y
      - .offset:         160
        .size:           2
        .value_kind:     hidden_group_size_z
      - .offset:         162
        .size:           2
        .value_kind:     hidden_remainder_x
      - .offset:         164
        .size:           2
        .value_kind:     hidden_remainder_y
      - .offset:         166
        .size:           2
        .value_kind:     hidden_remainder_z
      - .offset:         184
        .size:           8
        .value_kind:     hidden_global_offset_x
      - .offset:         192
        .size:           8
        .value_kind:     hidden_global_offset_y
      - .offset:         200
        .size:           8
        .value_kind:     hidden_global_offset_z
      - .offset:         208
        .size:           2
        .value_kind:     hidden_grid_dims
      - .offset:         224
        .size:           8
        .value_kind:     hidden_hostcall_buffer
    .group_segment_fixed_size: 0
    .kernarg_segment_align: 8
    .kernarg_segment_size: 400
    .language:       OpenCL C
    .language_version:
      - 2
      - 0
    .max_flat_workgroup_size: 256
    .name:           _Z39paged_attention_ll4mi_QKV_mfma16_kernelIDF16_hLN4vllm18Fp8KVCacheDataTypeE1EDF16_Li16ELi64ELi256ELb0ELi8EEvPKT_PKT0_S7_ifPKiS9_S9_iPKfiiiPfSC_PS2_PT2_iSB_SB_
    .private_segment_fixed_size: 64
    .sgpr_count:     36
    .sgpr_spill_count: 0
    .symbol:         _Z39paged_attention_ll4mi_QKV_mfma16_kernelIDF16_hLN4vllm18Fp8KVCacheDataTypeE1EDF16_Li16ELi64ELi256ELb0ELi8EEvPKT_PKT0_S7_ifPKiS9_S9_iPKfiiiPfSC_PS2_PT2_iSB_SB_.kd
    .uniform_work_group_size: 1
    .uses_dynamic_stack: false
    .vgpr_count:     51
    .vgpr_spill_count: 0
    .wavefront_size: 32
  - .args:
      - .actual_access:  read_only
        .address_space:  global
        .offset:         0
        .size:           8
        .value_kind:     global_buffer
      - .actual_access:  read_only
        .address_space:  global
        .offset:         8
        .size:           8
        .value_kind:     global_buffer
      - .actual_access:  read_only
        .address_space:  global
        .offset:         16
        .size:           8
        .value_kind:     global_buffer
      - .offset:         24
        .size:           4
        .value_kind:     by_value
      - .offset:         28
        .size:           4
        .value_kind:     by_value
      - .actual_access:  read_only
        .address_space:  global
        .offset:         32
        .size:           8
        .value_kind:     global_buffer
      - .actual_access:  read_only
        .address_space:  global
        .offset:         40
        .size:           8
        .value_kind:     global_buffer
      - .actual_access:  read_only
        .address_space:  global
        .offset:         48
        .size:           8
        .value_kind:     global_buffer
      - .offset:         56
        .size:           4
        .value_kind:     by_value
      - .actual_access:  read_only
        .address_space:  global
        .offset:         64
        .size:           8
        .value_kind:     global_buffer
      - .offset:         72
        .size:           4
        .value_kind:     by_value
      - .offset:         76
        .size:           4
        .value_kind:     by_value
      - .offset:         80
        .size:           4
        .value_kind:     by_value
      - .actual_access:  read_only
        .address_space:  global
        .offset:         88
        .size:           8
        .value_kind:     global_buffer
      - .actual_access:  read_only
        .address_space:  global
        .offset:         96
        .size:           8
        .value_kind:     global_buffer
      - .actual_access:  read_only
        .address_space:  global
        .offset:         104
        .size:           8
        .value_kind:     global_buffer
      - .actual_access:  read_only
        .address_space:  global
        .offset:         112
        .size:           8
        .value_kind:     global_buffer
      - .offset:         120
        .size:           4
        .value_kind:     by_value
      - .address_space:  global
        .offset:         128
        .size:           8
        .value_kind:     global_buffer
      - .address_space:  global
        .offset:         136
        .size:           8
        .value_kind:     global_buffer
      - .offset:         144
        .size:           4
        .value_kind:     hidden_block_count_x
      - .offset:         148
        .size:           4
        .value_kind:     hidden_block_count_y
      - .offset:         152
        .size:           4
        .value_kind:     hidden_block_count_z
      - .offset:         156
        .size:           2
        .value_kind:     hidden_group_size_x
      - .offset:         158
        .size:           2
        .value_kind:     hidden_group_size_y
      - .offset:         160
        .size:           2
        .value_kind:     hidden_group_size_z
      - .offset:         162
        .size:           2
        .value_kind:     hidden_remainder_x
      - .offset:         164
        .size:           2
        .value_kind:     hidden_remainder_y
      - .offset:         166
        .size:           2
        .value_kind:     hidden_remainder_z
      - .offset:         184
        .size:           8
        .value_kind:     hidden_global_offset_x
      - .offset:         192
        .size:           8
        .value_kind:     hidden_global_offset_y
      - .offset:         200
        .size:           8
        .value_kind:     hidden_global_offset_z
      - .offset:         208
        .size:           2
        .value_kind:     hidden_grid_dims
      - .offset:         224
        .size:           8
        .value_kind:     hidden_hostcall_buffer
    .group_segment_fixed_size: 0
    .kernarg_segment_align: 8
    .kernarg_segment_size: 400
    .language:       OpenCL C
    .language_version:
      - 2
      - 0
    .max_flat_workgroup_size: 256
    .name:           _Z39paged_attention_ll4mi_QKV_mfma16_kernelIDF16_hLN4vllm18Fp8KVCacheDataTypeE1EDF16_Li16ELi64ELi256ELb0ELi9EEvPKT_PKT0_S7_ifPKiS9_S9_iPKfiiiPfSC_PS2_PT2_iSB_SB_
    .private_segment_fixed_size: 64
    .sgpr_count:     36
    .sgpr_spill_count: 0
    .symbol:         _Z39paged_attention_ll4mi_QKV_mfma16_kernelIDF16_hLN4vllm18Fp8KVCacheDataTypeE1EDF16_Li16ELi64ELi256ELb0ELi9EEvPKT_PKT0_S7_ifPKiS9_S9_iPKfiiiPfSC_PS2_PT2_iSB_SB_.kd
    .uniform_work_group_size: 1
    .uses_dynamic_stack: false
    .vgpr_count:     51
    .vgpr_spill_count: 0
    .wavefront_size: 32
  - .args:
      - .actual_access:  read_only
        .address_space:  global
        .offset:         0
        .size:           8
        .value_kind:     global_buffer
      - .actual_access:  read_only
        .address_space:  global
        .offset:         8
        .size:           8
        .value_kind:     global_buffer
      - .actual_access:  read_only
        .address_space:  global
        .offset:         16
        .size:           8
        .value_kind:     global_buffer
      - .offset:         24
        .size:           4
        .value_kind:     by_value
      - .offset:         28
        .size:           4
        .value_kind:     by_value
      - .actual_access:  read_only
        .address_space:  global
        .offset:         32
        .size:           8
        .value_kind:     global_buffer
      - .actual_access:  read_only
        .address_space:  global
        .offset:         40
        .size:           8
        .value_kind:     global_buffer
      - .actual_access:  read_only
        .address_space:  global
        .offset:         48
        .size:           8
        .value_kind:     global_buffer
      - .offset:         56
        .size:           4
        .value_kind:     by_value
      - .actual_access:  read_only
        .address_space:  global
        .offset:         64
        .size:           8
        .value_kind:     global_buffer
      - .offset:         72
        .size:           4
        .value_kind:     by_value
      - .offset:         76
        .size:           4
        .value_kind:     by_value
      - .offset:         80
        .size:           4
        .value_kind:     by_value
      - .actual_access:  read_only
        .address_space:  global
        .offset:         88
        .size:           8
        .value_kind:     global_buffer
      - .actual_access:  read_only
        .address_space:  global
        .offset:         96
        .size:           8
        .value_kind:     global_buffer
      - .actual_access:  read_only
        .address_space:  global
        .offset:         104
        .size:           8
        .value_kind:     global_buffer
      - .actual_access:  read_only
        .address_space:  global
        .offset:         112
        .size:           8
        .value_kind:     global_buffer
      - .offset:         120
        .size:           4
        .value_kind:     by_value
      - .address_space:  global
        .offset:         128
        .size:           8
        .value_kind:     global_buffer
      - .address_space:  global
        .offset:         136
        .size:           8
        .value_kind:     global_buffer
      - .offset:         144
        .size:           4
        .value_kind:     hidden_block_count_x
      - .offset:         148
        .size:           4
        .value_kind:     hidden_block_count_y
      - .offset:         152
        .size:           4
        .value_kind:     hidden_block_count_z
      - .offset:         156
        .size:           2
        .value_kind:     hidden_group_size_x
      - .offset:         158
        .size:           2
        .value_kind:     hidden_group_size_y
      - .offset:         160
        .size:           2
        .value_kind:     hidden_group_size_z
      - .offset:         162
        .size:           2
        .value_kind:     hidden_remainder_x
      - .offset:         164
        .size:           2
        .value_kind:     hidden_remainder_y
      - .offset:         166
        .size:           2
        .value_kind:     hidden_remainder_z
      - .offset:         184
        .size:           8
        .value_kind:     hidden_global_offset_x
      - .offset:         192
        .size:           8
        .value_kind:     hidden_global_offset_y
      - .offset:         200
        .size:           8
        .value_kind:     hidden_global_offset_z
      - .offset:         208
        .size:           2
        .value_kind:     hidden_grid_dims
      - .offset:         224
        .size:           8
        .value_kind:     hidden_hostcall_buffer
    .group_segment_fixed_size: 0
    .kernarg_segment_align: 8
    .kernarg_segment_size: 400
    .language:       OpenCL C
    .language_version:
      - 2
      - 0
    .max_flat_workgroup_size: 256
    .name:           _Z39paged_attention_ll4mi_QKV_mfma16_kernelIDF16_hLN4vllm18Fp8KVCacheDataTypeE1EDF16_Li16ELi64ELi256ELb0ELi10EEvPKT_PKT0_S7_ifPKiS9_S9_iPKfiiiPfSC_PS2_PT2_iSB_SB_
    .private_segment_fixed_size: 64
    .sgpr_count:     36
    .sgpr_spill_count: 0
    .symbol:         _Z39paged_attention_ll4mi_QKV_mfma16_kernelIDF16_hLN4vllm18Fp8KVCacheDataTypeE1EDF16_Li16ELi64ELi256ELb0ELi10EEvPKT_PKT0_S7_ifPKiS9_S9_iPKfiiiPfSC_PS2_PT2_iSB_SB_.kd
    .uniform_work_group_size: 1
    .uses_dynamic_stack: false
    .vgpr_count:     51
    .vgpr_spill_count: 0
    .wavefront_size: 32
  - .args:
      - .actual_access:  read_only
        .address_space:  global
        .offset:         0
        .size:           8
        .value_kind:     global_buffer
      - .actual_access:  read_only
        .address_space:  global
        .offset:         8
        .size:           8
        .value_kind:     global_buffer
      - .actual_access:  read_only
        .address_space:  global
        .offset:         16
        .size:           8
        .value_kind:     global_buffer
      - .offset:         24
        .size:           4
        .value_kind:     by_value
      - .offset:         28
        .size:           4
        .value_kind:     by_value
      - .actual_access:  read_only
        .address_space:  global
        .offset:         32
        .size:           8
        .value_kind:     global_buffer
      - .actual_access:  read_only
        .address_space:  global
        .offset:         40
        .size:           8
        .value_kind:     global_buffer
      - .actual_access:  read_only
        .address_space:  global
        .offset:         48
        .size:           8
        .value_kind:     global_buffer
      - .offset:         56
        .size:           4
        .value_kind:     by_value
      - .actual_access:  read_only
        .address_space:  global
        .offset:         64
        .size:           8
        .value_kind:     global_buffer
      - .offset:         72
        .size:           4
        .value_kind:     by_value
      - .offset:         76
        .size:           4
        .value_kind:     by_value
      - .offset:         80
        .size:           4
        .value_kind:     by_value
      - .actual_access:  read_only
        .address_space:  global
        .offset:         88
        .size:           8
        .value_kind:     global_buffer
      - .actual_access:  read_only
        .address_space:  global
        .offset:         96
        .size:           8
        .value_kind:     global_buffer
      - .actual_access:  read_only
        .address_space:  global
        .offset:         104
        .size:           8
        .value_kind:     global_buffer
      - .actual_access:  read_only
        .address_space:  global
        .offset:         112
        .size:           8
        .value_kind:     global_buffer
      - .offset:         120
        .size:           4
        .value_kind:     by_value
      - .address_space:  global
        .offset:         128
        .size:           8
        .value_kind:     global_buffer
      - .address_space:  global
        .offset:         136
        .size:           8
        .value_kind:     global_buffer
      - .offset:         144
        .size:           4
        .value_kind:     hidden_block_count_x
      - .offset:         148
        .size:           4
        .value_kind:     hidden_block_count_y
      - .offset:         152
        .size:           4
        .value_kind:     hidden_block_count_z
      - .offset:         156
        .size:           2
        .value_kind:     hidden_group_size_x
      - .offset:         158
        .size:           2
        .value_kind:     hidden_group_size_y
      - .offset:         160
        .size:           2
        .value_kind:     hidden_group_size_z
      - .offset:         162
        .size:           2
        .value_kind:     hidden_remainder_x
      - .offset:         164
        .size:           2
        .value_kind:     hidden_remainder_y
      - .offset:         166
        .size:           2
        .value_kind:     hidden_remainder_z
      - .offset:         184
        .size:           8
        .value_kind:     hidden_global_offset_x
      - .offset:         192
        .size:           8
        .value_kind:     hidden_global_offset_y
      - .offset:         200
        .size:           8
        .value_kind:     hidden_global_offset_z
      - .offset:         208
        .size:           2
        .value_kind:     hidden_grid_dims
      - .offset:         224
        .size:           8
        .value_kind:     hidden_hostcall_buffer
    .group_segment_fixed_size: 0
    .kernarg_segment_align: 8
    .kernarg_segment_size: 400
    .language:       OpenCL C
    .language_version:
      - 2
      - 0
    .max_flat_workgroup_size: 256
    .name:           _Z39paged_attention_ll4mi_QKV_mfma16_kernelIDF16_hLN4vllm18Fp8KVCacheDataTypeE1EDF16_Li16ELi64ELi256ELb0ELi11EEvPKT_PKT0_S7_ifPKiS9_S9_iPKfiiiPfSC_PS2_PT2_iSB_SB_
    .private_segment_fixed_size: 64
    .sgpr_count:     36
    .sgpr_spill_count: 0
    .symbol:         _Z39paged_attention_ll4mi_QKV_mfma16_kernelIDF16_hLN4vllm18Fp8KVCacheDataTypeE1EDF16_Li16ELi64ELi256ELb0ELi11EEvPKT_PKT0_S7_ifPKiS9_S9_iPKfiiiPfSC_PS2_PT2_iSB_SB_.kd
    .uniform_work_group_size: 1
    .uses_dynamic_stack: false
    .vgpr_count:     51
    .vgpr_spill_count: 0
    .wavefront_size: 32
  - .args:
      - .actual_access:  read_only
        .address_space:  global
        .offset:         0
        .size:           8
        .value_kind:     global_buffer
      - .actual_access:  read_only
        .address_space:  global
        .offset:         8
        .size:           8
        .value_kind:     global_buffer
      - .actual_access:  read_only
        .address_space:  global
        .offset:         16
        .size:           8
        .value_kind:     global_buffer
      - .offset:         24
        .size:           4
        .value_kind:     by_value
      - .offset:         28
        .size:           4
        .value_kind:     by_value
      - .actual_access:  read_only
        .address_space:  global
        .offset:         32
        .size:           8
        .value_kind:     global_buffer
      - .actual_access:  read_only
        .address_space:  global
        .offset:         40
        .size:           8
        .value_kind:     global_buffer
      - .actual_access:  read_only
        .address_space:  global
        .offset:         48
        .size:           8
        .value_kind:     global_buffer
      - .offset:         56
        .size:           4
        .value_kind:     by_value
      - .actual_access:  read_only
        .address_space:  global
        .offset:         64
        .size:           8
        .value_kind:     global_buffer
      - .offset:         72
        .size:           4
        .value_kind:     by_value
      - .offset:         76
        .size:           4
        .value_kind:     by_value
      - .offset:         80
        .size:           4
        .value_kind:     by_value
      - .actual_access:  read_only
        .address_space:  global
        .offset:         88
        .size:           8
        .value_kind:     global_buffer
      - .actual_access:  read_only
        .address_space:  global
        .offset:         96
        .size:           8
        .value_kind:     global_buffer
      - .actual_access:  read_only
        .address_space:  global
        .offset:         104
        .size:           8
        .value_kind:     global_buffer
      - .actual_access:  read_only
        .address_space:  global
        .offset:         112
        .size:           8
        .value_kind:     global_buffer
      - .offset:         120
        .size:           4
        .value_kind:     by_value
      - .address_space:  global
        .offset:         128
        .size:           8
        .value_kind:     global_buffer
      - .address_space:  global
        .offset:         136
        .size:           8
        .value_kind:     global_buffer
      - .offset:         144
        .size:           4
        .value_kind:     hidden_block_count_x
      - .offset:         148
        .size:           4
        .value_kind:     hidden_block_count_y
      - .offset:         152
        .size:           4
        .value_kind:     hidden_block_count_z
      - .offset:         156
        .size:           2
        .value_kind:     hidden_group_size_x
      - .offset:         158
        .size:           2
        .value_kind:     hidden_group_size_y
      - .offset:         160
        .size:           2
        .value_kind:     hidden_group_size_z
      - .offset:         162
        .size:           2
        .value_kind:     hidden_remainder_x
      - .offset:         164
        .size:           2
        .value_kind:     hidden_remainder_y
      - .offset:         166
        .size:           2
        .value_kind:     hidden_remainder_z
      - .offset:         184
        .size:           8
        .value_kind:     hidden_global_offset_x
      - .offset:         192
        .size:           8
        .value_kind:     hidden_global_offset_y
      - .offset:         200
        .size:           8
        .value_kind:     hidden_global_offset_z
      - .offset:         208
        .size:           2
        .value_kind:     hidden_grid_dims
      - .offset:         224
        .size:           8
        .value_kind:     hidden_hostcall_buffer
    .group_segment_fixed_size: 0
    .kernarg_segment_align: 8
    .kernarg_segment_size: 400
    .language:       OpenCL C
    .language_version:
      - 2
      - 0
    .max_flat_workgroup_size: 256
    .name:           _Z39paged_attention_ll4mi_QKV_mfma16_kernelIDF16_hLN4vllm18Fp8KVCacheDataTypeE1EDF16_Li16ELi64ELi256ELb0ELi12EEvPKT_PKT0_S7_ifPKiS9_S9_iPKfiiiPfSC_PS2_PT2_iSB_SB_
    .private_segment_fixed_size: 64
    .sgpr_count:     36
    .sgpr_spill_count: 0
    .symbol:         _Z39paged_attention_ll4mi_QKV_mfma16_kernelIDF16_hLN4vllm18Fp8KVCacheDataTypeE1EDF16_Li16ELi64ELi256ELb0ELi12EEvPKT_PKT0_S7_ifPKiS9_S9_iPKfiiiPfSC_PS2_PT2_iSB_SB_.kd
    .uniform_work_group_size: 1
    .uses_dynamic_stack: false
    .vgpr_count:     51
    .vgpr_spill_count: 0
    .wavefront_size: 32
  - .args:
      - .actual_access:  read_only
        .address_space:  global
        .offset:         0
        .size:           8
        .value_kind:     global_buffer
      - .actual_access:  read_only
        .address_space:  global
        .offset:         8
        .size:           8
        .value_kind:     global_buffer
      - .actual_access:  read_only
        .address_space:  global
        .offset:         16
        .size:           8
        .value_kind:     global_buffer
      - .offset:         24
        .size:           4
        .value_kind:     by_value
      - .offset:         28
        .size:           4
        .value_kind:     by_value
      - .actual_access:  read_only
        .address_space:  global
        .offset:         32
        .size:           8
        .value_kind:     global_buffer
      - .actual_access:  read_only
        .address_space:  global
        .offset:         40
        .size:           8
        .value_kind:     global_buffer
      - .actual_access:  read_only
        .address_space:  global
        .offset:         48
        .size:           8
        .value_kind:     global_buffer
      - .offset:         56
        .size:           4
        .value_kind:     by_value
      - .actual_access:  read_only
        .address_space:  global
        .offset:         64
        .size:           8
        .value_kind:     global_buffer
      - .offset:         72
        .size:           4
        .value_kind:     by_value
      - .offset:         76
        .size:           4
        .value_kind:     by_value
      - .offset:         80
        .size:           4
        .value_kind:     by_value
      - .actual_access:  read_only
        .address_space:  global
        .offset:         88
        .size:           8
        .value_kind:     global_buffer
      - .actual_access:  read_only
        .address_space:  global
        .offset:         96
        .size:           8
        .value_kind:     global_buffer
      - .actual_access:  read_only
        .address_space:  global
        .offset:         104
        .size:           8
        .value_kind:     global_buffer
      - .actual_access:  read_only
        .address_space:  global
        .offset:         112
        .size:           8
        .value_kind:     global_buffer
      - .offset:         120
        .size:           4
        .value_kind:     by_value
      - .address_space:  global
        .offset:         128
        .size:           8
        .value_kind:     global_buffer
      - .address_space:  global
        .offset:         136
        .size:           8
        .value_kind:     global_buffer
      - .offset:         144
        .size:           4
        .value_kind:     hidden_block_count_x
      - .offset:         148
        .size:           4
        .value_kind:     hidden_block_count_y
      - .offset:         152
        .size:           4
        .value_kind:     hidden_block_count_z
      - .offset:         156
        .size:           2
        .value_kind:     hidden_group_size_x
      - .offset:         158
        .size:           2
        .value_kind:     hidden_group_size_y
      - .offset:         160
        .size:           2
        .value_kind:     hidden_group_size_z
      - .offset:         162
        .size:           2
        .value_kind:     hidden_remainder_x
      - .offset:         164
        .size:           2
        .value_kind:     hidden_remainder_y
      - .offset:         166
        .size:           2
        .value_kind:     hidden_remainder_z
      - .offset:         184
        .size:           8
        .value_kind:     hidden_global_offset_x
      - .offset:         192
        .size:           8
        .value_kind:     hidden_global_offset_y
      - .offset:         200
        .size:           8
        .value_kind:     hidden_global_offset_z
      - .offset:         208
        .size:           2
        .value_kind:     hidden_grid_dims
      - .offset:         224
        .size:           8
        .value_kind:     hidden_hostcall_buffer
    .group_segment_fixed_size: 0
    .kernarg_segment_align: 8
    .kernarg_segment_size: 400
    .language:       OpenCL C
    .language_version:
      - 2
      - 0
    .max_flat_workgroup_size: 256
    .name:           _Z39paged_attention_ll4mi_QKV_mfma16_kernelIDF16_hLN4vllm18Fp8KVCacheDataTypeE1EDF16_Li16ELi64ELi256ELb0ELi13EEvPKT_PKT0_S7_ifPKiS9_S9_iPKfiiiPfSC_PS2_PT2_iSB_SB_
    .private_segment_fixed_size: 64
    .sgpr_count:     36
    .sgpr_spill_count: 0
    .symbol:         _Z39paged_attention_ll4mi_QKV_mfma16_kernelIDF16_hLN4vllm18Fp8KVCacheDataTypeE1EDF16_Li16ELi64ELi256ELb0ELi13EEvPKT_PKT0_S7_ifPKiS9_S9_iPKfiiiPfSC_PS2_PT2_iSB_SB_.kd
    .uniform_work_group_size: 1
    .uses_dynamic_stack: false
    .vgpr_count:     51
    .vgpr_spill_count: 0
    .wavefront_size: 32
  - .args:
      - .actual_access:  read_only
        .address_space:  global
        .offset:         0
        .size:           8
        .value_kind:     global_buffer
      - .actual_access:  read_only
        .address_space:  global
        .offset:         8
        .size:           8
        .value_kind:     global_buffer
      - .actual_access:  read_only
        .address_space:  global
        .offset:         16
        .size:           8
        .value_kind:     global_buffer
      - .offset:         24
        .size:           4
        .value_kind:     by_value
      - .offset:         28
        .size:           4
        .value_kind:     by_value
      - .actual_access:  read_only
        .address_space:  global
        .offset:         32
        .size:           8
        .value_kind:     global_buffer
      - .actual_access:  read_only
        .address_space:  global
        .offset:         40
        .size:           8
        .value_kind:     global_buffer
      - .actual_access:  read_only
        .address_space:  global
        .offset:         48
        .size:           8
        .value_kind:     global_buffer
      - .offset:         56
        .size:           4
        .value_kind:     by_value
      - .actual_access:  read_only
        .address_space:  global
        .offset:         64
        .size:           8
        .value_kind:     global_buffer
      - .offset:         72
        .size:           4
        .value_kind:     by_value
      - .offset:         76
        .size:           4
        .value_kind:     by_value
      - .offset:         80
        .size:           4
        .value_kind:     by_value
      - .actual_access:  read_only
        .address_space:  global
        .offset:         88
        .size:           8
        .value_kind:     global_buffer
      - .actual_access:  read_only
        .address_space:  global
        .offset:         96
        .size:           8
        .value_kind:     global_buffer
      - .actual_access:  read_only
        .address_space:  global
        .offset:         104
        .size:           8
        .value_kind:     global_buffer
      - .actual_access:  read_only
        .address_space:  global
        .offset:         112
        .size:           8
        .value_kind:     global_buffer
      - .offset:         120
        .size:           4
        .value_kind:     by_value
      - .address_space:  global
        .offset:         128
        .size:           8
        .value_kind:     global_buffer
      - .address_space:  global
        .offset:         136
        .size:           8
        .value_kind:     global_buffer
      - .offset:         144
        .size:           4
        .value_kind:     hidden_block_count_x
      - .offset:         148
        .size:           4
        .value_kind:     hidden_block_count_y
      - .offset:         152
        .size:           4
        .value_kind:     hidden_block_count_z
      - .offset:         156
        .size:           2
        .value_kind:     hidden_group_size_x
      - .offset:         158
        .size:           2
        .value_kind:     hidden_group_size_y
      - .offset:         160
        .size:           2
        .value_kind:     hidden_group_size_z
      - .offset:         162
        .size:           2
        .value_kind:     hidden_remainder_x
      - .offset:         164
        .size:           2
        .value_kind:     hidden_remainder_y
      - .offset:         166
        .size:           2
        .value_kind:     hidden_remainder_z
      - .offset:         184
        .size:           8
        .value_kind:     hidden_global_offset_x
      - .offset:         192
        .size:           8
        .value_kind:     hidden_global_offset_y
      - .offset:         200
        .size:           8
        .value_kind:     hidden_global_offset_z
      - .offset:         208
        .size:           2
        .value_kind:     hidden_grid_dims
      - .offset:         224
        .size:           8
        .value_kind:     hidden_hostcall_buffer
    .group_segment_fixed_size: 0
    .kernarg_segment_align: 8
    .kernarg_segment_size: 400
    .language:       OpenCL C
    .language_version:
      - 2
      - 0
    .max_flat_workgroup_size: 256
    .name:           _Z39paged_attention_ll4mi_QKV_mfma16_kernelIDF16_hLN4vllm18Fp8KVCacheDataTypeE1EDF16_Li16ELi64ELi256ELb0ELi14EEvPKT_PKT0_S7_ifPKiS9_S9_iPKfiiiPfSC_PS2_PT2_iSB_SB_
    .private_segment_fixed_size: 64
    .sgpr_count:     36
    .sgpr_spill_count: 0
    .symbol:         _Z39paged_attention_ll4mi_QKV_mfma16_kernelIDF16_hLN4vllm18Fp8KVCacheDataTypeE1EDF16_Li16ELi64ELi256ELb0ELi14EEvPKT_PKT0_S7_ifPKiS9_S9_iPKfiiiPfSC_PS2_PT2_iSB_SB_.kd
    .uniform_work_group_size: 1
    .uses_dynamic_stack: false
    .vgpr_count:     51
    .vgpr_spill_count: 0
    .wavefront_size: 32
  - .args:
      - .actual_access:  read_only
        .address_space:  global
        .offset:         0
        .size:           8
        .value_kind:     global_buffer
      - .actual_access:  read_only
        .address_space:  global
        .offset:         8
        .size:           8
        .value_kind:     global_buffer
      - .actual_access:  read_only
        .address_space:  global
        .offset:         16
        .size:           8
        .value_kind:     global_buffer
      - .offset:         24
        .size:           4
        .value_kind:     by_value
      - .offset:         28
        .size:           4
        .value_kind:     by_value
      - .actual_access:  read_only
        .address_space:  global
        .offset:         32
        .size:           8
        .value_kind:     global_buffer
      - .actual_access:  read_only
        .address_space:  global
        .offset:         40
        .size:           8
        .value_kind:     global_buffer
      - .actual_access:  read_only
        .address_space:  global
        .offset:         48
        .size:           8
        .value_kind:     global_buffer
      - .offset:         56
        .size:           4
        .value_kind:     by_value
      - .actual_access:  read_only
        .address_space:  global
        .offset:         64
        .size:           8
        .value_kind:     global_buffer
      - .offset:         72
        .size:           4
        .value_kind:     by_value
      - .offset:         76
        .size:           4
        .value_kind:     by_value
      - .offset:         80
        .size:           4
        .value_kind:     by_value
      - .actual_access:  read_only
        .address_space:  global
        .offset:         88
        .size:           8
        .value_kind:     global_buffer
      - .actual_access:  read_only
        .address_space:  global
        .offset:         96
        .size:           8
        .value_kind:     global_buffer
      - .actual_access:  read_only
        .address_space:  global
        .offset:         104
        .size:           8
        .value_kind:     global_buffer
      - .actual_access:  read_only
        .address_space:  global
        .offset:         112
        .size:           8
        .value_kind:     global_buffer
      - .offset:         120
        .size:           4
        .value_kind:     by_value
      - .address_space:  global
        .offset:         128
        .size:           8
        .value_kind:     global_buffer
      - .address_space:  global
        .offset:         136
        .size:           8
        .value_kind:     global_buffer
      - .offset:         144
        .size:           4
        .value_kind:     hidden_block_count_x
      - .offset:         148
        .size:           4
        .value_kind:     hidden_block_count_y
      - .offset:         152
        .size:           4
        .value_kind:     hidden_block_count_z
      - .offset:         156
        .size:           2
        .value_kind:     hidden_group_size_x
      - .offset:         158
        .size:           2
        .value_kind:     hidden_group_size_y
      - .offset:         160
        .size:           2
        .value_kind:     hidden_group_size_z
      - .offset:         162
        .size:           2
        .value_kind:     hidden_remainder_x
      - .offset:         164
        .size:           2
        .value_kind:     hidden_remainder_y
      - .offset:         166
        .size:           2
        .value_kind:     hidden_remainder_z
      - .offset:         184
        .size:           8
        .value_kind:     hidden_global_offset_x
      - .offset:         192
        .size:           8
        .value_kind:     hidden_global_offset_y
      - .offset:         200
        .size:           8
        .value_kind:     hidden_global_offset_z
      - .offset:         208
        .size:           2
        .value_kind:     hidden_grid_dims
      - .offset:         224
        .size:           8
        .value_kind:     hidden_hostcall_buffer
    .group_segment_fixed_size: 0
    .kernarg_segment_align: 8
    .kernarg_segment_size: 400
    .language:       OpenCL C
    .language_version:
      - 2
      - 0
    .max_flat_workgroup_size: 256
    .name:           _Z39paged_attention_ll4mi_QKV_mfma16_kernelIDF16_hLN4vllm18Fp8KVCacheDataTypeE1EDF16_Li16ELi64ELi256ELb0ELi15EEvPKT_PKT0_S7_ifPKiS9_S9_iPKfiiiPfSC_PS2_PT2_iSB_SB_
    .private_segment_fixed_size: 64
    .sgpr_count:     36
    .sgpr_spill_count: 0
    .symbol:         _Z39paged_attention_ll4mi_QKV_mfma16_kernelIDF16_hLN4vllm18Fp8KVCacheDataTypeE1EDF16_Li16ELi64ELi256ELb0ELi15EEvPKT_PKT0_S7_ifPKiS9_S9_iPKfiiiPfSC_PS2_PT2_iSB_SB_.kd
    .uniform_work_group_size: 1
    .uses_dynamic_stack: false
    .vgpr_count:     51
    .vgpr_spill_count: 0
    .wavefront_size: 32
  - .args:
      - .actual_access:  read_only
        .address_space:  global
        .offset:         0
        .size:           8
        .value_kind:     global_buffer
      - .actual_access:  read_only
        .address_space:  global
        .offset:         8
        .size:           8
        .value_kind:     global_buffer
      - .actual_access:  read_only
        .address_space:  global
        .offset:         16
        .size:           8
        .value_kind:     global_buffer
      - .offset:         24
        .size:           4
        .value_kind:     by_value
      - .offset:         28
        .size:           4
        .value_kind:     by_value
      - .actual_access:  read_only
        .address_space:  global
        .offset:         32
        .size:           8
        .value_kind:     global_buffer
      - .actual_access:  read_only
        .address_space:  global
        .offset:         40
        .size:           8
        .value_kind:     global_buffer
      - .actual_access:  read_only
        .address_space:  global
        .offset:         48
        .size:           8
        .value_kind:     global_buffer
      - .offset:         56
        .size:           4
        .value_kind:     by_value
      - .actual_access:  read_only
        .address_space:  global
        .offset:         64
        .size:           8
        .value_kind:     global_buffer
      - .offset:         72
        .size:           4
        .value_kind:     by_value
      - .offset:         76
        .size:           4
        .value_kind:     by_value
      - .offset:         80
        .size:           4
        .value_kind:     by_value
      - .actual_access:  read_only
        .address_space:  global
        .offset:         88
        .size:           8
        .value_kind:     global_buffer
      - .actual_access:  read_only
        .address_space:  global
        .offset:         96
        .size:           8
        .value_kind:     global_buffer
      - .actual_access:  read_only
        .address_space:  global
        .offset:         104
        .size:           8
        .value_kind:     global_buffer
      - .actual_access:  read_only
        .address_space:  global
        .offset:         112
        .size:           8
        .value_kind:     global_buffer
      - .offset:         120
        .size:           4
        .value_kind:     by_value
      - .address_space:  global
        .offset:         128
        .size:           8
        .value_kind:     global_buffer
      - .address_space:  global
        .offset:         136
        .size:           8
        .value_kind:     global_buffer
      - .offset:         144
        .size:           4
        .value_kind:     hidden_block_count_x
      - .offset:         148
        .size:           4
        .value_kind:     hidden_block_count_y
      - .offset:         152
        .size:           4
        .value_kind:     hidden_block_count_z
      - .offset:         156
        .size:           2
        .value_kind:     hidden_group_size_x
      - .offset:         158
        .size:           2
        .value_kind:     hidden_group_size_y
      - .offset:         160
        .size:           2
        .value_kind:     hidden_group_size_z
      - .offset:         162
        .size:           2
        .value_kind:     hidden_remainder_x
      - .offset:         164
        .size:           2
        .value_kind:     hidden_remainder_y
      - .offset:         166
        .size:           2
        .value_kind:     hidden_remainder_z
      - .offset:         184
        .size:           8
        .value_kind:     hidden_global_offset_x
      - .offset:         192
        .size:           8
        .value_kind:     hidden_global_offset_y
      - .offset:         200
        .size:           8
        .value_kind:     hidden_global_offset_z
      - .offset:         208
        .size:           2
        .value_kind:     hidden_grid_dims
      - .offset:         224
        .size:           8
        .value_kind:     hidden_hostcall_buffer
    .group_segment_fixed_size: 0
    .kernarg_segment_align: 8
    .kernarg_segment_size: 400
    .language:       OpenCL C
    .language_version:
      - 2
      - 0
    .max_flat_workgroup_size: 256
    .name:           _Z39paged_attention_ll4mi_QKV_mfma16_kernelIDF16_hLN4vllm18Fp8KVCacheDataTypeE1EDF16_Li16ELi64ELi256ELb0ELi16EEvPKT_PKT0_S7_ifPKiS9_S9_iPKfiiiPfSC_PS2_PT2_iSB_SB_
    .private_segment_fixed_size: 64
    .sgpr_count:     36
    .sgpr_spill_count: 0
    .symbol:         _Z39paged_attention_ll4mi_QKV_mfma16_kernelIDF16_hLN4vllm18Fp8KVCacheDataTypeE1EDF16_Li16ELi64ELi256ELb0ELi16EEvPKT_PKT0_S7_ifPKiS9_S9_iPKfiiiPfSC_PS2_PT2_iSB_SB_.kd
    .uniform_work_group_size: 1
    .uses_dynamic_stack: false
    .vgpr_count:     51
    .vgpr_spill_count: 0
    .wavefront_size: 32
  - .args:
      - .actual_access:  read_only
        .address_space:  global
        .offset:         0
        .size:           8
        .value_kind:     global_buffer
      - .actual_access:  read_only
        .address_space:  global
        .offset:         8
        .size:           8
        .value_kind:     global_buffer
      - .actual_access:  read_only
        .address_space:  global
        .offset:         16
        .size:           8
        .value_kind:     global_buffer
      - .offset:         24
        .size:           4
        .value_kind:     by_value
      - .offset:         28
        .size:           4
        .value_kind:     by_value
      - .actual_access:  read_only
        .address_space:  global
        .offset:         32
        .size:           8
        .value_kind:     global_buffer
      - .actual_access:  read_only
        .address_space:  global
        .offset:         40
        .size:           8
        .value_kind:     global_buffer
      - .actual_access:  read_only
        .address_space:  global
        .offset:         48
        .size:           8
        .value_kind:     global_buffer
      - .offset:         56
        .size:           4
        .value_kind:     by_value
      - .actual_access:  read_only
        .address_space:  global
        .offset:         64
        .size:           8
        .value_kind:     global_buffer
      - .offset:         72
        .size:           4
        .value_kind:     by_value
      - .offset:         76
        .size:           4
        .value_kind:     by_value
      - .offset:         80
        .size:           4
        .value_kind:     by_value
      - .actual_access:  read_only
        .address_space:  global
        .offset:         88
        .size:           8
        .value_kind:     global_buffer
      - .actual_access:  read_only
        .address_space:  global
        .offset:         96
        .size:           8
        .value_kind:     global_buffer
      - .actual_access:  read_only
        .address_space:  global
        .offset:         104
        .size:           8
        .value_kind:     global_buffer
      - .actual_access:  read_only
        .address_space:  global
        .offset:         112
        .size:           8
        .value_kind:     global_buffer
      - .offset:         120
        .size:           4
        .value_kind:     by_value
      - .address_space:  global
        .offset:         128
        .size:           8
        .value_kind:     global_buffer
      - .address_space:  global
        .offset:         136
        .size:           8
        .value_kind:     global_buffer
      - .offset:         144
        .size:           4
        .value_kind:     hidden_block_count_x
      - .offset:         148
        .size:           4
        .value_kind:     hidden_block_count_y
      - .offset:         152
        .size:           4
        .value_kind:     hidden_block_count_z
      - .offset:         156
        .size:           2
        .value_kind:     hidden_group_size_x
      - .offset:         158
        .size:           2
        .value_kind:     hidden_group_size_y
      - .offset:         160
        .size:           2
        .value_kind:     hidden_group_size_z
      - .offset:         162
        .size:           2
        .value_kind:     hidden_remainder_x
      - .offset:         164
        .size:           2
        .value_kind:     hidden_remainder_y
      - .offset:         166
        .size:           2
        .value_kind:     hidden_remainder_z
      - .offset:         184
        .size:           8
        .value_kind:     hidden_global_offset_x
      - .offset:         192
        .size:           8
        .value_kind:     hidden_global_offset_y
      - .offset:         200
        .size:           8
        .value_kind:     hidden_global_offset_z
      - .offset:         208
        .size:           2
        .value_kind:     hidden_grid_dims
      - .offset:         224
        .size:           8
        .value_kind:     hidden_hostcall_buffer
    .group_segment_fixed_size: 0
    .kernarg_segment_align: 8
    .kernarg_segment_size: 400
    .language:       OpenCL C
    .language_version:
      - 2
      - 0
    .max_flat_workgroup_size: 256
    .name:           _Z39paged_attention_ll4mi_QKV_mfma16_kernelIDF16_hLN4vllm18Fp8KVCacheDataTypeE1EDF16_Li16ELi64ELi256ELb0ELi1EEvPKT_PKT0_S7_ifPKiS9_S9_iPKfiiiPfSC_PS2_PT2_iSB_SB_
    .private_segment_fixed_size: 64
    .sgpr_count:     36
    .sgpr_spill_count: 0
    .symbol:         _Z39paged_attention_ll4mi_QKV_mfma16_kernelIDF16_hLN4vllm18Fp8KVCacheDataTypeE1EDF16_Li16ELi64ELi256ELb0ELi1EEvPKT_PKT0_S7_ifPKiS9_S9_iPKfiiiPfSC_PS2_PT2_iSB_SB_.kd
    .uniform_work_group_size: 1
    .uses_dynamic_stack: false
    .vgpr_count:     51
    .vgpr_spill_count: 0
    .wavefront_size: 32
  - .args:
      - .actual_access:  read_only
        .address_space:  global
        .offset:         0
        .size:           8
        .value_kind:     global_buffer
      - .actual_access:  read_only
        .address_space:  global
        .offset:         8
        .size:           8
        .value_kind:     global_buffer
      - .actual_access:  read_only
        .address_space:  global
        .offset:         16
        .size:           8
        .value_kind:     global_buffer
      - .offset:         24
        .size:           4
        .value_kind:     by_value
      - .offset:         28
        .size:           4
        .value_kind:     by_value
      - .actual_access:  read_only
        .address_space:  global
        .offset:         32
        .size:           8
        .value_kind:     global_buffer
      - .actual_access:  read_only
        .address_space:  global
        .offset:         40
        .size:           8
        .value_kind:     global_buffer
      - .actual_access:  read_only
        .address_space:  global
        .offset:         48
        .size:           8
        .value_kind:     global_buffer
      - .offset:         56
        .size:           4
        .value_kind:     by_value
      - .actual_access:  read_only
        .address_space:  global
        .offset:         64
        .size:           8
        .value_kind:     global_buffer
      - .offset:         72
        .size:           4
        .value_kind:     by_value
      - .offset:         76
        .size:           4
        .value_kind:     by_value
      - .offset:         80
        .size:           4
        .value_kind:     by_value
      - .actual_access:  read_only
        .address_space:  global
        .offset:         88
        .size:           8
        .value_kind:     global_buffer
      - .actual_access:  read_only
        .address_space:  global
        .offset:         96
        .size:           8
        .value_kind:     global_buffer
      - .actual_access:  read_only
        .address_space:  global
        .offset:         104
        .size:           8
        .value_kind:     global_buffer
      - .actual_access:  read_only
        .address_space:  global
        .offset:         112
        .size:           8
        .value_kind:     global_buffer
      - .offset:         120
        .size:           4
        .value_kind:     by_value
      - .address_space:  global
        .offset:         128
        .size:           8
        .value_kind:     global_buffer
      - .address_space:  global
        .offset:         136
        .size:           8
        .value_kind:     global_buffer
      - .offset:         144
        .size:           4
        .value_kind:     hidden_block_count_x
      - .offset:         148
        .size:           4
        .value_kind:     hidden_block_count_y
      - .offset:         152
        .size:           4
        .value_kind:     hidden_block_count_z
      - .offset:         156
        .size:           2
        .value_kind:     hidden_group_size_x
      - .offset:         158
        .size:           2
        .value_kind:     hidden_group_size_y
      - .offset:         160
        .size:           2
        .value_kind:     hidden_group_size_z
      - .offset:         162
        .size:           2
        .value_kind:     hidden_remainder_x
      - .offset:         164
        .size:           2
        .value_kind:     hidden_remainder_y
      - .offset:         166
        .size:           2
        .value_kind:     hidden_remainder_z
      - .offset:         184
        .size:           8
        .value_kind:     hidden_global_offset_x
      - .offset:         192
        .size:           8
        .value_kind:     hidden_global_offset_y
      - .offset:         200
        .size:           8
        .value_kind:     hidden_global_offset_z
      - .offset:         208
        .size:           2
        .value_kind:     hidden_grid_dims
      - .offset:         224
        .size:           8
        .value_kind:     hidden_hostcall_buffer
    .group_segment_fixed_size: 0
    .kernarg_segment_align: 8
    .kernarg_segment_size: 400
    .language:       OpenCL C
    .language_version:
      - 2
      - 0
    .max_flat_workgroup_size: 256
    .name:           _Z39paged_attention_ll4mi_QKV_mfma16_kernelIDF16_hLN4vllm18Fp8KVCacheDataTypeE1EDF16_Li16ELi64ELi256ELb0ELi2EEvPKT_PKT0_S7_ifPKiS9_S9_iPKfiiiPfSC_PS2_PT2_iSB_SB_
    .private_segment_fixed_size: 64
    .sgpr_count:     36
    .sgpr_spill_count: 0
    .symbol:         _Z39paged_attention_ll4mi_QKV_mfma16_kernelIDF16_hLN4vllm18Fp8KVCacheDataTypeE1EDF16_Li16ELi64ELi256ELb0ELi2EEvPKT_PKT0_S7_ifPKiS9_S9_iPKfiiiPfSC_PS2_PT2_iSB_SB_.kd
    .uniform_work_group_size: 1
    .uses_dynamic_stack: false
    .vgpr_count:     51
    .vgpr_spill_count: 0
    .wavefront_size: 32
  - .args:
      - .actual_access:  read_only
        .address_space:  global
        .offset:         0
        .size:           8
        .value_kind:     global_buffer
      - .actual_access:  read_only
        .address_space:  global
        .offset:         8
        .size:           8
        .value_kind:     global_buffer
      - .actual_access:  read_only
        .address_space:  global
        .offset:         16
        .size:           8
        .value_kind:     global_buffer
      - .offset:         24
        .size:           4
        .value_kind:     by_value
      - .offset:         28
        .size:           4
        .value_kind:     by_value
      - .actual_access:  read_only
        .address_space:  global
        .offset:         32
        .size:           8
        .value_kind:     global_buffer
      - .actual_access:  read_only
        .address_space:  global
        .offset:         40
        .size:           8
        .value_kind:     global_buffer
      - .actual_access:  read_only
        .address_space:  global
        .offset:         48
        .size:           8
        .value_kind:     global_buffer
      - .offset:         56
        .size:           4
        .value_kind:     by_value
      - .actual_access:  read_only
        .address_space:  global
        .offset:         64
        .size:           8
        .value_kind:     global_buffer
      - .offset:         72
        .size:           4
        .value_kind:     by_value
      - .offset:         76
        .size:           4
        .value_kind:     by_value
      - .offset:         80
        .size:           4
        .value_kind:     by_value
      - .actual_access:  read_only
        .address_space:  global
        .offset:         88
        .size:           8
        .value_kind:     global_buffer
      - .actual_access:  read_only
        .address_space:  global
        .offset:         96
        .size:           8
        .value_kind:     global_buffer
      - .actual_access:  read_only
        .address_space:  global
        .offset:         104
        .size:           8
        .value_kind:     global_buffer
      - .actual_access:  read_only
        .address_space:  global
        .offset:         112
        .size:           8
        .value_kind:     global_buffer
      - .offset:         120
        .size:           4
        .value_kind:     by_value
      - .address_space:  global
        .offset:         128
        .size:           8
        .value_kind:     global_buffer
      - .address_space:  global
        .offset:         136
        .size:           8
        .value_kind:     global_buffer
      - .offset:         144
        .size:           4
        .value_kind:     hidden_block_count_x
      - .offset:         148
        .size:           4
        .value_kind:     hidden_block_count_y
      - .offset:         152
        .size:           4
        .value_kind:     hidden_block_count_z
      - .offset:         156
        .size:           2
        .value_kind:     hidden_group_size_x
      - .offset:         158
        .size:           2
        .value_kind:     hidden_group_size_y
      - .offset:         160
        .size:           2
        .value_kind:     hidden_group_size_z
      - .offset:         162
        .size:           2
        .value_kind:     hidden_remainder_x
      - .offset:         164
        .size:           2
        .value_kind:     hidden_remainder_y
      - .offset:         166
        .size:           2
        .value_kind:     hidden_remainder_z
      - .offset:         184
        .size:           8
        .value_kind:     hidden_global_offset_x
      - .offset:         192
        .size:           8
        .value_kind:     hidden_global_offset_y
      - .offset:         200
        .size:           8
        .value_kind:     hidden_global_offset_z
      - .offset:         208
        .size:           2
        .value_kind:     hidden_grid_dims
      - .offset:         224
        .size:           8
        .value_kind:     hidden_hostcall_buffer
    .group_segment_fixed_size: 0
    .kernarg_segment_align: 8
    .kernarg_segment_size: 400
    .language:       OpenCL C
    .language_version:
      - 2
      - 0
    .max_flat_workgroup_size: 256
    .name:           _Z39paged_attention_ll4mi_QKV_mfma16_kernelIDF16_hLN4vllm18Fp8KVCacheDataTypeE1EDF16_Li16ELi64ELi256ELb0ELi3EEvPKT_PKT0_S7_ifPKiS9_S9_iPKfiiiPfSC_PS2_PT2_iSB_SB_
    .private_segment_fixed_size: 64
    .sgpr_count:     36
    .sgpr_spill_count: 0
    .symbol:         _Z39paged_attention_ll4mi_QKV_mfma16_kernelIDF16_hLN4vllm18Fp8KVCacheDataTypeE1EDF16_Li16ELi64ELi256ELb0ELi3EEvPKT_PKT0_S7_ifPKiS9_S9_iPKfiiiPfSC_PS2_PT2_iSB_SB_.kd
    .uniform_work_group_size: 1
    .uses_dynamic_stack: false
    .vgpr_count:     51
    .vgpr_spill_count: 0
    .wavefront_size: 32
  - .args:
      - .actual_access:  read_only
        .address_space:  global
        .offset:         0
        .size:           8
        .value_kind:     global_buffer
      - .actual_access:  read_only
        .address_space:  global
        .offset:         8
        .size:           8
        .value_kind:     global_buffer
      - .actual_access:  read_only
        .address_space:  global
        .offset:         16
        .size:           8
        .value_kind:     global_buffer
      - .offset:         24
        .size:           4
        .value_kind:     by_value
      - .offset:         28
        .size:           4
        .value_kind:     by_value
      - .actual_access:  read_only
        .address_space:  global
        .offset:         32
        .size:           8
        .value_kind:     global_buffer
      - .actual_access:  read_only
        .address_space:  global
        .offset:         40
        .size:           8
        .value_kind:     global_buffer
      - .actual_access:  read_only
        .address_space:  global
        .offset:         48
        .size:           8
        .value_kind:     global_buffer
      - .offset:         56
        .size:           4
        .value_kind:     by_value
      - .actual_access:  read_only
        .address_space:  global
        .offset:         64
        .size:           8
        .value_kind:     global_buffer
      - .offset:         72
        .size:           4
        .value_kind:     by_value
      - .offset:         76
        .size:           4
        .value_kind:     by_value
      - .offset:         80
        .size:           4
        .value_kind:     by_value
      - .actual_access:  read_only
        .address_space:  global
        .offset:         88
        .size:           8
        .value_kind:     global_buffer
      - .actual_access:  read_only
        .address_space:  global
        .offset:         96
        .size:           8
        .value_kind:     global_buffer
      - .actual_access:  read_only
        .address_space:  global
        .offset:         104
        .size:           8
        .value_kind:     global_buffer
      - .actual_access:  read_only
        .address_space:  global
        .offset:         112
        .size:           8
        .value_kind:     global_buffer
      - .offset:         120
        .size:           4
        .value_kind:     by_value
      - .address_space:  global
        .offset:         128
        .size:           8
        .value_kind:     global_buffer
      - .address_space:  global
        .offset:         136
        .size:           8
        .value_kind:     global_buffer
      - .offset:         144
        .size:           4
        .value_kind:     hidden_block_count_x
      - .offset:         148
        .size:           4
        .value_kind:     hidden_block_count_y
      - .offset:         152
        .size:           4
        .value_kind:     hidden_block_count_z
      - .offset:         156
        .size:           2
        .value_kind:     hidden_group_size_x
      - .offset:         158
        .size:           2
        .value_kind:     hidden_group_size_y
      - .offset:         160
        .size:           2
        .value_kind:     hidden_group_size_z
      - .offset:         162
        .size:           2
        .value_kind:     hidden_remainder_x
      - .offset:         164
        .size:           2
        .value_kind:     hidden_remainder_y
      - .offset:         166
        .size:           2
        .value_kind:     hidden_remainder_z
      - .offset:         184
        .size:           8
        .value_kind:     hidden_global_offset_x
      - .offset:         192
        .size:           8
        .value_kind:     hidden_global_offset_y
      - .offset:         200
        .size:           8
        .value_kind:     hidden_global_offset_z
      - .offset:         208
        .size:           2
        .value_kind:     hidden_grid_dims
      - .offset:         224
        .size:           8
        .value_kind:     hidden_hostcall_buffer
    .group_segment_fixed_size: 0
    .kernarg_segment_align: 8
    .kernarg_segment_size: 400
    .language:       OpenCL C
    .language_version:
      - 2
      - 0
    .max_flat_workgroup_size: 256
    .name:           _Z39paged_attention_ll4mi_QKV_mfma16_kernelIDF16_hLN4vllm18Fp8KVCacheDataTypeE1EDF16_Li16ELi64ELi256ELb0ELi4EEvPKT_PKT0_S7_ifPKiS9_S9_iPKfiiiPfSC_PS2_PT2_iSB_SB_
    .private_segment_fixed_size: 64
    .sgpr_count:     36
    .sgpr_spill_count: 0
    .symbol:         _Z39paged_attention_ll4mi_QKV_mfma16_kernelIDF16_hLN4vllm18Fp8KVCacheDataTypeE1EDF16_Li16ELi64ELi256ELb0ELi4EEvPKT_PKT0_S7_ifPKiS9_S9_iPKfiiiPfSC_PS2_PT2_iSB_SB_.kd
    .uniform_work_group_size: 1
    .uses_dynamic_stack: false
    .vgpr_count:     51
    .vgpr_spill_count: 0
    .wavefront_size: 32
  - .args:
      - .actual_access:  read_only
        .address_space:  global
        .offset:         0
        .size:           8
        .value_kind:     global_buffer
      - .actual_access:  read_only
        .address_space:  global
        .offset:         8
        .size:           8
        .value_kind:     global_buffer
      - .actual_access:  read_only
        .address_space:  global
        .offset:         16
        .size:           8
        .value_kind:     global_buffer
      - .offset:         24
        .size:           4
        .value_kind:     by_value
      - .offset:         28
        .size:           4
        .value_kind:     by_value
      - .actual_access:  read_only
        .address_space:  global
        .offset:         32
        .size:           8
        .value_kind:     global_buffer
      - .actual_access:  read_only
        .address_space:  global
        .offset:         40
        .size:           8
        .value_kind:     global_buffer
      - .actual_access:  read_only
        .address_space:  global
        .offset:         48
        .size:           8
        .value_kind:     global_buffer
      - .offset:         56
        .size:           4
        .value_kind:     by_value
      - .actual_access:  read_only
        .address_space:  global
        .offset:         64
        .size:           8
        .value_kind:     global_buffer
      - .offset:         72
        .size:           4
        .value_kind:     by_value
      - .offset:         76
        .size:           4
        .value_kind:     by_value
      - .offset:         80
        .size:           4
        .value_kind:     by_value
      - .actual_access:  read_only
        .address_space:  global
        .offset:         88
        .size:           8
        .value_kind:     global_buffer
      - .actual_access:  read_only
        .address_space:  global
        .offset:         96
        .size:           8
        .value_kind:     global_buffer
      - .actual_access:  read_only
        .address_space:  global
        .offset:         104
        .size:           8
        .value_kind:     global_buffer
      - .actual_access:  read_only
        .address_space:  global
        .offset:         112
        .size:           8
        .value_kind:     global_buffer
      - .offset:         120
        .size:           4
        .value_kind:     by_value
      - .address_space:  global
        .offset:         128
        .size:           8
        .value_kind:     global_buffer
      - .address_space:  global
        .offset:         136
        .size:           8
        .value_kind:     global_buffer
      - .offset:         144
        .size:           4
        .value_kind:     hidden_block_count_x
      - .offset:         148
        .size:           4
        .value_kind:     hidden_block_count_y
      - .offset:         152
        .size:           4
        .value_kind:     hidden_block_count_z
      - .offset:         156
        .size:           2
        .value_kind:     hidden_group_size_x
      - .offset:         158
        .size:           2
        .value_kind:     hidden_group_size_y
      - .offset:         160
        .size:           2
        .value_kind:     hidden_group_size_z
      - .offset:         162
        .size:           2
        .value_kind:     hidden_remainder_x
      - .offset:         164
        .size:           2
        .value_kind:     hidden_remainder_y
      - .offset:         166
        .size:           2
        .value_kind:     hidden_remainder_z
      - .offset:         184
        .size:           8
        .value_kind:     hidden_global_offset_x
      - .offset:         192
        .size:           8
        .value_kind:     hidden_global_offset_y
      - .offset:         200
        .size:           8
        .value_kind:     hidden_global_offset_z
      - .offset:         208
        .size:           2
        .value_kind:     hidden_grid_dims
      - .offset:         224
        .size:           8
        .value_kind:     hidden_hostcall_buffer
    .group_segment_fixed_size: 0
    .kernarg_segment_align: 8
    .kernarg_segment_size: 400
    .language:       OpenCL C
    .language_version:
      - 2
      - 0
    .max_flat_workgroup_size: 256
    .name:           _Z38paged_attention_ll4mi_QKV_mfma4_kernelIDF16_hLN4vllm18Fp8KVCacheDataTypeE1EhLi32ELi64ELi256ELb1ELi1EEvPKT_PKT0_S7_ifPKiS9_S9_iPKfiiiPfSC_PS2_PT2_iSB_SB_
    .private_segment_fixed_size: 64
    .sgpr_count:     36
    .sgpr_spill_count: 0
    .symbol:         _Z38paged_attention_ll4mi_QKV_mfma4_kernelIDF16_hLN4vllm18Fp8KVCacheDataTypeE1EhLi32ELi64ELi256ELb1ELi1EEvPKT_PKT0_S7_ifPKiS9_S9_iPKfiiiPfSC_PS2_PT2_iSB_SB_.kd
    .uniform_work_group_size: 1
    .uses_dynamic_stack: false
    .vgpr_count:     51
    .vgpr_spill_count: 0
    .wavefront_size: 32
  - .args:
      - .actual_access:  read_only
        .address_space:  global
        .offset:         0
        .size:           8
        .value_kind:     global_buffer
      - .actual_access:  read_only
        .address_space:  global
        .offset:         8
        .size:           8
        .value_kind:     global_buffer
      - .actual_access:  read_only
        .address_space:  global
        .offset:         16
        .size:           8
        .value_kind:     global_buffer
      - .offset:         24
        .size:           4
        .value_kind:     by_value
      - .offset:         28
        .size:           4
        .value_kind:     by_value
      - .actual_access:  read_only
        .address_space:  global
        .offset:         32
        .size:           8
        .value_kind:     global_buffer
      - .actual_access:  read_only
        .address_space:  global
        .offset:         40
        .size:           8
        .value_kind:     global_buffer
      - .actual_access:  read_only
        .address_space:  global
        .offset:         48
        .size:           8
        .value_kind:     global_buffer
      - .offset:         56
        .size:           4
        .value_kind:     by_value
      - .actual_access:  read_only
        .address_space:  global
        .offset:         64
        .size:           8
        .value_kind:     global_buffer
      - .offset:         72
        .size:           4
        .value_kind:     by_value
      - .offset:         76
        .size:           4
        .value_kind:     by_value
      - .offset:         80
        .size:           4
        .value_kind:     by_value
      - .actual_access:  read_only
        .address_space:  global
        .offset:         88
        .size:           8
        .value_kind:     global_buffer
      - .actual_access:  read_only
        .address_space:  global
        .offset:         96
        .size:           8
        .value_kind:     global_buffer
      - .actual_access:  read_only
        .address_space:  global
        .offset:         104
        .size:           8
        .value_kind:     global_buffer
      - .actual_access:  read_only
        .address_space:  global
        .offset:         112
        .size:           8
        .value_kind:     global_buffer
      - .offset:         120
        .size:           4
        .value_kind:     by_value
      - .address_space:  global
        .offset:         128
        .size:           8
        .value_kind:     global_buffer
      - .address_space:  global
        .offset:         136
        .size:           8
        .value_kind:     global_buffer
      - .offset:         144
        .size:           4
        .value_kind:     hidden_block_count_x
      - .offset:         148
        .size:           4
        .value_kind:     hidden_block_count_y
      - .offset:         152
        .size:           4
        .value_kind:     hidden_block_count_z
      - .offset:         156
        .size:           2
        .value_kind:     hidden_group_size_x
      - .offset:         158
        .size:           2
        .value_kind:     hidden_group_size_y
      - .offset:         160
        .size:           2
        .value_kind:     hidden_group_size_z
      - .offset:         162
        .size:           2
        .value_kind:     hidden_remainder_x
      - .offset:         164
        .size:           2
        .value_kind:     hidden_remainder_y
      - .offset:         166
        .size:           2
        .value_kind:     hidden_remainder_z
      - .offset:         184
        .size:           8
        .value_kind:     hidden_global_offset_x
      - .offset:         192
        .size:           8
        .value_kind:     hidden_global_offset_y
      - .offset:         200
        .size:           8
        .value_kind:     hidden_global_offset_z
      - .offset:         208
        .size:           2
        .value_kind:     hidden_grid_dims
      - .offset:         224
        .size:           8
        .value_kind:     hidden_hostcall_buffer
    .group_segment_fixed_size: 0
    .kernarg_segment_align: 8
    .kernarg_segment_size: 400
    .language:       OpenCL C
    .language_version:
      - 2
      - 0
    .max_flat_workgroup_size: 256
    .name:           _Z38paged_attention_ll4mi_QKV_mfma4_kernelIDF16_hLN4vllm18Fp8KVCacheDataTypeE1EhLi32ELi64ELi256ELb1ELi2EEvPKT_PKT0_S7_ifPKiS9_S9_iPKfiiiPfSC_PS2_PT2_iSB_SB_
    .private_segment_fixed_size: 64
    .sgpr_count:     36
    .sgpr_spill_count: 0
    .symbol:         _Z38paged_attention_ll4mi_QKV_mfma4_kernelIDF16_hLN4vllm18Fp8KVCacheDataTypeE1EhLi32ELi64ELi256ELb1ELi2EEvPKT_PKT0_S7_ifPKiS9_S9_iPKfiiiPfSC_PS2_PT2_iSB_SB_.kd
    .uniform_work_group_size: 1
    .uses_dynamic_stack: false
    .vgpr_count:     51
    .vgpr_spill_count: 0
    .wavefront_size: 32
  - .args:
      - .actual_access:  read_only
        .address_space:  global
        .offset:         0
        .size:           8
        .value_kind:     global_buffer
      - .actual_access:  read_only
        .address_space:  global
        .offset:         8
        .size:           8
        .value_kind:     global_buffer
      - .actual_access:  read_only
        .address_space:  global
        .offset:         16
        .size:           8
        .value_kind:     global_buffer
      - .offset:         24
        .size:           4
        .value_kind:     by_value
      - .offset:         28
        .size:           4
        .value_kind:     by_value
      - .actual_access:  read_only
        .address_space:  global
        .offset:         32
        .size:           8
        .value_kind:     global_buffer
      - .actual_access:  read_only
        .address_space:  global
        .offset:         40
        .size:           8
        .value_kind:     global_buffer
      - .actual_access:  read_only
        .address_space:  global
        .offset:         48
        .size:           8
        .value_kind:     global_buffer
      - .offset:         56
        .size:           4
        .value_kind:     by_value
      - .actual_access:  read_only
        .address_space:  global
        .offset:         64
        .size:           8
        .value_kind:     global_buffer
      - .offset:         72
        .size:           4
        .value_kind:     by_value
      - .offset:         76
        .size:           4
        .value_kind:     by_value
      - .offset:         80
        .size:           4
        .value_kind:     by_value
      - .actual_access:  read_only
        .address_space:  global
        .offset:         88
        .size:           8
        .value_kind:     global_buffer
      - .actual_access:  read_only
        .address_space:  global
        .offset:         96
        .size:           8
        .value_kind:     global_buffer
      - .actual_access:  read_only
        .address_space:  global
        .offset:         104
        .size:           8
        .value_kind:     global_buffer
      - .actual_access:  read_only
        .address_space:  global
        .offset:         112
        .size:           8
        .value_kind:     global_buffer
      - .offset:         120
        .size:           4
        .value_kind:     by_value
      - .address_space:  global
        .offset:         128
        .size:           8
        .value_kind:     global_buffer
      - .address_space:  global
        .offset:         136
        .size:           8
        .value_kind:     global_buffer
      - .offset:         144
        .size:           4
        .value_kind:     hidden_block_count_x
      - .offset:         148
        .size:           4
        .value_kind:     hidden_block_count_y
      - .offset:         152
        .size:           4
        .value_kind:     hidden_block_count_z
      - .offset:         156
        .size:           2
        .value_kind:     hidden_group_size_x
      - .offset:         158
        .size:           2
        .value_kind:     hidden_group_size_y
      - .offset:         160
        .size:           2
        .value_kind:     hidden_group_size_z
      - .offset:         162
        .size:           2
        .value_kind:     hidden_remainder_x
      - .offset:         164
        .size:           2
        .value_kind:     hidden_remainder_y
      - .offset:         166
        .size:           2
        .value_kind:     hidden_remainder_z
      - .offset:         184
        .size:           8
        .value_kind:     hidden_global_offset_x
      - .offset:         192
        .size:           8
        .value_kind:     hidden_global_offset_y
      - .offset:         200
        .size:           8
        .value_kind:     hidden_global_offset_z
      - .offset:         208
        .size:           2
        .value_kind:     hidden_grid_dims
      - .offset:         224
        .size:           8
        .value_kind:     hidden_hostcall_buffer
    .group_segment_fixed_size: 0
    .kernarg_segment_align: 8
    .kernarg_segment_size: 400
    .language:       OpenCL C
    .language_version:
      - 2
      - 0
    .max_flat_workgroup_size: 256
    .name:           _Z38paged_attention_ll4mi_QKV_mfma4_kernelIDF16_hLN4vllm18Fp8KVCacheDataTypeE1EhLi32ELi64ELi256ELb1ELi3EEvPKT_PKT0_S7_ifPKiS9_S9_iPKfiiiPfSC_PS2_PT2_iSB_SB_
    .private_segment_fixed_size: 64
    .sgpr_count:     36
    .sgpr_spill_count: 0
    .symbol:         _Z38paged_attention_ll4mi_QKV_mfma4_kernelIDF16_hLN4vllm18Fp8KVCacheDataTypeE1EhLi32ELi64ELi256ELb1ELi3EEvPKT_PKT0_S7_ifPKiS9_S9_iPKfiiiPfSC_PS2_PT2_iSB_SB_.kd
    .uniform_work_group_size: 1
    .uses_dynamic_stack: false
    .vgpr_count:     51
    .vgpr_spill_count: 0
    .wavefront_size: 32
  - .args:
      - .actual_access:  read_only
        .address_space:  global
        .offset:         0
        .size:           8
        .value_kind:     global_buffer
      - .actual_access:  read_only
        .address_space:  global
        .offset:         8
        .size:           8
        .value_kind:     global_buffer
      - .actual_access:  read_only
        .address_space:  global
        .offset:         16
        .size:           8
        .value_kind:     global_buffer
      - .offset:         24
        .size:           4
        .value_kind:     by_value
      - .offset:         28
        .size:           4
        .value_kind:     by_value
      - .actual_access:  read_only
        .address_space:  global
        .offset:         32
        .size:           8
        .value_kind:     global_buffer
      - .actual_access:  read_only
        .address_space:  global
        .offset:         40
        .size:           8
        .value_kind:     global_buffer
      - .actual_access:  read_only
        .address_space:  global
        .offset:         48
        .size:           8
        .value_kind:     global_buffer
      - .offset:         56
        .size:           4
        .value_kind:     by_value
      - .actual_access:  read_only
        .address_space:  global
        .offset:         64
        .size:           8
        .value_kind:     global_buffer
      - .offset:         72
        .size:           4
        .value_kind:     by_value
      - .offset:         76
        .size:           4
        .value_kind:     by_value
      - .offset:         80
        .size:           4
        .value_kind:     by_value
      - .actual_access:  read_only
        .address_space:  global
        .offset:         88
        .size:           8
        .value_kind:     global_buffer
      - .actual_access:  read_only
        .address_space:  global
        .offset:         96
        .size:           8
        .value_kind:     global_buffer
      - .actual_access:  read_only
        .address_space:  global
        .offset:         104
        .size:           8
        .value_kind:     global_buffer
      - .actual_access:  read_only
        .address_space:  global
        .offset:         112
        .size:           8
        .value_kind:     global_buffer
      - .offset:         120
        .size:           4
        .value_kind:     by_value
      - .address_space:  global
        .offset:         128
        .size:           8
        .value_kind:     global_buffer
      - .address_space:  global
        .offset:         136
        .size:           8
        .value_kind:     global_buffer
      - .offset:         144
        .size:           4
        .value_kind:     hidden_block_count_x
      - .offset:         148
        .size:           4
        .value_kind:     hidden_block_count_y
      - .offset:         152
        .size:           4
        .value_kind:     hidden_block_count_z
      - .offset:         156
        .size:           2
        .value_kind:     hidden_group_size_x
      - .offset:         158
        .size:           2
        .value_kind:     hidden_group_size_y
      - .offset:         160
        .size:           2
        .value_kind:     hidden_group_size_z
      - .offset:         162
        .size:           2
        .value_kind:     hidden_remainder_x
      - .offset:         164
        .size:           2
        .value_kind:     hidden_remainder_y
      - .offset:         166
        .size:           2
        .value_kind:     hidden_remainder_z
      - .offset:         184
        .size:           8
        .value_kind:     hidden_global_offset_x
      - .offset:         192
        .size:           8
        .value_kind:     hidden_global_offset_y
      - .offset:         200
        .size:           8
        .value_kind:     hidden_global_offset_z
      - .offset:         208
        .size:           2
        .value_kind:     hidden_grid_dims
      - .offset:         224
        .size:           8
        .value_kind:     hidden_hostcall_buffer
    .group_segment_fixed_size: 0
    .kernarg_segment_align: 8
    .kernarg_segment_size: 400
    .language:       OpenCL C
    .language_version:
      - 2
      - 0
    .max_flat_workgroup_size: 256
    .name:           _Z38paged_attention_ll4mi_QKV_mfma4_kernelIDF16_hLN4vllm18Fp8KVCacheDataTypeE1EhLi32ELi64ELi256ELb1ELi4EEvPKT_PKT0_S7_ifPKiS9_S9_iPKfiiiPfSC_PS2_PT2_iSB_SB_
    .private_segment_fixed_size: 64
    .sgpr_count:     36
    .sgpr_spill_count: 0
    .symbol:         _Z38paged_attention_ll4mi_QKV_mfma4_kernelIDF16_hLN4vllm18Fp8KVCacheDataTypeE1EhLi32ELi64ELi256ELb1ELi4EEvPKT_PKT0_S7_ifPKiS9_S9_iPKfiiiPfSC_PS2_PT2_iSB_SB_.kd
    .uniform_work_group_size: 1
    .uses_dynamic_stack: false
    .vgpr_count:     51
    .vgpr_spill_count: 0
    .wavefront_size: 32
  - .args:
      - .actual_access:  read_only
        .address_space:  global
        .offset:         0
        .size:           8
        .value_kind:     global_buffer
      - .actual_access:  read_only
        .address_space:  global
        .offset:         8
        .size:           8
        .value_kind:     global_buffer
      - .actual_access:  read_only
        .address_space:  global
        .offset:         16
        .size:           8
        .value_kind:     global_buffer
      - .offset:         24
        .size:           4
        .value_kind:     by_value
      - .offset:         28
        .size:           4
        .value_kind:     by_value
      - .actual_access:  read_only
        .address_space:  global
        .offset:         32
        .size:           8
        .value_kind:     global_buffer
      - .actual_access:  read_only
        .address_space:  global
        .offset:         40
        .size:           8
        .value_kind:     global_buffer
      - .actual_access:  read_only
        .address_space:  global
        .offset:         48
        .size:           8
        .value_kind:     global_buffer
      - .offset:         56
        .size:           4
        .value_kind:     by_value
      - .actual_access:  read_only
        .address_space:  global
        .offset:         64
        .size:           8
        .value_kind:     global_buffer
      - .offset:         72
        .size:           4
        .value_kind:     by_value
      - .offset:         76
        .size:           4
        .value_kind:     by_value
      - .offset:         80
        .size:           4
        .value_kind:     by_value
      - .actual_access:  read_only
        .address_space:  global
        .offset:         88
        .size:           8
        .value_kind:     global_buffer
      - .actual_access:  read_only
        .address_space:  global
        .offset:         96
        .size:           8
        .value_kind:     global_buffer
      - .actual_access:  read_only
        .address_space:  global
        .offset:         104
        .size:           8
        .value_kind:     global_buffer
      - .actual_access:  read_only
        .address_space:  global
        .offset:         112
        .size:           8
        .value_kind:     global_buffer
      - .offset:         120
        .size:           4
        .value_kind:     by_value
      - .address_space:  global
        .offset:         128
        .size:           8
        .value_kind:     global_buffer
      - .address_space:  global
        .offset:         136
        .size:           8
        .value_kind:     global_buffer
      - .offset:         144
        .size:           4
        .value_kind:     hidden_block_count_x
      - .offset:         148
        .size:           4
        .value_kind:     hidden_block_count_y
      - .offset:         152
        .size:           4
        .value_kind:     hidden_block_count_z
      - .offset:         156
        .size:           2
        .value_kind:     hidden_group_size_x
      - .offset:         158
        .size:           2
        .value_kind:     hidden_group_size_y
      - .offset:         160
        .size:           2
        .value_kind:     hidden_group_size_z
      - .offset:         162
        .size:           2
        .value_kind:     hidden_remainder_x
      - .offset:         164
        .size:           2
        .value_kind:     hidden_remainder_y
      - .offset:         166
        .size:           2
        .value_kind:     hidden_remainder_z
      - .offset:         184
        .size:           8
        .value_kind:     hidden_global_offset_x
      - .offset:         192
        .size:           8
        .value_kind:     hidden_global_offset_y
      - .offset:         200
        .size:           8
        .value_kind:     hidden_global_offset_z
      - .offset:         208
        .size:           2
        .value_kind:     hidden_grid_dims
      - .offset:         224
        .size:           8
        .value_kind:     hidden_hostcall_buffer
    .group_segment_fixed_size: 0
    .kernarg_segment_align: 8
    .kernarg_segment_size: 400
    .language:       OpenCL C
    .language_version:
      - 2
      - 0
    .max_flat_workgroup_size: 256
    .name:           _Z39paged_attention_ll4mi_QKV_mfma16_kernelIDF16_hLN4vllm18Fp8KVCacheDataTypeE1EhLi32ELi64ELi256ELb1ELi5EEvPKT_PKT0_S7_ifPKiS9_S9_iPKfiiiPfSC_PS2_PT2_iSB_SB_
    .private_segment_fixed_size: 64
    .sgpr_count:     36
    .sgpr_spill_count: 0
    .symbol:         _Z39paged_attention_ll4mi_QKV_mfma16_kernelIDF16_hLN4vllm18Fp8KVCacheDataTypeE1EhLi32ELi64ELi256ELb1ELi5EEvPKT_PKT0_S7_ifPKiS9_S9_iPKfiiiPfSC_PS2_PT2_iSB_SB_.kd
    .uniform_work_group_size: 1
    .uses_dynamic_stack: false
    .vgpr_count:     51
    .vgpr_spill_count: 0
    .wavefront_size: 32
  - .args:
      - .actual_access:  read_only
        .address_space:  global
        .offset:         0
        .size:           8
        .value_kind:     global_buffer
      - .actual_access:  read_only
        .address_space:  global
        .offset:         8
        .size:           8
        .value_kind:     global_buffer
      - .actual_access:  read_only
        .address_space:  global
        .offset:         16
        .size:           8
        .value_kind:     global_buffer
      - .offset:         24
        .size:           4
        .value_kind:     by_value
      - .offset:         28
        .size:           4
        .value_kind:     by_value
      - .actual_access:  read_only
        .address_space:  global
        .offset:         32
        .size:           8
        .value_kind:     global_buffer
      - .actual_access:  read_only
        .address_space:  global
        .offset:         40
        .size:           8
        .value_kind:     global_buffer
      - .actual_access:  read_only
        .address_space:  global
        .offset:         48
        .size:           8
        .value_kind:     global_buffer
      - .offset:         56
        .size:           4
        .value_kind:     by_value
      - .actual_access:  read_only
        .address_space:  global
        .offset:         64
        .size:           8
        .value_kind:     global_buffer
      - .offset:         72
        .size:           4
        .value_kind:     by_value
      - .offset:         76
        .size:           4
        .value_kind:     by_value
      - .offset:         80
        .size:           4
        .value_kind:     by_value
      - .actual_access:  read_only
        .address_space:  global
        .offset:         88
        .size:           8
        .value_kind:     global_buffer
      - .actual_access:  read_only
        .address_space:  global
        .offset:         96
        .size:           8
        .value_kind:     global_buffer
      - .actual_access:  read_only
        .address_space:  global
        .offset:         104
        .size:           8
        .value_kind:     global_buffer
      - .actual_access:  read_only
        .address_space:  global
        .offset:         112
        .size:           8
        .value_kind:     global_buffer
      - .offset:         120
        .size:           4
        .value_kind:     by_value
      - .address_space:  global
        .offset:         128
        .size:           8
        .value_kind:     global_buffer
      - .address_space:  global
        .offset:         136
        .size:           8
        .value_kind:     global_buffer
      - .offset:         144
        .size:           4
        .value_kind:     hidden_block_count_x
      - .offset:         148
        .size:           4
        .value_kind:     hidden_block_count_y
      - .offset:         152
        .size:           4
        .value_kind:     hidden_block_count_z
      - .offset:         156
        .size:           2
        .value_kind:     hidden_group_size_x
      - .offset:         158
        .size:           2
        .value_kind:     hidden_group_size_y
      - .offset:         160
        .size:           2
        .value_kind:     hidden_group_size_z
      - .offset:         162
        .size:           2
        .value_kind:     hidden_remainder_x
      - .offset:         164
        .size:           2
        .value_kind:     hidden_remainder_y
      - .offset:         166
        .size:           2
        .value_kind:     hidden_remainder_z
      - .offset:         184
        .size:           8
        .value_kind:     hidden_global_offset_x
      - .offset:         192
        .size:           8
        .value_kind:     hidden_global_offset_y
      - .offset:         200
        .size:           8
        .value_kind:     hidden_global_offset_z
      - .offset:         208
        .size:           2
        .value_kind:     hidden_grid_dims
      - .offset:         224
        .size:           8
        .value_kind:     hidden_hostcall_buffer
    .group_segment_fixed_size: 0
    .kernarg_segment_align: 8
    .kernarg_segment_size: 400
    .language:       OpenCL C
    .language_version:
      - 2
      - 0
    .max_flat_workgroup_size: 256
    .name:           _Z39paged_attention_ll4mi_QKV_mfma16_kernelIDF16_hLN4vllm18Fp8KVCacheDataTypeE1EhLi32ELi64ELi256ELb1ELi6EEvPKT_PKT0_S7_ifPKiS9_S9_iPKfiiiPfSC_PS2_PT2_iSB_SB_
    .private_segment_fixed_size: 64
    .sgpr_count:     36
    .sgpr_spill_count: 0
    .symbol:         _Z39paged_attention_ll4mi_QKV_mfma16_kernelIDF16_hLN4vllm18Fp8KVCacheDataTypeE1EhLi32ELi64ELi256ELb1ELi6EEvPKT_PKT0_S7_ifPKiS9_S9_iPKfiiiPfSC_PS2_PT2_iSB_SB_.kd
    .uniform_work_group_size: 1
    .uses_dynamic_stack: false
    .vgpr_count:     51
    .vgpr_spill_count: 0
    .wavefront_size: 32
  - .args:
      - .actual_access:  read_only
        .address_space:  global
        .offset:         0
        .size:           8
        .value_kind:     global_buffer
      - .actual_access:  read_only
        .address_space:  global
        .offset:         8
        .size:           8
        .value_kind:     global_buffer
      - .actual_access:  read_only
        .address_space:  global
        .offset:         16
        .size:           8
        .value_kind:     global_buffer
      - .offset:         24
        .size:           4
        .value_kind:     by_value
      - .offset:         28
        .size:           4
        .value_kind:     by_value
      - .actual_access:  read_only
        .address_space:  global
        .offset:         32
        .size:           8
        .value_kind:     global_buffer
      - .actual_access:  read_only
        .address_space:  global
        .offset:         40
        .size:           8
        .value_kind:     global_buffer
      - .actual_access:  read_only
        .address_space:  global
        .offset:         48
        .size:           8
        .value_kind:     global_buffer
      - .offset:         56
        .size:           4
        .value_kind:     by_value
      - .actual_access:  read_only
        .address_space:  global
        .offset:         64
        .size:           8
        .value_kind:     global_buffer
      - .offset:         72
        .size:           4
        .value_kind:     by_value
      - .offset:         76
        .size:           4
        .value_kind:     by_value
      - .offset:         80
        .size:           4
        .value_kind:     by_value
      - .actual_access:  read_only
        .address_space:  global
        .offset:         88
        .size:           8
        .value_kind:     global_buffer
      - .actual_access:  read_only
        .address_space:  global
        .offset:         96
        .size:           8
        .value_kind:     global_buffer
      - .actual_access:  read_only
        .address_space:  global
        .offset:         104
        .size:           8
        .value_kind:     global_buffer
      - .actual_access:  read_only
        .address_space:  global
        .offset:         112
        .size:           8
        .value_kind:     global_buffer
      - .offset:         120
        .size:           4
        .value_kind:     by_value
      - .address_space:  global
        .offset:         128
        .size:           8
        .value_kind:     global_buffer
      - .address_space:  global
        .offset:         136
        .size:           8
        .value_kind:     global_buffer
      - .offset:         144
        .size:           4
        .value_kind:     hidden_block_count_x
      - .offset:         148
        .size:           4
        .value_kind:     hidden_block_count_y
      - .offset:         152
        .size:           4
        .value_kind:     hidden_block_count_z
      - .offset:         156
        .size:           2
        .value_kind:     hidden_group_size_x
      - .offset:         158
        .size:           2
        .value_kind:     hidden_group_size_y
      - .offset:         160
        .size:           2
        .value_kind:     hidden_group_size_z
      - .offset:         162
        .size:           2
        .value_kind:     hidden_remainder_x
      - .offset:         164
        .size:           2
        .value_kind:     hidden_remainder_y
      - .offset:         166
        .size:           2
        .value_kind:     hidden_remainder_z
      - .offset:         184
        .size:           8
        .value_kind:     hidden_global_offset_x
      - .offset:         192
        .size:           8
        .value_kind:     hidden_global_offset_y
      - .offset:         200
        .size:           8
        .value_kind:     hidden_global_offset_z
      - .offset:         208
        .size:           2
        .value_kind:     hidden_grid_dims
      - .offset:         224
        .size:           8
        .value_kind:     hidden_hostcall_buffer
    .group_segment_fixed_size: 0
    .kernarg_segment_align: 8
    .kernarg_segment_size: 400
    .language:       OpenCL C
    .language_version:
      - 2
      - 0
    .max_flat_workgroup_size: 256
    .name:           _Z39paged_attention_ll4mi_QKV_mfma16_kernelIDF16_hLN4vllm18Fp8KVCacheDataTypeE1EhLi32ELi64ELi256ELb1ELi7EEvPKT_PKT0_S7_ifPKiS9_S9_iPKfiiiPfSC_PS2_PT2_iSB_SB_
    .private_segment_fixed_size: 64
    .sgpr_count:     36
    .sgpr_spill_count: 0
    .symbol:         _Z39paged_attention_ll4mi_QKV_mfma16_kernelIDF16_hLN4vllm18Fp8KVCacheDataTypeE1EhLi32ELi64ELi256ELb1ELi7EEvPKT_PKT0_S7_ifPKiS9_S9_iPKfiiiPfSC_PS2_PT2_iSB_SB_.kd
    .uniform_work_group_size: 1
    .uses_dynamic_stack: false
    .vgpr_count:     51
    .vgpr_spill_count: 0
    .wavefront_size: 32
  - .args:
      - .actual_access:  read_only
        .address_space:  global
        .offset:         0
        .size:           8
        .value_kind:     global_buffer
      - .actual_access:  read_only
        .address_space:  global
        .offset:         8
        .size:           8
        .value_kind:     global_buffer
      - .actual_access:  read_only
        .address_space:  global
        .offset:         16
        .size:           8
        .value_kind:     global_buffer
      - .offset:         24
        .size:           4
        .value_kind:     by_value
      - .offset:         28
        .size:           4
        .value_kind:     by_value
      - .actual_access:  read_only
        .address_space:  global
        .offset:         32
        .size:           8
        .value_kind:     global_buffer
      - .actual_access:  read_only
        .address_space:  global
        .offset:         40
        .size:           8
        .value_kind:     global_buffer
      - .actual_access:  read_only
        .address_space:  global
        .offset:         48
        .size:           8
        .value_kind:     global_buffer
      - .offset:         56
        .size:           4
        .value_kind:     by_value
      - .actual_access:  read_only
        .address_space:  global
        .offset:         64
        .size:           8
        .value_kind:     global_buffer
      - .offset:         72
        .size:           4
        .value_kind:     by_value
      - .offset:         76
        .size:           4
        .value_kind:     by_value
      - .offset:         80
        .size:           4
        .value_kind:     by_value
      - .actual_access:  read_only
        .address_space:  global
        .offset:         88
        .size:           8
        .value_kind:     global_buffer
      - .actual_access:  read_only
        .address_space:  global
        .offset:         96
        .size:           8
        .value_kind:     global_buffer
      - .actual_access:  read_only
        .address_space:  global
        .offset:         104
        .size:           8
        .value_kind:     global_buffer
      - .actual_access:  read_only
        .address_space:  global
        .offset:         112
        .size:           8
        .value_kind:     global_buffer
      - .offset:         120
        .size:           4
        .value_kind:     by_value
      - .address_space:  global
        .offset:         128
        .size:           8
        .value_kind:     global_buffer
      - .address_space:  global
        .offset:         136
        .size:           8
        .value_kind:     global_buffer
      - .offset:         144
        .size:           4
        .value_kind:     hidden_block_count_x
      - .offset:         148
        .size:           4
        .value_kind:     hidden_block_count_y
      - .offset:         152
        .size:           4
        .value_kind:     hidden_block_count_z
      - .offset:         156
        .size:           2
        .value_kind:     hidden_group_size_x
      - .offset:         158
        .size:           2
        .value_kind:     hidden_group_size_y
      - .offset:         160
        .size:           2
        .value_kind:     hidden_group_size_z
      - .offset:         162
        .size:           2
        .value_kind:     hidden_remainder_x
      - .offset:         164
        .size:           2
        .value_kind:     hidden_remainder_y
      - .offset:         166
        .size:           2
        .value_kind:     hidden_remainder_z
      - .offset:         184
        .size:           8
        .value_kind:     hidden_global_offset_x
      - .offset:         192
        .size:           8
        .value_kind:     hidden_global_offset_y
      - .offset:         200
        .size:           8
        .value_kind:     hidden_global_offset_z
      - .offset:         208
        .size:           2
        .value_kind:     hidden_grid_dims
      - .offset:         224
        .size:           8
        .value_kind:     hidden_hostcall_buffer
    .group_segment_fixed_size: 0
    .kernarg_segment_align: 8
    .kernarg_segment_size: 400
    .language:       OpenCL C
    .language_version:
      - 2
      - 0
    .max_flat_workgroup_size: 256
    .name:           _Z39paged_attention_ll4mi_QKV_mfma16_kernelIDF16_hLN4vllm18Fp8KVCacheDataTypeE1EhLi32ELi64ELi256ELb1ELi8EEvPKT_PKT0_S7_ifPKiS9_S9_iPKfiiiPfSC_PS2_PT2_iSB_SB_
    .private_segment_fixed_size: 64
    .sgpr_count:     36
    .sgpr_spill_count: 0
    .symbol:         _Z39paged_attention_ll4mi_QKV_mfma16_kernelIDF16_hLN4vllm18Fp8KVCacheDataTypeE1EhLi32ELi64ELi256ELb1ELi8EEvPKT_PKT0_S7_ifPKiS9_S9_iPKfiiiPfSC_PS2_PT2_iSB_SB_.kd
    .uniform_work_group_size: 1
    .uses_dynamic_stack: false
    .vgpr_count:     51
    .vgpr_spill_count: 0
    .wavefront_size: 32
  - .args:
      - .actual_access:  read_only
        .address_space:  global
        .offset:         0
        .size:           8
        .value_kind:     global_buffer
      - .actual_access:  read_only
        .address_space:  global
        .offset:         8
        .size:           8
        .value_kind:     global_buffer
      - .actual_access:  read_only
        .address_space:  global
        .offset:         16
        .size:           8
        .value_kind:     global_buffer
      - .offset:         24
        .size:           4
        .value_kind:     by_value
      - .offset:         28
        .size:           4
        .value_kind:     by_value
      - .actual_access:  read_only
        .address_space:  global
        .offset:         32
        .size:           8
        .value_kind:     global_buffer
      - .actual_access:  read_only
        .address_space:  global
        .offset:         40
        .size:           8
        .value_kind:     global_buffer
      - .actual_access:  read_only
        .address_space:  global
        .offset:         48
        .size:           8
        .value_kind:     global_buffer
      - .offset:         56
        .size:           4
        .value_kind:     by_value
      - .actual_access:  read_only
        .address_space:  global
        .offset:         64
        .size:           8
        .value_kind:     global_buffer
      - .offset:         72
        .size:           4
        .value_kind:     by_value
      - .offset:         76
        .size:           4
        .value_kind:     by_value
      - .offset:         80
        .size:           4
        .value_kind:     by_value
      - .actual_access:  read_only
        .address_space:  global
        .offset:         88
        .size:           8
        .value_kind:     global_buffer
      - .actual_access:  read_only
        .address_space:  global
        .offset:         96
        .size:           8
        .value_kind:     global_buffer
      - .actual_access:  read_only
        .address_space:  global
        .offset:         104
        .size:           8
        .value_kind:     global_buffer
      - .actual_access:  read_only
        .address_space:  global
        .offset:         112
        .size:           8
        .value_kind:     global_buffer
      - .offset:         120
        .size:           4
        .value_kind:     by_value
      - .address_space:  global
        .offset:         128
        .size:           8
        .value_kind:     global_buffer
      - .address_space:  global
        .offset:         136
        .size:           8
        .value_kind:     global_buffer
      - .offset:         144
        .size:           4
        .value_kind:     hidden_block_count_x
      - .offset:         148
        .size:           4
        .value_kind:     hidden_block_count_y
      - .offset:         152
        .size:           4
        .value_kind:     hidden_block_count_z
      - .offset:         156
        .size:           2
        .value_kind:     hidden_group_size_x
      - .offset:         158
        .size:           2
        .value_kind:     hidden_group_size_y
      - .offset:         160
        .size:           2
        .value_kind:     hidden_group_size_z
      - .offset:         162
        .size:           2
        .value_kind:     hidden_remainder_x
      - .offset:         164
        .size:           2
        .value_kind:     hidden_remainder_y
      - .offset:         166
        .size:           2
        .value_kind:     hidden_remainder_z
      - .offset:         184
        .size:           8
        .value_kind:     hidden_global_offset_x
      - .offset:         192
        .size:           8
        .value_kind:     hidden_global_offset_y
      - .offset:         200
        .size:           8
        .value_kind:     hidden_global_offset_z
      - .offset:         208
        .size:           2
        .value_kind:     hidden_grid_dims
      - .offset:         224
        .size:           8
        .value_kind:     hidden_hostcall_buffer
    .group_segment_fixed_size: 0
    .kernarg_segment_align: 8
    .kernarg_segment_size: 400
    .language:       OpenCL C
    .language_version:
      - 2
      - 0
    .max_flat_workgroup_size: 256
    .name:           _Z39paged_attention_ll4mi_QKV_mfma16_kernelIDF16_hLN4vllm18Fp8KVCacheDataTypeE1EhLi32ELi64ELi256ELb1ELi9EEvPKT_PKT0_S7_ifPKiS9_S9_iPKfiiiPfSC_PS2_PT2_iSB_SB_
    .private_segment_fixed_size: 64
    .sgpr_count:     36
    .sgpr_spill_count: 0
    .symbol:         _Z39paged_attention_ll4mi_QKV_mfma16_kernelIDF16_hLN4vllm18Fp8KVCacheDataTypeE1EhLi32ELi64ELi256ELb1ELi9EEvPKT_PKT0_S7_ifPKiS9_S9_iPKfiiiPfSC_PS2_PT2_iSB_SB_.kd
    .uniform_work_group_size: 1
    .uses_dynamic_stack: false
    .vgpr_count:     51
    .vgpr_spill_count: 0
    .wavefront_size: 32
  - .args:
      - .actual_access:  read_only
        .address_space:  global
        .offset:         0
        .size:           8
        .value_kind:     global_buffer
      - .actual_access:  read_only
        .address_space:  global
        .offset:         8
        .size:           8
        .value_kind:     global_buffer
      - .actual_access:  read_only
        .address_space:  global
        .offset:         16
        .size:           8
        .value_kind:     global_buffer
      - .offset:         24
        .size:           4
        .value_kind:     by_value
      - .offset:         28
        .size:           4
        .value_kind:     by_value
      - .actual_access:  read_only
        .address_space:  global
        .offset:         32
        .size:           8
        .value_kind:     global_buffer
      - .actual_access:  read_only
        .address_space:  global
        .offset:         40
        .size:           8
        .value_kind:     global_buffer
      - .actual_access:  read_only
        .address_space:  global
        .offset:         48
        .size:           8
        .value_kind:     global_buffer
      - .offset:         56
        .size:           4
        .value_kind:     by_value
      - .actual_access:  read_only
        .address_space:  global
        .offset:         64
        .size:           8
        .value_kind:     global_buffer
      - .offset:         72
        .size:           4
        .value_kind:     by_value
      - .offset:         76
        .size:           4
        .value_kind:     by_value
      - .offset:         80
        .size:           4
        .value_kind:     by_value
      - .actual_access:  read_only
        .address_space:  global
        .offset:         88
        .size:           8
        .value_kind:     global_buffer
      - .actual_access:  read_only
        .address_space:  global
        .offset:         96
        .size:           8
        .value_kind:     global_buffer
      - .actual_access:  read_only
        .address_space:  global
        .offset:         104
        .size:           8
        .value_kind:     global_buffer
      - .actual_access:  read_only
        .address_space:  global
        .offset:         112
        .size:           8
        .value_kind:     global_buffer
      - .offset:         120
        .size:           4
        .value_kind:     by_value
      - .address_space:  global
        .offset:         128
        .size:           8
        .value_kind:     global_buffer
      - .address_space:  global
        .offset:         136
        .size:           8
        .value_kind:     global_buffer
      - .offset:         144
        .size:           4
        .value_kind:     hidden_block_count_x
      - .offset:         148
        .size:           4
        .value_kind:     hidden_block_count_y
      - .offset:         152
        .size:           4
        .value_kind:     hidden_block_count_z
      - .offset:         156
        .size:           2
        .value_kind:     hidden_group_size_x
      - .offset:         158
        .size:           2
        .value_kind:     hidden_group_size_y
      - .offset:         160
        .size:           2
        .value_kind:     hidden_group_size_z
      - .offset:         162
        .size:           2
        .value_kind:     hidden_remainder_x
      - .offset:         164
        .size:           2
        .value_kind:     hidden_remainder_y
      - .offset:         166
        .size:           2
        .value_kind:     hidden_remainder_z
      - .offset:         184
        .size:           8
        .value_kind:     hidden_global_offset_x
      - .offset:         192
        .size:           8
        .value_kind:     hidden_global_offset_y
      - .offset:         200
        .size:           8
        .value_kind:     hidden_global_offset_z
      - .offset:         208
        .size:           2
        .value_kind:     hidden_grid_dims
      - .offset:         224
        .size:           8
        .value_kind:     hidden_hostcall_buffer
    .group_segment_fixed_size: 0
    .kernarg_segment_align: 8
    .kernarg_segment_size: 400
    .language:       OpenCL C
    .language_version:
      - 2
      - 0
    .max_flat_workgroup_size: 256
    .name:           _Z39paged_attention_ll4mi_QKV_mfma16_kernelIDF16_hLN4vllm18Fp8KVCacheDataTypeE1EhLi32ELi64ELi256ELb1ELi10EEvPKT_PKT0_S7_ifPKiS9_S9_iPKfiiiPfSC_PS2_PT2_iSB_SB_
    .private_segment_fixed_size: 64
    .sgpr_count:     36
    .sgpr_spill_count: 0
    .symbol:         _Z39paged_attention_ll4mi_QKV_mfma16_kernelIDF16_hLN4vllm18Fp8KVCacheDataTypeE1EhLi32ELi64ELi256ELb1ELi10EEvPKT_PKT0_S7_ifPKiS9_S9_iPKfiiiPfSC_PS2_PT2_iSB_SB_.kd
    .uniform_work_group_size: 1
    .uses_dynamic_stack: false
    .vgpr_count:     51
    .vgpr_spill_count: 0
    .wavefront_size: 32
  - .args:
      - .actual_access:  read_only
        .address_space:  global
        .offset:         0
        .size:           8
        .value_kind:     global_buffer
      - .actual_access:  read_only
        .address_space:  global
        .offset:         8
        .size:           8
        .value_kind:     global_buffer
      - .actual_access:  read_only
        .address_space:  global
        .offset:         16
        .size:           8
        .value_kind:     global_buffer
      - .offset:         24
        .size:           4
        .value_kind:     by_value
      - .offset:         28
        .size:           4
        .value_kind:     by_value
      - .actual_access:  read_only
        .address_space:  global
        .offset:         32
        .size:           8
        .value_kind:     global_buffer
      - .actual_access:  read_only
        .address_space:  global
        .offset:         40
        .size:           8
        .value_kind:     global_buffer
      - .actual_access:  read_only
        .address_space:  global
        .offset:         48
        .size:           8
        .value_kind:     global_buffer
      - .offset:         56
        .size:           4
        .value_kind:     by_value
      - .actual_access:  read_only
        .address_space:  global
        .offset:         64
        .size:           8
        .value_kind:     global_buffer
      - .offset:         72
        .size:           4
        .value_kind:     by_value
      - .offset:         76
        .size:           4
        .value_kind:     by_value
      - .offset:         80
        .size:           4
        .value_kind:     by_value
      - .actual_access:  read_only
        .address_space:  global
        .offset:         88
        .size:           8
        .value_kind:     global_buffer
      - .actual_access:  read_only
        .address_space:  global
        .offset:         96
        .size:           8
        .value_kind:     global_buffer
      - .actual_access:  read_only
        .address_space:  global
        .offset:         104
        .size:           8
        .value_kind:     global_buffer
      - .actual_access:  read_only
        .address_space:  global
        .offset:         112
        .size:           8
        .value_kind:     global_buffer
      - .offset:         120
        .size:           4
        .value_kind:     by_value
      - .address_space:  global
        .offset:         128
        .size:           8
        .value_kind:     global_buffer
      - .address_space:  global
        .offset:         136
        .size:           8
        .value_kind:     global_buffer
      - .offset:         144
        .size:           4
        .value_kind:     hidden_block_count_x
      - .offset:         148
        .size:           4
        .value_kind:     hidden_block_count_y
      - .offset:         152
        .size:           4
        .value_kind:     hidden_block_count_z
      - .offset:         156
        .size:           2
        .value_kind:     hidden_group_size_x
      - .offset:         158
        .size:           2
        .value_kind:     hidden_group_size_y
      - .offset:         160
        .size:           2
        .value_kind:     hidden_group_size_z
      - .offset:         162
        .size:           2
        .value_kind:     hidden_remainder_x
      - .offset:         164
        .size:           2
        .value_kind:     hidden_remainder_y
      - .offset:         166
        .size:           2
        .value_kind:     hidden_remainder_z
      - .offset:         184
        .size:           8
        .value_kind:     hidden_global_offset_x
      - .offset:         192
        .size:           8
        .value_kind:     hidden_global_offset_y
      - .offset:         200
        .size:           8
        .value_kind:     hidden_global_offset_z
      - .offset:         208
        .size:           2
        .value_kind:     hidden_grid_dims
      - .offset:         224
        .size:           8
        .value_kind:     hidden_hostcall_buffer
    .group_segment_fixed_size: 0
    .kernarg_segment_align: 8
    .kernarg_segment_size: 400
    .language:       OpenCL C
    .language_version:
      - 2
      - 0
    .max_flat_workgroup_size: 256
    .name:           _Z39paged_attention_ll4mi_QKV_mfma16_kernelIDF16_hLN4vllm18Fp8KVCacheDataTypeE1EhLi32ELi64ELi256ELb1ELi11EEvPKT_PKT0_S7_ifPKiS9_S9_iPKfiiiPfSC_PS2_PT2_iSB_SB_
    .private_segment_fixed_size: 64
    .sgpr_count:     36
    .sgpr_spill_count: 0
    .symbol:         _Z39paged_attention_ll4mi_QKV_mfma16_kernelIDF16_hLN4vllm18Fp8KVCacheDataTypeE1EhLi32ELi64ELi256ELb1ELi11EEvPKT_PKT0_S7_ifPKiS9_S9_iPKfiiiPfSC_PS2_PT2_iSB_SB_.kd
    .uniform_work_group_size: 1
    .uses_dynamic_stack: false
    .vgpr_count:     51
    .vgpr_spill_count: 0
    .wavefront_size: 32
  - .args:
      - .actual_access:  read_only
        .address_space:  global
        .offset:         0
        .size:           8
        .value_kind:     global_buffer
      - .actual_access:  read_only
        .address_space:  global
        .offset:         8
        .size:           8
        .value_kind:     global_buffer
      - .actual_access:  read_only
        .address_space:  global
        .offset:         16
        .size:           8
        .value_kind:     global_buffer
      - .offset:         24
        .size:           4
        .value_kind:     by_value
      - .offset:         28
        .size:           4
        .value_kind:     by_value
      - .actual_access:  read_only
        .address_space:  global
        .offset:         32
        .size:           8
        .value_kind:     global_buffer
      - .actual_access:  read_only
        .address_space:  global
        .offset:         40
        .size:           8
        .value_kind:     global_buffer
      - .actual_access:  read_only
        .address_space:  global
        .offset:         48
        .size:           8
        .value_kind:     global_buffer
      - .offset:         56
        .size:           4
        .value_kind:     by_value
      - .actual_access:  read_only
        .address_space:  global
        .offset:         64
        .size:           8
        .value_kind:     global_buffer
      - .offset:         72
        .size:           4
        .value_kind:     by_value
      - .offset:         76
        .size:           4
        .value_kind:     by_value
      - .offset:         80
        .size:           4
        .value_kind:     by_value
      - .actual_access:  read_only
        .address_space:  global
        .offset:         88
        .size:           8
        .value_kind:     global_buffer
      - .actual_access:  read_only
        .address_space:  global
        .offset:         96
        .size:           8
        .value_kind:     global_buffer
      - .actual_access:  read_only
        .address_space:  global
        .offset:         104
        .size:           8
        .value_kind:     global_buffer
      - .actual_access:  read_only
        .address_space:  global
        .offset:         112
        .size:           8
        .value_kind:     global_buffer
      - .offset:         120
        .size:           4
        .value_kind:     by_value
      - .address_space:  global
        .offset:         128
        .size:           8
        .value_kind:     global_buffer
      - .address_space:  global
        .offset:         136
        .size:           8
        .value_kind:     global_buffer
      - .offset:         144
        .size:           4
        .value_kind:     hidden_block_count_x
      - .offset:         148
        .size:           4
        .value_kind:     hidden_block_count_y
      - .offset:         152
        .size:           4
        .value_kind:     hidden_block_count_z
      - .offset:         156
        .size:           2
        .value_kind:     hidden_group_size_x
      - .offset:         158
        .size:           2
        .value_kind:     hidden_group_size_y
      - .offset:         160
        .size:           2
        .value_kind:     hidden_group_size_z
      - .offset:         162
        .size:           2
        .value_kind:     hidden_remainder_x
      - .offset:         164
        .size:           2
        .value_kind:     hidden_remainder_y
      - .offset:         166
        .size:           2
        .value_kind:     hidden_remainder_z
      - .offset:         184
        .size:           8
        .value_kind:     hidden_global_offset_x
      - .offset:         192
        .size:           8
        .value_kind:     hidden_global_offset_y
      - .offset:         200
        .size:           8
        .value_kind:     hidden_global_offset_z
      - .offset:         208
        .size:           2
        .value_kind:     hidden_grid_dims
      - .offset:         224
        .size:           8
        .value_kind:     hidden_hostcall_buffer
    .group_segment_fixed_size: 0
    .kernarg_segment_align: 8
    .kernarg_segment_size: 400
    .language:       OpenCL C
    .language_version:
      - 2
      - 0
    .max_flat_workgroup_size: 256
    .name:           _Z39paged_attention_ll4mi_QKV_mfma16_kernelIDF16_hLN4vllm18Fp8KVCacheDataTypeE1EhLi32ELi64ELi256ELb1ELi12EEvPKT_PKT0_S7_ifPKiS9_S9_iPKfiiiPfSC_PS2_PT2_iSB_SB_
    .private_segment_fixed_size: 64
    .sgpr_count:     36
    .sgpr_spill_count: 0
    .symbol:         _Z39paged_attention_ll4mi_QKV_mfma16_kernelIDF16_hLN4vllm18Fp8KVCacheDataTypeE1EhLi32ELi64ELi256ELb1ELi12EEvPKT_PKT0_S7_ifPKiS9_S9_iPKfiiiPfSC_PS2_PT2_iSB_SB_.kd
    .uniform_work_group_size: 1
    .uses_dynamic_stack: false
    .vgpr_count:     51
    .vgpr_spill_count: 0
    .wavefront_size: 32
  - .args:
      - .actual_access:  read_only
        .address_space:  global
        .offset:         0
        .size:           8
        .value_kind:     global_buffer
      - .actual_access:  read_only
        .address_space:  global
        .offset:         8
        .size:           8
        .value_kind:     global_buffer
      - .actual_access:  read_only
        .address_space:  global
        .offset:         16
        .size:           8
        .value_kind:     global_buffer
      - .offset:         24
        .size:           4
        .value_kind:     by_value
      - .offset:         28
        .size:           4
        .value_kind:     by_value
      - .actual_access:  read_only
        .address_space:  global
        .offset:         32
        .size:           8
        .value_kind:     global_buffer
      - .actual_access:  read_only
        .address_space:  global
        .offset:         40
        .size:           8
        .value_kind:     global_buffer
      - .actual_access:  read_only
        .address_space:  global
        .offset:         48
        .size:           8
        .value_kind:     global_buffer
      - .offset:         56
        .size:           4
        .value_kind:     by_value
      - .actual_access:  read_only
        .address_space:  global
        .offset:         64
        .size:           8
        .value_kind:     global_buffer
      - .offset:         72
        .size:           4
        .value_kind:     by_value
      - .offset:         76
        .size:           4
        .value_kind:     by_value
      - .offset:         80
        .size:           4
        .value_kind:     by_value
      - .actual_access:  read_only
        .address_space:  global
        .offset:         88
        .size:           8
        .value_kind:     global_buffer
      - .actual_access:  read_only
        .address_space:  global
        .offset:         96
        .size:           8
        .value_kind:     global_buffer
      - .actual_access:  read_only
        .address_space:  global
        .offset:         104
        .size:           8
        .value_kind:     global_buffer
      - .actual_access:  read_only
        .address_space:  global
        .offset:         112
        .size:           8
        .value_kind:     global_buffer
      - .offset:         120
        .size:           4
        .value_kind:     by_value
      - .address_space:  global
        .offset:         128
        .size:           8
        .value_kind:     global_buffer
      - .address_space:  global
        .offset:         136
        .size:           8
        .value_kind:     global_buffer
      - .offset:         144
        .size:           4
        .value_kind:     hidden_block_count_x
      - .offset:         148
        .size:           4
        .value_kind:     hidden_block_count_y
      - .offset:         152
        .size:           4
        .value_kind:     hidden_block_count_z
      - .offset:         156
        .size:           2
        .value_kind:     hidden_group_size_x
      - .offset:         158
        .size:           2
        .value_kind:     hidden_group_size_y
      - .offset:         160
        .size:           2
        .value_kind:     hidden_group_size_z
      - .offset:         162
        .size:           2
        .value_kind:     hidden_remainder_x
      - .offset:         164
        .size:           2
        .value_kind:     hidden_remainder_y
      - .offset:         166
        .size:           2
        .value_kind:     hidden_remainder_z
      - .offset:         184
        .size:           8
        .value_kind:     hidden_global_offset_x
      - .offset:         192
        .size:           8
        .value_kind:     hidden_global_offset_y
      - .offset:         200
        .size:           8
        .value_kind:     hidden_global_offset_z
      - .offset:         208
        .size:           2
        .value_kind:     hidden_grid_dims
      - .offset:         224
        .size:           8
        .value_kind:     hidden_hostcall_buffer
    .group_segment_fixed_size: 0
    .kernarg_segment_align: 8
    .kernarg_segment_size: 400
    .language:       OpenCL C
    .language_version:
      - 2
      - 0
    .max_flat_workgroup_size: 256
    .name:           _Z39paged_attention_ll4mi_QKV_mfma16_kernelIDF16_hLN4vllm18Fp8KVCacheDataTypeE1EhLi32ELi64ELi256ELb1ELi13EEvPKT_PKT0_S7_ifPKiS9_S9_iPKfiiiPfSC_PS2_PT2_iSB_SB_
    .private_segment_fixed_size: 64
    .sgpr_count:     36
    .sgpr_spill_count: 0
    .symbol:         _Z39paged_attention_ll4mi_QKV_mfma16_kernelIDF16_hLN4vllm18Fp8KVCacheDataTypeE1EhLi32ELi64ELi256ELb1ELi13EEvPKT_PKT0_S7_ifPKiS9_S9_iPKfiiiPfSC_PS2_PT2_iSB_SB_.kd
    .uniform_work_group_size: 1
    .uses_dynamic_stack: false
    .vgpr_count:     51
    .vgpr_spill_count: 0
    .wavefront_size: 32
  - .args:
      - .actual_access:  read_only
        .address_space:  global
        .offset:         0
        .size:           8
        .value_kind:     global_buffer
      - .actual_access:  read_only
        .address_space:  global
        .offset:         8
        .size:           8
        .value_kind:     global_buffer
      - .actual_access:  read_only
        .address_space:  global
        .offset:         16
        .size:           8
        .value_kind:     global_buffer
      - .offset:         24
        .size:           4
        .value_kind:     by_value
      - .offset:         28
        .size:           4
        .value_kind:     by_value
      - .actual_access:  read_only
        .address_space:  global
        .offset:         32
        .size:           8
        .value_kind:     global_buffer
      - .actual_access:  read_only
        .address_space:  global
        .offset:         40
        .size:           8
        .value_kind:     global_buffer
      - .actual_access:  read_only
        .address_space:  global
        .offset:         48
        .size:           8
        .value_kind:     global_buffer
      - .offset:         56
        .size:           4
        .value_kind:     by_value
      - .actual_access:  read_only
        .address_space:  global
        .offset:         64
        .size:           8
        .value_kind:     global_buffer
      - .offset:         72
        .size:           4
        .value_kind:     by_value
      - .offset:         76
        .size:           4
        .value_kind:     by_value
      - .offset:         80
        .size:           4
        .value_kind:     by_value
      - .actual_access:  read_only
        .address_space:  global
        .offset:         88
        .size:           8
        .value_kind:     global_buffer
      - .actual_access:  read_only
        .address_space:  global
        .offset:         96
        .size:           8
        .value_kind:     global_buffer
      - .actual_access:  read_only
        .address_space:  global
        .offset:         104
        .size:           8
        .value_kind:     global_buffer
      - .actual_access:  read_only
        .address_space:  global
        .offset:         112
        .size:           8
        .value_kind:     global_buffer
      - .offset:         120
        .size:           4
        .value_kind:     by_value
      - .address_space:  global
        .offset:         128
        .size:           8
        .value_kind:     global_buffer
      - .address_space:  global
        .offset:         136
        .size:           8
        .value_kind:     global_buffer
      - .offset:         144
        .size:           4
        .value_kind:     hidden_block_count_x
      - .offset:         148
        .size:           4
        .value_kind:     hidden_block_count_y
      - .offset:         152
        .size:           4
        .value_kind:     hidden_block_count_z
      - .offset:         156
        .size:           2
        .value_kind:     hidden_group_size_x
      - .offset:         158
        .size:           2
        .value_kind:     hidden_group_size_y
      - .offset:         160
        .size:           2
        .value_kind:     hidden_group_size_z
      - .offset:         162
        .size:           2
        .value_kind:     hidden_remainder_x
      - .offset:         164
        .size:           2
        .value_kind:     hidden_remainder_y
      - .offset:         166
        .size:           2
        .value_kind:     hidden_remainder_z
      - .offset:         184
        .size:           8
        .value_kind:     hidden_global_offset_x
      - .offset:         192
        .size:           8
        .value_kind:     hidden_global_offset_y
      - .offset:         200
        .size:           8
        .value_kind:     hidden_global_offset_z
      - .offset:         208
        .size:           2
        .value_kind:     hidden_grid_dims
      - .offset:         224
        .size:           8
        .value_kind:     hidden_hostcall_buffer
    .group_segment_fixed_size: 0
    .kernarg_segment_align: 8
    .kernarg_segment_size: 400
    .language:       OpenCL C
    .language_version:
      - 2
      - 0
    .max_flat_workgroup_size: 256
    .name:           _Z39paged_attention_ll4mi_QKV_mfma16_kernelIDF16_hLN4vllm18Fp8KVCacheDataTypeE1EhLi32ELi64ELi256ELb1ELi14EEvPKT_PKT0_S7_ifPKiS9_S9_iPKfiiiPfSC_PS2_PT2_iSB_SB_
    .private_segment_fixed_size: 64
    .sgpr_count:     36
    .sgpr_spill_count: 0
    .symbol:         _Z39paged_attention_ll4mi_QKV_mfma16_kernelIDF16_hLN4vllm18Fp8KVCacheDataTypeE1EhLi32ELi64ELi256ELb1ELi14EEvPKT_PKT0_S7_ifPKiS9_S9_iPKfiiiPfSC_PS2_PT2_iSB_SB_.kd
    .uniform_work_group_size: 1
    .uses_dynamic_stack: false
    .vgpr_count:     51
    .vgpr_spill_count: 0
    .wavefront_size: 32
  - .args:
      - .actual_access:  read_only
        .address_space:  global
        .offset:         0
        .size:           8
        .value_kind:     global_buffer
      - .actual_access:  read_only
        .address_space:  global
        .offset:         8
        .size:           8
        .value_kind:     global_buffer
      - .actual_access:  read_only
        .address_space:  global
        .offset:         16
        .size:           8
        .value_kind:     global_buffer
      - .offset:         24
        .size:           4
        .value_kind:     by_value
      - .offset:         28
        .size:           4
        .value_kind:     by_value
      - .actual_access:  read_only
        .address_space:  global
        .offset:         32
        .size:           8
        .value_kind:     global_buffer
      - .actual_access:  read_only
        .address_space:  global
        .offset:         40
        .size:           8
        .value_kind:     global_buffer
      - .actual_access:  read_only
        .address_space:  global
        .offset:         48
        .size:           8
        .value_kind:     global_buffer
      - .offset:         56
        .size:           4
        .value_kind:     by_value
      - .actual_access:  read_only
        .address_space:  global
        .offset:         64
        .size:           8
        .value_kind:     global_buffer
      - .offset:         72
        .size:           4
        .value_kind:     by_value
      - .offset:         76
        .size:           4
        .value_kind:     by_value
      - .offset:         80
        .size:           4
        .value_kind:     by_value
      - .actual_access:  read_only
        .address_space:  global
        .offset:         88
        .size:           8
        .value_kind:     global_buffer
      - .actual_access:  read_only
        .address_space:  global
        .offset:         96
        .size:           8
        .value_kind:     global_buffer
      - .actual_access:  read_only
        .address_space:  global
        .offset:         104
        .size:           8
        .value_kind:     global_buffer
      - .actual_access:  read_only
        .address_space:  global
        .offset:         112
        .size:           8
        .value_kind:     global_buffer
      - .offset:         120
        .size:           4
        .value_kind:     by_value
      - .address_space:  global
        .offset:         128
        .size:           8
        .value_kind:     global_buffer
      - .address_space:  global
        .offset:         136
        .size:           8
        .value_kind:     global_buffer
      - .offset:         144
        .size:           4
        .value_kind:     hidden_block_count_x
      - .offset:         148
        .size:           4
        .value_kind:     hidden_block_count_y
      - .offset:         152
        .size:           4
        .value_kind:     hidden_block_count_z
      - .offset:         156
        .size:           2
        .value_kind:     hidden_group_size_x
      - .offset:         158
        .size:           2
        .value_kind:     hidden_group_size_y
      - .offset:         160
        .size:           2
        .value_kind:     hidden_group_size_z
      - .offset:         162
        .size:           2
        .value_kind:     hidden_remainder_x
      - .offset:         164
        .size:           2
        .value_kind:     hidden_remainder_y
      - .offset:         166
        .size:           2
        .value_kind:     hidden_remainder_z
      - .offset:         184
        .size:           8
        .value_kind:     hidden_global_offset_x
      - .offset:         192
        .size:           8
        .value_kind:     hidden_global_offset_y
      - .offset:         200
        .size:           8
        .value_kind:     hidden_global_offset_z
      - .offset:         208
        .size:           2
        .value_kind:     hidden_grid_dims
      - .offset:         224
        .size:           8
        .value_kind:     hidden_hostcall_buffer
    .group_segment_fixed_size: 0
    .kernarg_segment_align: 8
    .kernarg_segment_size: 400
    .language:       OpenCL C
    .language_version:
      - 2
      - 0
    .max_flat_workgroup_size: 256
    .name:           _Z39paged_attention_ll4mi_QKV_mfma16_kernelIDF16_hLN4vllm18Fp8KVCacheDataTypeE1EhLi32ELi64ELi256ELb1ELi15EEvPKT_PKT0_S7_ifPKiS9_S9_iPKfiiiPfSC_PS2_PT2_iSB_SB_
    .private_segment_fixed_size: 64
    .sgpr_count:     36
    .sgpr_spill_count: 0
    .symbol:         _Z39paged_attention_ll4mi_QKV_mfma16_kernelIDF16_hLN4vllm18Fp8KVCacheDataTypeE1EhLi32ELi64ELi256ELb1ELi15EEvPKT_PKT0_S7_ifPKiS9_S9_iPKfiiiPfSC_PS2_PT2_iSB_SB_.kd
    .uniform_work_group_size: 1
    .uses_dynamic_stack: false
    .vgpr_count:     51
    .vgpr_spill_count: 0
    .wavefront_size: 32
  - .args:
      - .actual_access:  read_only
        .address_space:  global
        .offset:         0
        .size:           8
        .value_kind:     global_buffer
      - .actual_access:  read_only
        .address_space:  global
        .offset:         8
        .size:           8
        .value_kind:     global_buffer
      - .actual_access:  read_only
        .address_space:  global
        .offset:         16
        .size:           8
        .value_kind:     global_buffer
      - .offset:         24
        .size:           4
        .value_kind:     by_value
      - .offset:         28
        .size:           4
        .value_kind:     by_value
      - .actual_access:  read_only
        .address_space:  global
        .offset:         32
        .size:           8
        .value_kind:     global_buffer
      - .actual_access:  read_only
        .address_space:  global
        .offset:         40
        .size:           8
        .value_kind:     global_buffer
      - .actual_access:  read_only
        .address_space:  global
        .offset:         48
        .size:           8
        .value_kind:     global_buffer
      - .offset:         56
        .size:           4
        .value_kind:     by_value
      - .actual_access:  read_only
        .address_space:  global
        .offset:         64
        .size:           8
        .value_kind:     global_buffer
      - .offset:         72
        .size:           4
        .value_kind:     by_value
      - .offset:         76
        .size:           4
        .value_kind:     by_value
      - .offset:         80
        .size:           4
        .value_kind:     by_value
      - .actual_access:  read_only
        .address_space:  global
        .offset:         88
        .size:           8
        .value_kind:     global_buffer
      - .actual_access:  read_only
        .address_space:  global
        .offset:         96
        .size:           8
        .value_kind:     global_buffer
      - .actual_access:  read_only
        .address_space:  global
        .offset:         104
        .size:           8
        .value_kind:     global_buffer
      - .actual_access:  read_only
        .address_space:  global
        .offset:         112
        .size:           8
        .value_kind:     global_buffer
      - .offset:         120
        .size:           4
        .value_kind:     by_value
      - .address_space:  global
        .offset:         128
        .size:           8
        .value_kind:     global_buffer
      - .address_space:  global
        .offset:         136
        .size:           8
        .value_kind:     global_buffer
      - .offset:         144
        .size:           4
        .value_kind:     hidden_block_count_x
      - .offset:         148
        .size:           4
        .value_kind:     hidden_block_count_y
      - .offset:         152
        .size:           4
        .value_kind:     hidden_block_count_z
      - .offset:         156
        .size:           2
        .value_kind:     hidden_group_size_x
      - .offset:         158
        .size:           2
        .value_kind:     hidden_group_size_y
      - .offset:         160
        .size:           2
        .value_kind:     hidden_group_size_z
      - .offset:         162
        .size:           2
        .value_kind:     hidden_remainder_x
      - .offset:         164
        .size:           2
        .value_kind:     hidden_remainder_y
      - .offset:         166
        .size:           2
        .value_kind:     hidden_remainder_z
      - .offset:         184
        .size:           8
        .value_kind:     hidden_global_offset_x
      - .offset:         192
        .size:           8
        .value_kind:     hidden_global_offset_y
      - .offset:         200
        .size:           8
        .value_kind:     hidden_global_offset_z
      - .offset:         208
        .size:           2
        .value_kind:     hidden_grid_dims
      - .offset:         224
        .size:           8
        .value_kind:     hidden_hostcall_buffer
    .group_segment_fixed_size: 0
    .kernarg_segment_align: 8
    .kernarg_segment_size: 400
    .language:       OpenCL C
    .language_version:
      - 2
      - 0
    .max_flat_workgroup_size: 256
    .name:           _Z39paged_attention_ll4mi_QKV_mfma16_kernelIDF16_hLN4vllm18Fp8KVCacheDataTypeE1EhLi32ELi64ELi256ELb1ELi16EEvPKT_PKT0_S7_ifPKiS9_S9_iPKfiiiPfSC_PS2_PT2_iSB_SB_
    .private_segment_fixed_size: 64
    .sgpr_count:     36
    .sgpr_spill_count: 0
    .symbol:         _Z39paged_attention_ll4mi_QKV_mfma16_kernelIDF16_hLN4vllm18Fp8KVCacheDataTypeE1EhLi32ELi64ELi256ELb1ELi16EEvPKT_PKT0_S7_ifPKiS9_S9_iPKfiiiPfSC_PS2_PT2_iSB_SB_.kd
    .uniform_work_group_size: 1
    .uses_dynamic_stack: false
    .vgpr_count:     51
    .vgpr_spill_count: 0
    .wavefront_size: 32
  - .args:
      - .actual_access:  read_only
        .address_space:  global
        .offset:         0
        .size:           8
        .value_kind:     global_buffer
      - .actual_access:  read_only
        .address_space:  global
        .offset:         8
        .size:           8
        .value_kind:     global_buffer
      - .actual_access:  read_only
        .address_space:  global
        .offset:         16
        .size:           8
        .value_kind:     global_buffer
      - .offset:         24
        .size:           4
        .value_kind:     by_value
      - .offset:         28
        .size:           4
        .value_kind:     by_value
      - .actual_access:  read_only
        .address_space:  global
        .offset:         32
        .size:           8
        .value_kind:     global_buffer
      - .actual_access:  read_only
        .address_space:  global
        .offset:         40
        .size:           8
        .value_kind:     global_buffer
      - .actual_access:  read_only
        .address_space:  global
        .offset:         48
        .size:           8
        .value_kind:     global_buffer
      - .offset:         56
        .size:           4
        .value_kind:     by_value
      - .actual_access:  read_only
        .address_space:  global
        .offset:         64
        .size:           8
        .value_kind:     global_buffer
      - .offset:         72
        .size:           4
        .value_kind:     by_value
      - .offset:         76
        .size:           4
        .value_kind:     by_value
      - .offset:         80
        .size:           4
        .value_kind:     by_value
      - .actual_access:  read_only
        .address_space:  global
        .offset:         88
        .size:           8
        .value_kind:     global_buffer
      - .actual_access:  read_only
        .address_space:  global
        .offset:         96
        .size:           8
        .value_kind:     global_buffer
      - .actual_access:  read_only
        .address_space:  global
        .offset:         104
        .size:           8
        .value_kind:     global_buffer
      - .actual_access:  read_only
        .address_space:  global
        .offset:         112
        .size:           8
        .value_kind:     global_buffer
      - .offset:         120
        .size:           4
        .value_kind:     by_value
      - .address_space:  global
        .offset:         128
        .size:           8
        .value_kind:     global_buffer
      - .address_space:  global
        .offset:         136
        .size:           8
        .value_kind:     global_buffer
      - .offset:         144
        .size:           4
        .value_kind:     hidden_block_count_x
      - .offset:         148
        .size:           4
        .value_kind:     hidden_block_count_y
      - .offset:         152
        .size:           4
        .value_kind:     hidden_block_count_z
      - .offset:         156
        .size:           2
        .value_kind:     hidden_group_size_x
      - .offset:         158
        .size:           2
        .value_kind:     hidden_group_size_y
      - .offset:         160
        .size:           2
        .value_kind:     hidden_group_size_z
      - .offset:         162
        .size:           2
        .value_kind:     hidden_remainder_x
      - .offset:         164
        .size:           2
        .value_kind:     hidden_remainder_y
      - .offset:         166
        .size:           2
        .value_kind:     hidden_remainder_z
      - .offset:         184
        .size:           8
        .value_kind:     hidden_global_offset_x
      - .offset:         192
        .size:           8
        .value_kind:     hidden_global_offset_y
      - .offset:         200
        .size:           8
        .value_kind:     hidden_global_offset_z
      - .offset:         208
        .size:           2
        .value_kind:     hidden_grid_dims
      - .offset:         224
        .size:           8
        .value_kind:     hidden_hostcall_buffer
    .group_segment_fixed_size: 0
    .kernarg_segment_align: 8
    .kernarg_segment_size: 400
    .language:       OpenCL C
    .language_version:
      - 2
      - 0
    .max_flat_workgroup_size: 256
    .name:           _Z39paged_attention_ll4mi_QKV_mfma16_kernelIDF16_hLN4vllm18Fp8KVCacheDataTypeE1EhLi32ELi64ELi256ELb1ELi1EEvPKT_PKT0_S7_ifPKiS9_S9_iPKfiiiPfSC_PS2_PT2_iSB_SB_
    .private_segment_fixed_size: 64
    .sgpr_count:     36
    .sgpr_spill_count: 0
    .symbol:         _Z39paged_attention_ll4mi_QKV_mfma16_kernelIDF16_hLN4vllm18Fp8KVCacheDataTypeE1EhLi32ELi64ELi256ELb1ELi1EEvPKT_PKT0_S7_ifPKiS9_S9_iPKfiiiPfSC_PS2_PT2_iSB_SB_.kd
    .uniform_work_group_size: 1
    .uses_dynamic_stack: false
    .vgpr_count:     51
    .vgpr_spill_count: 0
    .wavefront_size: 32
  - .args:
      - .actual_access:  read_only
        .address_space:  global
        .offset:         0
        .size:           8
        .value_kind:     global_buffer
      - .actual_access:  read_only
        .address_space:  global
        .offset:         8
        .size:           8
        .value_kind:     global_buffer
      - .actual_access:  read_only
        .address_space:  global
        .offset:         16
        .size:           8
        .value_kind:     global_buffer
      - .offset:         24
        .size:           4
        .value_kind:     by_value
      - .offset:         28
        .size:           4
        .value_kind:     by_value
      - .actual_access:  read_only
        .address_space:  global
        .offset:         32
        .size:           8
        .value_kind:     global_buffer
      - .actual_access:  read_only
        .address_space:  global
        .offset:         40
        .size:           8
        .value_kind:     global_buffer
      - .actual_access:  read_only
        .address_space:  global
        .offset:         48
        .size:           8
        .value_kind:     global_buffer
      - .offset:         56
        .size:           4
        .value_kind:     by_value
      - .actual_access:  read_only
        .address_space:  global
        .offset:         64
        .size:           8
        .value_kind:     global_buffer
      - .offset:         72
        .size:           4
        .value_kind:     by_value
      - .offset:         76
        .size:           4
        .value_kind:     by_value
      - .offset:         80
        .size:           4
        .value_kind:     by_value
      - .actual_access:  read_only
        .address_space:  global
        .offset:         88
        .size:           8
        .value_kind:     global_buffer
      - .actual_access:  read_only
        .address_space:  global
        .offset:         96
        .size:           8
        .value_kind:     global_buffer
      - .actual_access:  read_only
        .address_space:  global
        .offset:         104
        .size:           8
        .value_kind:     global_buffer
      - .actual_access:  read_only
        .address_space:  global
        .offset:         112
        .size:           8
        .value_kind:     global_buffer
      - .offset:         120
        .size:           4
        .value_kind:     by_value
      - .address_space:  global
        .offset:         128
        .size:           8
        .value_kind:     global_buffer
      - .address_space:  global
        .offset:         136
        .size:           8
        .value_kind:     global_buffer
      - .offset:         144
        .size:           4
        .value_kind:     hidden_block_count_x
      - .offset:         148
        .size:           4
        .value_kind:     hidden_block_count_y
      - .offset:         152
        .size:           4
        .value_kind:     hidden_block_count_z
      - .offset:         156
        .size:           2
        .value_kind:     hidden_group_size_x
      - .offset:         158
        .size:           2
        .value_kind:     hidden_group_size_y
      - .offset:         160
        .size:           2
        .value_kind:     hidden_group_size_z
      - .offset:         162
        .size:           2
        .value_kind:     hidden_remainder_x
      - .offset:         164
        .size:           2
        .value_kind:     hidden_remainder_y
      - .offset:         166
        .size:           2
        .value_kind:     hidden_remainder_z
      - .offset:         184
        .size:           8
        .value_kind:     hidden_global_offset_x
      - .offset:         192
        .size:           8
        .value_kind:     hidden_global_offset_y
      - .offset:         200
        .size:           8
        .value_kind:     hidden_global_offset_z
      - .offset:         208
        .size:           2
        .value_kind:     hidden_grid_dims
      - .offset:         224
        .size:           8
        .value_kind:     hidden_hostcall_buffer
    .group_segment_fixed_size: 0
    .kernarg_segment_align: 8
    .kernarg_segment_size: 400
    .language:       OpenCL C
    .language_version:
      - 2
      - 0
    .max_flat_workgroup_size: 256
    .name:           _Z39paged_attention_ll4mi_QKV_mfma16_kernelIDF16_hLN4vllm18Fp8KVCacheDataTypeE1EhLi32ELi64ELi256ELb1ELi2EEvPKT_PKT0_S7_ifPKiS9_S9_iPKfiiiPfSC_PS2_PT2_iSB_SB_
    .private_segment_fixed_size: 64
    .sgpr_count:     36
    .sgpr_spill_count: 0
    .symbol:         _Z39paged_attention_ll4mi_QKV_mfma16_kernelIDF16_hLN4vllm18Fp8KVCacheDataTypeE1EhLi32ELi64ELi256ELb1ELi2EEvPKT_PKT0_S7_ifPKiS9_S9_iPKfiiiPfSC_PS2_PT2_iSB_SB_.kd
    .uniform_work_group_size: 1
    .uses_dynamic_stack: false
    .vgpr_count:     51
    .vgpr_spill_count: 0
    .wavefront_size: 32
  - .args:
      - .actual_access:  read_only
        .address_space:  global
        .offset:         0
        .size:           8
        .value_kind:     global_buffer
      - .actual_access:  read_only
        .address_space:  global
        .offset:         8
        .size:           8
        .value_kind:     global_buffer
      - .actual_access:  read_only
        .address_space:  global
        .offset:         16
        .size:           8
        .value_kind:     global_buffer
      - .offset:         24
        .size:           4
        .value_kind:     by_value
      - .offset:         28
        .size:           4
        .value_kind:     by_value
      - .actual_access:  read_only
        .address_space:  global
        .offset:         32
        .size:           8
        .value_kind:     global_buffer
      - .actual_access:  read_only
        .address_space:  global
        .offset:         40
        .size:           8
        .value_kind:     global_buffer
      - .actual_access:  read_only
        .address_space:  global
        .offset:         48
        .size:           8
        .value_kind:     global_buffer
      - .offset:         56
        .size:           4
        .value_kind:     by_value
      - .actual_access:  read_only
        .address_space:  global
        .offset:         64
        .size:           8
        .value_kind:     global_buffer
      - .offset:         72
        .size:           4
        .value_kind:     by_value
      - .offset:         76
        .size:           4
        .value_kind:     by_value
      - .offset:         80
        .size:           4
        .value_kind:     by_value
      - .actual_access:  read_only
        .address_space:  global
        .offset:         88
        .size:           8
        .value_kind:     global_buffer
      - .actual_access:  read_only
        .address_space:  global
        .offset:         96
        .size:           8
        .value_kind:     global_buffer
      - .actual_access:  read_only
        .address_space:  global
        .offset:         104
        .size:           8
        .value_kind:     global_buffer
      - .actual_access:  read_only
        .address_space:  global
        .offset:         112
        .size:           8
        .value_kind:     global_buffer
      - .offset:         120
        .size:           4
        .value_kind:     by_value
      - .address_space:  global
        .offset:         128
        .size:           8
        .value_kind:     global_buffer
      - .address_space:  global
        .offset:         136
        .size:           8
        .value_kind:     global_buffer
      - .offset:         144
        .size:           4
        .value_kind:     hidden_block_count_x
      - .offset:         148
        .size:           4
        .value_kind:     hidden_block_count_y
      - .offset:         152
        .size:           4
        .value_kind:     hidden_block_count_z
      - .offset:         156
        .size:           2
        .value_kind:     hidden_group_size_x
      - .offset:         158
        .size:           2
        .value_kind:     hidden_group_size_y
      - .offset:         160
        .size:           2
        .value_kind:     hidden_group_size_z
      - .offset:         162
        .size:           2
        .value_kind:     hidden_remainder_x
      - .offset:         164
        .size:           2
        .value_kind:     hidden_remainder_y
      - .offset:         166
        .size:           2
        .value_kind:     hidden_remainder_z
      - .offset:         184
        .size:           8
        .value_kind:     hidden_global_offset_x
      - .offset:         192
        .size:           8
        .value_kind:     hidden_global_offset_y
      - .offset:         200
        .size:           8
        .value_kind:     hidden_global_offset_z
      - .offset:         208
        .size:           2
        .value_kind:     hidden_grid_dims
      - .offset:         224
        .size:           8
        .value_kind:     hidden_hostcall_buffer
    .group_segment_fixed_size: 0
    .kernarg_segment_align: 8
    .kernarg_segment_size: 400
    .language:       OpenCL C
    .language_version:
      - 2
      - 0
    .max_flat_workgroup_size: 256
    .name:           _Z39paged_attention_ll4mi_QKV_mfma16_kernelIDF16_hLN4vllm18Fp8KVCacheDataTypeE1EhLi32ELi64ELi256ELb1ELi3EEvPKT_PKT0_S7_ifPKiS9_S9_iPKfiiiPfSC_PS2_PT2_iSB_SB_
    .private_segment_fixed_size: 64
    .sgpr_count:     36
    .sgpr_spill_count: 0
    .symbol:         _Z39paged_attention_ll4mi_QKV_mfma16_kernelIDF16_hLN4vllm18Fp8KVCacheDataTypeE1EhLi32ELi64ELi256ELb1ELi3EEvPKT_PKT0_S7_ifPKiS9_S9_iPKfiiiPfSC_PS2_PT2_iSB_SB_.kd
    .uniform_work_group_size: 1
    .uses_dynamic_stack: false
    .vgpr_count:     51
    .vgpr_spill_count: 0
    .wavefront_size: 32
  - .args:
      - .actual_access:  read_only
        .address_space:  global
        .offset:         0
        .size:           8
        .value_kind:     global_buffer
      - .actual_access:  read_only
        .address_space:  global
        .offset:         8
        .size:           8
        .value_kind:     global_buffer
      - .actual_access:  read_only
        .address_space:  global
        .offset:         16
        .size:           8
        .value_kind:     global_buffer
      - .offset:         24
        .size:           4
        .value_kind:     by_value
      - .offset:         28
        .size:           4
        .value_kind:     by_value
      - .actual_access:  read_only
        .address_space:  global
        .offset:         32
        .size:           8
        .value_kind:     global_buffer
      - .actual_access:  read_only
        .address_space:  global
        .offset:         40
        .size:           8
        .value_kind:     global_buffer
      - .actual_access:  read_only
        .address_space:  global
        .offset:         48
        .size:           8
        .value_kind:     global_buffer
      - .offset:         56
        .size:           4
        .value_kind:     by_value
      - .actual_access:  read_only
        .address_space:  global
        .offset:         64
        .size:           8
        .value_kind:     global_buffer
      - .offset:         72
        .size:           4
        .value_kind:     by_value
      - .offset:         76
        .size:           4
        .value_kind:     by_value
      - .offset:         80
        .size:           4
        .value_kind:     by_value
      - .actual_access:  read_only
        .address_space:  global
        .offset:         88
        .size:           8
        .value_kind:     global_buffer
      - .actual_access:  read_only
        .address_space:  global
        .offset:         96
        .size:           8
        .value_kind:     global_buffer
      - .actual_access:  read_only
        .address_space:  global
        .offset:         104
        .size:           8
        .value_kind:     global_buffer
      - .actual_access:  read_only
        .address_space:  global
        .offset:         112
        .size:           8
        .value_kind:     global_buffer
      - .offset:         120
        .size:           4
        .value_kind:     by_value
      - .address_space:  global
        .offset:         128
        .size:           8
        .value_kind:     global_buffer
      - .address_space:  global
        .offset:         136
        .size:           8
        .value_kind:     global_buffer
      - .offset:         144
        .size:           4
        .value_kind:     hidden_block_count_x
      - .offset:         148
        .size:           4
        .value_kind:     hidden_block_count_y
      - .offset:         152
        .size:           4
        .value_kind:     hidden_block_count_z
      - .offset:         156
        .size:           2
        .value_kind:     hidden_group_size_x
      - .offset:         158
        .size:           2
        .value_kind:     hidden_group_size_y
      - .offset:         160
        .size:           2
        .value_kind:     hidden_group_size_z
      - .offset:         162
        .size:           2
        .value_kind:     hidden_remainder_x
      - .offset:         164
        .size:           2
        .value_kind:     hidden_remainder_y
      - .offset:         166
        .size:           2
        .value_kind:     hidden_remainder_z
      - .offset:         184
        .size:           8
        .value_kind:     hidden_global_offset_x
      - .offset:         192
        .size:           8
        .value_kind:     hidden_global_offset_y
      - .offset:         200
        .size:           8
        .value_kind:     hidden_global_offset_z
      - .offset:         208
        .size:           2
        .value_kind:     hidden_grid_dims
      - .offset:         224
        .size:           8
        .value_kind:     hidden_hostcall_buffer
    .group_segment_fixed_size: 0
    .kernarg_segment_align: 8
    .kernarg_segment_size: 400
    .language:       OpenCL C
    .language_version:
      - 2
      - 0
    .max_flat_workgroup_size: 256
    .name:           _Z39paged_attention_ll4mi_QKV_mfma16_kernelIDF16_hLN4vllm18Fp8KVCacheDataTypeE1EhLi32ELi64ELi256ELb1ELi4EEvPKT_PKT0_S7_ifPKiS9_S9_iPKfiiiPfSC_PS2_PT2_iSB_SB_
    .private_segment_fixed_size: 64
    .sgpr_count:     36
    .sgpr_spill_count: 0
    .symbol:         _Z39paged_attention_ll4mi_QKV_mfma16_kernelIDF16_hLN4vllm18Fp8KVCacheDataTypeE1EhLi32ELi64ELi256ELb1ELi4EEvPKT_PKT0_S7_ifPKiS9_S9_iPKfiiiPfSC_PS2_PT2_iSB_SB_.kd
    .uniform_work_group_size: 1
    .uses_dynamic_stack: false
    .vgpr_count:     51
    .vgpr_spill_count: 0
    .wavefront_size: 32
  - .args:
      - .actual_access:  read_only
        .address_space:  global
        .offset:         0
        .size:           8
        .value_kind:     global_buffer
      - .actual_access:  read_only
        .address_space:  global
        .offset:         8
        .size:           8
        .value_kind:     global_buffer
      - .actual_access:  read_only
        .address_space:  global
        .offset:         16
        .size:           8
        .value_kind:     global_buffer
      - .offset:         24
        .size:           4
        .value_kind:     by_value
      - .offset:         28
        .size:           4
        .value_kind:     by_value
      - .actual_access:  read_only
        .address_space:  global
        .offset:         32
        .size:           8
        .value_kind:     global_buffer
      - .actual_access:  read_only
        .address_space:  global
        .offset:         40
        .size:           8
        .value_kind:     global_buffer
      - .actual_access:  read_only
        .address_space:  global
        .offset:         48
        .size:           8
        .value_kind:     global_buffer
      - .offset:         56
        .size:           4
        .value_kind:     by_value
      - .actual_access:  read_only
        .address_space:  global
        .offset:         64
        .size:           8
        .value_kind:     global_buffer
      - .offset:         72
        .size:           4
        .value_kind:     by_value
      - .offset:         76
        .size:           4
        .value_kind:     by_value
      - .offset:         80
        .size:           4
        .value_kind:     by_value
      - .actual_access:  read_only
        .address_space:  global
        .offset:         88
        .size:           8
        .value_kind:     global_buffer
      - .actual_access:  read_only
        .address_space:  global
        .offset:         96
        .size:           8
        .value_kind:     global_buffer
      - .actual_access:  read_only
        .address_space:  global
        .offset:         104
        .size:           8
        .value_kind:     global_buffer
      - .actual_access:  read_only
        .address_space:  global
        .offset:         112
        .size:           8
        .value_kind:     global_buffer
      - .offset:         120
        .size:           4
        .value_kind:     by_value
      - .address_space:  global
        .offset:         128
        .size:           8
        .value_kind:     global_buffer
      - .address_space:  global
        .offset:         136
        .size:           8
        .value_kind:     global_buffer
      - .offset:         144
        .size:           4
        .value_kind:     hidden_block_count_x
      - .offset:         148
        .size:           4
        .value_kind:     hidden_block_count_y
      - .offset:         152
        .size:           4
        .value_kind:     hidden_block_count_z
      - .offset:         156
        .size:           2
        .value_kind:     hidden_group_size_x
      - .offset:         158
        .size:           2
        .value_kind:     hidden_group_size_y
      - .offset:         160
        .size:           2
        .value_kind:     hidden_group_size_z
      - .offset:         162
        .size:           2
        .value_kind:     hidden_remainder_x
      - .offset:         164
        .size:           2
        .value_kind:     hidden_remainder_y
      - .offset:         166
        .size:           2
        .value_kind:     hidden_remainder_z
      - .offset:         184
        .size:           8
        .value_kind:     hidden_global_offset_x
      - .offset:         192
        .size:           8
        .value_kind:     hidden_global_offset_y
      - .offset:         200
        .size:           8
        .value_kind:     hidden_global_offset_z
      - .offset:         208
        .size:           2
        .value_kind:     hidden_grid_dims
      - .offset:         224
        .size:           8
        .value_kind:     hidden_hostcall_buffer
    .group_segment_fixed_size: 0
    .kernarg_segment_align: 8
    .kernarg_segment_size: 400
    .language:       OpenCL C
    .language_version:
      - 2
      - 0
    .max_flat_workgroup_size: 256
    .name:           _Z38paged_attention_ll4mi_QKV_mfma4_kernelIDF16_hLN4vllm18Fp8KVCacheDataTypeE1EhLi32ELi64ELi256ELb0ELi1EEvPKT_PKT0_S7_ifPKiS9_S9_iPKfiiiPfSC_PS2_PT2_iSB_SB_
    .private_segment_fixed_size: 64
    .sgpr_count:     36
    .sgpr_spill_count: 0
    .symbol:         _Z38paged_attention_ll4mi_QKV_mfma4_kernelIDF16_hLN4vllm18Fp8KVCacheDataTypeE1EhLi32ELi64ELi256ELb0ELi1EEvPKT_PKT0_S7_ifPKiS9_S9_iPKfiiiPfSC_PS2_PT2_iSB_SB_.kd
    .uniform_work_group_size: 1
    .uses_dynamic_stack: false
    .vgpr_count:     51
    .vgpr_spill_count: 0
    .wavefront_size: 32
  - .args:
      - .actual_access:  read_only
        .address_space:  global
        .offset:         0
        .size:           8
        .value_kind:     global_buffer
      - .actual_access:  read_only
        .address_space:  global
        .offset:         8
        .size:           8
        .value_kind:     global_buffer
      - .actual_access:  read_only
        .address_space:  global
        .offset:         16
        .size:           8
        .value_kind:     global_buffer
      - .offset:         24
        .size:           4
        .value_kind:     by_value
      - .offset:         28
        .size:           4
        .value_kind:     by_value
      - .actual_access:  read_only
        .address_space:  global
        .offset:         32
        .size:           8
        .value_kind:     global_buffer
      - .actual_access:  read_only
        .address_space:  global
        .offset:         40
        .size:           8
        .value_kind:     global_buffer
      - .actual_access:  read_only
        .address_space:  global
        .offset:         48
        .size:           8
        .value_kind:     global_buffer
      - .offset:         56
        .size:           4
        .value_kind:     by_value
      - .actual_access:  read_only
        .address_space:  global
        .offset:         64
        .size:           8
        .value_kind:     global_buffer
      - .offset:         72
        .size:           4
        .value_kind:     by_value
      - .offset:         76
        .size:           4
        .value_kind:     by_value
      - .offset:         80
        .size:           4
        .value_kind:     by_value
      - .actual_access:  read_only
        .address_space:  global
        .offset:         88
        .size:           8
        .value_kind:     global_buffer
      - .actual_access:  read_only
        .address_space:  global
        .offset:         96
        .size:           8
        .value_kind:     global_buffer
      - .actual_access:  read_only
        .address_space:  global
        .offset:         104
        .size:           8
        .value_kind:     global_buffer
      - .actual_access:  read_only
        .address_space:  global
        .offset:         112
        .size:           8
        .value_kind:     global_buffer
      - .offset:         120
        .size:           4
        .value_kind:     by_value
      - .address_space:  global
        .offset:         128
        .size:           8
        .value_kind:     global_buffer
      - .address_space:  global
        .offset:         136
        .size:           8
        .value_kind:     global_buffer
      - .offset:         144
        .size:           4
        .value_kind:     hidden_block_count_x
      - .offset:         148
        .size:           4
        .value_kind:     hidden_block_count_y
      - .offset:         152
        .size:           4
        .value_kind:     hidden_block_count_z
      - .offset:         156
        .size:           2
        .value_kind:     hidden_group_size_x
      - .offset:         158
        .size:           2
        .value_kind:     hidden_group_size_y
      - .offset:         160
        .size:           2
        .value_kind:     hidden_group_size_z
      - .offset:         162
        .size:           2
        .value_kind:     hidden_remainder_x
      - .offset:         164
        .size:           2
        .value_kind:     hidden_remainder_y
      - .offset:         166
        .size:           2
        .value_kind:     hidden_remainder_z
      - .offset:         184
        .size:           8
        .value_kind:     hidden_global_offset_x
      - .offset:         192
        .size:           8
        .value_kind:     hidden_global_offset_y
      - .offset:         200
        .size:           8
        .value_kind:     hidden_global_offset_z
      - .offset:         208
        .size:           2
        .value_kind:     hidden_grid_dims
      - .offset:         224
        .size:           8
        .value_kind:     hidden_hostcall_buffer
    .group_segment_fixed_size: 0
    .kernarg_segment_align: 8
    .kernarg_segment_size: 400
    .language:       OpenCL C
    .language_version:
      - 2
      - 0
    .max_flat_workgroup_size: 256
    .name:           _Z38paged_attention_ll4mi_QKV_mfma4_kernelIDF16_hLN4vllm18Fp8KVCacheDataTypeE1EhLi32ELi64ELi256ELb0ELi2EEvPKT_PKT0_S7_ifPKiS9_S9_iPKfiiiPfSC_PS2_PT2_iSB_SB_
    .private_segment_fixed_size: 64
    .sgpr_count:     36
    .sgpr_spill_count: 0
    .symbol:         _Z38paged_attention_ll4mi_QKV_mfma4_kernelIDF16_hLN4vllm18Fp8KVCacheDataTypeE1EhLi32ELi64ELi256ELb0ELi2EEvPKT_PKT0_S7_ifPKiS9_S9_iPKfiiiPfSC_PS2_PT2_iSB_SB_.kd
    .uniform_work_group_size: 1
    .uses_dynamic_stack: false
    .vgpr_count:     51
    .vgpr_spill_count: 0
    .wavefront_size: 32
  - .args:
      - .actual_access:  read_only
        .address_space:  global
        .offset:         0
        .size:           8
        .value_kind:     global_buffer
      - .actual_access:  read_only
        .address_space:  global
        .offset:         8
        .size:           8
        .value_kind:     global_buffer
      - .actual_access:  read_only
        .address_space:  global
        .offset:         16
        .size:           8
        .value_kind:     global_buffer
      - .offset:         24
        .size:           4
        .value_kind:     by_value
      - .offset:         28
        .size:           4
        .value_kind:     by_value
      - .actual_access:  read_only
        .address_space:  global
        .offset:         32
        .size:           8
        .value_kind:     global_buffer
      - .actual_access:  read_only
        .address_space:  global
        .offset:         40
        .size:           8
        .value_kind:     global_buffer
      - .actual_access:  read_only
        .address_space:  global
        .offset:         48
        .size:           8
        .value_kind:     global_buffer
      - .offset:         56
        .size:           4
        .value_kind:     by_value
      - .actual_access:  read_only
        .address_space:  global
        .offset:         64
        .size:           8
        .value_kind:     global_buffer
      - .offset:         72
        .size:           4
        .value_kind:     by_value
      - .offset:         76
        .size:           4
        .value_kind:     by_value
      - .offset:         80
        .size:           4
        .value_kind:     by_value
      - .actual_access:  read_only
        .address_space:  global
        .offset:         88
        .size:           8
        .value_kind:     global_buffer
      - .actual_access:  read_only
        .address_space:  global
        .offset:         96
        .size:           8
        .value_kind:     global_buffer
      - .actual_access:  read_only
        .address_space:  global
        .offset:         104
        .size:           8
        .value_kind:     global_buffer
      - .actual_access:  read_only
        .address_space:  global
        .offset:         112
        .size:           8
        .value_kind:     global_buffer
      - .offset:         120
        .size:           4
        .value_kind:     by_value
      - .address_space:  global
        .offset:         128
        .size:           8
        .value_kind:     global_buffer
      - .address_space:  global
        .offset:         136
        .size:           8
        .value_kind:     global_buffer
      - .offset:         144
        .size:           4
        .value_kind:     hidden_block_count_x
      - .offset:         148
        .size:           4
        .value_kind:     hidden_block_count_y
      - .offset:         152
        .size:           4
        .value_kind:     hidden_block_count_z
      - .offset:         156
        .size:           2
        .value_kind:     hidden_group_size_x
      - .offset:         158
        .size:           2
        .value_kind:     hidden_group_size_y
      - .offset:         160
        .size:           2
        .value_kind:     hidden_group_size_z
      - .offset:         162
        .size:           2
        .value_kind:     hidden_remainder_x
      - .offset:         164
        .size:           2
        .value_kind:     hidden_remainder_y
      - .offset:         166
        .size:           2
        .value_kind:     hidden_remainder_z
      - .offset:         184
        .size:           8
        .value_kind:     hidden_global_offset_x
      - .offset:         192
        .size:           8
        .value_kind:     hidden_global_offset_y
      - .offset:         200
        .size:           8
        .value_kind:     hidden_global_offset_z
      - .offset:         208
        .size:           2
        .value_kind:     hidden_grid_dims
      - .offset:         224
        .size:           8
        .value_kind:     hidden_hostcall_buffer
    .group_segment_fixed_size: 0
    .kernarg_segment_align: 8
    .kernarg_segment_size: 400
    .language:       OpenCL C
    .language_version:
      - 2
      - 0
    .max_flat_workgroup_size: 256
    .name:           _Z38paged_attention_ll4mi_QKV_mfma4_kernelIDF16_hLN4vllm18Fp8KVCacheDataTypeE1EhLi32ELi64ELi256ELb0ELi3EEvPKT_PKT0_S7_ifPKiS9_S9_iPKfiiiPfSC_PS2_PT2_iSB_SB_
    .private_segment_fixed_size: 64
    .sgpr_count:     36
    .sgpr_spill_count: 0
    .symbol:         _Z38paged_attention_ll4mi_QKV_mfma4_kernelIDF16_hLN4vllm18Fp8KVCacheDataTypeE1EhLi32ELi64ELi256ELb0ELi3EEvPKT_PKT0_S7_ifPKiS9_S9_iPKfiiiPfSC_PS2_PT2_iSB_SB_.kd
    .uniform_work_group_size: 1
    .uses_dynamic_stack: false
    .vgpr_count:     51
    .vgpr_spill_count: 0
    .wavefront_size: 32
  - .args:
      - .actual_access:  read_only
        .address_space:  global
        .offset:         0
        .size:           8
        .value_kind:     global_buffer
      - .actual_access:  read_only
        .address_space:  global
        .offset:         8
        .size:           8
        .value_kind:     global_buffer
      - .actual_access:  read_only
        .address_space:  global
        .offset:         16
        .size:           8
        .value_kind:     global_buffer
      - .offset:         24
        .size:           4
        .value_kind:     by_value
      - .offset:         28
        .size:           4
        .value_kind:     by_value
      - .actual_access:  read_only
        .address_space:  global
        .offset:         32
        .size:           8
        .value_kind:     global_buffer
      - .actual_access:  read_only
        .address_space:  global
        .offset:         40
        .size:           8
        .value_kind:     global_buffer
      - .actual_access:  read_only
        .address_space:  global
        .offset:         48
        .size:           8
        .value_kind:     global_buffer
      - .offset:         56
        .size:           4
        .value_kind:     by_value
      - .actual_access:  read_only
        .address_space:  global
        .offset:         64
        .size:           8
        .value_kind:     global_buffer
      - .offset:         72
        .size:           4
        .value_kind:     by_value
      - .offset:         76
        .size:           4
        .value_kind:     by_value
      - .offset:         80
        .size:           4
        .value_kind:     by_value
      - .actual_access:  read_only
        .address_space:  global
        .offset:         88
        .size:           8
        .value_kind:     global_buffer
      - .actual_access:  read_only
        .address_space:  global
        .offset:         96
        .size:           8
        .value_kind:     global_buffer
      - .actual_access:  read_only
        .address_space:  global
        .offset:         104
        .size:           8
        .value_kind:     global_buffer
      - .actual_access:  read_only
        .address_space:  global
        .offset:         112
        .size:           8
        .value_kind:     global_buffer
      - .offset:         120
        .size:           4
        .value_kind:     by_value
      - .address_space:  global
        .offset:         128
        .size:           8
        .value_kind:     global_buffer
      - .address_space:  global
        .offset:         136
        .size:           8
        .value_kind:     global_buffer
      - .offset:         144
        .size:           4
        .value_kind:     hidden_block_count_x
      - .offset:         148
        .size:           4
        .value_kind:     hidden_block_count_y
      - .offset:         152
        .size:           4
        .value_kind:     hidden_block_count_z
      - .offset:         156
        .size:           2
        .value_kind:     hidden_group_size_x
      - .offset:         158
        .size:           2
        .value_kind:     hidden_group_size_y
      - .offset:         160
        .size:           2
        .value_kind:     hidden_group_size_z
      - .offset:         162
        .size:           2
        .value_kind:     hidden_remainder_x
      - .offset:         164
        .size:           2
        .value_kind:     hidden_remainder_y
      - .offset:         166
        .size:           2
        .value_kind:     hidden_remainder_z
      - .offset:         184
        .size:           8
        .value_kind:     hidden_global_offset_x
      - .offset:         192
        .size:           8
        .value_kind:     hidden_global_offset_y
      - .offset:         200
        .size:           8
        .value_kind:     hidden_global_offset_z
      - .offset:         208
        .size:           2
        .value_kind:     hidden_grid_dims
      - .offset:         224
        .size:           8
        .value_kind:     hidden_hostcall_buffer
    .group_segment_fixed_size: 0
    .kernarg_segment_align: 8
    .kernarg_segment_size: 400
    .language:       OpenCL C
    .language_version:
      - 2
      - 0
    .max_flat_workgroup_size: 256
    .name:           _Z38paged_attention_ll4mi_QKV_mfma4_kernelIDF16_hLN4vllm18Fp8KVCacheDataTypeE1EhLi32ELi64ELi256ELb0ELi4EEvPKT_PKT0_S7_ifPKiS9_S9_iPKfiiiPfSC_PS2_PT2_iSB_SB_
    .private_segment_fixed_size: 64
    .sgpr_count:     36
    .sgpr_spill_count: 0
    .symbol:         _Z38paged_attention_ll4mi_QKV_mfma4_kernelIDF16_hLN4vllm18Fp8KVCacheDataTypeE1EhLi32ELi64ELi256ELb0ELi4EEvPKT_PKT0_S7_ifPKiS9_S9_iPKfiiiPfSC_PS2_PT2_iSB_SB_.kd
    .uniform_work_group_size: 1
    .uses_dynamic_stack: false
    .vgpr_count:     51
    .vgpr_spill_count: 0
    .wavefront_size: 32
  - .args:
      - .actual_access:  read_only
        .address_space:  global
        .offset:         0
        .size:           8
        .value_kind:     global_buffer
      - .actual_access:  read_only
        .address_space:  global
        .offset:         8
        .size:           8
        .value_kind:     global_buffer
      - .actual_access:  read_only
        .address_space:  global
        .offset:         16
        .size:           8
        .value_kind:     global_buffer
      - .offset:         24
        .size:           4
        .value_kind:     by_value
      - .offset:         28
        .size:           4
        .value_kind:     by_value
      - .actual_access:  read_only
        .address_space:  global
        .offset:         32
        .size:           8
        .value_kind:     global_buffer
      - .actual_access:  read_only
        .address_space:  global
        .offset:         40
        .size:           8
        .value_kind:     global_buffer
      - .actual_access:  read_only
        .address_space:  global
        .offset:         48
        .size:           8
        .value_kind:     global_buffer
      - .offset:         56
        .size:           4
        .value_kind:     by_value
      - .actual_access:  read_only
        .address_space:  global
        .offset:         64
        .size:           8
        .value_kind:     global_buffer
      - .offset:         72
        .size:           4
        .value_kind:     by_value
      - .offset:         76
        .size:           4
        .value_kind:     by_value
      - .offset:         80
        .size:           4
        .value_kind:     by_value
      - .actual_access:  read_only
        .address_space:  global
        .offset:         88
        .size:           8
        .value_kind:     global_buffer
      - .actual_access:  read_only
        .address_space:  global
        .offset:         96
        .size:           8
        .value_kind:     global_buffer
      - .actual_access:  read_only
        .address_space:  global
        .offset:         104
        .size:           8
        .value_kind:     global_buffer
      - .actual_access:  read_only
        .address_space:  global
        .offset:         112
        .size:           8
        .value_kind:     global_buffer
      - .offset:         120
        .size:           4
        .value_kind:     by_value
      - .address_space:  global
        .offset:         128
        .size:           8
        .value_kind:     global_buffer
      - .address_space:  global
        .offset:         136
        .size:           8
        .value_kind:     global_buffer
      - .offset:         144
        .size:           4
        .value_kind:     hidden_block_count_x
      - .offset:         148
        .size:           4
        .value_kind:     hidden_block_count_y
      - .offset:         152
        .size:           4
        .value_kind:     hidden_block_count_z
      - .offset:         156
        .size:           2
        .value_kind:     hidden_group_size_x
      - .offset:         158
        .size:           2
        .value_kind:     hidden_group_size_y
      - .offset:         160
        .size:           2
        .value_kind:     hidden_group_size_z
      - .offset:         162
        .size:           2
        .value_kind:     hidden_remainder_x
      - .offset:         164
        .size:           2
        .value_kind:     hidden_remainder_y
      - .offset:         166
        .size:           2
        .value_kind:     hidden_remainder_z
      - .offset:         184
        .size:           8
        .value_kind:     hidden_global_offset_x
      - .offset:         192
        .size:           8
        .value_kind:     hidden_global_offset_y
      - .offset:         200
        .size:           8
        .value_kind:     hidden_global_offset_z
      - .offset:         208
        .size:           2
        .value_kind:     hidden_grid_dims
      - .offset:         224
        .size:           8
        .value_kind:     hidden_hostcall_buffer
    .group_segment_fixed_size: 0
    .kernarg_segment_align: 8
    .kernarg_segment_size: 400
    .language:       OpenCL C
    .language_version:
      - 2
      - 0
    .max_flat_workgroup_size: 256
    .name:           _Z39paged_attention_ll4mi_QKV_mfma16_kernelIDF16_hLN4vllm18Fp8KVCacheDataTypeE1EhLi32ELi64ELi256ELb0ELi5EEvPKT_PKT0_S7_ifPKiS9_S9_iPKfiiiPfSC_PS2_PT2_iSB_SB_
    .private_segment_fixed_size: 64
    .sgpr_count:     36
    .sgpr_spill_count: 0
    .symbol:         _Z39paged_attention_ll4mi_QKV_mfma16_kernelIDF16_hLN4vllm18Fp8KVCacheDataTypeE1EhLi32ELi64ELi256ELb0ELi5EEvPKT_PKT0_S7_ifPKiS9_S9_iPKfiiiPfSC_PS2_PT2_iSB_SB_.kd
    .uniform_work_group_size: 1
    .uses_dynamic_stack: false
    .vgpr_count:     51
    .vgpr_spill_count: 0
    .wavefront_size: 32
  - .args:
      - .actual_access:  read_only
        .address_space:  global
        .offset:         0
        .size:           8
        .value_kind:     global_buffer
      - .actual_access:  read_only
        .address_space:  global
        .offset:         8
        .size:           8
        .value_kind:     global_buffer
      - .actual_access:  read_only
        .address_space:  global
        .offset:         16
        .size:           8
        .value_kind:     global_buffer
      - .offset:         24
        .size:           4
        .value_kind:     by_value
      - .offset:         28
        .size:           4
        .value_kind:     by_value
      - .actual_access:  read_only
        .address_space:  global
        .offset:         32
        .size:           8
        .value_kind:     global_buffer
      - .actual_access:  read_only
        .address_space:  global
        .offset:         40
        .size:           8
        .value_kind:     global_buffer
      - .actual_access:  read_only
        .address_space:  global
        .offset:         48
        .size:           8
        .value_kind:     global_buffer
      - .offset:         56
        .size:           4
        .value_kind:     by_value
      - .actual_access:  read_only
        .address_space:  global
        .offset:         64
        .size:           8
        .value_kind:     global_buffer
      - .offset:         72
        .size:           4
        .value_kind:     by_value
      - .offset:         76
        .size:           4
        .value_kind:     by_value
      - .offset:         80
        .size:           4
        .value_kind:     by_value
      - .actual_access:  read_only
        .address_space:  global
        .offset:         88
        .size:           8
        .value_kind:     global_buffer
      - .actual_access:  read_only
        .address_space:  global
        .offset:         96
        .size:           8
        .value_kind:     global_buffer
      - .actual_access:  read_only
        .address_space:  global
        .offset:         104
        .size:           8
        .value_kind:     global_buffer
      - .actual_access:  read_only
        .address_space:  global
        .offset:         112
        .size:           8
        .value_kind:     global_buffer
      - .offset:         120
        .size:           4
        .value_kind:     by_value
      - .address_space:  global
        .offset:         128
        .size:           8
        .value_kind:     global_buffer
      - .address_space:  global
        .offset:         136
        .size:           8
        .value_kind:     global_buffer
      - .offset:         144
        .size:           4
        .value_kind:     hidden_block_count_x
      - .offset:         148
        .size:           4
        .value_kind:     hidden_block_count_y
      - .offset:         152
        .size:           4
        .value_kind:     hidden_block_count_z
      - .offset:         156
        .size:           2
        .value_kind:     hidden_group_size_x
      - .offset:         158
        .size:           2
        .value_kind:     hidden_group_size_y
      - .offset:         160
        .size:           2
        .value_kind:     hidden_group_size_z
      - .offset:         162
        .size:           2
        .value_kind:     hidden_remainder_x
      - .offset:         164
        .size:           2
        .value_kind:     hidden_remainder_y
      - .offset:         166
        .size:           2
        .value_kind:     hidden_remainder_z
      - .offset:         184
        .size:           8
        .value_kind:     hidden_global_offset_x
      - .offset:         192
        .size:           8
        .value_kind:     hidden_global_offset_y
      - .offset:         200
        .size:           8
        .value_kind:     hidden_global_offset_z
      - .offset:         208
        .size:           2
        .value_kind:     hidden_grid_dims
      - .offset:         224
        .size:           8
        .value_kind:     hidden_hostcall_buffer
    .group_segment_fixed_size: 0
    .kernarg_segment_align: 8
    .kernarg_segment_size: 400
    .language:       OpenCL C
    .language_version:
      - 2
      - 0
    .max_flat_workgroup_size: 256
    .name:           _Z39paged_attention_ll4mi_QKV_mfma16_kernelIDF16_hLN4vllm18Fp8KVCacheDataTypeE1EhLi32ELi64ELi256ELb0ELi6EEvPKT_PKT0_S7_ifPKiS9_S9_iPKfiiiPfSC_PS2_PT2_iSB_SB_
    .private_segment_fixed_size: 64
    .sgpr_count:     36
    .sgpr_spill_count: 0
    .symbol:         _Z39paged_attention_ll4mi_QKV_mfma16_kernelIDF16_hLN4vllm18Fp8KVCacheDataTypeE1EhLi32ELi64ELi256ELb0ELi6EEvPKT_PKT0_S7_ifPKiS9_S9_iPKfiiiPfSC_PS2_PT2_iSB_SB_.kd
    .uniform_work_group_size: 1
    .uses_dynamic_stack: false
    .vgpr_count:     51
    .vgpr_spill_count: 0
    .wavefront_size: 32
  - .args:
      - .actual_access:  read_only
        .address_space:  global
        .offset:         0
        .size:           8
        .value_kind:     global_buffer
      - .actual_access:  read_only
        .address_space:  global
        .offset:         8
        .size:           8
        .value_kind:     global_buffer
      - .actual_access:  read_only
        .address_space:  global
        .offset:         16
        .size:           8
        .value_kind:     global_buffer
      - .offset:         24
        .size:           4
        .value_kind:     by_value
      - .offset:         28
        .size:           4
        .value_kind:     by_value
      - .actual_access:  read_only
        .address_space:  global
        .offset:         32
        .size:           8
        .value_kind:     global_buffer
      - .actual_access:  read_only
        .address_space:  global
        .offset:         40
        .size:           8
        .value_kind:     global_buffer
      - .actual_access:  read_only
        .address_space:  global
        .offset:         48
        .size:           8
        .value_kind:     global_buffer
      - .offset:         56
        .size:           4
        .value_kind:     by_value
      - .actual_access:  read_only
        .address_space:  global
        .offset:         64
        .size:           8
        .value_kind:     global_buffer
      - .offset:         72
        .size:           4
        .value_kind:     by_value
      - .offset:         76
        .size:           4
        .value_kind:     by_value
      - .offset:         80
        .size:           4
        .value_kind:     by_value
      - .actual_access:  read_only
        .address_space:  global
        .offset:         88
        .size:           8
        .value_kind:     global_buffer
      - .actual_access:  read_only
        .address_space:  global
        .offset:         96
        .size:           8
        .value_kind:     global_buffer
      - .actual_access:  read_only
        .address_space:  global
        .offset:         104
        .size:           8
        .value_kind:     global_buffer
      - .actual_access:  read_only
        .address_space:  global
        .offset:         112
        .size:           8
        .value_kind:     global_buffer
      - .offset:         120
        .size:           4
        .value_kind:     by_value
      - .address_space:  global
        .offset:         128
        .size:           8
        .value_kind:     global_buffer
      - .address_space:  global
        .offset:         136
        .size:           8
        .value_kind:     global_buffer
      - .offset:         144
        .size:           4
        .value_kind:     hidden_block_count_x
      - .offset:         148
        .size:           4
        .value_kind:     hidden_block_count_y
      - .offset:         152
        .size:           4
        .value_kind:     hidden_block_count_z
      - .offset:         156
        .size:           2
        .value_kind:     hidden_group_size_x
      - .offset:         158
        .size:           2
        .value_kind:     hidden_group_size_y
      - .offset:         160
        .size:           2
        .value_kind:     hidden_group_size_z
      - .offset:         162
        .size:           2
        .value_kind:     hidden_remainder_x
      - .offset:         164
        .size:           2
        .value_kind:     hidden_remainder_y
      - .offset:         166
        .size:           2
        .value_kind:     hidden_remainder_z
      - .offset:         184
        .size:           8
        .value_kind:     hidden_global_offset_x
      - .offset:         192
        .size:           8
        .value_kind:     hidden_global_offset_y
      - .offset:         200
        .size:           8
        .value_kind:     hidden_global_offset_z
      - .offset:         208
        .size:           2
        .value_kind:     hidden_grid_dims
      - .offset:         224
        .size:           8
        .value_kind:     hidden_hostcall_buffer
    .group_segment_fixed_size: 0
    .kernarg_segment_align: 8
    .kernarg_segment_size: 400
    .language:       OpenCL C
    .language_version:
      - 2
      - 0
    .max_flat_workgroup_size: 256
    .name:           _Z39paged_attention_ll4mi_QKV_mfma16_kernelIDF16_hLN4vllm18Fp8KVCacheDataTypeE1EhLi32ELi64ELi256ELb0ELi7EEvPKT_PKT0_S7_ifPKiS9_S9_iPKfiiiPfSC_PS2_PT2_iSB_SB_
    .private_segment_fixed_size: 64
    .sgpr_count:     36
    .sgpr_spill_count: 0
    .symbol:         _Z39paged_attention_ll4mi_QKV_mfma16_kernelIDF16_hLN4vllm18Fp8KVCacheDataTypeE1EhLi32ELi64ELi256ELb0ELi7EEvPKT_PKT0_S7_ifPKiS9_S9_iPKfiiiPfSC_PS2_PT2_iSB_SB_.kd
    .uniform_work_group_size: 1
    .uses_dynamic_stack: false
    .vgpr_count:     51
    .vgpr_spill_count: 0
    .wavefront_size: 32
  - .args:
      - .actual_access:  read_only
        .address_space:  global
        .offset:         0
        .size:           8
        .value_kind:     global_buffer
      - .actual_access:  read_only
        .address_space:  global
        .offset:         8
        .size:           8
        .value_kind:     global_buffer
      - .actual_access:  read_only
        .address_space:  global
        .offset:         16
        .size:           8
        .value_kind:     global_buffer
      - .offset:         24
        .size:           4
        .value_kind:     by_value
      - .offset:         28
        .size:           4
        .value_kind:     by_value
      - .actual_access:  read_only
        .address_space:  global
        .offset:         32
        .size:           8
        .value_kind:     global_buffer
      - .actual_access:  read_only
        .address_space:  global
        .offset:         40
        .size:           8
        .value_kind:     global_buffer
      - .actual_access:  read_only
        .address_space:  global
        .offset:         48
        .size:           8
        .value_kind:     global_buffer
      - .offset:         56
        .size:           4
        .value_kind:     by_value
      - .actual_access:  read_only
        .address_space:  global
        .offset:         64
        .size:           8
        .value_kind:     global_buffer
      - .offset:         72
        .size:           4
        .value_kind:     by_value
      - .offset:         76
        .size:           4
        .value_kind:     by_value
      - .offset:         80
        .size:           4
        .value_kind:     by_value
      - .actual_access:  read_only
        .address_space:  global
        .offset:         88
        .size:           8
        .value_kind:     global_buffer
      - .actual_access:  read_only
        .address_space:  global
        .offset:         96
        .size:           8
        .value_kind:     global_buffer
      - .actual_access:  read_only
        .address_space:  global
        .offset:         104
        .size:           8
        .value_kind:     global_buffer
      - .actual_access:  read_only
        .address_space:  global
        .offset:         112
        .size:           8
        .value_kind:     global_buffer
      - .offset:         120
        .size:           4
        .value_kind:     by_value
      - .address_space:  global
        .offset:         128
        .size:           8
        .value_kind:     global_buffer
      - .address_space:  global
        .offset:         136
        .size:           8
        .value_kind:     global_buffer
      - .offset:         144
        .size:           4
        .value_kind:     hidden_block_count_x
      - .offset:         148
        .size:           4
        .value_kind:     hidden_block_count_y
      - .offset:         152
        .size:           4
        .value_kind:     hidden_block_count_z
      - .offset:         156
        .size:           2
        .value_kind:     hidden_group_size_x
      - .offset:         158
        .size:           2
        .value_kind:     hidden_group_size_y
      - .offset:         160
        .size:           2
        .value_kind:     hidden_group_size_z
      - .offset:         162
        .size:           2
        .value_kind:     hidden_remainder_x
      - .offset:         164
        .size:           2
        .value_kind:     hidden_remainder_y
      - .offset:         166
        .size:           2
        .value_kind:     hidden_remainder_z
      - .offset:         184
        .size:           8
        .value_kind:     hidden_global_offset_x
      - .offset:         192
        .size:           8
        .value_kind:     hidden_global_offset_y
      - .offset:         200
        .size:           8
        .value_kind:     hidden_global_offset_z
      - .offset:         208
        .size:           2
        .value_kind:     hidden_grid_dims
      - .offset:         224
        .size:           8
        .value_kind:     hidden_hostcall_buffer
    .group_segment_fixed_size: 0
    .kernarg_segment_align: 8
    .kernarg_segment_size: 400
    .language:       OpenCL C
    .language_version:
      - 2
      - 0
    .max_flat_workgroup_size: 256
    .name:           _Z39paged_attention_ll4mi_QKV_mfma16_kernelIDF16_hLN4vllm18Fp8KVCacheDataTypeE1EhLi32ELi64ELi256ELb0ELi8EEvPKT_PKT0_S7_ifPKiS9_S9_iPKfiiiPfSC_PS2_PT2_iSB_SB_
    .private_segment_fixed_size: 64
    .sgpr_count:     36
    .sgpr_spill_count: 0
    .symbol:         _Z39paged_attention_ll4mi_QKV_mfma16_kernelIDF16_hLN4vllm18Fp8KVCacheDataTypeE1EhLi32ELi64ELi256ELb0ELi8EEvPKT_PKT0_S7_ifPKiS9_S9_iPKfiiiPfSC_PS2_PT2_iSB_SB_.kd
    .uniform_work_group_size: 1
    .uses_dynamic_stack: false
    .vgpr_count:     51
    .vgpr_spill_count: 0
    .wavefront_size: 32
  - .args:
      - .actual_access:  read_only
        .address_space:  global
        .offset:         0
        .size:           8
        .value_kind:     global_buffer
      - .actual_access:  read_only
        .address_space:  global
        .offset:         8
        .size:           8
        .value_kind:     global_buffer
      - .actual_access:  read_only
        .address_space:  global
        .offset:         16
        .size:           8
        .value_kind:     global_buffer
      - .offset:         24
        .size:           4
        .value_kind:     by_value
      - .offset:         28
        .size:           4
        .value_kind:     by_value
      - .actual_access:  read_only
        .address_space:  global
        .offset:         32
        .size:           8
        .value_kind:     global_buffer
      - .actual_access:  read_only
        .address_space:  global
        .offset:         40
        .size:           8
        .value_kind:     global_buffer
      - .actual_access:  read_only
        .address_space:  global
        .offset:         48
        .size:           8
        .value_kind:     global_buffer
      - .offset:         56
        .size:           4
        .value_kind:     by_value
      - .actual_access:  read_only
        .address_space:  global
        .offset:         64
        .size:           8
        .value_kind:     global_buffer
      - .offset:         72
        .size:           4
        .value_kind:     by_value
      - .offset:         76
        .size:           4
        .value_kind:     by_value
      - .offset:         80
        .size:           4
        .value_kind:     by_value
      - .actual_access:  read_only
        .address_space:  global
        .offset:         88
        .size:           8
        .value_kind:     global_buffer
      - .actual_access:  read_only
        .address_space:  global
        .offset:         96
        .size:           8
        .value_kind:     global_buffer
      - .actual_access:  read_only
        .address_space:  global
        .offset:         104
        .size:           8
        .value_kind:     global_buffer
      - .actual_access:  read_only
        .address_space:  global
        .offset:         112
        .size:           8
        .value_kind:     global_buffer
      - .offset:         120
        .size:           4
        .value_kind:     by_value
      - .address_space:  global
        .offset:         128
        .size:           8
        .value_kind:     global_buffer
      - .address_space:  global
        .offset:         136
        .size:           8
        .value_kind:     global_buffer
      - .offset:         144
        .size:           4
        .value_kind:     hidden_block_count_x
      - .offset:         148
        .size:           4
        .value_kind:     hidden_block_count_y
      - .offset:         152
        .size:           4
        .value_kind:     hidden_block_count_z
      - .offset:         156
        .size:           2
        .value_kind:     hidden_group_size_x
      - .offset:         158
        .size:           2
        .value_kind:     hidden_group_size_y
      - .offset:         160
        .size:           2
        .value_kind:     hidden_group_size_z
      - .offset:         162
        .size:           2
        .value_kind:     hidden_remainder_x
      - .offset:         164
        .size:           2
        .value_kind:     hidden_remainder_y
      - .offset:         166
        .size:           2
        .value_kind:     hidden_remainder_z
      - .offset:         184
        .size:           8
        .value_kind:     hidden_global_offset_x
      - .offset:         192
        .size:           8
        .value_kind:     hidden_global_offset_y
      - .offset:         200
        .size:           8
        .value_kind:     hidden_global_offset_z
      - .offset:         208
        .size:           2
        .value_kind:     hidden_grid_dims
      - .offset:         224
        .size:           8
        .value_kind:     hidden_hostcall_buffer
    .group_segment_fixed_size: 0
    .kernarg_segment_align: 8
    .kernarg_segment_size: 400
    .language:       OpenCL C
    .language_version:
      - 2
      - 0
    .max_flat_workgroup_size: 256
    .name:           _Z39paged_attention_ll4mi_QKV_mfma16_kernelIDF16_hLN4vllm18Fp8KVCacheDataTypeE1EhLi32ELi64ELi256ELb0ELi9EEvPKT_PKT0_S7_ifPKiS9_S9_iPKfiiiPfSC_PS2_PT2_iSB_SB_
    .private_segment_fixed_size: 64
    .sgpr_count:     36
    .sgpr_spill_count: 0
    .symbol:         _Z39paged_attention_ll4mi_QKV_mfma16_kernelIDF16_hLN4vllm18Fp8KVCacheDataTypeE1EhLi32ELi64ELi256ELb0ELi9EEvPKT_PKT0_S7_ifPKiS9_S9_iPKfiiiPfSC_PS2_PT2_iSB_SB_.kd
    .uniform_work_group_size: 1
    .uses_dynamic_stack: false
    .vgpr_count:     51
    .vgpr_spill_count: 0
    .wavefront_size: 32
  - .args:
      - .actual_access:  read_only
        .address_space:  global
        .offset:         0
        .size:           8
        .value_kind:     global_buffer
      - .actual_access:  read_only
        .address_space:  global
        .offset:         8
        .size:           8
        .value_kind:     global_buffer
      - .actual_access:  read_only
        .address_space:  global
        .offset:         16
        .size:           8
        .value_kind:     global_buffer
      - .offset:         24
        .size:           4
        .value_kind:     by_value
      - .offset:         28
        .size:           4
        .value_kind:     by_value
      - .actual_access:  read_only
        .address_space:  global
        .offset:         32
        .size:           8
        .value_kind:     global_buffer
      - .actual_access:  read_only
        .address_space:  global
        .offset:         40
        .size:           8
        .value_kind:     global_buffer
      - .actual_access:  read_only
        .address_space:  global
        .offset:         48
        .size:           8
        .value_kind:     global_buffer
      - .offset:         56
        .size:           4
        .value_kind:     by_value
      - .actual_access:  read_only
        .address_space:  global
        .offset:         64
        .size:           8
        .value_kind:     global_buffer
      - .offset:         72
        .size:           4
        .value_kind:     by_value
      - .offset:         76
        .size:           4
        .value_kind:     by_value
      - .offset:         80
        .size:           4
        .value_kind:     by_value
      - .actual_access:  read_only
        .address_space:  global
        .offset:         88
        .size:           8
        .value_kind:     global_buffer
      - .actual_access:  read_only
        .address_space:  global
        .offset:         96
        .size:           8
        .value_kind:     global_buffer
      - .actual_access:  read_only
        .address_space:  global
        .offset:         104
        .size:           8
        .value_kind:     global_buffer
      - .actual_access:  read_only
        .address_space:  global
        .offset:         112
        .size:           8
        .value_kind:     global_buffer
      - .offset:         120
        .size:           4
        .value_kind:     by_value
      - .address_space:  global
        .offset:         128
        .size:           8
        .value_kind:     global_buffer
      - .address_space:  global
        .offset:         136
        .size:           8
        .value_kind:     global_buffer
      - .offset:         144
        .size:           4
        .value_kind:     hidden_block_count_x
      - .offset:         148
        .size:           4
        .value_kind:     hidden_block_count_y
      - .offset:         152
        .size:           4
        .value_kind:     hidden_block_count_z
      - .offset:         156
        .size:           2
        .value_kind:     hidden_group_size_x
      - .offset:         158
        .size:           2
        .value_kind:     hidden_group_size_y
      - .offset:         160
        .size:           2
        .value_kind:     hidden_group_size_z
      - .offset:         162
        .size:           2
        .value_kind:     hidden_remainder_x
      - .offset:         164
        .size:           2
        .value_kind:     hidden_remainder_y
      - .offset:         166
        .size:           2
        .value_kind:     hidden_remainder_z
      - .offset:         184
        .size:           8
        .value_kind:     hidden_global_offset_x
      - .offset:         192
        .size:           8
        .value_kind:     hidden_global_offset_y
      - .offset:         200
        .size:           8
        .value_kind:     hidden_global_offset_z
      - .offset:         208
        .size:           2
        .value_kind:     hidden_grid_dims
      - .offset:         224
        .size:           8
        .value_kind:     hidden_hostcall_buffer
    .group_segment_fixed_size: 0
    .kernarg_segment_align: 8
    .kernarg_segment_size: 400
    .language:       OpenCL C
    .language_version:
      - 2
      - 0
    .max_flat_workgroup_size: 256
    .name:           _Z39paged_attention_ll4mi_QKV_mfma16_kernelIDF16_hLN4vllm18Fp8KVCacheDataTypeE1EhLi32ELi64ELi256ELb0ELi10EEvPKT_PKT0_S7_ifPKiS9_S9_iPKfiiiPfSC_PS2_PT2_iSB_SB_
    .private_segment_fixed_size: 64
    .sgpr_count:     36
    .sgpr_spill_count: 0
    .symbol:         _Z39paged_attention_ll4mi_QKV_mfma16_kernelIDF16_hLN4vllm18Fp8KVCacheDataTypeE1EhLi32ELi64ELi256ELb0ELi10EEvPKT_PKT0_S7_ifPKiS9_S9_iPKfiiiPfSC_PS2_PT2_iSB_SB_.kd
    .uniform_work_group_size: 1
    .uses_dynamic_stack: false
    .vgpr_count:     51
    .vgpr_spill_count: 0
    .wavefront_size: 32
  - .args:
      - .actual_access:  read_only
        .address_space:  global
        .offset:         0
        .size:           8
        .value_kind:     global_buffer
      - .actual_access:  read_only
        .address_space:  global
        .offset:         8
        .size:           8
        .value_kind:     global_buffer
      - .actual_access:  read_only
        .address_space:  global
        .offset:         16
        .size:           8
        .value_kind:     global_buffer
      - .offset:         24
        .size:           4
        .value_kind:     by_value
      - .offset:         28
        .size:           4
        .value_kind:     by_value
      - .actual_access:  read_only
        .address_space:  global
        .offset:         32
        .size:           8
        .value_kind:     global_buffer
      - .actual_access:  read_only
        .address_space:  global
        .offset:         40
        .size:           8
        .value_kind:     global_buffer
      - .actual_access:  read_only
        .address_space:  global
        .offset:         48
        .size:           8
        .value_kind:     global_buffer
      - .offset:         56
        .size:           4
        .value_kind:     by_value
      - .actual_access:  read_only
        .address_space:  global
        .offset:         64
        .size:           8
        .value_kind:     global_buffer
      - .offset:         72
        .size:           4
        .value_kind:     by_value
      - .offset:         76
        .size:           4
        .value_kind:     by_value
      - .offset:         80
        .size:           4
        .value_kind:     by_value
      - .actual_access:  read_only
        .address_space:  global
        .offset:         88
        .size:           8
        .value_kind:     global_buffer
      - .actual_access:  read_only
        .address_space:  global
        .offset:         96
        .size:           8
        .value_kind:     global_buffer
      - .actual_access:  read_only
        .address_space:  global
        .offset:         104
        .size:           8
        .value_kind:     global_buffer
      - .actual_access:  read_only
        .address_space:  global
        .offset:         112
        .size:           8
        .value_kind:     global_buffer
      - .offset:         120
        .size:           4
        .value_kind:     by_value
      - .address_space:  global
        .offset:         128
        .size:           8
        .value_kind:     global_buffer
      - .address_space:  global
        .offset:         136
        .size:           8
        .value_kind:     global_buffer
      - .offset:         144
        .size:           4
        .value_kind:     hidden_block_count_x
      - .offset:         148
        .size:           4
        .value_kind:     hidden_block_count_y
      - .offset:         152
        .size:           4
        .value_kind:     hidden_block_count_z
      - .offset:         156
        .size:           2
        .value_kind:     hidden_group_size_x
      - .offset:         158
        .size:           2
        .value_kind:     hidden_group_size_y
      - .offset:         160
        .size:           2
        .value_kind:     hidden_group_size_z
      - .offset:         162
        .size:           2
        .value_kind:     hidden_remainder_x
      - .offset:         164
        .size:           2
        .value_kind:     hidden_remainder_y
      - .offset:         166
        .size:           2
        .value_kind:     hidden_remainder_z
      - .offset:         184
        .size:           8
        .value_kind:     hidden_global_offset_x
      - .offset:         192
        .size:           8
        .value_kind:     hidden_global_offset_y
      - .offset:         200
        .size:           8
        .value_kind:     hidden_global_offset_z
      - .offset:         208
        .size:           2
        .value_kind:     hidden_grid_dims
      - .offset:         224
        .size:           8
        .value_kind:     hidden_hostcall_buffer
    .group_segment_fixed_size: 0
    .kernarg_segment_align: 8
    .kernarg_segment_size: 400
    .language:       OpenCL C
    .language_version:
      - 2
      - 0
    .max_flat_workgroup_size: 256
    .name:           _Z39paged_attention_ll4mi_QKV_mfma16_kernelIDF16_hLN4vllm18Fp8KVCacheDataTypeE1EhLi32ELi64ELi256ELb0ELi11EEvPKT_PKT0_S7_ifPKiS9_S9_iPKfiiiPfSC_PS2_PT2_iSB_SB_
    .private_segment_fixed_size: 64
    .sgpr_count:     36
    .sgpr_spill_count: 0
    .symbol:         _Z39paged_attention_ll4mi_QKV_mfma16_kernelIDF16_hLN4vllm18Fp8KVCacheDataTypeE1EhLi32ELi64ELi256ELb0ELi11EEvPKT_PKT0_S7_ifPKiS9_S9_iPKfiiiPfSC_PS2_PT2_iSB_SB_.kd
    .uniform_work_group_size: 1
    .uses_dynamic_stack: false
    .vgpr_count:     51
    .vgpr_spill_count: 0
    .wavefront_size: 32
  - .args:
      - .actual_access:  read_only
        .address_space:  global
        .offset:         0
        .size:           8
        .value_kind:     global_buffer
      - .actual_access:  read_only
        .address_space:  global
        .offset:         8
        .size:           8
        .value_kind:     global_buffer
      - .actual_access:  read_only
        .address_space:  global
        .offset:         16
        .size:           8
        .value_kind:     global_buffer
      - .offset:         24
        .size:           4
        .value_kind:     by_value
      - .offset:         28
        .size:           4
        .value_kind:     by_value
      - .actual_access:  read_only
        .address_space:  global
        .offset:         32
        .size:           8
        .value_kind:     global_buffer
      - .actual_access:  read_only
        .address_space:  global
        .offset:         40
        .size:           8
        .value_kind:     global_buffer
      - .actual_access:  read_only
        .address_space:  global
        .offset:         48
        .size:           8
        .value_kind:     global_buffer
      - .offset:         56
        .size:           4
        .value_kind:     by_value
      - .actual_access:  read_only
        .address_space:  global
        .offset:         64
        .size:           8
        .value_kind:     global_buffer
      - .offset:         72
        .size:           4
        .value_kind:     by_value
      - .offset:         76
        .size:           4
        .value_kind:     by_value
      - .offset:         80
        .size:           4
        .value_kind:     by_value
      - .actual_access:  read_only
        .address_space:  global
        .offset:         88
        .size:           8
        .value_kind:     global_buffer
      - .actual_access:  read_only
        .address_space:  global
        .offset:         96
        .size:           8
        .value_kind:     global_buffer
      - .actual_access:  read_only
        .address_space:  global
        .offset:         104
        .size:           8
        .value_kind:     global_buffer
      - .actual_access:  read_only
        .address_space:  global
        .offset:         112
        .size:           8
        .value_kind:     global_buffer
      - .offset:         120
        .size:           4
        .value_kind:     by_value
      - .address_space:  global
        .offset:         128
        .size:           8
        .value_kind:     global_buffer
      - .address_space:  global
        .offset:         136
        .size:           8
        .value_kind:     global_buffer
      - .offset:         144
        .size:           4
        .value_kind:     hidden_block_count_x
      - .offset:         148
        .size:           4
        .value_kind:     hidden_block_count_y
      - .offset:         152
        .size:           4
        .value_kind:     hidden_block_count_z
      - .offset:         156
        .size:           2
        .value_kind:     hidden_group_size_x
      - .offset:         158
        .size:           2
        .value_kind:     hidden_group_size_y
      - .offset:         160
        .size:           2
        .value_kind:     hidden_group_size_z
      - .offset:         162
        .size:           2
        .value_kind:     hidden_remainder_x
      - .offset:         164
        .size:           2
        .value_kind:     hidden_remainder_y
      - .offset:         166
        .size:           2
        .value_kind:     hidden_remainder_z
      - .offset:         184
        .size:           8
        .value_kind:     hidden_global_offset_x
      - .offset:         192
        .size:           8
        .value_kind:     hidden_global_offset_y
      - .offset:         200
        .size:           8
        .value_kind:     hidden_global_offset_z
      - .offset:         208
        .size:           2
        .value_kind:     hidden_grid_dims
      - .offset:         224
        .size:           8
        .value_kind:     hidden_hostcall_buffer
    .group_segment_fixed_size: 0
    .kernarg_segment_align: 8
    .kernarg_segment_size: 400
    .language:       OpenCL C
    .language_version:
      - 2
      - 0
    .max_flat_workgroup_size: 256
    .name:           _Z39paged_attention_ll4mi_QKV_mfma16_kernelIDF16_hLN4vllm18Fp8KVCacheDataTypeE1EhLi32ELi64ELi256ELb0ELi12EEvPKT_PKT0_S7_ifPKiS9_S9_iPKfiiiPfSC_PS2_PT2_iSB_SB_
    .private_segment_fixed_size: 64
    .sgpr_count:     36
    .sgpr_spill_count: 0
    .symbol:         _Z39paged_attention_ll4mi_QKV_mfma16_kernelIDF16_hLN4vllm18Fp8KVCacheDataTypeE1EhLi32ELi64ELi256ELb0ELi12EEvPKT_PKT0_S7_ifPKiS9_S9_iPKfiiiPfSC_PS2_PT2_iSB_SB_.kd
    .uniform_work_group_size: 1
    .uses_dynamic_stack: false
    .vgpr_count:     51
    .vgpr_spill_count: 0
    .wavefront_size: 32
  - .args:
      - .actual_access:  read_only
        .address_space:  global
        .offset:         0
        .size:           8
        .value_kind:     global_buffer
      - .actual_access:  read_only
        .address_space:  global
        .offset:         8
        .size:           8
        .value_kind:     global_buffer
      - .actual_access:  read_only
        .address_space:  global
        .offset:         16
        .size:           8
        .value_kind:     global_buffer
      - .offset:         24
        .size:           4
        .value_kind:     by_value
      - .offset:         28
        .size:           4
        .value_kind:     by_value
      - .actual_access:  read_only
        .address_space:  global
        .offset:         32
        .size:           8
        .value_kind:     global_buffer
      - .actual_access:  read_only
        .address_space:  global
        .offset:         40
        .size:           8
        .value_kind:     global_buffer
      - .actual_access:  read_only
        .address_space:  global
        .offset:         48
        .size:           8
        .value_kind:     global_buffer
      - .offset:         56
        .size:           4
        .value_kind:     by_value
      - .actual_access:  read_only
        .address_space:  global
        .offset:         64
        .size:           8
        .value_kind:     global_buffer
      - .offset:         72
        .size:           4
        .value_kind:     by_value
      - .offset:         76
        .size:           4
        .value_kind:     by_value
      - .offset:         80
        .size:           4
        .value_kind:     by_value
      - .actual_access:  read_only
        .address_space:  global
        .offset:         88
        .size:           8
        .value_kind:     global_buffer
      - .actual_access:  read_only
        .address_space:  global
        .offset:         96
        .size:           8
        .value_kind:     global_buffer
      - .actual_access:  read_only
        .address_space:  global
        .offset:         104
        .size:           8
        .value_kind:     global_buffer
      - .actual_access:  read_only
        .address_space:  global
        .offset:         112
        .size:           8
        .value_kind:     global_buffer
      - .offset:         120
        .size:           4
        .value_kind:     by_value
      - .address_space:  global
        .offset:         128
        .size:           8
        .value_kind:     global_buffer
      - .address_space:  global
        .offset:         136
        .size:           8
        .value_kind:     global_buffer
      - .offset:         144
        .size:           4
        .value_kind:     hidden_block_count_x
      - .offset:         148
        .size:           4
        .value_kind:     hidden_block_count_y
      - .offset:         152
        .size:           4
        .value_kind:     hidden_block_count_z
      - .offset:         156
        .size:           2
        .value_kind:     hidden_group_size_x
      - .offset:         158
        .size:           2
        .value_kind:     hidden_group_size_y
      - .offset:         160
        .size:           2
        .value_kind:     hidden_group_size_z
      - .offset:         162
        .size:           2
        .value_kind:     hidden_remainder_x
      - .offset:         164
        .size:           2
        .value_kind:     hidden_remainder_y
      - .offset:         166
        .size:           2
        .value_kind:     hidden_remainder_z
      - .offset:         184
        .size:           8
        .value_kind:     hidden_global_offset_x
      - .offset:         192
        .size:           8
        .value_kind:     hidden_global_offset_y
      - .offset:         200
        .size:           8
        .value_kind:     hidden_global_offset_z
      - .offset:         208
        .size:           2
        .value_kind:     hidden_grid_dims
      - .offset:         224
        .size:           8
        .value_kind:     hidden_hostcall_buffer
    .group_segment_fixed_size: 0
    .kernarg_segment_align: 8
    .kernarg_segment_size: 400
    .language:       OpenCL C
    .language_version:
      - 2
      - 0
    .max_flat_workgroup_size: 256
    .name:           _Z39paged_attention_ll4mi_QKV_mfma16_kernelIDF16_hLN4vllm18Fp8KVCacheDataTypeE1EhLi32ELi64ELi256ELb0ELi13EEvPKT_PKT0_S7_ifPKiS9_S9_iPKfiiiPfSC_PS2_PT2_iSB_SB_
    .private_segment_fixed_size: 64
    .sgpr_count:     36
    .sgpr_spill_count: 0
    .symbol:         _Z39paged_attention_ll4mi_QKV_mfma16_kernelIDF16_hLN4vllm18Fp8KVCacheDataTypeE1EhLi32ELi64ELi256ELb0ELi13EEvPKT_PKT0_S7_ifPKiS9_S9_iPKfiiiPfSC_PS2_PT2_iSB_SB_.kd
    .uniform_work_group_size: 1
    .uses_dynamic_stack: false
    .vgpr_count:     51
    .vgpr_spill_count: 0
    .wavefront_size: 32
  - .args:
      - .actual_access:  read_only
        .address_space:  global
        .offset:         0
        .size:           8
        .value_kind:     global_buffer
      - .actual_access:  read_only
        .address_space:  global
        .offset:         8
        .size:           8
        .value_kind:     global_buffer
      - .actual_access:  read_only
        .address_space:  global
        .offset:         16
        .size:           8
        .value_kind:     global_buffer
      - .offset:         24
        .size:           4
        .value_kind:     by_value
      - .offset:         28
        .size:           4
        .value_kind:     by_value
      - .actual_access:  read_only
        .address_space:  global
        .offset:         32
        .size:           8
        .value_kind:     global_buffer
      - .actual_access:  read_only
        .address_space:  global
        .offset:         40
        .size:           8
        .value_kind:     global_buffer
      - .actual_access:  read_only
        .address_space:  global
        .offset:         48
        .size:           8
        .value_kind:     global_buffer
      - .offset:         56
        .size:           4
        .value_kind:     by_value
      - .actual_access:  read_only
        .address_space:  global
        .offset:         64
        .size:           8
        .value_kind:     global_buffer
      - .offset:         72
        .size:           4
        .value_kind:     by_value
      - .offset:         76
        .size:           4
        .value_kind:     by_value
      - .offset:         80
        .size:           4
        .value_kind:     by_value
      - .actual_access:  read_only
        .address_space:  global
        .offset:         88
        .size:           8
        .value_kind:     global_buffer
      - .actual_access:  read_only
        .address_space:  global
        .offset:         96
        .size:           8
        .value_kind:     global_buffer
      - .actual_access:  read_only
        .address_space:  global
        .offset:         104
        .size:           8
        .value_kind:     global_buffer
      - .actual_access:  read_only
        .address_space:  global
        .offset:         112
        .size:           8
        .value_kind:     global_buffer
      - .offset:         120
        .size:           4
        .value_kind:     by_value
      - .address_space:  global
        .offset:         128
        .size:           8
        .value_kind:     global_buffer
      - .address_space:  global
        .offset:         136
        .size:           8
        .value_kind:     global_buffer
      - .offset:         144
        .size:           4
        .value_kind:     hidden_block_count_x
      - .offset:         148
        .size:           4
        .value_kind:     hidden_block_count_y
      - .offset:         152
        .size:           4
        .value_kind:     hidden_block_count_z
      - .offset:         156
        .size:           2
        .value_kind:     hidden_group_size_x
      - .offset:         158
        .size:           2
        .value_kind:     hidden_group_size_y
      - .offset:         160
        .size:           2
        .value_kind:     hidden_group_size_z
      - .offset:         162
        .size:           2
        .value_kind:     hidden_remainder_x
      - .offset:         164
        .size:           2
        .value_kind:     hidden_remainder_y
      - .offset:         166
        .size:           2
        .value_kind:     hidden_remainder_z
      - .offset:         184
        .size:           8
        .value_kind:     hidden_global_offset_x
      - .offset:         192
        .size:           8
        .value_kind:     hidden_global_offset_y
      - .offset:         200
        .size:           8
        .value_kind:     hidden_global_offset_z
      - .offset:         208
        .size:           2
        .value_kind:     hidden_grid_dims
      - .offset:         224
        .size:           8
        .value_kind:     hidden_hostcall_buffer
    .group_segment_fixed_size: 0
    .kernarg_segment_align: 8
    .kernarg_segment_size: 400
    .language:       OpenCL C
    .language_version:
      - 2
      - 0
    .max_flat_workgroup_size: 256
    .name:           _Z39paged_attention_ll4mi_QKV_mfma16_kernelIDF16_hLN4vllm18Fp8KVCacheDataTypeE1EhLi32ELi64ELi256ELb0ELi14EEvPKT_PKT0_S7_ifPKiS9_S9_iPKfiiiPfSC_PS2_PT2_iSB_SB_
    .private_segment_fixed_size: 64
    .sgpr_count:     36
    .sgpr_spill_count: 0
    .symbol:         _Z39paged_attention_ll4mi_QKV_mfma16_kernelIDF16_hLN4vllm18Fp8KVCacheDataTypeE1EhLi32ELi64ELi256ELb0ELi14EEvPKT_PKT0_S7_ifPKiS9_S9_iPKfiiiPfSC_PS2_PT2_iSB_SB_.kd
    .uniform_work_group_size: 1
    .uses_dynamic_stack: false
    .vgpr_count:     51
    .vgpr_spill_count: 0
    .wavefront_size: 32
  - .args:
      - .actual_access:  read_only
        .address_space:  global
        .offset:         0
        .size:           8
        .value_kind:     global_buffer
      - .actual_access:  read_only
        .address_space:  global
        .offset:         8
        .size:           8
        .value_kind:     global_buffer
      - .actual_access:  read_only
        .address_space:  global
        .offset:         16
        .size:           8
        .value_kind:     global_buffer
      - .offset:         24
        .size:           4
        .value_kind:     by_value
      - .offset:         28
        .size:           4
        .value_kind:     by_value
      - .actual_access:  read_only
        .address_space:  global
        .offset:         32
        .size:           8
        .value_kind:     global_buffer
      - .actual_access:  read_only
        .address_space:  global
        .offset:         40
        .size:           8
        .value_kind:     global_buffer
      - .actual_access:  read_only
        .address_space:  global
        .offset:         48
        .size:           8
        .value_kind:     global_buffer
      - .offset:         56
        .size:           4
        .value_kind:     by_value
      - .actual_access:  read_only
        .address_space:  global
        .offset:         64
        .size:           8
        .value_kind:     global_buffer
      - .offset:         72
        .size:           4
        .value_kind:     by_value
      - .offset:         76
        .size:           4
        .value_kind:     by_value
      - .offset:         80
        .size:           4
        .value_kind:     by_value
      - .actual_access:  read_only
        .address_space:  global
        .offset:         88
        .size:           8
        .value_kind:     global_buffer
      - .actual_access:  read_only
        .address_space:  global
        .offset:         96
        .size:           8
        .value_kind:     global_buffer
      - .actual_access:  read_only
        .address_space:  global
        .offset:         104
        .size:           8
        .value_kind:     global_buffer
      - .actual_access:  read_only
        .address_space:  global
        .offset:         112
        .size:           8
        .value_kind:     global_buffer
      - .offset:         120
        .size:           4
        .value_kind:     by_value
      - .address_space:  global
        .offset:         128
        .size:           8
        .value_kind:     global_buffer
      - .address_space:  global
        .offset:         136
        .size:           8
        .value_kind:     global_buffer
      - .offset:         144
        .size:           4
        .value_kind:     hidden_block_count_x
      - .offset:         148
        .size:           4
        .value_kind:     hidden_block_count_y
      - .offset:         152
        .size:           4
        .value_kind:     hidden_block_count_z
      - .offset:         156
        .size:           2
        .value_kind:     hidden_group_size_x
      - .offset:         158
        .size:           2
        .value_kind:     hidden_group_size_y
      - .offset:         160
        .size:           2
        .value_kind:     hidden_group_size_z
      - .offset:         162
        .size:           2
        .value_kind:     hidden_remainder_x
      - .offset:         164
        .size:           2
        .value_kind:     hidden_remainder_y
      - .offset:         166
        .size:           2
        .value_kind:     hidden_remainder_z
      - .offset:         184
        .size:           8
        .value_kind:     hidden_global_offset_x
      - .offset:         192
        .size:           8
        .value_kind:     hidden_global_offset_y
      - .offset:         200
        .size:           8
        .value_kind:     hidden_global_offset_z
      - .offset:         208
        .size:           2
        .value_kind:     hidden_grid_dims
      - .offset:         224
        .size:           8
        .value_kind:     hidden_hostcall_buffer
    .group_segment_fixed_size: 0
    .kernarg_segment_align: 8
    .kernarg_segment_size: 400
    .language:       OpenCL C
    .language_version:
      - 2
      - 0
    .max_flat_workgroup_size: 256
    .name:           _Z39paged_attention_ll4mi_QKV_mfma16_kernelIDF16_hLN4vllm18Fp8KVCacheDataTypeE1EhLi32ELi64ELi256ELb0ELi15EEvPKT_PKT0_S7_ifPKiS9_S9_iPKfiiiPfSC_PS2_PT2_iSB_SB_
    .private_segment_fixed_size: 64
    .sgpr_count:     36
    .sgpr_spill_count: 0
    .symbol:         _Z39paged_attention_ll4mi_QKV_mfma16_kernelIDF16_hLN4vllm18Fp8KVCacheDataTypeE1EhLi32ELi64ELi256ELb0ELi15EEvPKT_PKT0_S7_ifPKiS9_S9_iPKfiiiPfSC_PS2_PT2_iSB_SB_.kd
    .uniform_work_group_size: 1
    .uses_dynamic_stack: false
    .vgpr_count:     51
    .vgpr_spill_count: 0
    .wavefront_size: 32
  - .args:
      - .actual_access:  read_only
        .address_space:  global
        .offset:         0
        .size:           8
        .value_kind:     global_buffer
      - .actual_access:  read_only
        .address_space:  global
        .offset:         8
        .size:           8
        .value_kind:     global_buffer
      - .actual_access:  read_only
        .address_space:  global
        .offset:         16
        .size:           8
        .value_kind:     global_buffer
      - .offset:         24
        .size:           4
        .value_kind:     by_value
      - .offset:         28
        .size:           4
        .value_kind:     by_value
      - .actual_access:  read_only
        .address_space:  global
        .offset:         32
        .size:           8
        .value_kind:     global_buffer
      - .actual_access:  read_only
        .address_space:  global
        .offset:         40
        .size:           8
        .value_kind:     global_buffer
      - .actual_access:  read_only
        .address_space:  global
        .offset:         48
        .size:           8
        .value_kind:     global_buffer
      - .offset:         56
        .size:           4
        .value_kind:     by_value
      - .actual_access:  read_only
        .address_space:  global
        .offset:         64
        .size:           8
        .value_kind:     global_buffer
      - .offset:         72
        .size:           4
        .value_kind:     by_value
      - .offset:         76
        .size:           4
        .value_kind:     by_value
      - .offset:         80
        .size:           4
        .value_kind:     by_value
      - .actual_access:  read_only
        .address_space:  global
        .offset:         88
        .size:           8
        .value_kind:     global_buffer
      - .actual_access:  read_only
        .address_space:  global
        .offset:         96
        .size:           8
        .value_kind:     global_buffer
      - .actual_access:  read_only
        .address_space:  global
        .offset:         104
        .size:           8
        .value_kind:     global_buffer
      - .actual_access:  read_only
        .address_space:  global
        .offset:         112
        .size:           8
        .value_kind:     global_buffer
      - .offset:         120
        .size:           4
        .value_kind:     by_value
      - .address_space:  global
        .offset:         128
        .size:           8
        .value_kind:     global_buffer
      - .address_space:  global
        .offset:         136
        .size:           8
        .value_kind:     global_buffer
      - .offset:         144
        .size:           4
        .value_kind:     hidden_block_count_x
      - .offset:         148
        .size:           4
        .value_kind:     hidden_block_count_y
      - .offset:         152
        .size:           4
        .value_kind:     hidden_block_count_z
      - .offset:         156
        .size:           2
        .value_kind:     hidden_group_size_x
      - .offset:         158
        .size:           2
        .value_kind:     hidden_group_size_y
      - .offset:         160
        .size:           2
        .value_kind:     hidden_group_size_z
      - .offset:         162
        .size:           2
        .value_kind:     hidden_remainder_x
      - .offset:         164
        .size:           2
        .value_kind:     hidden_remainder_y
      - .offset:         166
        .size:           2
        .value_kind:     hidden_remainder_z
      - .offset:         184
        .size:           8
        .value_kind:     hidden_global_offset_x
      - .offset:         192
        .size:           8
        .value_kind:     hidden_global_offset_y
      - .offset:         200
        .size:           8
        .value_kind:     hidden_global_offset_z
      - .offset:         208
        .size:           2
        .value_kind:     hidden_grid_dims
      - .offset:         224
        .size:           8
        .value_kind:     hidden_hostcall_buffer
    .group_segment_fixed_size: 0
    .kernarg_segment_align: 8
    .kernarg_segment_size: 400
    .language:       OpenCL C
    .language_version:
      - 2
      - 0
    .max_flat_workgroup_size: 256
    .name:           _Z39paged_attention_ll4mi_QKV_mfma16_kernelIDF16_hLN4vllm18Fp8KVCacheDataTypeE1EhLi32ELi64ELi256ELb0ELi16EEvPKT_PKT0_S7_ifPKiS9_S9_iPKfiiiPfSC_PS2_PT2_iSB_SB_
    .private_segment_fixed_size: 64
    .sgpr_count:     36
    .sgpr_spill_count: 0
    .symbol:         _Z39paged_attention_ll4mi_QKV_mfma16_kernelIDF16_hLN4vllm18Fp8KVCacheDataTypeE1EhLi32ELi64ELi256ELb0ELi16EEvPKT_PKT0_S7_ifPKiS9_S9_iPKfiiiPfSC_PS2_PT2_iSB_SB_.kd
    .uniform_work_group_size: 1
    .uses_dynamic_stack: false
    .vgpr_count:     51
    .vgpr_spill_count: 0
    .wavefront_size: 32
  - .args:
      - .actual_access:  read_only
        .address_space:  global
        .offset:         0
        .size:           8
        .value_kind:     global_buffer
      - .actual_access:  read_only
        .address_space:  global
        .offset:         8
        .size:           8
        .value_kind:     global_buffer
      - .actual_access:  read_only
        .address_space:  global
        .offset:         16
        .size:           8
        .value_kind:     global_buffer
      - .offset:         24
        .size:           4
        .value_kind:     by_value
      - .offset:         28
        .size:           4
        .value_kind:     by_value
      - .actual_access:  read_only
        .address_space:  global
        .offset:         32
        .size:           8
        .value_kind:     global_buffer
      - .actual_access:  read_only
        .address_space:  global
        .offset:         40
        .size:           8
        .value_kind:     global_buffer
      - .actual_access:  read_only
        .address_space:  global
        .offset:         48
        .size:           8
        .value_kind:     global_buffer
      - .offset:         56
        .size:           4
        .value_kind:     by_value
      - .actual_access:  read_only
        .address_space:  global
        .offset:         64
        .size:           8
        .value_kind:     global_buffer
      - .offset:         72
        .size:           4
        .value_kind:     by_value
      - .offset:         76
        .size:           4
        .value_kind:     by_value
      - .offset:         80
        .size:           4
        .value_kind:     by_value
      - .actual_access:  read_only
        .address_space:  global
        .offset:         88
        .size:           8
        .value_kind:     global_buffer
      - .actual_access:  read_only
        .address_space:  global
        .offset:         96
        .size:           8
        .value_kind:     global_buffer
      - .actual_access:  read_only
        .address_space:  global
        .offset:         104
        .size:           8
        .value_kind:     global_buffer
      - .actual_access:  read_only
        .address_space:  global
        .offset:         112
        .size:           8
        .value_kind:     global_buffer
      - .offset:         120
        .size:           4
        .value_kind:     by_value
      - .address_space:  global
        .offset:         128
        .size:           8
        .value_kind:     global_buffer
      - .address_space:  global
        .offset:         136
        .size:           8
        .value_kind:     global_buffer
      - .offset:         144
        .size:           4
        .value_kind:     hidden_block_count_x
      - .offset:         148
        .size:           4
        .value_kind:     hidden_block_count_y
      - .offset:         152
        .size:           4
        .value_kind:     hidden_block_count_z
      - .offset:         156
        .size:           2
        .value_kind:     hidden_group_size_x
      - .offset:         158
        .size:           2
        .value_kind:     hidden_group_size_y
      - .offset:         160
        .size:           2
        .value_kind:     hidden_group_size_z
      - .offset:         162
        .size:           2
        .value_kind:     hidden_remainder_x
      - .offset:         164
        .size:           2
        .value_kind:     hidden_remainder_y
      - .offset:         166
        .size:           2
        .value_kind:     hidden_remainder_z
      - .offset:         184
        .size:           8
        .value_kind:     hidden_global_offset_x
      - .offset:         192
        .size:           8
        .value_kind:     hidden_global_offset_y
      - .offset:         200
        .size:           8
        .value_kind:     hidden_global_offset_z
      - .offset:         208
        .size:           2
        .value_kind:     hidden_grid_dims
      - .offset:         224
        .size:           8
        .value_kind:     hidden_hostcall_buffer
    .group_segment_fixed_size: 0
    .kernarg_segment_align: 8
    .kernarg_segment_size: 400
    .language:       OpenCL C
    .language_version:
      - 2
      - 0
    .max_flat_workgroup_size: 256
    .name:           _Z39paged_attention_ll4mi_QKV_mfma16_kernelIDF16_hLN4vllm18Fp8KVCacheDataTypeE1EhLi32ELi64ELi256ELb0ELi1EEvPKT_PKT0_S7_ifPKiS9_S9_iPKfiiiPfSC_PS2_PT2_iSB_SB_
    .private_segment_fixed_size: 64
    .sgpr_count:     36
    .sgpr_spill_count: 0
    .symbol:         _Z39paged_attention_ll4mi_QKV_mfma16_kernelIDF16_hLN4vllm18Fp8KVCacheDataTypeE1EhLi32ELi64ELi256ELb0ELi1EEvPKT_PKT0_S7_ifPKiS9_S9_iPKfiiiPfSC_PS2_PT2_iSB_SB_.kd
    .uniform_work_group_size: 1
    .uses_dynamic_stack: false
    .vgpr_count:     51
    .vgpr_spill_count: 0
    .wavefront_size: 32
  - .args:
      - .actual_access:  read_only
        .address_space:  global
        .offset:         0
        .size:           8
        .value_kind:     global_buffer
      - .actual_access:  read_only
        .address_space:  global
        .offset:         8
        .size:           8
        .value_kind:     global_buffer
      - .actual_access:  read_only
        .address_space:  global
        .offset:         16
        .size:           8
        .value_kind:     global_buffer
      - .offset:         24
        .size:           4
        .value_kind:     by_value
      - .offset:         28
        .size:           4
        .value_kind:     by_value
      - .actual_access:  read_only
        .address_space:  global
        .offset:         32
        .size:           8
        .value_kind:     global_buffer
      - .actual_access:  read_only
        .address_space:  global
        .offset:         40
        .size:           8
        .value_kind:     global_buffer
      - .actual_access:  read_only
        .address_space:  global
        .offset:         48
        .size:           8
        .value_kind:     global_buffer
      - .offset:         56
        .size:           4
        .value_kind:     by_value
      - .actual_access:  read_only
        .address_space:  global
        .offset:         64
        .size:           8
        .value_kind:     global_buffer
      - .offset:         72
        .size:           4
        .value_kind:     by_value
      - .offset:         76
        .size:           4
        .value_kind:     by_value
      - .offset:         80
        .size:           4
        .value_kind:     by_value
      - .actual_access:  read_only
        .address_space:  global
        .offset:         88
        .size:           8
        .value_kind:     global_buffer
      - .actual_access:  read_only
        .address_space:  global
        .offset:         96
        .size:           8
        .value_kind:     global_buffer
      - .actual_access:  read_only
        .address_space:  global
        .offset:         104
        .size:           8
        .value_kind:     global_buffer
      - .actual_access:  read_only
        .address_space:  global
        .offset:         112
        .size:           8
        .value_kind:     global_buffer
      - .offset:         120
        .size:           4
        .value_kind:     by_value
      - .address_space:  global
        .offset:         128
        .size:           8
        .value_kind:     global_buffer
      - .address_space:  global
        .offset:         136
        .size:           8
        .value_kind:     global_buffer
      - .offset:         144
        .size:           4
        .value_kind:     hidden_block_count_x
      - .offset:         148
        .size:           4
        .value_kind:     hidden_block_count_y
      - .offset:         152
        .size:           4
        .value_kind:     hidden_block_count_z
      - .offset:         156
        .size:           2
        .value_kind:     hidden_group_size_x
      - .offset:         158
        .size:           2
        .value_kind:     hidden_group_size_y
      - .offset:         160
        .size:           2
        .value_kind:     hidden_group_size_z
      - .offset:         162
        .size:           2
        .value_kind:     hidden_remainder_x
      - .offset:         164
        .size:           2
        .value_kind:     hidden_remainder_y
      - .offset:         166
        .size:           2
        .value_kind:     hidden_remainder_z
      - .offset:         184
        .size:           8
        .value_kind:     hidden_global_offset_x
      - .offset:         192
        .size:           8
        .value_kind:     hidden_global_offset_y
      - .offset:         200
        .size:           8
        .value_kind:     hidden_global_offset_z
      - .offset:         208
        .size:           2
        .value_kind:     hidden_grid_dims
      - .offset:         224
        .size:           8
        .value_kind:     hidden_hostcall_buffer
    .group_segment_fixed_size: 0
    .kernarg_segment_align: 8
    .kernarg_segment_size: 400
    .language:       OpenCL C
    .language_version:
      - 2
      - 0
    .max_flat_workgroup_size: 256
    .name:           _Z39paged_attention_ll4mi_QKV_mfma16_kernelIDF16_hLN4vllm18Fp8KVCacheDataTypeE1EhLi32ELi64ELi256ELb0ELi2EEvPKT_PKT0_S7_ifPKiS9_S9_iPKfiiiPfSC_PS2_PT2_iSB_SB_
    .private_segment_fixed_size: 64
    .sgpr_count:     36
    .sgpr_spill_count: 0
    .symbol:         _Z39paged_attention_ll4mi_QKV_mfma16_kernelIDF16_hLN4vllm18Fp8KVCacheDataTypeE1EhLi32ELi64ELi256ELb0ELi2EEvPKT_PKT0_S7_ifPKiS9_S9_iPKfiiiPfSC_PS2_PT2_iSB_SB_.kd
    .uniform_work_group_size: 1
    .uses_dynamic_stack: false
    .vgpr_count:     51
    .vgpr_spill_count: 0
    .wavefront_size: 32
  - .args:
      - .actual_access:  read_only
        .address_space:  global
        .offset:         0
        .size:           8
        .value_kind:     global_buffer
      - .actual_access:  read_only
        .address_space:  global
        .offset:         8
        .size:           8
        .value_kind:     global_buffer
      - .actual_access:  read_only
        .address_space:  global
        .offset:         16
        .size:           8
        .value_kind:     global_buffer
      - .offset:         24
        .size:           4
        .value_kind:     by_value
      - .offset:         28
        .size:           4
        .value_kind:     by_value
      - .actual_access:  read_only
        .address_space:  global
        .offset:         32
        .size:           8
        .value_kind:     global_buffer
      - .actual_access:  read_only
        .address_space:  global
        .offset:         40
        .size:           8
        .value_kind:     global_buffer
      - .actual_access:  read_only
        .address_space:  global
        .offset:         48
        .size:           8
        .value_kind:     global_buffer
      - .offset:         56
        .size:           4
        .value_kind:     by_value
      - .actual_access:  read_only
        .address_space:  global
        .offset:         64
        .size:           8
        .value_kind:     global_buffer
      - .offset:         72
        .size:           4
        .value_kind:     by_value
      - .offset:         76
        .size:           4
        .value_kind:     by_value
      - .offset:         80
        .size:           4
        .value_kind:     by_value
      - .actual_access:  read_only
        .address_space:  global
        .offset:         88
        .size:           8
        .value_kind:     global_buffer
      - .actual_access:  read_only
        .address_space:  global
        .offset:         96
        .size:           8
        .value_kind:     global_buffer
      - .actual_access:  read_only
        .address_space:  global
        .offset:         104
        .size:           8
        .value_kind:     global_buffer
      - .actual_access:  read_only
        .address_space:  global
        .offset:         112
        .size:           8
        .value_kind:     global_buffer
      - .offset:         120
        .size:           4
        .value_kind:     by_value
      - .address_space:  global
        .offset:         128
        .size:           8
        .value_kind:     global_buffer
      - .address_space:  global
        .offset:         136
        .size:           8
        .value_kind:     global_buffer
      - .offset:         144
        .size:           4
        .value_kind:     hidden_block_count_x
      - .offset:         148
        .size:           4
        .value_kind:     hidden_block_count_y
      - .offset:         152
        .size:           4
        .value_kind:     hidden_block_count_z
      - .offset:         156
        .size:           2
        .value_kind:     hidden_group_size_x
      - .offset:         158
        .size:           2
        .value_kind:     hidden_group_size_y
      - .offset:         160
        .size:           2
        .value_kind:     hidden_group_size_z
      - .offset:         162
        .size:           2
        .value_kind:     hidden_remainder_x
      - .offset:         164
        .size:           2
        .value_kind:     hidden_remainder_y
      - .offset:         166
        .size:           2
        .value_kind:     hidden_remainder_z
      - .offset:         184
        .size:           8
        .value_kind:     hidden_global_offset_x
      - .offset:         192
        .size:           8
        .value_kind:     hidden_global_offset_y
      - .offset:         200
        .size:           8
        .value_kind:     hidden_global_offset_z
      - .offset:         208
        .size:           2
        .value_kind:     hidden_grid_dims
      - .offset:         224
        .size:           8
        .value_kind:     hidden_hostcall_buffer
    .group_segment_fixed_size: 0
    .kernarg_segment_align: 8
    .kernarg_segment_size: 400
    .language:       OpenCL C
    .language_version:
      - 2
      - 0
    .max_flat_workgroup_size: 256
    .name:           _Z39paged_attention_ll4mi_QKV_mfma16_kernelIDF16_hLN4vllm18Fp8KVCacheDataTypeE1EhLi32ELi64ELi256ELb0ELi3EEvPKT_PKT0_S7_ifPKiS9_S9_iPKfiiiPfSC_PS2_PT2_iSB_SB_
    .private_segment_fixed_size: 64
    .sgpr_count:     36
    .sgpr_spill_count: 0
    .symbol:         _Z39paged_attention_ll4mi_QKV_mfma16_kernelIDF16_hLN4vllm18Fp8KVCacheDataTypeE1EhLi32ELi64ELi256ELb0ELi3EEvPKT_PKT0_S7_ifPKiS9_S9_iPKfiiiPfSC_PS2_PT2_iSB_SB_.kd
    .uniform_work_group_size: 1
    .uses_dynamic_stack: false
    .vgpr_count:     51
    .vgpr_spill_count: 0
    .wavefront_size: 32
  - .args:
      - .actual_access:  read_only
        .address_space:  global
        .offset:         0
        .size:           8
        .value_kind:     global_buffer
      - .actual_access:  read_only
        .address_space:  global
        .offset:         8
        .size:           8
        .value_kind:     global_buffer
      - .actual_access:  read_only
        .address_space:  global
        .offset:         16
        .size:           8
        .value_kind:     global_buffer
      - .offset:         24
        .size:           4
        .value_kind:     by_value
      - .offset:         28
        .size:           4
        .value_kind:     by_value
      - .actual_access:  read_only
        .address_space:  global
        .offset:         32
        .size:           8
        .value_kind:     global_buffer
      - .actual_access:  read_only
        .address_space:  global
        .offset:         40
        .size:           8
        .value_kind:     global_buffer
      - .actual_access:  read_only
        .address_space:  global
        .offset:         48
        .size:           8
        .value_kind:     global_buffer
      - .offset:         56
        .size:           4
        .value_kind:     by_value
      - .actual_access:  read_only
        .address_space:  global
        .offset:         64
        .size:           8
        .value_kind:     global_buffer
      - .offset:         72
        .size:           4
        .value_kind:     by_value
      - .offset:         76
        .size:           4
        .value_kind:     by_value
      - .offset:         80
        .size:           4
        .value_kind:     by_value
      - .actual_access:  read_only
        .address_space:  global
        .offset:         88
        .size:           8
        .value_kind:     global_buffer
      - .actual_access:  read_only
        .address_space:  global
        .offset:         96
        .size:           8
        .value_kind:     global_buffer
      - .actual_access:  read_only
        .address_space:  global
        .offset:         104
        .size:           8
        .value_kind:     global_buffer
      - .actual_access:  read_only
        .address_space:  global
        .offset:         112
        .size:           8
        .value_kind:     global_buffer
      - .offset:         120
        .size:           4
        .value_kind:     by_value
      - .address_space:  global
        .offset:         128
        .size:           8
        .value_kind:     global_buffer
      - .address_space:  global
        .offset:         136
        .size:           8
        .value_kind:     global_buffer
      - .offset:         144
        .size:           4
        .value_kind:     hidden_block_count_x
      - .offset:         148
        .size:           4
        .value_kind:     hidden_block_count_y
      - .offset:         152
        .size:           4
        .value_kind:     hidden_block_count_z
      - .offset:         156
        .size:           2
        .value_kind:     hidden_group_size_x
      - .offset:         158
        .size:           2
        .value_kind:     hidden_group_size_y
      - .offset:         160
        .size:           2
        .value_kind:     hidden_group_size_z
      - .offset:         162
        .size:           2
        .value_kind:     hidden_remainder_x
      - .offset:         164
        .size:           2
        .value_kind:     hidden_remainder_y
      - .offset:         166
        .size:           2
        .value_kind:     hidden_remainder_z
      - .offset:         184
        .size:           8
        .value_kind:     hidden_global_offset_x
      - .offset:         192
        .size:           8
        .value_kind:     hidden_global_offset_y
      - .offset:         200
        .size:           8
        .value_kind:     hidden_global_offset_z
      - .offset:         208
        .size:           2
        .value_kind:     hidden_grid_dims
      - .offset:         224
        .size:           8
        .value_kind:     hidden_hostcall_buffer
    .group_segment_fixed_size: 0
    .kernarg_segment_align: 8
    .kernarg_segment_size: 400
    .language:       OpenCL C
    .language_version:
      - 2
      - 0
    .max_flat_workgroup_size: 256
    .name:           _Z39paged_attention_ll4mi_QKV_mfma16_kernelIDF16_hLN4vllm18Fp8KVCacheDataTypeE1EhLi32ELi64ELi256ELb0ELi4EEvPKT_PKT0_S7_ifPKiS9_S9_iPKfiiiPfSC_PS2_PT2_iSB_SB_
    .private_segment_fixed_size: 64
    .sgpr_count:     36
    .sgpr_spill_count: 0
    .symbol:         _Z39paged_attention_ll4mi_QKV_mfma16_kernelIDF16_hLN4vllm18Fp8KVCacheDataTypeE1EhLi32ELi64ELi256ELb0ELi4EEvPKT_PKT0_S7_ifPKiS9_S9_iPKfiiiPfSC_PS2_PT2_iSB_SB_.kd
    .uniform_work_group_size: 1
    .uses_dynamic_stack: false
    .vgpr_count:     51
    .vgpr_spill_count: 0
    .wavefront_size: 32
  - .args:
      - .actual_access:  read_only
        .address_space:  global
        .offset:         0
        .size:           8
        .value_kind:     global_buffer
      - .actual_access:  read_only
        .address_space:  global
        .offset:         8
        .size:           8
        .value_kind:     global_buffer
      - .actual_access:  read_only
        .address_space:  global
        .offset:         16
        .size:           8
        .value_kind:     global_buffer
      - .offset:         24
        .size:           4
        .value_kind:     by_value
      - .offset:         28
        .size:           4
        .value_kind:     by_value
      - .actual_access:  read_only
        .address_space:  global
        .offset:         32
        .size:           8
        .value_kind:     global_buffer
      - .actual_access:  read_only
        .address_space:  global
        .offset:         40
        .size:           8
        .value_kind:     global_buffer
      - .actual_access:  read_only
        .address_space:  global
        .offset:         48
        .size:           8
        .value_kind:     global_buffer
      - .offset:         56
        .size:           4
        .value_kind:     by_value
      - .actual_access:  read_only
        .address_space:  global
        .offset:         64
        .size:           8
        .value_kind:     global_buffer
      - .offset:         72
        .size:           4
        .value_kind:     by_value
      - .offset:         76
        .size:           4
        .value_kind:     by_value
      - .offset:         80
        .size:           4
        .value_kind:     by_value
      - .actual_access:  read_only
        .address_space:  global
        .offset:         88
        .size:           8
        .value_kind:     global_buffer
      - .actual_access:  read_only
        .address_space:  global
        .offset:         96
        .size:           8
        .value_kind:     global_buffer
      - .actual_access:  read_only
        .address_space:  global
        .offset:         104
        .size:           8
        .value_kind:     global_buffer
      - .actual_access:  read_only
        .address_space:  global
        .offset:         112
        .size:           8
        .value_kind:     global_buffer
      - .offset:         120
        .size:           4
        .value_kind:     by_value
      - .address_space:  global
        .offset:         128
        .size:           8
        .value_kind:     global_buffer
      - .address_space:  global
        .offset:         136
        .size:           8
        .value_kind:     global_buffer
      - .offset:         144
        .size:           4
        .value_kind:     hidden_block_count_x
      - .offset:         148
        .size:           4
        .value_kind:     hidden_block_count_y
      - .offset:         152
        .size:           4
        .value_kind:     hidden_block_count_z
      - .offset:         156
        .size:           2
        .value_kind:     hidden_group_size_x
      - .offset:         158
        .size:           2
        .value_kind:     hidden_group_size_y
      - .offset:         160
        .size:           2
        .value_kind:     hidden_group_size_z
      - .offset:         162
        .size:           2
        .value_kind:     hidden_remainder_x
      - .offset:         164
        .size:           2
        .value_kind:     hidden_remainder_y
      - .offset:         166
        .size:           2
        .value_kind:     hidden_remainder_z
      - .offset:         184
        .size:           8
        .value_kind:     hidden_global_offset_x
      - .offset:         192
        .size:           8
        .value_kind:     hidden_global_offset_y
      - .offset:         200
        .size:           8
        .value_kind:     hidden_global_offset_z
      - .offset:         208
        .size:           2
        .value_kind:     hidden_grid_dims
      - .offset:         224
        .size:           8
        .value_kind:     hidden_hostcall_buffer
    .group_segment_fixed_size: 0
    .kernarg_segment_align: 8
    .kernarg_segment_size: 400
    .language:       OpenCL C
    .language_version:
      - 2
      - 0
    .max_flat_workgroup_size: 256
    .name:           _Z38paged_attention_ll4mi_QKV_mfma4_kernelIDF16_hLN4vllm18Fp8KVCacheDataTypeE1EDF16_Li32ELi64ELi256ELb1ELi1EEvPKT_PKT0_S7_ifPKiS9_S9_iPKfiiiPfSC_PS2_PT2_iSB_SB_
    .private_segment_fixed_size: 64
    .sgpr_count:     36
    .sgpr_spill_count: 0
    .symbol:         _Z38paged_attention_ll4mi_QKV_mfma4_kernelIDF16_hLN4vllm18Fp8KVCacheDataTypeE1EDF16_Li32ELi64ELi256ELb1ELi1EEvPKT_PKT0_S7_ifPKiS9_S9_iPKfiiiPfSC_PS2_PT2_iSB_SB_.kd
    .uniform_work_group_size: 1
    .uses_dynamic_stack: false
    .vgpr_count:     51
    .vgpr_spill_count: 0
    .wavefront_size: 32
  - .args:
      - .actual_access:  read_only
        .address_space:  global
        .offset:         0
        .size:           8
        .value_kind:     global_buffer
      - .actual_access:  read_only
        .address_space:  global
        .offset:         8
        .size:           8
        .value_kind:     global_buffer
      - .actual_access:  read_only
        .address_space:  global
        .offset:         16
        .size:           8
        .value_kind:     global_buffer
      - .offset:         24
        .size:           4
        .value_kind:     by_value
      - .offset:         28
        .size:           4
        .value_kind:     by_value
      - .actual_access:  read_only
        .address_space:  global
        .offset:         32
        .size:           8
        .value_kind:     global_buffer
      - .actual_access:  read_only
        .address_space:  global
        .offset:         40
        .size:           8
        .value_kind:     global_buffer
      - .actual_access:  read_only
        .address_space:  global
        .offset:         48
        .size:           8
        .value_kind:     global_buffer
      - .offset:         56
        .size:           4
        .value_kind:     by_value
      - .actual_access:  read_only
        .address_space:  global
        .offset:         64
        .size:           8
        .value_kind:     global_buffer
      - .offset:         72
        .size:           4
        .value_kind:     by_value
      - .offset:         76
        .size:           4
        .value_kind:     by_value
      - .offset:         80
        .size:           4
        .value_kind:     by_value
      - .actual_access:  read_only
        .address_space:  global
        .offset:         88
        .size:           8
        .value_kind:     global_buffer
      - .actual_access:  read_only
        .address_space:  global
        .offset:         96
        .size:           8
        .value_kind:     global_buffer
      - .actual_access:  read_only
        .address_space:  global
        .offset:         104
        .size:           8
        .value_kind:     global_buffer
      - .actual_access:  read_only
        .address_space:  global
        .offset:         112
        .size:           8
        .value_kind:     global_buffer
      - .offset:         120
        .size:           4
        .value_kind:     by_value
      - .address_space:  global
        .offset:         128
        .size:           8
        .value_kind:     global_buffer
      - .address_space:  global
        .offset:         136
        .size:           8
        .value_kind:     global_buffer
      - .offset:         144
        .size:           4
        .value_kind:     hidden_block_count_x
      - .offset:         148
        .size:           4
        .value_kind:     hidden_block_count_y
      - .offset:         152
        .size:           4
        .value_kind:     hidden_block_count_z
      - .offset:         156
        .size:           2
        .value_kind:     hidden_group_size_x
      - .offset:         158
        .size:           2
        .value_kind:     hidden_group_size_y
      - .offset:         160
        .size:           2
        .value_kind:     hidden_group_size_z
      - .offset:         162
        .size:           2
        .value_kind:     hidden_remainder_x
      - .offset:         164
        .size:           2
        .value_kind:     hidden_remainder_y
      - .offset:         166
        .size:           2
        .value_kind:     hidden_remainder_z
      - .offset:         184
        .size:           8
        .value_kind:     hidden_global_offset_x
      - .offset:         192
        .size:           8
        .value_kind:     hidden_global_offset_y
      - .offset:         200
        .size:           8
        .value_kind:     hidden_global_offset_z
      - .offset:         208
        .size:           2
        .value_kind:     hidden_grid_dims
      - .offset:         224
        .size:           8
        .value_kind:     hidden_hostcall_buffer
    .group_segment_fixed_size: 0
    .kernarg_segment_align: 8
    .kernarg_segment_size: 400
    .language:       OpenCL C
    .language_version:
      - 2
      - 0
    .max_flat_workgroup_size: 256
    .name:           _Z38paged_attention_ll4mi_QKV_mfma4_kernelIDF16_hLN4vllm18Fp8KVCacheDataTypeE1EDF16_Li32ELi64ELi256ELb1ELi2EEvPKT_PKT0_S7_ifPKiS9_S9_iPKfiiiPfSC_PS2_PT2_iSB_SB_
    .private_segment_fixed_size: 64
    .sgpr_count:     36
    .sgpr_spill_count: 0
    .symbol:         _Z38paged_attention_ll4mi_QKV_mfma4_kernelIDF16_hLN4vllm18Fp8KVCacheDataTypeE1EDF16_Li32ELi64ELi256ELb1ELi2EEvPKT_PKT0_S7_ifPKiS9_S9_iPKfiiiPfSC_PS2_PT2_iSB_SB_.kd
    .uniform_work_group_size: 1
    .uses_dynamic_stack: false
    .vgpr_count:     51
    .vgpr_spill_count: 0
    .wavefront_size: 32
  - .args:
      - .actual_access:  read_only
        .address_space:  global
        .offset:         0
        .size:           8
        .value_kind:     global_buffer
      - .actual_access:  read_only
        .address_space:  global
        .offset:         8
        .size:           8
        .value_kind:     global_buffer
      - .actual_access:  read_only
        .address_space:  global
        .offset:         16
        .size:           8
        .value_kind:     global_buffer
      - .offset:         24
        .size:           4
        .value_kind:     by_value
      - .offset:         28
        .size:           4
        .value_kind:     by_value
      - .actual_access:  read_only
        .address_space:  global
        .offset:         32
        .size:           8
        .value_kind:     global_buffer
      - .actual_access:  read_only
        .address_space:  global
        .offset:         40
        .size:           8
        .value_kind:     global_buffer
      - .actual_access:  read_only
        .address_space:  global
        .offset:         48
        .size:           8
        .value_kind:     global_buffer
      - .offset:         56
        .size:           4
        .value_kind:     by_value
      - .actual_access:  read_only
        .address_space:  global
        .offset:         64
        .size:           8
        .value_kind:     global_buffer
      - .offset:         72
        .size:           4
        .value_kind:     by_value
      - .offset:         76
        .size:           4
        .value_kind:     by_value
      - .offset:         80
        .size:           4
        .value_kind:     by_value
      - .actual_access:  read_only
        .address_space:  global
        .offset:         88
        .size:           8
        .value_kind:     global_buffer
      - .actual_access:  read_only
        .address_space:  global
        .offset:         96
        .size:           8
        .value_kind:     global_buffer
      - .actual_access:  read_only
        .address_space:  global
        .offset:         104
        .size:           8
        .value_kind:     global_buffer
      - .actual_access:  read_only
        .address_space:  global
        .offset:         112
        .size:           8
        .value_kind:     global_buffer
      - .offset:         120
        .size:           4
        .value_kind:     by_value
      - .address_space:  global
        .offset:         128
        .size:           8
        .value_kind:     global_buffer
      - .address_space:  global
        .offset:         136
        .size:           8
        .value_kind:     global_buffer
      - .offset:         144
        .size:           4
        .value_kind:     hidden_block_count_x
      - .offset:         148
        .size:           4
        .value_kind:     hidden_block_count_y
      - .offset:         152
        .size:           4
        .value_kind:     hidden_block_count_z
      - .offset:         156
        .size:           2
        .value_kind:     hidden_group_size_x
      - .offset:         158
        .size:           2
        .value_kind:     hidden_group_size_y
      - .offset:         160
        .size:           2
        .value_kind:     hidden_group_size_z
      - .offset:         162
        .size:           2
        .value_kind:     hidden_remainder_x
      - .offset:         164
        .size:           2
        .value_kind:     hidden_remainder_y
      - .offset:         166
        .size:           2
        .value_kind:     hidden_remainder_z
      - .offset:         184
        .size:           8
        .value_kind:     hidden_global_offset_x
      - .offset:         192
        .size:           8
        .value_kind:     hidden_global_offset_y
      - .offset:         200
        .size:           8
        .value_kind:     hidden_global_offset_z
      - .offset:         208
        .size:           2
        .value_kind:     hidden_grid_dims
      - .offset:         224
        .size:           8
        .value_kind:     hidden_hostcall_buffer
    .group_segment_fixed_size: 0
    .kernarg_segment_align: 8
    .kernarg_segment_size: 400
    .language:       OpenCL C
    .language_version:
      - 2
      - 0
    .max_flat_workgroup_size: 256
    .name:           _Z38paged_attention_ll4mi_QKV_mfma4_kernelIDF16_hLN4vllm18Fp8KVCacheDataTypeE1EDF16_Li32ELi64ELi256ELb1ELi3EEvPKT_PKT0_S7_ifPKiS9_S9_iPKfiiiPfSC_PS2_PT2_iSB_SB_
    .private_segment_fixed_size: 64
    .sgpr_count:     36
    .sgpr_spill_count: 0
    .symbol:         _Z38paged_attention_ll4mi_QKV_mfma4_kernelIDF16_hLN4vllm18Fp8KVCacheDataTypeE1EDF16_Li32ELi64ELi256ELb1ELi3EEvPKT_PKT0_S7_ifPKiS9_S9_iPKfiiiPfSC_PS2_PT2_iSB_SB_.kd
    .uniform_work_group_size: 1
    .uses_dynamic_stack: false
    .vgpr_count:     51
    .vgpr_spill_count: 0
    .wavefront_size: 32
  - .args:
      - .actual_access:  read_only
        .address_space:  global
        .offset:         0
        .size:           8
        .value_kind:     global_buffer
      - .actual_access:  read_only
        .address_space:  global
        .offset:         8
        .size:           8
        .value_kind:     global_buffer
      - .actual_access:  read_only
        .address_space:  global
        .offset:         16
        .size:           8
        .value_kind:     global_buffer
      - .offset:         24
        .size:           4
        .value_kind:     by_value
      - .offset:         28
        .size:           4
        .value_kind:     by_value
      - .actual_access:  read_only
        .address_space:  global
        .offset:         32
        .size:           8
        .value_kind:     global_buffer
      - .actual_access:  read_only
        .address_space:  global
        .offset:         40
        .size:           8
        .value_kind:     global_buffer
      - .actual_access:  read_only
        .address_space:  global
        .offset:         48
        .size:           8
        .value_kind:     global_buffer
      - .offset:         56
        .size:           4
        .value_kind:     by_value
      - .actual_access:  read_only
        .address_space:  global
        .offset:         64
        .size:           8
        .value_kind:     global_buffer
      - .offset:         72
        .size:           4
        .value_kind:     by_value
      - .offset:         76
        .size:           4
        .value_kind:     by_value
      - .offset:         80
        .size:           4
        .value_kind:     by_value
      - .actual_access:  read_only
        .address_space:  global
        .offset:         88
        .size:           8
        .value_kind:     global_buffer
      - .actual_access:  read_only
        .address_space:  global
        .offset:         96
        .size:           8
        .value_kind:     global_buffer
      - .actual_access:  read_only
        .address_space:  global
        .offset:         104
        .size:           8
        .value_kind:     global_buffer
      - .actual_access:  read_only
        .address_space:  global
        .offset:         112
        .size:           8
        .value_kind:     global_buffer
      - .offset:         120
        .size:           4
        .value_kind:     by_value
      - .address_space:  global
        .offset:         128
        .size:           8
        .value_kind:     global_buffer
      - .address_space:  global
        .offset:         136
        .size:           8
        .value_kind:     global_buffer
      - .offset:         144
        .size:           4
        .value_kind:     hidden_block_count_x
      - .offset:         148
        .size:           4
        .value_kind:     hidden_block_count_y
      - .offset:         152
        .size:           4
        .value_kind:     hidden_block_count_z
      - .offset:         156
        .size:           2
        .value_kind:     hidden_group_size_x
      - .offset:         158
        .size:           2
        .value_kind:     hidden_group_size_y
      - .offset:         160
        .size:           2
        .value_kind:     hidden_group_size_z
      - .offset:         162
        .size:           2
        .value_kind:     hidden_remainder_x
      - .offset:         164
        .size:           2
        .value_kind:     hidden_remainder_y
      - .offset:         166
        .size:           2
        .value_kind:     hidden_remainder_z
      - .offset:         184
        .size:           8
        .value_kind:     hidden_global_offset_x
      - .offset:         192
        .size:           8
        .value_kind:     hidden_global_offset_y
      - .offset:         200
        .size:           8
        .value_kind:     hidden_global_offset_z
      - .offset:         208
        .size:           2
        .value_kind:     hidden_grid_dims
      - .offset:         224
        .size:           8
        .value_kind:     hidden_hostcall_buffer
    .group_segment_fixed_size: 0
    .kernarg_segment_align: 8
    .kernarg_segment_size: 400
    .language:       OpenCL C
    .language_version:
      - 2
      - 0
    .max_flat_workgroup_size: 256
    .name:           _Z38paged_attention_ll4mi_QKV_mfma4_kernelIDF16_hLN4vllm18Fp8KVCacheDataTypeE1EDF16_Li32ELi64ELi256ELb1ELi4EEvPKT_PKT0_S7_ifPKiS9_S9_iPKfiiiPfSC_PS2_PT2_iSB_SB_
    .private_segment_fixed_size: 64
    .sgpr_count:     36
    .sgpr_spill_count: 0
    .symbol:         _Z38paged_attention_ll4mi_QKV_mfma4_kernelIDF16_hLN4vllm18Fp8KVCacheDataTypeE1EDF16_Li32ELi64ELi256ELb1ELi4EEvPKT_PKT0_S7_ifPKiS9_S9_iPKfiiiPfSC_PS2_PT2_iSB_SB_.kd
    .uniform_work_group_size: 1
    .uses_dynamic_stack: false
    .vgpr_count:     51
    .vgpr_spill_count: 0
    .wavefront_size: 32
  - .args:
      - .actual_access:  read_only
        .address_space:  global
        .offset:         0
        .size:           8
        .value_kind:     global_buffer
      - .actual_access:  read_only
        .address_space:  global
        .offset:         8
        .size:           8
        .value_kind:     global_buffer
      - .actual_access:  read_only
        .address_space:  global
        .offset:         16
        .size:           8
        .value_kind:     global_buffer
      - .offset:         24
        .size:           4
        .value_kind:     by_value
      - .offset:         28
        .size:           4
        .value_kind:     by_value
      - .actual_access:  read_only
        .address_space:  global
        .offset:         32
        .size:           8
        .value_kind:     global_buffer
      - .actual_access:  read_only
        .address_space:  global
        .offset:         40
        .size:           8
        .value_kind:     global_buffer
      - .actual_access:  read_only
        .address_space:  global
        .offset:         48
        .size:           8
        .value_kind:     global_buffer
      - .offset:         56
        .size:           4
        .value_kind:     by_value
      - .actual_access:  read_only
        .address_space:  global
        .offset:         64
        .size:           8
        .value_kind:     global_buffer
      - .offset:         72
        .size:           4
        .value_kind:     by_value
      - .offset:         76
        .size:           4
        .value_kind:     by_value
      - .offset:         80
        .size:           4
        .value_kind:     by_value
      - .actual_access:  read_only
        .address_space:  global
        .offset:         88
        .size:           8
        .value_kind:     global_buffer
      - .actual_access:  read_only
        .address_space:  global
        .offset:         96
        .size:           8
        .value_kind:     global_buffer
      - .actual_access:  read_only
        .address_space:  global
        .offset:         104
        .size:           8
        .value_kind:     global_buffer
      - .actual_access:  read_only
        .address_space:  global
        .offset:         112
        .size:           8
        .value_kind:     global_buffer
      - .offset:         120
        .size:           4
        .value_kind:     by_value
      - .address_space:  global
        .offset:         128
        .size:           8
        .value_kind:     global_buffer
      - .address_space:  global
        .offset:         136
        .size:           8
        .value_kind:     global_buffer
      - .offset:         144
        .size:           4
        .value_kind:     hidden_block_count_x
      - .offset:         148
        .size:           4
        .value_kind:     hidden_block_count_y
      - .offset:         152
        .size:           4
        .value_kind:     hidden_block_count_z
      - .offset:         156
        .size:           2
        .value_kind:     hidden_group_size_x
      - .offset:         158
        .size:           2
        .value_kind:     hidden_group_size_y
      - .offset:         160
        .size:           2
        .value_kind:     hidden_group_size_z
      - .offset:         162
        .size:           2
        .value_kind:     hidden_remainder_x
      - .offset:         164
        .size:           2
        .value_kind:     hidden_remainder_y
      - .offset:         166
        .size:           2
        .value_kind:     hidden_remainder_z
      - .offset:         184
        .size:           8
        .value_kind:     hidden_global_offset_x
      - .offset:         192
        .size:           8
        .value_kind:     hidden_global_offset_y
      - .offset:         200
        .size:           8
        .value_kind:     hidden_global_offset_z
      - .offset:         208
        .size:           2
        .value_kind:     hidden_grid_dims
      - .offset:         224
        .size:           8
        .value_kind:     hidden_hostcall_buffer
    .group_segment_fixed_size: 0
    .kernarg_segment_align: 8
    .kernarg_segment_size: 400
    .language:       OpenCL C
    .language_version:
      - 2
      - 0
    .max_flat_workgroup_size: 256
    .name:           _Z39paged_attention_ll4mi_QKV_mfma16_kernelIDF16_hLN4vllm18Fp8KVCacheDataTypeE1EDF16_Li32ELi64ELi256ELb1ELi5EEvPKT_PKT0_S7_ifPKiS9_S9_iPKfiiiPfSC_PS2_PT2_iSB_SB_
    .private_segment_fixed_size: 64
    .sgpr_count:     36
    .sgpr_spill_count: 0
    .symbol:         _Z39paged_attention_ll4mi_QKV_mfma16_kernelIDF16_hLN4vllm18Fp8KVCacheDataTypeE1EDF16_Li32ELi64ELi256ELb1ELi5EEvPKT_PKT0_S7_ifPKiS9_S9_iPKfiiiPfSC_PS2_PT2_iSB_SB_.kd
    .uniform_work_group_size: 1
    .uses_dynamic_stack: false
    .vgpr_count:     51
    .vgpr_spill_count: 0
    .wavefront_size: 32
  - .args:
      - .actual_access:  read_only
        .address_space:  global
        .offset:         0
        .size:           8
        .value_kind:     global_buffer
      - .actual_access:  read_only
        .address_space:  global
        .offset:         8
        .size:           8
        .value_kind:     global_buffer
      - .actual_access:  read_only
        .address_space:  global
        .offset:         16
        .size:           8
        .value_kind:     global_buffer
      - .offset:         24
        .size:           4
        .value_kind:     by_value
      - .offset:         28
        .size:           4
        .value_kind:     by_value
      - .actual_access:  read_only
        .address_space:  global
        .offset:         32
        .size:           8
        .value_kind:     global_buffer
      - .actual_access:  read_only
        .address_space:  global
        .offset:         40
        .size:           8
        .value_kind:     global_buffer
      - .actual_access:  read_only
        .address_space:  global
        .offset:         48
        .size:           8
        .value_kind:     global_buffer
      - .offset:         56
        .size:           4
        .value_kind:     by_value
      - .actual_access:  read_only
        .address_space:  global
        .offset:         64
        .size:           8
        .value_kind:     global_buffer
      - .offset:         72
        .size:           4
        .value_kind:     by_value
      - .offset:         76
        .size:           4
        .value_kind:     by_value
      - .offset:         80
        .size:           4
        .value_kind:     by_value
      - .actual_access:  read_only
        .address_space:  global
        .offset:         88
        .size:           8
        .value_kind:     global_buffer
      - .actual_access:  read_only
        .address_space:  global
        .offset:         96
        .size:           8
        .value_kind:     global_buffer
      - .actual_access:  read_only
        .address_space:  global
        .offset:         104
        .size:           8
        .value_kind:     global_buffer
      - .actual_access:  read_only
        .address_space:  global
        .offset:         112
        .size:           8
        .value_kind:     global_buffer
      - .offset:         120
        .size:           4
        .value_kind:     by_value
      - .address_space:  global
        .offset:         128
        .size:           8
        .value_kind:     global_buffer
      - .address_space:  global
        .offset:         136
        .size:           8
        .value_kind:     global_buffer
      - .offset:         144
        .size:           4
        .value_kind:     hidden_block_count_x
      - .offset:         148
        .size:           4
        .value_kind:     hidden_block_count_y
      - .offset:         152
        .size:           4
        .value_kind:     hidden_block_count_z
      - .offset:         156
        .size:           2
        .value_kind:     hidden_group_size_x
      - .offset:         158
        .size:           2
        .value_kind:     hidden_group_size_y
      - .offset:         160
        .size:           2
        .value_kind:     hidden_group_size_z
      - .offset:         162
        .size:           2
        .value_kind:     hidden_remainder_x
      - .offset:         164
        .size:           2
        .value_kind:     hidden_remainder_y
      - .offset:         166
        .size:           2
        .value_kind:     hidden_remainder_z
      - .offset:         184
        .size:           8
        .value_kind:     hidden_global_offset_x
      - .offset:         192
        .size:           8
        .value_kind:     hidden_global_offset_y
      - .offset:         200
        .size:           8
        .value_kind:     hidden_global_offset_z
      - .offset:         208
        .size:           2
        .value_kind:     hidden_grid_dims
      - .offset:         224
        .size:           8
        .value_kind:     hidden_hostcall_buffer
    .group_segment_fixed_size: 0
    .kernarg_segment_align: 8
    .kernarg_segment_size: 400
    .language:       OpenCL C
    .language_version:
      - 2
      - 0
    .max_flat_workgroup_size: 256
    .name:           _Z39paged_attention_ll4mi_QKV_mfma16_kernelIDF16_hLN4vllm18Fp8KVCacheDataTypeE1EDF16_Li32ELi64ELi256ELb1ELi6EEvPKT_PKT0_S7_ifPKiS9_S9_iPKfiiiPfSC_PS2_PT2_iSB_SB_
    .private_segment_fixed_size: 64
    .sgpr_count:     36
    .sgpr_spill_count: 0
    .symbol:         _Z39paged_attention_ll4mi_QKV_mfma16_kernelIDF16_hLN4vllm18Fp8KVCacheDataTypeE1EDF16_Li32ELi64ELi256ELb1ELi6EEvPKT_PKT0_S7_ifPKiS9_S9_iPKfiiiPfSC_PS2_PT2_iSB_SB_.kd
    .uniform_work_group_size: 1
    .uses_dynamic_stack: false
    .vgpr_count:     51
    .vgpr_spill_count: 0
    .wavefront_size: 32
  - .args:
      - .actual_access:  read_only
        .address_space:  global
        .offset:         0
        .size:           8
        .value_kind:     global_buffer
      - .actual_access:  read_only
        .address_space:  global
        .offset:         8
        .size:           8
        .value_kind:     global_buffer
      - .actual_access:  read_only
        .address_space:  global
        .offset:         16
        .size:           8
        .value_kind:     global_buffer
      - .offset:         24
        .size:           4
        .value_kind:     by_value
      - .offset:         28
        .size:           4
        .value_kind:     by_value
      - .actual_access:  read_only
        .address_space:  global
        .offset:         32
        .size:           8
        .value_kind:     global_buffer
      - .actual_access:  read_only
        .address_space:  global
        .offset:         40
        .size:           8
        .value_kind:     global_buffer
      - .actual_access:  read_only
        .address_space:  global
        .offset:         48
        .size:           8
        .value_kind:     global_buffer
      - .offset:         56
        .size:           4
        .value_kind:     by_value
      - .actual_access:  read_only
        .address_space:  global
        .offset:         64
        .size:           8
        .value_kind:     global_buffer
      - .offset:         72
        .size:           4
        .value_kind:     by_value
      - .offset:         76
        .size:           4
        .value_kind:     by_value
      - .offset:         80
        .size:           4
        .value_kind:     by_value
      - .actual_access:  read_only
        .address_space:  global
        .offset:         88
        .size:           8
        .value_kind:     global_buffer
      - .actual_access:  read_only
        .address_space:  global
        .offset:         96
        .size:           8
        .value_kind:     global_buffer
      - .actual_access:  read_only
        .address_space:  global
        .offset:         104
        .size:           8
        .value_kind:     global_buffer
      - .actual_access:  read_only
        .address_space:  global
        .offset:         112
        .size:           8
        .value_kind:     global_buffer
      - .offset:         120
        .size:           4
        .value_kind:     by_value
      - .address_space:  global
        .offset:         128
        .size:           8
        .value_kind:     global_buffer
      - .address_space:  global
        .offset:         136
        .size:           8
        .value_kind:     global_buffer
      - .offset:         144
        .size:           4
        .value_kind:     hidden_block_count_x
      - .offset:         148
        .size:           4
        .value_kind:     hidden_block_count_y
      - .offset:         152
        .size:           4
        .value_kind:     hidden_block_count_z
      - .offset:         156
        .size:           2
        .value_kind:     hidden_group_size_x
      - .offset:         158
        .size:           2
        .value_kind:     hidden_group_size_y
      - .offset:         160
        .size:           2
        .value_kind:     hidden_group_size_z
      - .offset:         162
        .size:           2
        .value_kind:     hidden_remainder_x
      - .offset:         164
        .size:           2
        .value_kind:     hidden_remainder_y
      - .offset:         166
        .size:           2
        .value_kind:     hidden_remainder_z
      - .offset:         184
        .size:           8
        .value_kind:     hidden_global_offset_x
      - .offset:         192
        .size:           8
        .value_kind:     hidden_global_offset_y
      - .offset:         200
        .size:           8
        .value_kind:     hidden_global_offset_z
      - .offset:         208
        .size:           2
        .value_kind:     hidden_grid_dims
      - .offset:         224
        .size:           8
        .value_kind:     hidden_hostcall_buffer
    .group_segment_fixed_size: 0
    .kernarg_segment_align: 8
    .kernarg_segment_size: 400
    .language:       OpenCL C
    .language_version:
      - 2
      - 0
    .max_flat_workgroup_size: 256
    .name:           _Z39paged_attention_ll4mi_QKV_mfma16_kernelIDF16_hLN4vllm18Fp8KVCacheDataTypeE1EDF16_Li32ELi64ELi256ELb1ELi7EEvPKT_PKT0_S7_ifPKiS9_S9_iPKfiiiPfSC_PS2_PT2_iSB_SB_
    .private_segment_fixed_size: 64
    .sgpr_count:     36
    .sgpr_spill_count: 0
    .symbol:         _Z39paged_attention_ll4mi_QKV_mfma16_kernelIDF16_hLN4vllm18Fp8KVCacheDataTypeE1EDF16_Li32ELi64ELi256ELb1ELi7EEvPKT_PKT0_S7_ifPKiS9_S9_iPKfiiiPfSC_PS2_PT2_iSB_SB_.kd
    .uniform_work_group_size: 1
    .uses_dynamic_stack: false
    .vgpr_count:     51
    .vgpr_spill_count: 0
    .wavefront_size: 32
  - .args:
      - .actual_access:  read_only
        .address_space:  global
        .offset:         0
        .size:           8
        .value_kind:     global_buffer
      - .actual_access:  read_only
        .address_space:  global
        .offset:         8
        .size:           8
        .value_kind:     global_buffer
      - .actual_access:  read_only
        .address_space:  global
        .offset:         16
        .size:           8
        .value_kind:     global_buffer
      - .offset:         24
        .size:           4
        .value_kind:     by_value
      - .offset:         28
        .size:           4
        .value_kind:     by_value
      - .actual_access:  read_only
        .address_space:  global
        .offset:         32
        .size:           8
        .value_kind:     global_buffer
      - .actual_access:  read_only
        .address_space:  global
        .offset:         40
        .size:           8
        .value_kind:     global_buffer
      - .actual_access:  read_only
        .address_space:  global
        .offset:         48
        .size:           8
        .value_kind:     global_buffer
      - .offset:         56
        .size:           4
        .value_kind:     by_value
      - .actual_access:  read_only
        .address_space:  global
        .offset:         64
        .size:           8
        .value_kind:     global_buffer
      - .offset:         72
        .size:           4
        .value_kind:     by_value
      - .offset:         76
        .size:           4
        .value_kind:     by_value
      - .offset:         80
        .size:           4
        .value_kind:     by_value
      - .actual_access:  read_only
        .address_space:  global
        .offset:         88
        .size:           8
        .value_kind:     global_buffer
      - .actual_access:  read_only
        .address_space:  global
        .offset:         96
        .size:           8
        .value_kind:     global_buffer
      - .actual_access:  read_only
        .address_space:  global
        .offset:         104
        .size:           8
        .value_kind:     global_buffer
      - .actual_access:  read_only
        .address_space:  global
        .offset:         112
        .size:           8
        .value_kind:     global_buffer
      - .offset:         120
        .size:           4
        .value_kind:     by_value
      - .address_space:  global
        .offset:         128
        .size:           8
        .value_kind:     global_buffer
      - .address_space:  global
        .offset:         136
        .size:           8
        .value_kind:     global_buffer
      - .offset:         144
        .size:           4
        .value_kind:     hidden_block_count_x
      - .offset:         148
        .size:           4
        .value_kind:     hidden_block_count_y
      - .offset:         152
        .size:           4
        .value_kind:     hidden_block_count_z
      - .offset:         156
        .size:           2
        .value_kind:     hidden_group_size_x
      - .offset:         158
        .size:           2
        .value_kind:     hidden_group_size_y
      - .offset:         160
        .size:           2
        .value_kind:     hidden_group_size_z
      - .offset:         162
        .size:           2
        .value_kind:     hidden_remainder_x
      - .offset:         164
        .size:           2
        .value_kind:     hidden_remainder_y
      - .offset:         166
        .size:           2
        .value_kind:     hidden_remainder_z
      - .offset:         184
        .size:           8
        .value_kind:     hidden_global_offset_x
      - .offset:         192
        .size:           8
        .value_kind:     hidden_global_offset_y
      - .offset:         200
        .size:           8
        .value_kind:     hidden_global_offset_z
      - .offset:         208
        .size:           2
        .value_kind:     hidden_grid_dims
      - .offset:         224
        .size:           8
        .value_kind:     hidden_hostcall_buffer
    .group_segment_fixed_size: 0
    .kernarg_segment_align: 8
    .kernarg_segment_size: 400
    .language:       OpenCL C
    .language_version:
      - 2
      - 0
    .max_flat_workgroup_size: 256
    .name:           _Z39paged_attention_ll4mi_QKV_mfma16_kernelIDF16_hLN4vllm18Fp8KVCacheDataTypeE1EDF16_Li32ELi64ELi256ELb1ELi8EEvPKT_PKT0_S7_ifPKiS9_S9_iPKfiiiPfSC_PS2_PT2_iSB_SB_
    .private_segment_fixed_size: 64
    .sgpr_count:     36
    .sgpr_spill_count: 0
    .symbol:         _Z39paged_attention_ll4mi_QKV_mfma16_kernelIDF16_hLN4vllm18Fp8KVCacheDataTypeE1EDF16_Li32ELi64ELi256ELb1ELi8EEvPKT_PKT0_S7_ifPKiS9_S9_iPKfiiiPfSC_PS2_PT2_iSB_SB_.kd
    .uniform_work_group_size: 1
    .uses_dynamic_stack: false
    .vgpr_count:     51
    .vgpr_spill_count: 0
    .wavefront_size: 32
  - .args:
      - .actual_access:  read_only
        .address_space:  global
        .offset:         0
        .size:           8
        .value_kind:     global_buffer
      - .actual_access:  read_only
        .address_space:  global
        .offset:         8
        .size:           8
        .value_kind:     global_buffer
      - .actual_access:  read_only
        .address_space:  global
        .offset:         16
        .size:           8
        .value_kind:     global_buffer
      - .offset:         24
        .size:           4
        .value_kind:     by_value
      - .offset:         28
        .size:           4
        .value_kind:     by_value
      - .actual_access:  read_only
        .address_space:  global
        .offset:         32
        .size:           8
        .value_kind:     global_buffer
      - .actual_access:  read_only
        .address_space:  global
        .offset:         40
        .size:           8
        .value_kind:     global_buffer
      - .actual_access:  read_only
        .address_space:  global
        .offset:         48
        .size:           8
        .value_kind:     global_buffer
      - .offset:         56
        .size:           4
        .value_kind:     by_value
      - .actual_access:  read_only
        .address_space:  global
        .offset:         64
        .size:           8
        .value_kind:     global_buffer
      - .offset:         72
        .size:           4
        .value_kind:     by_value
      - .offset:         76
        .size:           4
        .value_kind:     by_value
      - .offset:         80
        .size:           4
        .value_kind:     by_value
      - .actual_access:  read_only
        .address_space:  global
        .offset:         88
        .size:           8
        .value_kind:     global_buffer
      - .actual_access:  read_only
        .address_space:  global
        .offset:         96
        .size:           8
        .value_kind:     global_buffer
      - .actual_access:  read_only
        .address_space:  global
        .offset:         104
        .size:           8
        .value_kind:     global_buffer
      - .actual_access:  read_only
        .address_space:  global
        .offset:         112
        .size:           8
        .value_kind:     global_buffer
      - .offset:         120
        .size:           4
        .value_kind:     by_value
      - .address_space:  global
        .offset:         128
        .size:           8
        .value_kind:     global_buffer
      - .address_space:  global
        .offset:         136
        .size:           8
        .value_kind:     global_buffer
      - .offset:         144
        .size:           4
        .value_kind:     hidden_block_count_x
      - .offset:         148
        .size:           4
        .value_kind:     hidden_block_count_y
      - .offset:         152
        .size:           4
        .value_kind:     hidden_block_count_z
      - .offset:         156
        .size:           2
        .value_kind:     hidden_group_size_x
      - .offset:         158
        .size:           2
        .value_kind:     hidden_group_size_y
      - .offset:         160
        .size:           2
        .value_kind:     hidden_group_size_z
      - .offset:         162
        .size:           2
        .value_kind:     hidden_remainder_x
      - .offset:         164
        .size:           2
        .value_kind:     hidden_remainder_y
      - .offset:         166
        .size:           2
        .value_kind:     hidden_remainder_z
      - .offset:         184
        .size:           8
        .value_kind:     hidden_global_offset_x
      - .offset:         192
        .size:           8
        .value_kind:     hidden_global_offset_y
      - .offset:         200
        .size:           8
        .value_kind:     hidden_global_offset_z
      - .offset:         208
        .size:           2
        .value_kind:     hidden_grid_dims
      - .offset:         224
        .size:           8
        .value_kind:     hidden_hostcall_buffer
    .group_segment_fixed_size: 0
    .kernarg_segment_align: 8
    .kernarg_segment_size: 400
    .language:       OpenCL C
    .language_version:
      - 2
      - 0
    .max_flat_workgroup_size: 256
    .name:           _Z39paged_attention_ll4mi_QKV_mfma16_kernelIDF16_hLN4vllm18Fp8KVCacheDataTypeE1EDF16_Li32ELi64ELi256ELb1ELi9EEvPKT_PKT0_S7_ifPKiS9_S9_iPKfiiiPfSC_PS2_PT2_iSB_SB_
    .private_segment_fixed_size: 64
    .sgpr_count:     36
    .sgpr_spill_count: 0
    .symbol:         _Z39paged_attention_ll4mi_QKV_mfma16_kernelIDF16_hLN4vllm18Fp8KVCacheDataTypeE1EDF16_Li32ELi64ELi256ELb1ELi9EEvPKT_PKT0_S7_ifPKiS9_S9_iPKfiiiPfSC_PS2_PT2_iSB_SB_.kd
    .uniform_work_group_size: 1
    .uses_dynamic_stack: false
    .vgpr_count:     51
    .vgpr_spill_count: 0
    .wavefront_size: 32
  - .args:
      - .actual_access:  read_only
        .address_space:  global
        .offset:         0
        .size:           8
        .value_kind:     global_buffer
      - .actual_access:  read_only
        .address_space:  global
        .offset:         8
        .size:           8
        .value_kind:     global_buffer
      - .actual_access:  read_only
        .address_space:  global
        .offset:         16
        .size:           8
        .value_kind:     global_buffer
      - .offset:         24
        .size:           4
        .value_kind:     by_value
      - .offset:         28
        .size:           4
        .value_kind:     by_value
      - .actual_access:  read_only
        .address_space:  global
        .offset:         32
        .size:           8
        .value_kind:     global_buffer
      - .actual_access:  read_only
        .address_space:  global
        .offset:         40
        .size:           8
        .value_kind:     global_buffer
      - .actual_access:  read_only
        .address_space:  global
        .offset:         48
        .size:           8
        .value_kind:     global_buffer
      - .offset:         56
        .size:           4
        .value_kind:     by_value
      - .actual_access:  read_only
        .address_space:  global
        .offset:         64
        .size:           8
        .value_kind:     global_buffer
      - .offset:         72
        .size:           4
        .value_kind:     by_value
      - .offset:         76
        .size:           4
        .value_kind:     by_value
      - .offset:         80
        .size:           4
        .value_kind:     by_value
      - .actual_access:  read_only
        .address_space:  global
        .offset:         88
        .size:           8
        .value_kind:     global_buffer
      - .actual_access:  read_only
        .address_space:  global
        .offset:         96
        .size:           8
        .value_kind:     global_buffer
      - .actual_access:  read_only
        .address_space:  global
        .offset:         104
        .size:           8
        .value_kind:     global_buffer
      - .actual_access:  read_only
        .address_space:  global
        .offset:         112
        .size:           8
        .value_kind:     global_buffer
      - .offset:         120
        .size:           4
        .value_kind:     by_value
      - .address_space:  global
        .offset:         128
        .size:           8
        .value_kind:     global_buffer
      - .address_space:  global
        .offset:         136
        .size:           8
        .value_kind:     global_buffer
      - .offset:         144
        .size:           4
        .value_kind:     hidden_block_count_x
      - .offset:         148
        .size:           4
        .value_kind:     hidden_block_count_y
      - .offset:         152
        .size:           4
        .value_kind:     hidden_block_count_z
      - .offset:         156
        .size:           2
        .value_kind:     hidden_group_size_x
      - .offset:         158
        .size:           2
        .value_kind:     hidden_group_size_y
      - .offset:         160
        .size:           2
        .value_kind:     hidden_group_size_z
      - .offset:         162
        .size:           2
        .value_kind:     hidden_remainder_x
      - .offset:         164
        .size:           2
        .value_kind:     hidden_remainder_y
      - .offset:         166
        .size:           2
        .value_kind:     hidden_remainder_z
      - .offset:         184
        .size:           8
        .value_kind:     hidden_global_offset_x
      - .offset:         192
        .size:           8
        .value_kind:     hidden_global_offset_y
      - .offset:         200
        .size:           8
        .value_kind:     hidden_global_offset_z
      - .offset:         208
        .size:           2
        .value_kind:     hidden_grid_dims
      - .offset:         224
        .size:           8
        .value_kind:     hidden_hostcall_buffer
    .group_segment_fixed_size: 0
    .kernarg_segment_align: 8
    .kernarg_segment_size: 400
    .language:       OpenCL C
    .language_version:
      - 2
      - 0
    .max_flat_workgroup_size: 256
    .name:           _Z39paged_attention_ll4mi_QKV_mfma16_kernelIDF16_hLN4vllm18Fp8KVCacheDataTypeE1EDF16_Li32ELi64ELi256ELb1ELi10EEvPKT_PKT0_S7_ifPKiS9_S9_iPKfiiiPfSC_PS2_PT2_iSB_SB_
    .private_segment_fixed_size: 64
    .sgpr_count:     36
    .sgpr_spill_count: 0
    .symbol:         _Z39paged_attention_ll4mi_QKV_mfma16_kernelIDF16_hLN4vllm18Fp8KVCacheDataTypeE1EDF16_Li32ELi64ELi256ELb1ELi10EEvPKT_PKT0_S7_ifPKiS9_S9_iPKfiiiPfSC_PS2_PT2_iSB_SB_.kd
    .uniform_work_group_size: 1
    .uses_dynamic_stack: false
    .vgpr_count:     51
    .vgpr_spill_count: 0
    .wavefront_size: 32
  - .args:
      - .actual_access:  read_only
        .address_space:  global
        .offset:         0
        .size:           8
        .value_kind:     global_buffer
      - .actual_access:  read_only
        .address_space:  global
        .offset:         8
        .size:           8
        .value_kind:     global_buffer
      - .actual_access:  read_only
        .address_space:  global
        .offset:         16
        .size:           8
        .value_kind:     global_buffer
      - .offset:         24
        .size:           4
        .value_kind:     by_value
      - .offset:         28
        .size:           4
        .value_kind:     by_value
      - .actual_access:  read_only
        .address_space:  global
        .offset:         32
        .size:           8
        .value_kind:     global_buffer
      - .actual_access:  read_only
        .address_space:  global
        .offset:         40
        .size:           8
        .value_kind:     global_buffer
      - .actual_access:  read_only
        .address_space:  global
        .offset:         48
        .size:           8
        .value_kind:     global_buffer
      - .offset:         56
        .size:           4
        .value_kind:     by_value
      - .actual_access:  read_only
        .address_space:  global
        .offset:         64
        .size:           8
        .value_kind:     global_buffer
      - .offset:         72
        .size:           4
        .value_kind:     by_value
      - .offset:         76
        .size:           4
        .value_kind:     by_value
      - .offset:         80
        .size:           4
        .value_kind:     by_value
      - .actual_access:  read_only
        .address_space:  global
        .offset:         88
        .size:           8
        .value_kind:     global_buffer
      - .actual_access:  read_only
        .address_space:  global
        .offset:         96
        .size:           8
        .value_kind:     global_buffer
      - .actual_access:  read_only
        .address_space:  global
        .offset:         104
        .size:           8
        .value_kind:     global_buffer
      - .actual_access:  read_only
        .address_space:  global
        .offset:         112
        .size:           8
        .value_kind:     global_buffer
      - .offset:         120
        .size:           4
        .value_kind:     by_value
      - .address_space:  global
        .offset:         128
        .size:           8
        .value_kind:     global_buffer
      - .address_space:  global
        .offset:         136
        .size:           8
        .value_kind:     global_buffer
      - .offset:         144
        .size:           4
        .value_kind:     hidden_block_count_x
      - .offset:         148
        .size:           4
        .value_kind:     hidden_block_count_y
      - .offset:         152
        .size:           4
        .value_kind:     hidden_block_count_z
      - .offset:         156
        .size:           2
        .value_kind:     hidden_group_size_x
      - .offset:         158
        .size:           2
        .value_kind:     hidden_group_size_y
      - .offset:         160
        .size:           2
        .value_kind:     hidden_group_size_z
      - .offset:         162
        .size:           2
        .value_kind:     hidden_remainder_x
      - .offset:         164
        .size:           2
        .value_kind:     hidden_remainder_y
      - .offset:         166
        .size:           2
        .value_kind:     hidden_remainder_z
      - .offset:         184
        .size:           8
        .value_kind:     hidden_global_offset_x
      - .offset:         192
        .size:           8
        .value_kind:     hidden_global_offset_y
      - .offset:         200
        .size:           8
        .value_kind:     hidden_global_offset_z
      - .offset:         208
        .size:           2
        .value_kind:     hidden_grid_dims
      - .offset:         224
        .size:           8
        .value_kind:     hidden_hostcall_buffer
    .group_segment_fixed_size: 0
    .kernarg_segment_align: 8
    .kernarg_segment_size: 400
    .language:       OpenCL C
    .language_version:
      - 2
      - 0
    .max_flat_workgroup_size: 256
    .name:           _Z39paged_attention_ll4mi_QKV_mfma16_kernelIDF16_hLN4vllm18Fp8KVCacheDataTypeE1EDF16_Li32ELi64ELi256ELb1ELi11EEvPKT_PKT0_S7_ifPKiS9_S9_iPKfiiiPfSC_PS2_PT2_iSB_SB_
    .private_segment_fixed_size: 64
    .sgpr_count:     36
    .sgpr_spill_count: 0
    .symbol:         _Z39paged_attention_ll4mi_QKV_mfma16_kernelIDF16_hLN4vllm18Fp8KVCacheDataTypeE1EDF16_Li32ELi64ELi256ELb1ELi11EEvPKT_PKT0_S7_ifPKiS9_S9_iPKfiiiPfSC_PS2_PT2_iSB_SB_.kd
    .uniform_work_group_size: 1
    .uses_dynamic_stack: false
    .vgpr_count:     51
    .vgpr_spill_count: 0
    .wavefront_size: 32
  - .args:
      - .actual_access:  read_only
        .address_space:  global
        .offset:         0
        .size:           8
        .value_kind:     global_buffer
      - .actual_access:  read_only
        .address_space:  global
        .offset:         8
        .size:           8
        .value_kind:     global_buffer
      - .actual_access:  read_only
        .address_space:  global
        .offset:         16
        .size:           8
        .value_kind:     global_buffer
      - .offset:         24
        .size:           4
        .value_kind:     by_value
      - .offset:         28
        .size:           4
        .value_kind:     by_value
      - .actual_access:  read_only
        .address_space:  global
        .offset:         32
        .size:           8
        .value_kind:     global_buffer
      - .actual_access:  read_only
        .address_space:  global
        .offset:         40
        .size:           8
        .value_kind:     global_buffer
      - .actual_access:  read_only
        .address_space:  global
        .offset:         48
        .size:           8
        .value_kind:     global_buffer
      - .offset:         56
        .size:           4
        .value_kind:     by_value
      - .actual_access:  read_only
        .address_space:  global
        .offset:         64
        .size:           8
        .value_kind:     global_buffer
      - .offset:         72
        .size:           4
        .value_kind:     by_value
      - .offset:         76
        .size:           4
        .value_kind:     by_value
      - .offset:         80
        .size:           4
        .value_kind:     by_value
      - .actual_access:  read_only
        .address_space:  global
        .offset:         88
        .size:           8
        .value_kind:     global_buffer
      - .actual_access:  read_only
        .address_space:  global
        .offset:         96
        .size:           8
        .value_kind:     global_buffer
      - .actual_access:  read_only
        .address_space:  global
        .offset:         104
        .size:           8
        .value_kind:     global_buffer
      - .actual_access:  read_only
        .address_space:  global
        .offset:         112
        .size:           8
        .value_kind:     global_buffer
      - .offset:         120
        .size:           4
        .value_kind:     by_value
      - .address_space:  global
        .offset:         128
        .size:           8
        .value_kind:     global_buffer
      - .address_space:  global
        .offset:         136
        .size:           8
        .value_kind:     global_buffer
      - .offset:         144
        .size:           4
        .value_kind:     hidden_block_count_x
      - .offset:         148
        .size:           4
        .value_kind:     hidden_block_count_y
      - .offset:         152
        .size:           4
        .value_kind:     hidden_block_count_z
      - .offset:         156
        .size:           2
        .value_kind:     hidden_group_size_x
      - .offset:         158
        .size:           2
        .value_kind:     hidden_group_size_y
      - .offset:         160
        .size:           2
        .value_kind:     hidden_group_size_z
      - .offset:         162
        .size:           2
        .value_kind:     hidden_remainder_x
      - .offset:         164
        .size:           2
        .value_kind:     hidden_remainder_y
      - .offset:         166
        .size:           2
        .value_kind:     hidden_remainder_z
      - .offset:         184
        .size:           8
        .value_kind:     hidden_global_offset_x
      - .offset:         192
        .size:           8
        .value_kind:     hidden_global_offset_y
      - .offset:         200
        .size:           8
        .value_kind:     hidden_global_offset_z
      - .offset:         208
        .size:           2
        .value_kind:     hidden_grid_dims
      - .offset:         224
        .size:           8
        .value_kind:     hidden_hostcall_buffer
    .group_segment_fixed_size: 0
    .kernarg_segment_align: 8
    .kernarg_segment_size: 400
    .language:       OpenCL C
    .language_version:
      - 2
      - 0
    .max_flat_workgroup_size: 256
    .name:           _Z39paged_attention_ll4mi_QKV_mfma16_kernelIDF16_hLN4vllm18Fp8KVCacheDataTypeE1EDF16_Li32ELi64ELi256ELb1ELi12EEvPKT_PKT0_S7_ifPKiS9_S9_iPKfiiiPfSC_PS2_PT2_iSB_SB_
    .private_segment_fixed_size: 64
    .sgpr_count:     36
    .sgpr_spill_count: 0
    .symbol:         _Z39paged_attention_ll4mi_QKV_mfma16_kernelIDF16_hLN4vllm18Fp8KVCacheDataTypeE1EDF16_Li32ELi64ELi256ELb1ELi12EEvPKT_PKT0_S7_ifPKiS9_S9_iPKfiiiPfSC_PS2_PT2_iSB_SB_.kd
    .uniform_work_group_size: 1
    .uses_dynamic_stack: false
    .vgpr_count:     51
    .vgpr_spill_count: 0
    .wavefront_size: 32
  - .args:
      - .actual_access:  read_only
        .address_space:  global
        .offset:         0
        .size:           8
        .value_kind:     global_buffer
      - .actual_access:  read_only
        .address_space:  global
        .offset:         8
        .size:           8
        .value_kind:     global_buffer
      - .actual_access:  read_only
        .address_space:  global
        .offset:         16
        .size:           8
        .value_kind:     global_buffer
      - .offset:         24
        .size:           4
        .value_kind:     by_value
      - .offset:         28
        .size:           4
        .value_kind:     by_value
      - .actual_access:  read_only
        .address_space:  global
        .offset:         32
        .size:           8
        .value_kind:     global_buffer
      - .actual_access:  read_only
        .address_space:  global
        .offset:         40
        .size:           8
        .value_kind:     global_buffer
      - .actual_access:  read_only
        .address_space:  global
        .offset:         48
        .size:           8
        .value_kind:     global_buffer
      - .offset:         56
        .size:           4
        .value_kind:     by_value
      - .actual_access:  read_only
        .address_space:  global
        .offset:         64
        .size:           8
        .value_kind:     global_buffer
      - .offset:         72
        .size:           4
        .value_kind:     by_value
      - .offset:         76
        .size:           4
        .value_kind:     by_value
      - .offset:         80
        .size:           4
        .value_kind:     by_value
      - .actual_access:  read_only
        .address_space:  global
        .offset:         88
        .size:           8
        .value_kind:     global_buffer
      - .actual_access:  read_only
        .address_space:  global
        .offset:         96
        .size:           8
        .value_kind:     global_buffer
      - .actual_access:  read_only
        .address_space:  global
        .offset:         104
        .size:           8
        .value_kind:     global_buffer
      - .actual_access:  read_only
        .address_space:  global
        .offset:         112
        .size:           8
        .value_kind:     global_buffer
      - .offset:         120
        .size:           4
        .value_kind:     by_value
      - .address_space:  global
        .offset:         128
        .size:           8
        .value_kind:     global_buffer
      - .address_space:  global
        .offset:         136
        .size:           8
        .value_kind:     global_buffer
      - .offset:         144
        .size:           4
        .value_kind:     hidden_block_count_x
      - .offset:         148
        .size:           4
        .value_kind:     hidden_block_count_y
      - .offset:         152
        .size:           4
        .value_kind:     hidden_block_count_z
      - .offset:         156
        .size:           2
        .value_kind:     hidden_group_size_x
      - .offset:         158
        .size:           2
        .value_kind:     hidden_group_size_y
      - .offset:         160
        .size:           2
        .value_kind:     hidden_group_size_z
      - .offset:         162
        .size:           2
        .value_kind:     hidden_remainder_x
      - .offset:         164
        .size:           2
        .value_kind:     hidden_remainder_y
      - .offset:         166
        .size:           2
        .value_kind:     hidden_remainder_z
      - .offset:         184
        .size:           8
        .value_kind:     hidden_global_offset_x
      - .offset:         192
        .size:           8
        .value_kind:     hidden_global_offset_y
      - .offset:         200
        .size:           8
        .value_kind:     hidden_global_offset_z
      - .offset:         208
        .size:           2
        .value_kind:     hidden_grid_dims
      - .offset:         224
        .size:           8
        .value_kind:     hidden_hostcall_buffer
    .group_segment_fixed_size: 0
    .kernarg_segment_align: 8
    .kernarg_segment_size: 400
    .language:       OpenCL C
    .language_version:
      - 2
      - 0
    .max_flat_workgroup_size: 256
    .name:           _Z39paged_attention_ll4mi_QKV_mfma16_kernelIDF16_hLN4vllm18Fp8KVCacheDataTypeE1EDF16_Li32ELi64ELi256ELb1ELi13EEvPKT_PKT0_S7_ifPKiS9_S9_iPKfiiiPfSC_PS2_PT2_iSB_SB_
    .private_segment_fixed_size: 64
    .sgpr_count:     36
    .sgpr_spill_count: 0
    .symbol:         _Z39paged_attention_ll4mi_QKV_mfma16_kernelIDF16_hLN4vllm18Fp8KVCacheDataTypeE1EDF16_Li32ELi64ELi256ELb1ELi13EEvPKT_PKT0_S7_ifPKiS9_S9_iPKfiiiPfSC_PS2_PT2_iSB_SB_.kd
    .uniform_work_group_size: 1
    .uses_dynamic_stack: false
    .vgpr_count:     51
    .vgpr_spill_count: 0
    .wavefront_size: 32
  - .args:
      - .actual_access:  read_only
        .address_space:  global
        .offset:         0
        .size:           8
        .value_kind:     global_buffer
      - .actual_access:  read_only
        .address_space:  global
        .offset:         8
        .size:           8
        .value_kind:     global_buffer
      - .actual_access:  read_only
        .address_space:  global
        .offset:         16
        .size:           8
        .value_kind:     global_buffer
      - .offset:         24
        .size:           4
        .value_kind:     by_value
      - .offset:         28
        .size:           4
        .value_kind:     by_value
      - .actual_access:  read_only
        .address_space:  global
        .offset:         32
        .size:           8
        .value_kind:     global_buffer
      - .actual_access:  read_only
        .address_space:  global
        .offset:         40
        .size:           8
        .value_kind:     global_buffer
      - .actual_access:  read_only
        .address_space:  global
        .offset:         48
        .size:           8
        .value_kind:     global_buffer
      - .offset:         56
        .size:           4
        .value_kind:     by_value
      - .actual_access:  read_only
        .address_space:  global
        .offset:         64
        .size:           8
        .value_kind:     global_buffer
      - .offset:         72
        .size:           4
        .value_kind:     by_value
      - .offset:         76
        .size:           4
        .value_kind:     by_value
      - .offset:         80
        .size:           4
        .value_kind:     by_value
      - .actual_access:  read_only
        .address_space:  global
        .offset:         88
        .size:           8
        .value_kind:     global_buffer
      - .actual_access:  read_only
        .address_space:  global
        .offset:         96
        .size:           8
        .value_kind:     global_buffer
      - .actual_access:  read_only
        .address_space:  global
        .offset:         104
        .size:           8
        .value_kind:     global_buffer
      - .actual_access:  read_only
        .address_space:  global
        .offset:         112
        .size:           8
        .value_kind:     global_buffer
      - .offset:         120
        .size:           4
        .value_kind:     by_value
      - .address_space:  global
        .offset:         128
        .size:           8
        .value_kind:     global_buffer
      - .address_space:  global
        .offset:         136
        .size:           8
        .value_kind:     global_buffer
      - .offset:         144
        .size:           4
        .value_kind:     hidden_block_count_x
      - .offset:         148
        .size:           4
        .value_kind:     hidden_block_count_y
      - .offset:         152
        .size:           4
        .value_kind:     hidden_block_count_z
      - .offset:         156
        .size:           2
        .value_kind:     hidden_group_size_x
      - .offset:         158
        .size:           2
        .value_kind:     hidden_group_size_y
      - .offset:         160
        .size:           2
        .value_kind:     hidden_group_size_z
      - .offset:         162
        .size:           2
        .value_kind:     hidden_remainder_x
      - .offset:         164
        .size:           2
        .value_kind:     hidden_remainder_y
      - .offset:         166
        .size:           2
        .value_kind:     hidden_remainder_z
      - .offset:         184
        .size:           8
        .value_kind:     hidden_global_offset_x
      - .offset:         192
        .size:           8
        .value_kind:     hidden_global_offset_y
      - .offset:         200
        .size:           8
        .value_kind:     hidden_global_offset_z
      - .offset:         208
        .size:           2
        .value_kind:     hidden_grid_dims
      - .offset:         224
        .size:           8
        .value_kind:     hidden_hostcall_buffer
    .group_segment_fixed_size: 0
    .kernarg_segment_align: 8
    .kernarg_segment_size: 400
    .language:       OpenCL C
    .language_version:
      - 2
      - 0
    .max_flat_workgroup_size: 256
    .name:           _Z39paged_attention_ll4mi_QKV_mfma16_kernelIDF16_hLN4vllm18Fp8KVCacheDataTypeE1EDF16_Li32ELi64ELi256ELb1ELi14EEvPKT_PKT0_S7_ifPKiS9_S9_iPKfiiiPfSC_PS2_PT2_iSB_SB_
    .private_segment_fixed_size: 64
    .sgpr_count:     36
    .sgpr_spill_count: 0
    .symbol:         _Z39paged_attention_ll4mi_QKV_mfma16_kernelIDF16_hLN4vllm18Fp8KVCacheDataTypeE1EDF16_Li32ELi64ELi256ELb1ELi14EEvPKT_PKT0_S7_ifPKiS9_S9_iPKfiiiPfSC_PS2_PT2_iSB_SB_.kd
    .uniform_work_group_size: 1
    .uses_dynamic_stack: false
    .vgpr_count:     51
    .vgpr_spill_count: 0
    .wavefront_size: 32
  - .args:
      - .actual_access:  read_only
        .address_space:  global
        .offset:         0
        .size:           8
        .value_kind:     global_buffer
      - .actual_access:  read_only
        .address_space:  global
        .offset:         8
        .size:           8
        .value_kind:     global_buffer
      - .actual_access:  read_only
        .address_space:  global
        .offset:         16
        .size:           8
        .value_kind:     global_buffer
      - .offset:         24
        .size:           4
        .value_kind:     by_value
      - .offset:         28
        .size:           4
        .value_kind:     by_value
      - .actual_access:  read_only
        .address_space:  global
        .offset:         32
        .size:           8
        .value_kind:     global_buffer
      - .actual_access:  read_only
        .address_space:  global
        .offset:         40
        .size:           8
        .value_kind:     global_buffer
      - .actual_access:  read_only
        .address_space:  global
        .offset:         48
        .size:           8
        .value_kind:     global_buffer
      - .offset:         56
        .size:           4
        .value_kind:     by_value
      - .actual_access:  read_only
        .address_space:  global
        .offset:         64
        .size:           8
        .value_kind:     global_buffer
      - .offset:         72
        .size:           4
        .value_kind:     by_value
      - .offset:         76
        .size:           4
        .value_kind:     by_value
      - .offset:         80
        .size:           4
        .value_kind:     by_value
      - .actual_access:  read_only
        .address_space:  global
        .offset:         88
        .size:           8
        .value_kind:     global_buffer
      - .actual_access:  read_only
        .address_space:  global
        .offset:         96
        .size:           8
        .value_kind:     global_buffer
      - .actual_access:  read_only
        .address_space:  global
        .offset:         104
        .size:           8
        .value_kind:     global_buffer
      - .actual_access:  read_only
        .address_space:  global
        .offset:         112
        .size:           8
        .value_kind:     global_buffer
      - .offset:         120
        .size:           4
        .value_kind:     by_value
      - .address_space:  global
        .offset:         128
        .size:           8
        .value_kind:     global_buffer
      - .address_space:  global
        .offset:         136
        .size:           8
        .value_kind:     global_buffer
      - .offset:         144
        .size:           4
        .value_kind:     hidden_block_count_x
      - .offset:         148
        .size:           4
        .value_kind:     hidden_block_count_y
      - .offset:         152
        .size:           4
        .value_kind:     hidden_block_count_z
      - .offset:         156
        .size:           2
        .value_kind:     hidden_group_size_x
      - .offset:         158
        .size:           2
        .value_kind:     hidden_group_size_y
      - .offset:         160
        .size:           2
        .value_kind:     hidden_group_size_z
      - .offset:         162
        .size:           2
        .value_kind:     hidden_remainder_x
      - .offset:         164
        .size:           2
        .value_kind:     hidden_remainder_y
      - .offset:         166
        .size:           2
        .value_kind:     hidden_remainder_z
      - .offset:         184
        .size:           8
        .value_kind:     hidden_global_offset_x
      - .offset:         192
        .size:           8
        .value_kind:     hidden_global_offset_y
      - .offset:         200
        .size:           8
        .value_kind:     hidden_global_offset_z
      - .offset:         208
        .size:           2
        .value_kind:     hidden_grid_dims
      - .offset:         224
        .size:           8
        .value_kind:     hidden_hostcall_buffer
    .group_segment_fixed_size: 0
    .kernarg_segment_align: 8
    .kernarg_segment_size: 400
    .language:       OpenCL C
    .language_version:
      - 2
      - 0
    .max_flat_workgroup_size: 256
    .name:           _Z39paged_attention_ll4mi_QKV_mfma16_kernelIDF16_hLN4vllm18Fp8KVCacheDataTypeE1EDF16_Li32ELi64ELi256ELb1ELi15EEvPKT_PKT0_S7_ifPKiS9_S9_iPKfiiiPfSC_PS2_PT2_iSB_SB_
    .private_segment_fixed_size: 64
    .sgpr_count:     36
    .sgpr_spill_count: 0
    .symbol:         _Z39paged_attention_ll4mi_QKV_mfma16_kernelIDF16_hLN4vllm18Fp8KVCacheDataTypeE1EDF16_Li32ELi64ELi256ELb1ELi15EEvPKT_PKT0_S7_ifPKiS9_S9_iPKfiiiPfSC_PS2_PT2_iSB_SB_.kd
    .uniform_work_group_size: 1
    .uses_dynamic_stack: false
    .vgpr_count:     51
    .vgpr_spill_count: 0
    .wavefront_size: 32
  - .args:
      - .actual_access:  read_only
        .address_space:  global
        .offset:         0
        .size:           8
        .value_kind:     global_buffer
      - .actual_access:  read_only
        .address_space:  global
        .offset:         8
        .size:           8
        .value_kind:     global_buffer
      - .actual_access:  read_only
        .address_space:  global
        .offset:         16
        .size:           8
        .value_kind:     global_buffer
      - .offset:         24
        .size:           4
        .value_kind:     by_value
      - .offset:         28
        .size:           4
        .value_kind:     by_value
      - .actual_access:  read_only
        .address_space:  global
        .offset:         32
        .size:           8
        .value_kind:     global_buffer
      - .actual_access:  read_only
        .address_space:  global
        .offset:         40
        .size:           8
        .value_kind:     global_buffer
      - .actual_access:  read_only
        .address_space:  global
        .offset:         48
        .size:           8
        .value_kind:     global_buffer
      - .offset:         56
        .size:           4
        .value_kind:     by_value
      - .actual_access:  read_only
        .address_space:  global
        .offset:         64
        .size:           8
        .value_kind:     global_buffer
      - .offset:         72
        .size:           4
        .value_kind:     by_value
      - .offset:         76
        .size:           4
        .value_kind:     by_value
      - .offset:         80
        .size:           4
        .value_kind:     by_value
      - .actual_access:  read_only
        .address_space:  global
        .offset:         88
        .size:           8
        .value_kind:     global_buffer
      - .actual_access:  read_only
        .address_space:  global
        .offset:         96
        .size:           8
        .value_kind:     global_buffer
      - .actual_access:  read_only
        .address_space:  global
        .offset:         104
        .size:           8
        .value_kind:     global_buffer
      - .actual_access:  read_only
        .address_space:  global
        .offset:         112
        .size:           8
        .value_kind:     global_buffer
      - .offset:         120
        .size:           4
        .value_kind:     by_value
      - .address_space:  global
        .offset:         128
        .size:           8
        .value_kind:     global_buffer
      - .address_space:  global
        .offset:         136
        .size:           8
        .value_kind:     global_buffer
      - .offset:         144
        .size:           4
        .value_kind:     hidden_block_count_x
      - .offset:         148
        .size:           4
        .value_kind:     hidden_block_count_y
      - .offset:         152
        .size:           4
        .value_kind:     hidden_block_count_z
      - .offset:         156
        .size:           2
        .value_kind:     hidden_group_size_x
      - .offset:         158
        .size:           2
        .value_kind:     hidden_group_size_y
      - .offset:         160
        .size:           2
        .value_kind:     hidden_group_size_z
      - .offset:         162
        .size:           2
        .value_kind:     hidden_remainder_x
      - .offset:         164
        .size:           2
        .value_kind:     hidden_remainder_y
      - .offset:         166
        .size:           2
        .value_kind:     hidden_remainder_z
      - .offset:         184
        .size:           8
        .value_kind:     hidden_global_offset_x
      - .offset:         192
        .size:           8
        .value_kind:     hidden_global_offset_y
      - .offset:         200
        .size:           8
        .value_kind:     hidden_global_offset_z
      - .offset:         208
        .size:           2
        .value_kind:     hidden_grid_dims
      - .offset:         224
        .size:           8
        .value_kind:     hidden_hostcall_buffer
    .group_segment_fixed_size: 0
    .kernarg_segment_align: 8
    .kernarg_segment_size: 400
    .language:       OpenCL C
    .language_version:
      - 2
      - 0
    .max_flat_workgroup_size: 256
    .name:           _Z39paged_attention_ll4mi_QKV_mfma16_kernelIDF16_hLN4vllm18Fp8KVCacheDataTypeE1EDF16_Li32ELi64ELi256ELb1ELi16EEvPKT_PKT0_S7_ifPKiS9_S9_iPKfiiiPfSC_PS2_PT2_iSB_SB_
    .private_segment_fixed_size: 64
    .sgpr_count:     36
    .sgpr_spill_count: 0
    .symbol:         _Z39paged_attention_ll4mi_QKV_mfma16_kernelIDF16_hLN4vllm18Fp8KVCacheDataTypeE1EDF16_Li32ELi64ELi256ELb1ELi16EEvPKT_PKT0_S7_ifPKiS9_S9_iPKfiiiPfSC_PS2_PT2_iSB_SB_.kd
    .uniform_work_group_size: 1
    .uses_dynamic_stack: false
    .vgpr_count:     51
    .vgpr_spill_count: 0
    .wavefront_size: 32
  - .args:
      - .actual_access:  read_only
        .address_space:  global
        .offset:         0
        .size:           8
        .value_kind:     global_buffer
      - .actual_access:  read_only
        .address_space:  global
        .offset:         8
        .size:           8
        .value_kind:     global_buffer
      - .actual_access:  read_only
        .address_space:  global
        .offset:         16
        .size:           8
        .value_kind:     global_buffer
      - .offset:         24
        .size:           4
        .value_kind:     by_value
      - .offset:         28
        .size:           4
        .value_kind:     by_value
      - .actual_access:  read_only
        .address_space:  global
        .offset:         32
        .size:           8
        .value_kind:     global_buffer
      - .actual_access:  read_only
        .address_space:  global
        .offset:         40
        .size:           8
        .value_kind:     global_buffer
      - .actual_access:  read_only
        .address_space:  global
        .offset:         48
        .size:           8
        .value_kind:     global_buffer
      - .offset:         56
        .size:           4
        .value_kind:     by_value
      - .actual_access:  read_only
        .address_space:  global
        .offset:         64
        .size:           8
        .value_kind:     global_buffer
      - .offset:         72
        .size:           4
        .value_kind:     by_value
      - .offset:         76
        .size:           4
        .value_kind:     by_value
      - .offset:         80
        .size:           4
        .value_kind:     by_value
      - .actual_access:  read_only
        .address_space:  global
        .offset:         88
        .size:           8
        .value_kind:     global_buffer
      - .actual_access:  read_only
        .address_space:  global
        .offset:         96
        .size:           8
        .value_kind:     global_buffer
      - .actual_access:  read_only
        .address_space:  global
        .offset:         104
        .size:           8
        .value_kind:     global_buffer
      - .actual_access:  read_only
        .address_space:  global
        .offset:         112
        .size:           8
        .value_kind:     global_buffer
      - .offset:         120
        .size:           4
        .value_kind:     by_value
      - .address_space:  global
        .offset:         128
        .size:           8
        .value_kind:     global_buffer
      - .address_space:  global
        .offset:         136
        .size:           8
        .value_kind:     global_buffer
      - .offset:         144
        .size:           4
        .value_kind:     hidden_block_count_x
      - .offset:         148
        .size:           4
        .value_kind:     hidden_block_count_y
      - .offset:         152
        .size:           4
        .value_kind:     hidden_block_count_z
      - .offset:         156
        .size:           2
        .value_kind:     hidden_group_size_x
      - .offset:         158
        .size:           2
        .value_kind:     hidden_group_size_y
      - .offset:         160
        .size:           2
        .value_kind:     hidden_group_size_z
      - .offset:         162
        .size:           2
        .value_kind:     hidden_remainder_x
      - .offset:         164
        .size:           2
        .value_kind:     hidden_remainder_y
      - .offset:         166
        .size:           2
        .value_kind:     hidden_remainder_z
      - .offset:         184
        .size:           8
        .value_kind:     hidden_global_offset_x
      - .offset:         192
        .size:           8
        .value_kind:     hidden_global_offset_y
      - .offset:         200
        .size:           8
        .value_kind:     hidden_global_offset_z
      - .offset:         208
        .size:           2
        .value_kind:     hidden_grid_dims
      - .offset:         224
        .size:           8
        .value_kind:     hidden_hostcall_buffer
    .group_segment_fixed_size: 0
    .kernarg_segment_align: 8
    .kernarg_segment_size: 400
    .language:       OpenCL C
    .language_version:
      - 2
      - 0
    .max_flat_workgroup_size: 256
    .name:           _Z39paged_attention_ll4mi_QKV_mfma16_kernelIDF16_hLN4vllm18Fp8KVCacheDataTypeE1EDF16_Li32ELi64ELi256ELb1ELi1EEvPKT_PKT0_S7_ifPKiS9_S9_iPKfiiiPfSC_PS2_PT2_iSB_SB_
    .private_segment_fixed_size: 64
    .sgpr_count:     36
    .sgpr_spill_count: 0
    .symbol:         _Z39paged_attention_ll4mi_QKV_mfma16_kernelIDF16_hLN4vllm18Fp8KVCacheDataTypeE1EDF16_Li32ELi64ELi256ELb1ELi1EEvPKT_PKT0_S7_ifPKiS9_S9_iPKfiiiPfSC_PS2_PT2_iSB_SB_.kd
    .uniform_work_group_size: 1
    .uses_dynamic_stack: false
    .vgpr_count:     51
    .vgpr_spill_count: 0
    .wavefront_size: 32
  - .args:
      - .actual_access:  read_only
        .address_space:  global
        .offset:         0
        .size:           8
        .value_kind:     global_buffer
      - .actual_access:  read_only
        .address_space:  global
        .offset:         8
        .size:           8
        .value_kind:     global_buffer
      - .actual_access:  read_only
        .address_space:  global
        .offset:         16
        .size:           8
        .value_kind:     global_buffer
      - .offset:         24
        .size:           4
        .value_kind:     by_value
      - .offset:         28
        .size:           4
        .value_kind:     by_value
      - .actual_access:  read_only
        .address_space:  global
        .offset:         32
        .size:           8
        .value_kind:     global_buffer
      - .actual_access:  read_only
        .address_space:  global
        .offset:         40
        .size:           8
        .value_kind:     global_buffer
      - .actual_access:  read_only
        .address_space:  global
        .offset:         48
        .size:           8
        .value_kind:     global_buffer
      - .offset:         56
        .size:           4
        .value_kind:     by_value
      - .actual_access:  read_only
        .address_space:  global
        .offset:         64
        .size:           8
        .value_kind:     global_buffer
      - .offset:         72
        .size:           4
        .value_kind:     by_value
      - .offset:         76
        .size:           4
        .value_kind:     by_value
      - .offset:         80
        .size:           4
        .value_kind:     by_value
      - .actual_access:  read_only
        .address_space:  global
        .offset:         88
        .size:           8
        .value_kind:     global_buffer
      - .actual_access:  read_only
        .address_space:  global
        .offset:         96
        .size:           8
        .value_kind:     global_buffer
      - .actual_access:  read_only
        .address_space:  global
        .offset:         104
        .size:           8
        .value_kind:     global_buffer
      - .actual_access:  read_only
        .address_space:  global
        .offset:         112
        .size:           8
        .value_kind:     global_buffer
      - .offset:         120
        .size:           4
        .value_kind:     by_value
      - .address_space:  global
        .offset:         128
        .size:           8
        .value_kind:     global_buffer
      - .address_space:  global
        .offset:         136
        .size:           8
        .value_kind:     global_buffer
      - .offset:         144
        .size:           4
        .value_kind:     hidden_block_count_x
      - .offset:         148
        .size:           4
        .value_kind:     hidden_block_count_y
      - .offset:         152
        .size:           4
        .value_kind:     hidden_block_count_z
      - .offset:         156
        .size:           2
        .value_kind:     hidden_group_size_x
      - .offset:         158
        .size:           2
        .value_kind:     hidden_group_size_y
      - .offset:         160
        .size:           2
        .value_kind:     hidden_group_size_z
      - .offset:         162
        .size:           2
        .value_kind:     hidden_remainder_x
      - .offset:         164
        .size:           2
        .value_kind:     hidden_remainder_y
      - .offset:         166
        .size:           2
        .value_kind:     hidden_remainder_z
      - .offset:         184
        .size:           8
        .value_kind:     hidden_global_offset_x
      - .offset:         192
        .size:           8
        .value_kind:     hidden_global_offset_y
      - .offset:         200
        .size:           8
        .value_kind:     hidden_global_offset_z
      - .offset:         208
        .size:           2
        .value_kind:     hidden_grid_dims
      - .offset:         224
        .size:           8
        .value_kind:     hidden_hostcall_buffer
    .group_segment_fixed_size: 0
    .kernarg_segment_align: 8
    .kernarg_segment_size: 400
    .language:       OpenCL C
    .language_version:
      - 2
      - 0
    .max_flat_workgroup_size: 256
    .name:           _Z39paged_attention_ll4mi_QKV_mfma16_kernelIDF16_hLN4vllm18Fp8KVCacheDataTypeE1EDF16_Li32ELi64ELi256ELb1ELi2EEvPKT_PKT0_S7_ifPKiS9_S9_iPKfiiiPfSC_PS2_PT2_iSB_SB_
    .private_segment_fixed_size: 64
    .sgpr_count:     36
    .sgpr_spill_count: 0
    .symbol:         _Z39paged_attention_ll4mi_QKV_mfma16_kernelIDF16_hLN4vllm18Fp8KVCacheDataTypeE1EDF16_Li32ELi64ELi256ELb1ELi2EEvPKT_PKT0_S7_ifPKiS9_S9_iPKfiiiPfSC_PS2_PT2_iSB_SB_.kd
    .uniform_work_group_size: 1
    .uses_dynamic_stack: false
    .vgpr_count:     51
    .vgpr_spill_count: 0
    .wavefront_size: 32
  - .args:
      - .actual_access:  read_only
        .address_space:  global
        .offset:         0
        .size:           8
        .value_kind:     global_buffer
      - .actual_access:  read_only
        .address_space:  global
        .offset:         8
        .size:           8
        .value_kind:     global_buffer
      - .actual_access:  read_only
        .address_space:  global
        .offset:         16
        .size:           8
        .value_kind:     global_buffer
      - .offset:         24
        .size:           4
        .value_kind:     by_value
      - .offset:         28
        .size:           4
        .value_kind:     by_value
      - .actual_access:  read_only
        .address_space:  global
        .offset:         32
        .size:           8
        .value_kind:     global_buffer
      - .actual_access:  read_only
        .address_space:  global
        .offset:         40
        .size:           8
        .value_kind:     global_buffer
      - .actual_access:  read_only
        .address_space:  global
        .offset:         48
        .size:           8
        .value_kind:     global_buffer
      - .offset:         56
        .size:           4
        .value_kind:     by_value
      - .actual_access:  read_only
        .address_space:  global
        .offset:         64
        .size:           8
        .value_kind:     global_buffer
      - .offset:         72
        .size:           4
        .value_kind:     by_value
      - .offset:         76
        .size:           4
        .value_kind:     by_value
      - .offset:         80
        .size:           4
        .value_kind:     by_value
      - .actual_access:  read_only
        .address_space:  global
        .offset:         88
        .size:           8
        .value_kind:     global_buffer
      - .actual_access:  read_only
        .address_space:  global
        .offset:         96
        .size:           8
        .value_kind:     global_buffer
      - .actual_access:  read_only
        .address_space:  global
        .offset:         104
        .size:           8
        .value_kind:     global_buffer
      - .actual_access:  read_only
        .address_space:  global
        .offset:         112
        .size:           8
        .value_kind:     global_buffer
      - .offset:         120
        .size:           4
        .value_kind:     by_value
      - .address_space:  global
        .offset:         128
        .size:           8
        .value_kind:     global_buffer
      - .address_space:  global
        .offset:         136
        .size:           8
        .value_kind:     global_buffer
      - .offset:         144
        .size:           4
        .value_kind:     hidden_block_count_x
      - .offset:         148
        .size:           4
        .value_kind:     hidden_block_count_y
      - .offset:         152
        .size:           4
        .value_kind:     hidden_block_count_z
      - .offset:         156
        .size:           2
        .value_kind:     hidden_group_size_x
      - .offset:         158
        .size:           2
        .value_kind:     hidden_group_size_y
      - .offset:         160
        .size:           2
        .value_kind:     hidden_group_size_z
      - .offset:         162
        .size:           2
        .value_kind:     hidden_remainder_x
      - .offset:         164
        .size:           2
        .value_kind:     hidden_remainder_y
      - .offset:         166
        .size:           2
        .value_kind:     hidden_remainder_z
      - .offset:         184
        .size:           8
        .value_kind:     hidden_global_offset_x
      - .offset:         192
        .size:           8
        .value_kind:     hidden_global_offset_y
      - .offset:         200
        .size:           8
        .value_kind:     hidden_global_offset_z
      - .offset:         208
        .size:           2
        .value_kind:     hidden_grid_dims
      - .offset:         224
        .size:           8
        .value_kind:     hidden_hostcall_buffer
    .group_segment_fixed_size: 0
    .kernarg_segment_align: 8
    .kernarg_segment_size: 400
    .language:       OpenCL C
    .language_version:
      - 2
      - 0
    .max_flat_workgroup_size: 256
    .name:           _Z39paged_attention_ll4mi_QKV_mfma16_kernelIDF16_hLN4vllm18Fp8KVCacheDataTypeE1EDF16_Li32ELi64ELi256ELb1ELi3EEvPKT_PKT0_S7_ifPKiS9_S9_iPKfiiiPfSC_PS2_PT2_iSB_SB_
    .private_segment_fixed_size: 64
    .sgpr_count:     36
    .sgpr_spill_count: 0
    .symbol:         _Z39paged_attention_ll4mi_QKV_mfma16_kernelIDF16_hLN4vllm18Fp8KVCacheDataTypeE1EDF16_Li32ELi64ELi256ELb1ELi3EEvPKT_PKT0_S7_ifPKiS9_S9_iPKfiiiPfSC_PS2_PT2_iSB_SB_.kd
    .uniform_work_group_size: 1
    .uses_dynamic_stack: false
    .vgpr_count:     51
    .vgpr_spill_count: 0
    .wavefront_size: 32
  - .args:
      - .actual_access:  read_only
        .address_space:  global
        .offset:         0
        .size:           8
        .value_kind:     global_buffer
      - .actual_access:  read_only
        .address_space:  global
        .offset:         8
        .size:           8
        .value_kind:     global_buffer
      - .actual_access:  read_only
        .address_space:  global
        .offset:         16
        .size:           8
        .value_kind:     global_buffer
      - .offset:         24
        .size:           4
        .value_kind:     by_value
      - .offset:         28
        .size:           4
        .value_kind:     by_value
      - .actual_access:  read_only
        .address_space:  global
        .offset:         32
        .size:           8
        .value_kind:     global_buffer
      - .actual_access:  read_only
        .address_space:  global
        .offset:         40
        .size:           8
        .value_kind:     global_buffer
      - .actual_access:  read_only
        .address_space:  global
        .offset:         48
        .size:           8
        .value_kind:     global_buffer
      - .offset:         56
        .size:           4
        .value_kind:     by_value
      - .actual_access:  read_only
        .address_space:  global
        .offset:         64
        .size:           8
        .value_kind:     global_buffer
      - .offset:         72
        .size:           4
        .value_kind:     by_value
      - .offset:         76
        .size:           4
        .value_kind:     by_value
      - .offset:         80
        .size:           4
        .value_kind:     by_value
      - .actual_access:  read_only
        .address_space:  global
        .offset:         88
        .size:           8
        .value_kind:     global_buffer
      - .actual_access:  read_only
        .address_space:  global
        .offset:         96
        .size:           8
        .value_kind:     global_buffer
      - .actual_access:  read_only
        .address_space:  global
        .offset:         104
        .size:           8
        .value_kind:     global_buffer
      - .actual_access:  read_only
        .address_space:  global
        .offset:         112
        .size:           8
        .value_kind:     global_buffer
      - .offset:         120
        .size:           4
        .value_kind:     by_value
      - .address_space:  global
        .offset:         128
        .size:           8
        .value_kind:     global_buffer
      - .address_space:  global
        .offset:         136
        .size:           8
        .value_kind:     global_buffer
      - .offset:         144
        .size:           4
        .value_kind:     hidden_block_count_x
      - .offset:         148
        .size:           4
        .value_kind:     hidden_block_count_y
      - .offset:         152
        .size:           4
        .value_kind:     hidden_block_count_z
      - .offset:         156
        .size:           2
        .value_kind:     hidden_group_size_x
      - .offset:         158
        .size:           2
        .value_kind:     hidden_group_size_y
      - .offset:         160
        .size:           2
        .value_kind:     hidden_group_size_z
      - .offset:         162
        .size:           2
        .value_kind:     hidden_remainder_x
      - .offset:         164
        .size:           2
        .value_kind:     hidden_remainder_y
      - .offset:         166
        .size:           2
        .value_kind:     hidden_remainder_z
      - .offset:         184
        .size:           8
        .value_kind:     hidden_global_offset_x
      - .offset:         192
        .size:           8
        .value_kind:     hidden_global_offset_y
      - .offset:         200
        .size:           8
        .value_kind:     hidden_global_offset_z
      - .offset:         208
        .size:           2
        .value_kind:     hidden_grid_dims
      - .offset:         224
        .size:           8
        .value_kind:     hidden_hostcall_buffer
    .group_segment_fixed_size: 0
    .kernarg_segment_align: 8
    .kernarg_segment_size: 400
    .language:       OpenCL C
    .language_version:
      - 2
      - 0
    .max_flat_workgroup_size: 256
    .name:           _Z39paged_attention_ll4mi_QKV_mfma16_kernelIDF16_hLN4vllm18Fp8KVCacheDataTypeE1EDF16_Li32ELi64ELi256ELb1ELi4EEvPKT_PKT0_S7_ifPKiS9_S9_iPKfiiiPfSC_PS2_PT2_iSB_SB_
    .private_segment_fixed_size: 64
    .sgpr_count:     36
    .sgpr_spill_count: 0
    .symbol:         _Z39paged_attention_ll4mi_QKV_mfma16_kernelIDF16_hLN4vllm18Fp8KVCacheDataTypeE1EDF16_Li32ELi64ELi256ELb1ELi4EEvPKT_PKT0_S7_ifPKiS9_S9_iPKfiiiPfSC_PS2_PT2_iSB_SB_.kd
    .uniform_work_group_size: 1
    .uses_dynamic_stack: false
    .vgpr_count:     51
    .vgpr_spill_count: 0
    .wavefront_size: 32
  - .args:
      - .actual_access:  read_only
        .address_space:  global
        .offset:         0
        .size:           8
        .value_kind:     global_buffer
      - .actual_access:  read_only
        .address_space:  global
        .offset:         8
        .size:           8
        .value_kind:     global_buffer
      - .actual_access:  read_only
        .address_space:  global
        .offset:         16
        .size:           8
        .value_kind:     global_buffer
      - .offset:         24
        .size:           4
        .value_kind:     by_value
      - .offset:         28
        .size:           4
        .value_kind:     by_value
      - .actual_access:  read_only
        .address_space:  global
        .offset:         32
        .size:           8
        .value_kind:     global_buffer
      - .actual_access:  read_only
        .address_space:  global
        .offset:         40
        .size:           8
        .value_kind:     global_buffer
      - .actual_access:  read_only
        .address_space:  global
        .offset:         48
        .size:           8
        .value_kind:     global_buffer
      - .offset:         56
        .size:           4
        .value_kind:     by_value
      - .actual_access:  read_only
        .address_space:  global
        .offset:         64
        .size:           8
        .value_kind:     global_buffer
      - .offset:         72
        .size:           4
        .value_kind:     by_value
      - .offset:         76
        .size:           4
        .value_kind:     by_value
      - .offset:         80
        .size:           4
        .value_kind:     by_value
      - .actual_access:  read_only
        .address_space:  global
        .offset:         88
        .size:           8
        .value_kind:     global_buffer
      - .actual_access:  read_only
        .address_space:  global
        .offset:         96
        .size:           8
        .value_kind:     global_buffer
      - .actual_access:  read_only
        .address_space:  global
        .offset:         104
        .size:           8
        .value_kind:     global_buffer
      - .actual_access:  read_only
        .address_space:  global
        .offset:         112
        .size:           8
        .value_kind:     global_buffer
      - .offset:         120
        .size:           4
        .value_kind:     by_value
      - .address_space:  global
        .offset:         128
        .size:           8
        .value_kind:     global_buffer
      - .address_space:  global
        .offset:         136
        .size:           8
        .value_kind:     global_buffer
      - .offset:         144
        .size:           4
        .value_kind:     hidden_block_count_x
      - .offset:         148
        .size:           4
        .value_kind:     hidden_block_count_y
      - .offset:         152
        .size:           4
        .value_kind:     hidden_block_count_z
      - .offset:         156
        .size:           2
        .value_kind:     hidden_group_size_x
      - .offset:         158
        .size:           2
        .value_kind:     hidden_group_size_y
      - .offset:         160
        .size:           2
        .value_kind:     hidden_group_size_z
      - .offset:         162
        .size:           2
        .value_kind:     hidden_remainder_x
      - .offset:         164
        .size:           2
        .value_kind:     hidden_remainder_y
      - .offset:         166
        .size:           2
        .value_kind:     hidden_remainder_z
      - .offset:         184
        .size:           8
        .value_kind:     hidden_global_offset_x
      - .offset:         192
        .size:           8
        .value_kind:     hidden_global_offset_y
      - .offset:         200
        .size:           8
        .value_kind:     hidden_global_offset_z
      - .offset:         208
        .size:           2
        .value_kind:     hidden_grid_dims
      - .offset:         224
        .size:           8
        .value_kind:     hidden_hostcall_buffer
    .group_segment_fixed_size: 0
    .kernarg_segment_align: 8
    .kernarg_segment_size: 400
    .language:       OpenCL C
    .language_version:
      - 2
      - 0
    .max_flat_workgroup_size: 256
    .name:           _Z38paged_attention_ll4mi_QKV_mfma4_kernelIDF16_hLN4vllm18Fp8KVCacheDataTypeE1EDF16_Li32ELi64ELi256ELb0ELi1EEvPKT_PKT0_S7_ifPKiS9_S9_iPKfiiiPfSC_PS2_PT2_iSB_SB_
    .private_segment_fixed_size: 64
    .sgpr_count:     36
    .sgpr_spill_count: 0
    .symbol:         _Z38paged_attention_ll4mi_QKV_mfma4_kernelIDF16_hLN4vllm18Fp8KVCacheDataTypeE1EDF16_Li32ELi64ELi256ELb0ELi1EEvPKT_PKT0_S7_ifPKiS9_S9_iPKfiiiPfSC_PS2_PT2_iSB_SB_.kd
    .uniform_work_group_size: 1
    .uses_dynamic_stack: false
    .vgpr_count:     51
    .vgpr_spill_count: 0
    .wavefront_size: 32
  - .args:
      - .actual_access:  read_only
        .address_space:  global
        .offset:         0
        .size:           8
        .value_kind:     global_buffer
      - .actual_access:  read_only
        .address_space:  global
        .offset:         8
        .size:           8
        .value_kind:     global_buffer
      - .actual_access:  read_only
        .address_space:  global
        .offset:         16
        .size:           8
        .value_kind:     global_buffer
      - .offset:         24
        .size:           4
        .value_kind:     by_value
      - .offset:         28
        .size:           4
        .value_kind:     by_value
      - .actual_access:  read_only
        .address_space:  global
        .offset:         32
        .size:           8
        .value_kind:     global_buffer
      - .actual_access:  read_only
        .address_space:  global
        .offset:         40
        .size:           8
        .value_kind:     global_buffer
      - .actual_access:  read_only
        .address_space:  global
        .offset:         48
        .size:           8
        .value_kind:     global_buffer
      - .offset:         56
        .size:           4
        .value_kind:     by_value
      - .actual_access:  read_only
        .address_space:  global
        .offset:         64
        .size:           8
        .value_kind:     global_buffer
      - .offset:         72
        .size:           4
        .value_kind:     by_value
      - .offset:         76
        .size:           4
        .value_kind:     by_value
      - .offset:         80
        .size:           4
        .value_kind:     by_value
      - .actual_access:  read_only
        .address_space:  global
        .offset:         88
        .size:           8
        .value_kind:     global_buffer
      - .actual_access:  read_only
        .address_space:  global
        .offset:         96
        .size:           8
        .value_kind:     global_buffer
      - .actual_access:  read_only
        .address_space:  global
        .offset:         104
        .size:           8
        .value_kind:     global_buffer
      - .actual_access:  read_only
        .address_space:  global
        .offset:         112
        .size:           8
        .value_kind:     global_buffer
      - .offset:         120
        .size:           4
        .value_kind:     by_value
      - .address_space:  global
        .offset:         128
        .size:           8
        .value_kind:     global_buffer
      - .address_space:  global
        .offset:         136
        .size:           8
        .value_kind:     global_buffer
      - .offset:         144
        .size:           4
        .value_kind:     hidden_block_count_x
      - .offset:         148
        .size:           4
        .value_kind:     hidden_block_count_y
      - .offset:         152
        .size:           4
        .value_kind:     hidden_block_count_z
      - .offset:         156
        .size:           2
        .value_kind:     hidden_group_size_x
      - .offset:         158
        .size:           2
        .value_kind:     hidden_group_size_y
      - .offset:         160
        .size:           2
        .value_kind:     hidden_group_size_z
      - .offset:         162
        .size:           2
        .value_kind:     hidden_remainder_x
      - .offset:         164
        .size:           2
        .value_kind:     hidden_remainder_y
      - .offset:         166
        .size:           2
        .value_kind:     hidden_remainder_z
      - .offset:         184
        .size:           8
        .value_kind:     hidden_global_offset_x
      - .offset:         192
        .size:           8
        .value_kind:     hidden_global_offset_y
      - .offset:         200
        .size:           8
        .value_kind:     hidden_global_offset_z
      - .offset:         208
        .size:           2
        .value_kind:     hidden_grid_dims
      - .offset:         224
        .size:           8
        .value_kind:     hidden_hostcall_buffer
    .group_segment_fixed_size: 0
    .kernarg_segment_align: 8
    .kernarg_segment_size: 400
    .language:       OpenCL C
    .language_version:
      - 2
      - 0
    .max_flat_workgroup_size: 256
    .name:           _Z38paged_attention_ll4mi_QKV_mfma4_kernelIDF16_hLN4vllm18Fp8KVCacheDataTypeE1EDF16_Li32ELi64ELi256ELb0ELi2EEvPKT_PKT0_S7_ifPKiS9_S9_iPKfiiiPfSC_PS2_PT2_iSB_SB_
    .private_segment_fixed_size: 64
    .sgpr_count:     36
    .sgpr_spill_count: 0
    .symbol:         _Z38paged_attention_ll4mi_QKV_mfma4_kernelIDF16_hLN4vllm18Fp8KVCacheDataTypeE1EDF16_Li32ELi64ELi256ELb0ELi2EEvPKT_PKT0_S7_ifPKiS9_S9_iPKfiiiPfSC_PS2_PT2_iSB_SB_.kd
    .uniform_work_group_size: 1
    .uses_dynamic_stack: false
    .vgpr_count:     51
    .vgpr_spill_count: 0
    .wavefront_size: 32
  - .args:
      - .actual_access:  read_only
        .address_space:  global
        .offset:         0
        .size:           8
        .value_kind:     global_buffer
      - .actual_access:  read_only
        .address_space:  global
        .offset:         8
        .size:           8
        .value_kind:     global_buffer
      - .actual_access:  read_only
        .address_space:  global
        .offset:         16
        .size:           8
        .value_kind:     global_buffer
      - .offset:         24
        .size:           4
        .value_kind:     by_value
      - .offset:         28
        .size:           4
        .value_kind:     by_value
      - .actual_access:  read_only
        .address_space:  global
        .offset:         32
        .size:           8
        .value_kind:     global_buffer
      - .actual_access:  read_only
        .address_space:  global
        .offset:         40
        .size:           8
        .value_kind:     global_buffer
      - .actual_access:  read_only
        .address_space:  global
        .offset:         48
        .size:           8
        .value_kind:     global_buffer
      - .offset:         56
        .size:           4
        .value_kind:     by_value
      - .actual_access:  read_only
        .address_space:  global
        .offset:         64
        .size:           8
        .value_kind:     global_buffer
      - .offset:         72
        .size:           4
        .value_kind:     by_value
      - .offset:         76
        .size:           4
        .value_kind:     by_value
      - .offset:         80
        .size:           4
        .value_kind:     by_value
      - .actual_access:  read_only
        .address_space:  global
        .offset:         88
        .size:           8
        .value_kind:     global_buffer
      - .actual_access:  read_only
        .address_space:  global
        .offset:         96
        .size:           8
        .value_kind:     global_buffer
      - .actual_access:  read_only
        .address_space:  global
        .offset:         104
        .size:           8
        .value_kind:     global_buffer
      - .actual_access:  read_only
        .address_space:  global
        .offset:         112
        .size:           8
        .value_kind:     global_buffer
      - .offset:         120
        .size:           4
        .value_kind:     by_value
      - .address_space:  global
        .offset:         128
        .size:           8
        .value_kind:     global_buffer
      - .address_space:  global
        .offset:         136
        .size:           8
        .value_kind:     global_buffer
      - .offset:         144
        .size:           4
        .value_kind:     hidden_block_count_x
      - .offset:         148
        .size:           4
        .value_kind:     hidden_block_count_y
      - .offset:         152
        .size:           4
        .value_kind:     hidden_block_count_z
      - .offset:         156
        .size:           2
        .value_kind:     hidden_group_size_x
      - .offset:         158
        .size:           2
        .value_kind:     hidden_group_size_y
      - .offset:         160
        .size:           2
        .value_kind:     hidden_group_size_z
      - .offset:         162
        .size:           2
        .value_kind:     hidden_remainder_x
      - .offset:         164
        .size:           2
        .value_kind:     hidden_remainder_y
      - .offset:         166
        .size:           2
        .value_kind:     hidden_remainder_z
      - .offset:         184
        .size:           8
        .value_kind:     hidden_global_offset_x
      - .offset:         192
        .size:           8
        .value_kind:     hidden_global_offset_y
      - .offset:         200
        .size:           8
        .value_kind:     hidden_global_offset_z
      - .offset:         208
        .size:           2
        .value_kind:     hidden_grid_dims
      - .offset:         224
        .size:           8
        .value_kind:     hidden_hostcall_buffer
    .group_segment_fixed_size: 0
    .kernarg_segment_align: 8
    .kernarg_segment_size: 400
    .language:       OpenCL C
    .language_version:
      - 2
      - 0
    .max_flat_workgroup_size: 256
    .name:           _Z38paged_attention_ll4mi_QKV_mfma4_kernelIDF16_hLN4vllm18Fp8KVCacheDataTypeE1EDF16_Li32ELi64ELi256ELb0ELi3EEvPKT_PKT0_S7_ifPKiS9_S9_iPKfiiiPfSC_PS2_PT2_iSB_SB_
    .private_segment_fixed_size: 64
    .sgpr_count:     36
    .sgpr_spill_count: 0
    .symbol:         _Z38paged_attention_ll4mi_QKV_mfma4_kernelIDF16_hLN4vllm18Fp8KVCacheDataTypeE1EDF16_Li32ELi64ELi256ELb0ELi3EEvPKT_PKT0_S7_ifPKiS9_S9_iPKfiiiPfSC_PS2_PT2_iSB_SB_.kd
    .uniform_work_group_size: 1
    .uses_dynamic_stack: false
    .vgpr_count:     51
    .vgpr_spill_count: 0
    .wavefront_size: 32
  - .args:
      - .actual_access:  read_only
        .address_space:  global
        .offset:         0
        .size:           8
        .value_kind:     global_buffer
      - .actual_access:  read_only
        .address_space:  global
        .offset:         8
        .size:           8
        .value_kind:     global_buffer
      - .actual_access:  read_only
        .address_space:  global
        .offset:         16
        .size:           8
        .value_kind:     global_buffer
      - .offset:         24
        .size:           4
        .value_kind:     by_value
      - .offset:         28
        .size:           4
        .value_kind:     by_value
      - .actual_access:  read_only
        .address_space:  global
        .offset:         32
        .size:           8
        .value_kind:     global_buffer
      - .actual_access:  read_only
        .address_space:  global
        .offset:         40
        .size:           8
        .value_kind:     global_buffer
      - .actual_access:  read_only
        .address_space:  global
        .offset:         48
        .size:           8
        .value_kind:     global_buffer
      - .offset:         56
        .size:           4
        .value_kind:     by_value
      - .actual_access:  read_only
        .address_space:  global
        .offset:         64
        .size:           8
        .value_kind:     global_buffer
      - .offset:         72
        .size:           4
        .value_kind:     by_value
      - .offset:         76
        .size:           4
        .value_kind:     by_value
      - .offset:         80
        .size:           4
        .value_kind:     by_value
      - .actual_access:  read_only
        .address_space:  global
        .offset:         88
        .size:           8
        .value_kind:     global_buffer
      - .actual_access:  read_only
        .address_space:  global
        .offset:         96
        .size:           8
        .value_kind:     global_buffer
      - .actual_access:  read_only
        .address_space:  global
        .offset:         104
        .size:           8
        .value_kind:     global_buffer
      - .actual_access:  read_only
        .address_space:  global
        .offset:         112
        .size:           8
        .value_kind:     global_buffer
      - .offset:         120
        .size:           4
        .value_kind:     by_value
      - .address_space:  global
        .offset:         128
        .size:           8
        .value_kind:     global_buffer
      - .address_space:  global
        .offset:         136
        .size:           8
        .value_kind:     global_buffer
      - .offset:         144
        .size:           4
        .value_kind:     hidden_block_count_x
      - .offset:         148
        .size:           4
        .value_kind:     hidden_block_count_y
      - .offset:         152
        .size:           4
        .value_kind:     hidden_block_count_z
      - .offset:         156
        .size:           2
        .value_kind:     hidden_group_size_x
      - .offset:         158
        .size:           2
        .value_kind:     hidden_group_size_y
      - .offset:         160
        .size:           2
        .value_kind:     hidden_group_size_z
      - .offset:         162
        .size:           2
        .value_kind:     hidden_remainder_x
      - .offset:         164
        .size:           2
        .value_kind:     hidden_remainder_y
      - .offset:         166
        .size:           2
        .value_kind:     hidden_remainder_z
      - .offset:         184
        .size:           8
        .value_kind:     hidden_global_offset_x
      - .offset:         192
        .size:           8
        .value_kind:     hidden_global_offset_y
      - .offset:         200
        .size:           8
        .value_kind:     hidden_global_offset_z
      - .offset:         208
        .size:           2
        .value_kind:     hidden_grid_dims
      - .offset:         224
        .size:           8
        .value_kind:     hidden_hostcall_buffer
    .group_segment_fixed_size: 0
    .kernarg_segment_align: 8
    .kernarg_segment_size: 400
    .language:       OpenCL C
    .language_version:
      - 2
      - 0
    .max_flat_workgroup_size: 256
    .name:           _Z38paged_attention_ll4mi_QKV_mfma4_kernelIDF16_hLN4vllm18Fp8KVCacheDataTypeE1EDF16_Li32ELi64ELi256ELb0ELi4EEvPKT_PKT0_S7_ifPKiS9_S9_iPKfiiiPfSC_PS2_PT2_iSB_SB_
    .private_segment_fixed_size: 64
    .sgpr_count:     36
    .sgpr_spill_count: 0
    .symbol:         _Z38paged_attention_ll4mi_QKV_mfma4_kernelIDF16_hLN4vllm18Fp8KVCacheDataTypeE1EDF16_Li32ELi64ELi256ELb0ELi4EEvPKT_PKT0_S7_ifPKiS9_S9_iPKfiiiPfSC_PS2_PT2_iSB_SB_.kd
    .uniform_work_group_size: 1
    .uses_dynamic_stack: false
    .vgpr_count:     51
    .vgpr_spill_count: 0
    .wavefront_size: 32
  - .args:
      - .actual_access:  read_only
        .address_space:  global
        .offset:         0
        .size:           8
        .value_kind:     global_buffer
      - .actual_access:  read_only
        .address_space:  global
        .offset:         8
        .size:           8
        .value_kind:     global_buffer
      - .actual_access:  read_only
        .address_space:  global
        .offset:         16
        .size:           8
        .value_kind:     global_buffer
      - .offset:         24
        .size:           4
        .value_kind:     by_value
      - .offset:         28
        .size:           4
        .value_kind:     by_value
      - .actual_access:  read_only
        .address_space:  global
        .offset:         32
        .size:           8
        .value_kind:     global_buffer
      - .actual_access:  read_only
        .address_space:  global
        .offset:         40
        .size:           8
        .value_kind:     global_buffer
      - .actual_access:  read_only
        .address_space:  global
        .offset:         48
        .size:           8
        .value_kind:     global_buffer
      - .offset:         56
        .size:           4
        .value_kind:     by_value
      - .actual_access:  read_only
        .address_space:  global
        .offset:         64
        .size:           8
        .value_kind:     global_buffer
      - .offset:         72
        .size:           4
        .value_kind:     by_value
      - .offset:         76
        .size:           4
        .value_kind:     by_value
      - .offset:         80
        .size:           4
        .value_kind:     by_value
      - .actual_access:  read_only
        .address_space:  global
        .offset:         88
        .size:           8
        .value_kind:     global_buffer
      - .actual_access:  read_only
        .address_space:  global
        .offset:         96
        .size:           8
        .value_kind:     global_buffer
      - .actual_access:  read_only
        .address_space:  global
        .offset:         104
        .size:           8
        .value_kind:     global_buffer
      - .actual_access:  read_only
        .address_space:  global
        .offset:         112
        .size:           8
        .value_kind:     global_buffer
      - .offset:         120
        .size:           4
        .value_kind:     by_value
      - .address_space:  global
        .offset:         128
        .size:           8
        .value_kind:     global_buffer
      - .address_space:  global
        .offset:         136
        .size:           8
        .value_kind:     global_buffer
      - .offset:         144
        .size:           4
        .value_kind:     hidden_block_count_x
      - .offset:         148
        .size:           4
        .value_kind:     hidden_block_count_y
      - .offset:         152
        .size:           4
        .value_kind:     hidden_block_count_z
      - .offset:         156
        .size:           2
        .value_kind:     hidden_group_size_x
      - .offset:         158
        .size:           2
        .value_kind:     hidden_group_size_y
      - .offset:         160
        .size:           2
        .value_kind:     hidden_group_size_z
      - .offset:         162
        .size:           2
        .value_kind:     hidden_remainder_x
      - .offset:         164
        .size:           2
        .value_kind:     hidden_remainder_y
      - .offset:         166
        .size:           2
        .value_kind:     hidden_remainder_z
      - .offset:         184
        .size:           8
        .value_kind:     hidden_global_offset_x
      - .offset:         192
        .size:           8
        .value_kind:     hidden_global_offset_y
      - .offset:         200
        .size:           8
        .value_kind:     hidden_global_offset_z
      - .offset:         208
        .size:           2
        .value_kind:     hidden_grid_dims
      - .offset:         224
        .size:           8
        .value_kind:     hidden_hostcall_buffer
    .group_segment_fixed_size: 0
    .kernarg_segment_align: 8
    .kernarg_segment_size: 400
    .language:       OpenCL C
    .language_version:
      - 2
      - 0
    .max_flat_workgroup_size: 256
    .name:           _Z39paged_attention_ll4mi_QKV_mfma16_kernelIDF16_hLN4vllm18Fp8KVCacheDataTypeE1EDF16_Li32ELi64ELi256ELb0ELi5EEvPKT_PKT0_S7_ifPKiS9_S9_iPKfiiiPfSC_PS2_PT2_iSB_SB_
    .private_segment_fixed_size: 64
    .sgpr_count:     36
    .sgpr_spill_count: 0
    .symbol:         _Z39paged_attention_ll4mi_QKV_mfma16_kernelIDF16_hLN4vllm18Fp8KVCacheDataTypeE1EDF16_Li32ELi64ELi256ELb0ELi5EEvPKT_PKT0_S7_ifPKiS9_S9_iPKfiiiPfSC_PS2_PT2_iSB_SB_.kd
    .uniform_work_group_size: 1
    .uses_dynamic_stack: false
    .vgpr_count:     51
    .vgpr_spill_count: 0
    .wavefront_size: 32
  - .args:
      - .actual_access:  read_only
        .address_space:  global
        .offset:         0
        .size:           8
        .value_kind:     global_buffer
      - .actual_access:  read_only
        .address_space:  global
        .offset:         8
        .size:           8
        .value_kind:     global_buffer
      - .actual_access:  read_only
        .address_space:  global
        .offset:         16
        .size:           8
        .value_kind:     global_buffer
      - .offset:         24
        .size:           4
        .value_kind:     by_value
      - .offset:         28
        .size:           4
        .value_kind:     by_value
      - .actual_access:  read_only
        .address_space:  global
        .offset:         32
        .size:           8
        .value_kind:     global_buffer
      - .actual_access:  read_only
        .address_space:  global
        .offset:         40
        .size:           8
        .value_kind:     global_buffer
      - .actual_access:  read_only
        .address_space:  global
        .offset:         48
        .size:           8
        .value_kind:     global_buffer
      - .offset:         56
        .size:           4
        .value_kind:     by_value
      - .actual_access:  read_only
        .address_space:  global
        .offset:         64
        .size:           8
        .value_kind:     global_buffer
      - .offset:         72
        .size:           4
        .value_kind:     by_value
      - .offset:         76
        .size:           4
        .value_kind:     by_value
      - .offset:         80
        .size:           4
        .value_kind:     by_value
      - .actual_access:  read_only
        .address_space:  global
        .offset:         88
        .size:           8
        .value_kind:     global_buffer
      - .actual_access:  read_only
        .address_space:  global
        .offset:         96
        .size:           8
        .value_kind:     global_buffer
      - .actual_access:  read_only
        .address_space:  global
        .offset:         104
        .size:           8
        .value_kind:     global_buffer
      - .actual_access:  read_only
        .address_space:  global
        .offset:         112
        .size:           8
        .value_kind:     global_buffer
      - .offset:         120
        .size:           4
        .value_kind:     by_value
      - .address_space:  global
        .offset:         128
        .size:           8
        .value_kind:     global_buffer
      - .address_space:  global
        .offset:         136
        .size:           8
        .value_kind:     global_buffer
      - .offset:         144
        .size:           4
        .value_kind:     hidden_block_count_x
      - .offset:         148
        .size:           4
        .value_kind:     hidden_block_count_y
      - .offset:         152
        .size:           4
        .value_kind:     hidden_block_count_z
      - .offset:         156
        .size:           2
        .value_kind:     hidden_group_size_x
      - .offset:         158
        .size:           2
        .value_kind:     hidden_group_size_y
      - .offset:         160
        .size:           2
        .value_kind:     hidden_group_size_z
      - .offset:         162
        .size:           2
        .value_kind:     hidden_remainder_x
      - .offset:         164
        .size:           2
        .value_kind:     hidden_remainder_y
      - .offset:         166
        .size:           2
        .value_kind:     hidden_remainder_z
      - .offset:         184
        .size:           8
        .value_kind:     hidden_global_offset_x
      - .offset:         192
        .size:           8
        .value_kind:     hidden_global_offset_y
      - .offset:         200
        .size:           8
        .value_kind:     hidden_global_offset_z
      - .offset:         208
        .size:           2
        .value_kind:     hidden_grid_dims
      - .offset:         224
        .size:           8
        .value_kind:     hidden_hostcall_buffer
    .group_segment_fixed_size: 0
    .kernarg_segment_align: 8
    .kernarg_segment_size: 400
    .language:       OpenCL C
    .language_version:
      - 2
      - 0
    .max_flat_workgroup_size: 256
    .name:           _Z39paged_attention_ll4mi_QKV_mfma16_kernelIDF16_hLN4vllm18Fp8KVCacheDataTypeE1EDF16_Li32ELi64ELi256ELb0ELi6EEvPKT_PKT0_S7_ifPKiS9_S9_iPKfiiiPfSC_PS2_PT2_iSB_SB_
    .private_segment_fixed_size: 64
    .sgpr_count:     36
    .sgpr_spill_count: 0
    .symbol:         _Z39paged_attention_ll4mi_QKV_mfma16_kernelIDF16_hLN4vllm18Fp8KVCacheDataTypeE1EDF16_Li32ELi64ELi256ELb0ELi6EEvPKT_PKT0_S7_ifPKiS9_S9_iPKfiiiPfSC_PS2_PT2_iSB_SB_.kd
    .uniform_work_group_size: 1
    .uses_dynamic_stack: false
    .vgpr_count:     51
    .vgpr_spill_count: 0
    .wavefront_size: 32
  - .args:
      - .actual_access:  read_only
        .address_space:  global
        .offset:         0
        .size:           8
        .value_kind:     global_buffer
      - .actual_access:  read_only
        .address_space:  global
        .offset:         8
        .size:           8
        .value_kind:     global_buffer
      - .actual_access:  read_only
        .address_space:  global
        .offset:         16
        .size:           8
        .value_kind:     global_buffer
      - .offset:         24
        .size:           4
        .value_kind:     by_value
      - .offset:         28
        .size:           4
        .value_kind:     by_value
      - .actual_access:  read_only
        .address_space:  global
        .offset:         32
        .size:           8
        .value_kind:     global_buffer
      - .actual_access:  read_only
        .address_space:  global
        .offset:         40
        .size:           8
        .value_kind:     global_buffer
      - .actual_access:  read_only
        .address_space:  global
        .offset:         48
        .size:           8
        .value_kind:     global_buffer
      - .offset:         56
        .size:           4
        .value_kind:     by_value
      - .actual_access:  read_only
        .address_space:  global
        .offset:         64
        .size:           8
        .value_kind:     global_buffer
      - .offset:         72
        .size:           4
        .value_kind:     by_value
      - .offset:         76
        .size:           4
        .value_kind:     by_value
      - .offset:         80
        .size:           4
        .value_kind:     by_value
      - .actual_access:  read_only
        .address_space:  global
        .offset:         88
        .size:           8
        .value_kind:     global_buffer
      - .actual_access:  read_only
        .address_space:  global
        .offset:         96
        .size:           8
        .value_kind:     global_buffer
      - .actual_access:  read_only
        .address_space:  global
        .offset:         104
        .size:           8
        .value_kind:     global_buffer
      - .actual_access:  read_only
        .address_space:  global
        .offset:         112
        .size:           8
        .value_kind:     global_buffer
      - .offset:         120
        .size:           4
        .value_kind:     by_value
      - .address_space:  global
        .offset:         128
        .size:           8
        .value_kind:     global_buffer
      - .address_space:  global
        .offset:         136
        .size:           8
        .value_kind:     global_buffer
      - .offset:         144
        .size:           4
        .value_kind:     hidden_block_count_x
      - .offset:         148
        .size:           4
        .value_kind:     hidden_block_count_y
      - .offset:         152
        .size:           4
        .value_kind:     hidden_block_count_z
      - .offset:         156
        .size:           2
        .value_kind:     hidden_group_size_x
      - .offset:         158
        .size:           2
        .value_kind:     hidden_group_size_y
      - .offset:         160
        .size:           2
        .value_kind:     hidden_group_size_z
      - .offset:         162
        .size:           2
        .value_kind:     hidden_remainder_x
      - .offset:         164
        .size:           2
        .value_kind:     hidden_remainder_y
      - .offset:         166
        .size:           2
        .value_kind:     hidden_remainder_z
      - .offset:         184
        .size:           8
        .value_kind:     hidden_global_offset_x
      - .offset:         192
        .size:           8
        .value_kind:     hidden_global_offset_y
      - .offset:         200
        .size:           8
        .value_kind:     hidden_global_offset_z
      - .offset:         208
        .size:           2
        .value_kind:     hidden_grid_dims
      - .offset:         224
        .size:           8
        .value_kind:     hidden_hostcall_buffer
    .group_segment_fixed_size: 0
    .kernarg_segment_align: 8
    .kernarg_segment_size: 400
    .language:       OpenCL C
    .language_version:
      - 2
      - 0
    .max_flat_workgroup_size: 256
    .name:           _Z39paged_attention_ll4mi_QKV_mfma16_kernelIDF16_hLN4vllm18Fp8KVCacheDataTypeE1EDF16_Li32ELi64ELi256ELb0ELi7EEvPKT_PKT0_S7_ifPKiS9_S9_iPKfiiiPfSC_PS2_PT2_iSB_SB_
    .private_segment_fixed_size: 64
    .sgpr_count:     36
    .sgpr_spill_count: 0
    .symbol:         _Z39paged_attention_ll4mi_QKV_mfma16_kernelIDF16_hLN4vllm18Fp8KVCacheDataTypeE1EDF16_Li32ELi64ELi256ELb0ELi7EEvPKT_PKT0_S7_ifPKiS9_S9_iPKfiiiPfSC_PS2_PT2_iSB_SB_.kd
    .uniform_work_group_size: 1
    .uses_dynamic_stack: false
    .vgpr_count:     51
    .vgpr_spill_count: 0
    .wavefront_size: 32
  - .args:
      - .actual_access:  read_only
        .address_space:  global
        .offset:         0
        .size:           8
        .value_kind:     global_buffer
      - .actual_access:  read_only
        .address_space:  global
        .offset:         8
        .size:           8
        .value_kind:     global_buffer
      - .actual_access:  read_only
        .address_space:  global
        .offset:         16
        .size:           8
        .value_kind:     global_buffer
      - .offset:         24
        .size:           4
        .value_kind:     by_value
      - .offset:         28
        .size:           4
        .value_kind:     by_value
      - .actual_access:  read_only
        .address_space:  global
        .offset:         32
        .size:           8
        .value_kind:     global_buffer
      - .actual_access:  read_only
        .address_space:  global
        .offset:         40
        .size:           8
        .value_kind:     global_buffer
      - .actual_access:  read_only
        .address_space:  global
        .offset:         48
        .size:           8
        .value_kind:     global_buffer
      - .offset:         56
        .size:           4
        .value_kind:     by_value
      - .actual_access:  read_only
        .address_space:  global
        .offset:         64
        .size:           8
        .value_kind:     global_buffer
      - .offset:         72
        .size:           4
        .value_kind:     by_value
      - .offset:         76
        .size:           4
        .value_kind:     by_value
      - .offset:         80
        .size:           4
        .value_kind:     by_value
      - .actual_access:  read_only
        .address_space:  global
        .offset:         88
        .size:           8
        .value_kind:     global_buffer
      - .actual_access:  read_only
        .address_space:  global
        .offset:         96
        .size:           8
        .value_kind:     global_buffer
      - .actual_access:  read_only
        .address_space:  global
        .offset:         104
        .size:           8
        .value_kind:     global_buffer
      - .actual_access:  read_only
        .address_space:  global
        .offset:         112
        .size:           8
        .value_kind:     global_buffer
      - .offset:         120
        .size:           4
        .value_kind:     by_value
      - .address_space:  global
        .offset:         128
        .size:           8
        .value_kind:     global_buffer
      - .address_space:  global
        .offset:         136
        .size:           8
        .value_kind:     global_buffer
      - .offset:         144
        .size:           4
        .value_kind:     hidden_block_count_x
      - .offset:         148
        .size:           4
        .value_kind:     hidden_block_count_y
      - .offset:         152
        .size:           4
        .value_kind:     hidden_block_count_z
      - .offset:         156
        .size:           2
        .value_kind:     hidden_group_size_x
      - .offset:         158
        .size:           2
        .value_kind:     hidden_group_size_y
      - .offset:         160
        .size:           2
        .value_kind:     hidden_group_size_z
      - .offset:         162
        .size:           2
        .value_kind:     hidden_remainder_x
      - .offset:         164
        .size:           2
        .value_kind:     hidden_remainder_y
      - .offset:         166
        .size:           2
        .value_kind:     hidden_remainder_z
      - .offset:         184
        .size:           8
        .value_kind:     hidden_global_offset_x
      - .offset:         192
        .size:           8
        .value_kind:     hidden_global_offset_y
      - .offset:         200
        .size:           8
        .value_kind:     hidden_global_offset_z
      - .offset:         208
        .size:           2
        .value_kind:     hidden_grid_dims
      - .offset:         224
        .size:           8
        .value_kind:     hidden_hostcall_buffer
    .group_segment_fixed_size: 0
    .kernarg_segment_align: 8
    .kernarg_segment_size: 400
    .language:       OpenCL C
    .language_version:
      - 2
      - 0
    .max_flat_workgroup_size: 256
    .name:           _Z39paged_attention_ll4mi_QKV_mfma16_kernelIDF16_hLN4vllm18Fp8KVCacheDataTypeE1EDF16_Li32ELi64ELi256ELb0ELi8EEvPKT_PKT0_S7_ifPKiS9_S9_iPKfiiiPfSC_PS2_PT2_iSB_SB_
    .private_segment_fixed_size: 64
    .sgpr_count:     36
    .sgpr_spill_count: 0
    .symbol:         _Z39paged_attention_ll4mi_QKV_mfma16_kernelIDF16_hLN4vllm18Fp8KVCacheDataTypeE1EDF16_Li32ELi64ELi256ELb0ELi8EEvPKT_PKT0_S7_ifPKiS9_S9_iPKfiiiPfSC_PS2_PT2_iSB_SB_.kd
    .uniform_work_group_size: 1
    .uses_dynamic_stack: false
    .vgpr_count:     51
    .vgpr_spill_count: 0
    .wavefront_size: 32
  - .args:
      - .actual_access:  read_only
        .address_space:  global
        .offset:         0
        .size:           8
        .value_kind:     global_buffer
      - .actual_access:  read_only
        .address_space:  global
        .offset:         8
        .size:           8
        .value_kind:     global_buffer
      - .actual_access:  read_only
        .address_space:  global
        .offset:         16
        .size:           8
        .value_kind:     global_buffer
      - .offset:         24
        .size:           4
        .value_kind:     by_value
      - .offset:         28
        .size:           4
        .value_kind:     by_value
      - .actual_access:  read_only
        .address_space:  global
        .offset:         32
        .size:           8
        .value_kind:     global_buffer
      - .actual_access:  read_only
        .address_space:  global
        .offset:         40
        .size:           8
        .value_kind:     global_buffer
      - .actual_access:  read_only
        .address_space:  global
        .offset:         48
        .size:           8
        .value_kind:     global_buffer
      - .offset:         56
        .size:           4
        .value_kind:     by_value
      - .actual_access:  read_only
        .address_space:  global
        .offset:         64
        .size:           8
        .value_kind:     global_buffer
      - .offset:         72
        .size:           4
        .value_kind:     by_value
      - .offset:         76
        .size:           4
        .value_kind:     by_value
      - .offset:         80
        .size:           4
        .value_kind:     by_value
      - .actual_access:  read_only
        .address_space:  global
        .offset:         88
        .size:           8
        .value_kind:     global_buffer
      - .actual_access:  read_only
        .address_space:  global
        .offset:         96
        .size:           8
        .value_kind:     global_buffer
      - .actual_access:  read_only
        .address_space:  global
        .offset:         104
        .size:           8
        .value_kind:     global_buffer
      - .actual_access:  read_only
        .address_space:  global
        .offset:         112
        .size:           8
        .value_kind:     global_buffer
      - .offset:         120
        .size:           4
        .value_kind:     by_value
      - .address_space:  global
        .offset:         128
        .size:           8
        .value_kind:     global_buffer
      - .address_space:  global
        .offset:         136
        .size:           8
        .value_kind:     global_buffer
      - .offset:         144
        .size:           4
        .value_kind:     hidden_block_count_x
      - .offset:         148
        .size:           4
        .value_kind:     hidden_block_count_y
      - .offset:         152
        .size:           4
        .value_kind:     hidden_block_count_z
      - .offset:         156
        .size:           2
        .value_kind:     hidden_group_size_x
      - .offset:         158
        .size:           2
        .value_kind:     hidden_group_size_y
      - .offset:         160
        .size:           2
        .value_kind:     hidden_group_size_z
      - .offset:         162
        .size:           2
        .value_kind:     hidden_remainder_x
      - .offset:         164
        .size:           2
        .value_kind:     hidden_remainder_y
      - .offset:         166
        .size:           2
        .value_kind:     hidden_remainder_z
      - .offset:         184
        .size:           8
        .value_kind:     hidden_global_offset_x
      - .offset:         192
        .size:           8
        .value_kind:     hidden_global_offset_y
      - .offset:         200
        .size:           8
        .value_kind:     hidden_global_offset_z
      - .offset:         208
        .size:           2
        .value_kind:     hidden_grid_dims
      - .offset:         224
        .size:           8
        .value_kind:     hidden_hostcall_buffer
    .group_segment_fixed_size: 0
    .kernarg_segment_align: 8
    .kernarg_segment_size: 400
    .language:       OpenCL C
    .language_version:
      - 2
      - 0
    .max_flat_workgroup_size: 256
    .name:           _Z39paged_attention_ll4mi_QKV_mfma16_kernelIDF16_hLN4vllm18Fp8KVCacheDataTypeE1EDF16_Li32ELi64ELi256ELb0ELi9EEvPKT_PKT0_S7_ifPKiS9_S9_iPKfiiiPfSC_PS2_PT2_iSB_SB_
    .private_segment_fixed_size: 64
    .sgpr_count:     36
    .sgpr_spill_count: 0
    .symbol:         _Z39paged_attention_ll4mi_QKV_mfma16_kernelIDF16_hLN4vllm18Fp8KVCacheDataTypeE1EDF16_Li32ELi64ELi256ELb0ELi9EEvPKT_PKT0_S7_ifPKiS9_S9_iPKfiiiPfSC_PS2_PT2_iSB_SB_.kd
    .uniform_work_group_size: 1
    .uses_dynamic_stack: false
    .vgpr_count:     51
    .vgpr_spill_count: 0
    .wavefront_size: 32
  - .args:
      - .actual_access:  read_only
        .address_space:  global
        .offset:         0
        .size:           8
        .value_kind:     global_buffer
      - .actual_access:  read_only
        .address_space:  global
        .offset:         8
        .size:           8
        .value_kind:     global_buffer
      - .actual_access:  read_only
        .address_space:  global
        .offset:         16
        .size:           8
        .value_kind:     global_buffer
      - .offset:         24
        .size:           4
        .value_kind:     by_value
      - .offset:         28
        .size:           4
        .value_kind:     by_value
      - .actual_access:  read_only
        .address_space:  global
        .offset:         32
        .size:           8
        .value_kind:     global_buffer
      - .actual_access:  read_only
        .address_space:  global
        .offset:         40
        .size:           8
        .value_kind:     global_buffer
      - .actual_access:  read_only
        .address_space:  global
        .offset:         48
        .size:           8
        .value_kind:     global_buffer
      - .offset:         56
        .size:           4
        .value_kind:     by_value
      - .actual_access:  read_only
        .address_space:  global
        .offset:         64
        .size:           8
        .value_kind:     global_buffer
      - .offset:         72
        .size:           4
        .value_kind:     by_value
      - .offset:         76
        .size:           4
        .value_kind:     by_value
      - .offset:         80
        .size:           4
        .value_kind:     by_value
      - .actual_access:  read_only
        .address_space:  global
        .offset:         88
        .size:           8
        .value_kind:     global_buffer
      - .actual_access:  read_only
        .address_space:  global
        .offset:         96
        .size:           8
        .value_kind:     global_buffer
      - .actual_access:  read_only
        .address_space:  global
        .offset:         104
        .size:           8
        .value_kind:     global_buffer
      - .actual_access:  read_only
        .address_space:  global
        .offset:         112
        .size:           8
        .value_kind:     global_buffer
      - .offset:         120
        .size:           4
        .value_kind:     by_value
      - .address_space:  global
        .offset:         128
        .size:           8
        .value_kind:     global_buffer
      - .address_space:  global
        .offset:         136
        .size:           8
        .value_kind:     global_buffer
      - .offset:         144
        .size:           4
        .value_kind:     hidden_block_count_x
      - .offset:         148
        .size:           4
        .value_kind:     hidden_block_count_y
      - .offset:         152
        .size:           4
        .value_kind:     hidden_block_count_z
      - .offset:         156
        .size:           2
        .value_kind:     hidden_group_size_x
      - .offset:         158
        .size:           2
        .value_kind:     hidden_group_size_y
      - .offset:         160
        .size:           2
        .value_kind:     hidden_group_size_z
      - .offset:         162
        .size:           2
        .value_kind:     hidden_remainder_x
      - .offset:         164
        .size:           2
        .value_kind:     hidden_remainder_y
      - .offset:         166
        .size:           2
        .value_kind:     hidden_remainder_z
      - .offset:         184
        .size:           8
        .value_kind:     hidden_global_offset_x
      - .offset:         192
        .size:           8
        .value_kind:     hidden_global_offset_y
      - .offset:         200
        .size:           8
        .value_kind:     hidden_global_offset_z
      - .offset:         208
        .size:           2
        .value_kind:     hidden_grid_dims
      - .offset:         224
        .size:           8
        .value_kind:     hidden_hostcall_buffer
    .group_segment_fixed_size: 0
    .kernarg_segment_align: 8
    .kernarg_segment_size: 400
    .language:       OpenCL C
    .language_version:
      - 2
      - 0
    .max_flat_workgroup_size: 256
    .name:           _Z39paged_attention_ll4mi_QKV_mfma16_kernelIDF16_hLN4vllm18Fp8KVCacheDataTypeE1EDF16_Li32ELi64ELi256ELb0ELi10EEvPKT_PKT0_S7_ifPKiS9_S9_iPKfiiiPfSC_PS2_PT2_iSB_SB_
    .private_segment_fixed_size: 64
    .sgpr_count:     36
    .sgpr_spill_count: 0
    .symbol:         _Z39paged_attention_ll4mi_QKV_mfma16_kernelIDF16_hLN4vllm18Fp8KVCacheDataTypeE1EDF16_Li32ELi64ELi256ELb0ELi10EEvPKT_PKT0_S7_ifPKiS9_S9_iPKfiiiPfSC_PS2_PT2_iSB_SB_.kd
    .uniform_work_group_size: 1
    .uses_dynamic_stack: false
    .vgpr_count:     51
    .vgpr_spill_count: 0
    .wavefront_size: 32
  - .args:
      - .actual_access:  read_only
        .address_space:  global
        .offset:         0
        .size:           8
        .value_kind:     global_buffer
      - .actual_access:  read_only
        .address_space:  global
        .offset:         8
        .size:           8
        .value_kind:     global_buffer
      - .actual_access:  read_only
        .address_space:  global
        .offset:         16
        .size:           8
        .value_kind:     global_buffer
      - .offset:         24
        .size:           4
        .value_kind:     by_value
      - .offset:         28
        .size:           4
        .value_kind:     by_value
      - .actual_access:  read_only
        .address_space:  global
        .offset:         32
        .size:           8
        .value_kind:     global_buffer
      - .actual_access:  read_only
        .address_space:  global
        .offset:         40
        .size:           8
        .value_kind:     global_buffer
      - .actual_access:  read_only
        .address_space:  global
        .offset:         48
        .size:           8
        .value_kind:     global_buffer
      - .offset:         56
        .size:           4
        .value_kind:     by_value
      - .actual_access:  read_only
        .address_space:  global
        .offset:         64
        .size:           8
        .value_kind:     global_buffer
      - .offset:         72
        .size:           4
        .value_kind:     by_value
      - .offset:         76
        .size:           4
        .value_kind:     by_value
      - .offset:         80
        .size:           4
        .value_kind:     by_value
      - .actual_access:  read_only
        .address_space:  global
        .offset:         88
        .size:           8
        .value_kind:     global_buffer
      - .actual_access:  read_only
        .address_space:  global
        .offset:         96
        .size:           8
        .value_kind:     global_buffer
      - .actual_access:  read_only
        .address_space:  global
        .offset:         104
        .size:           8
        .value_kind:     global_buffer
      - .actual_access:  read_only
        .address_space:  global
        .offset:         112
        .size:           8
        .value_kind:     global_buffer
      - .offset:         120
        .size:           4
        .value_kind:     by_value
      - .address_space:  global
        .offset:         128
        .size:           8
        .value_kind:     global_buffer
      - .address_space:  global
        .offset:         136
        .size:           8
        .value_kind:     global_buffer
      - .offset:         144
        .size:           4
        .value_kind:     hidden_block_count_x
      - .offset:         148
        .size:           4
        .value_kind:     hidden_block_count_y
      - .offset:         152
        .size:           4
        .value_kind:     hidden_block_count_z
      - .offset:         156
        .size:           2
        .value_kind:     hidden_group_size_x
      - .offset:         158
        .size:           2
        .value_kind:     hidden_group_size_y
      - .offset:         160
        .size:           2
        .value_kind:     hidden_group_size_z
      - .offset:         162
        .size:           2
        .value_kind:     hidden_remainder_x
      - .offset:         164
        .size:           2
        .value_kind:     hidden_remainder_y
      - .offset:         166
        .size:           2
        .value_kind:     hidden_remainder_z
      - .offset:         184
        .size:           8
        .value_kind:     hidden_global_offset_x
      - .offset:         192
        .size:           8
        .value_kind:     hidden_global_offset_y
      - .offset:         200
        .size:           8
        .value_kind:     hidden_global_offset_z
      - .offset:         208
        .size:           2
        .value_kind:     hidden_grid_dims
      - .offset:         224
        .size:           8
        .value_kind:     hidden_hostcall_buffer
    .group_segment_fixed_size: 0
    .kernarg_segment_align: 8
    .kernarg_segment_size: 400
    .language:       OpenCL C
    .language_version:
      - 2
      - 0
    .max_flat_workgroup_size: 256
    .name:           _Z39paged_attention_ll4mi_QKV_mfma16_kernelIDF16_hLN4vllm18Fp8KVCacheDataTypeE1EDF16_Li32ELi64ELi256ELb0ELi11EEvPKT_PKT0_S7_ifPKiS9_S9_iPKfiiiPfSC_PS2_PT2_iSB_SB_
    .private_segment_fixed_size: 64
    .sgpr_count:     36
    .sgpr_spill_count: 0
    .symbol:         _Z39paged_attention_ll4mi_QKV_mfma16_kernelIDF16_hLN4vllm18Fp8KVCacheDataTypeE1EDF16_Li32ELi64ELi256ELb0ELi11EEvPKT_PKT0_S7_ifPKiS9_S9_iPKfiiiPfSC_PS2_PT2_iSB_SB_.kd
    .uniform_work_group_size: 1
    .uses_dynamic_stack: false
    .vgpr_count:     51
    .vgpr_spill_count: 0
    .wavefront_size: 32
  - .args:
      - .actual_access:  read_only
        .address_space:  global
        .offset:         0
        .size:           8
        .value_kind:     global_buffer
      - .actual_access:  read_only
        .address_space:  global
        .offset:         8
        .size:           8
        .value_kind:     global_buffer
      - .actual_access:  read_only
        .address_space:  global
        .offset:         16
        .size:           8
        .value_kind:     global_buffer
      - .offset:         24
        .size:           4
        .value_kind:     by_value
      - .offset:         28
        .size:           4
        .value_kind:     by_value
      - .actual_access:  read_only
        .address_space:  global
        .offset:         32
        .size:           8
        .value_kind:     global_buffer
      - .actual_access:  read_only
        .address_space:  global
        .offset:         40
        .size:           8
        .value_kind:     global_buffer
      - .actual_access:  read_only
        .address_space:  global
        .offset:         48
        .size:           8
        .value_kind:     global_buffer
      - .offset:         56
        .size:           4
        .value_kind:     by_value
      - .actual_access:  read_only
        .address_space:  global
        .offset:         64
        .size:           8
        .value_kind:     global_buffer
      - .offset:         72
        .size:           4
        .value_kind:     by_value
      - .offset:         76
        .size:           4
        .value_kind:     by_value
      - .offset:         80
        .size:           4
        .value_kind:     by_value
      - .actual_access:  read_only
        .address_space:  global
        .offset:         88
        .size:           8
        .value_kind:     global_buffer
      - .actual_access:  read_only
        .address_space:  global
        .offset:         96
        .size:           8
        .value_kind:     global_buffer
      - .actual_access:  read_only
        .address_space:  global
        .offset:         104
        .size:           8
        .value_kind:     global_buffer
      - .actual_access:  read_only
        .address_space:  global
        .offset:         112
        .size:           8
        .value_kind:     global_buffer
      - .offset:         120
        .size:           4
        .value_kind:     by_value
      - .address_space:  global
        .offset:         128
        .size:           8
        .value_kind:     global_buffer
      - .address_space:  global
        .offset:         136
        .size:           8
        .value_kind:     global_buffer
      - .offset:         144
        .size:           4
        .value_kind:     hidden_block_count_x
      - .offset:         148
        .size:           4
        .value_kind:     hidden_block_count_y
      - .offset:         152
        .size:           4
        .value_kind:     hidden_block_count_z
      - .offset:         156
        .size:           2
        .value_kind:     hidden_group_size_x
      - .offset:         158
        .size:           2
        .value_kind:     hidden_group_size_y
      - .offset:         160
        .size:           2
        .value_kind:     hidden_group_size_z
      - .offset:         162
        .size:           2
        .value_kind:     hidden_remainder_x
      - .offset:         164
        .size:           2
        .value_kind:     hidden_remainder_y
      - .offset:         166
        .size:           2
        .value_kind:     hidden_remainder_z
      - .offset:         184
        .size:           8
        .value_kind:     hidden_global_offset_x
      - .offset:         192
        .size:           8
        .value_kind:     hidden_global_offset_y
      - .offset:         200
        .size:           8
        .value_kind:     hidden_global_offset_z
      - .offset:         208
        .size:           2
        .value_kind:     hidden_grid_dims
      - .offset:         224
        .size:           8
        .value_kind:     hidden_hostcall_buffer
    .group_segment_fixed_size: 0
    .kernarg_segment_align: 8
    .kernarg_segment_size: 400
    .language:       OpenCL C
    .language_version:
      - 2
      - 0
    .max_flat_workgroup_size: 256
    .name:           _Z39paged_attention_ll4mi_QKV_mfma16_kernelIDF16_hLN4vllm18Fp8KVCacheDataTypeE1EDF16_Li32ELi64ELi256ELb0ELi12EEvPKT_PKT0_S7_ifPKiS9_S9_iPKfiiiPfSC_PS2_PT2_iSB_SB_
    .private_segment_fixed_size: 64
    .sgpr_count:     36
    .sgpr_spill_count: 0
    .symbol:         _Z39paged_attention_ll4mi_QKV_mfma16_kernelIDF16_hLN4vllm18Fp8KVCacheDataTypeE1EDF16_Li32ELi64ELi256ELb0ELi12EEvPKT_PKT0_S7_ifPKiS9_S9_iPKfiiiPfSC_PS2_PT2_iSB_SB_.kd
    .uniform_work_group_size: 1
    .uses_dynamic_stack: false
    .vgpr_count:     51
    .vgpr_spill_count: 0
    .wavefront_size: 32
  - .args:
      - .actual_access:  read_only
        .address_space:  global
        .offset:         0
        .size:           8
        .value_kind:     global_buffer
      - .actual_access:  read_only
        .address_space:  global
        .offset:         8
        .size:           8
        .value_kind:     global_buffer
      - .actual_access:  read_only
        .address_space:  global
        .offset:         16
        .size:           8
        .value_kind:     global_buffer
      - .offset:         24
        .size:           4
        .value_kind:     by_value
      - .offset:         28
        .size:           4
        .value_kind:     by_value
      - .actual_access:  read_only
        .address_space:  global
        .offset:         32
        .size:           8
        .value_kind:     global_buffer
      - .actual_access:  read_only
        .address_space:  global
        .offset:         40
        .size:           8
        .value_kind:     global_buffer
      - .actual_access:  read_only
        .address_space:  global
        .offset:         48
        .size:           8
        .value_kind:     global_buffer
      - .offset:         56
        .size:           4
        .value_kind:     by_value
      - .actual_access:  read_only
        .address_space:  global
        .offset:         64
        .size:           8
        .value_kind:     global_buffer
      - .offset:         72
        .size:           4
        .value_kind:     by_value
      - .offset:         76
        .size:           4
        .value_kind:     by_value
      - .offset:         80
        .size:           4
        .value_kind:     by_value
      - .actual_access:  read_only
        .address_space:  global
        .offset:         88
        .size:           8
        .value_kind:     global_buffer
      - .actual_access:  read_only
        .address_space:  global
        .offset:         96
        .size:           8
        .value_kind:     global_buffer
      - .actual_access:  read_only
        .address_space:  global
        .offset:         104
        .size:           8
        .value_kind:     global_buffer
      - .actual_access:  read_only
        .address_space:  global
        .offset:         112
        .size:           8
        .value_kind:     global_buffer
      - .offset:         120
        .size:           4
        .value_kind:     by_value
      - .address_space:  global
        .offset:         128
        .size:           8
        .value_kind:     global_buffer
      - .address_space:  global
        .offset:         136
        .size:           8
        .value_kind:     global_buffer
      - .offset:         144
        .size:           4
        .value_kind:     hidden_block_count_x
      - .offset:         148
        .size:           4
        .value_kind:     hidden_block_count_y
      - .offset:         152
        .size:           4
        .value_kind:     hidden_block_count_z
      - .offset:         156
        .size:           2
        .value_kind:     hidden_group_size_x
      - .offset:         158
        .size:           2
        .value_kind:     hidden_group_size_y
      - .offset:         160
        .size:           2
        .value_kind:     hidden_group_size_z
      - .offset:         162
        .size:           2
        .value_kind:     hidden_remainder_x
      - .offset:         164
        .size:           2
        .value_kind:     hidden_remainder_y
      - .offset:         166
        .size:           2
        .value_kind:     hidden_remainder_z
      - .offset:         184
        .size:           8
        .value_kind:     hidden_global_offset_x
      - .offset:         192
        .size:           8
        .value_kind:     hidden_global_offset_y
      - .offset:         200
        .size:           8
        .value_kind:     hidden_global_offset_z
      - .offset:         208
        .size:           2
        .value_kind:     hidden_grid_dims
      - .offset:         224
        .size:           8
        .value_kind:     hidden_hostcall_buffer
    .group_segment_fixed_size: 0
    .kernarg_segment_align: 8
    .kernarg_segment_size: 400
    .language:       OpenCL C
    .language_version:
      - 2
      - 0
    .max_flat_workgroup_size: 256
    .name:           _Z39paged_attention_ll4mi_QKV_mfma16_kernelIDF16_hLN4vllm18Fp8KVCacheDataTypeE1EDF16_Li32ELi64ELi256ELb0ELi13EEvPKT_PKT0_S7_ifPKiS9_S9_iPKfiiiPfSC_PS2_PT2_iSB_SB_
    .private_segment_fixed_size: 64
    .sgpr_count:     36
    .sgpr_spill_count: 0
    .symbol:         _Z39paged_attention_ll4mi_QKV_mfma16_kernelIDF16_hLN4vllm18Fp8KVCacheDataTypeE1EDF16_Li32ELi64ELi256ELb0ELi13EEvPKT_PKT0_S7_ifPKiS9_S9_iPKfiiiPfSC_PS2_PT2_iSB_SB_.kd
    .uniform_work_group_size: 1
    .uses_dynamic_stack: false
    .vgpr_count:     51
    .vgpr_spill_count: 0
    .wavefront_size: 32
  - .args:
      - .actual_access:  read_only
        .address_space:  global
        .offset:         0
        .size:           8
        .value_kind:     global_buffer
      - .actual_access:  read_only
        .address_space:  global
        .offset:         8
        .size:           8
        .value_kind:     global_buffer
      - .actual_access:  read_only
        .address_space:  global
        .offset:         16
        .size:           8
        .value_kind:     global_buffer
      - .offset:         24
        .size:           4
        .value_kind:     by_value
      - .offset:         28
        .size:           4
        .value_kind:     by_value
      - .actual_access:  read_only
        .address_space:  global
        .offset:         32
        .size:           8
        .value_kind:     global_buffer
      - .actual_access:  read_only
        .address_space:  global
        .offset:         40
        .size:           8
        .value_kind:     global_buffer
      - .actual_access:  read_only
        .address_space:  global
        .offset:         48
        .size:           8
        .value_kind:     global_buffer
      - .offset:         56
        .size:           4
        .value_kind:     by_value
      - .actual_access:  read_only
        .address_space:  global
        .offset:         64
        .size:           8
        .value_kind:     global_buffer
      - .offset:         72
        .size:           4
        .value_kind:     by_value
      - .offset:         76
        .size:           4
        .value_kind:     by_value
      - .offset:         80
        .size:           4
        .value_kind:     by_value
      - .actual_access:  read_only
        .address_space:  global
        .offset:         88
        .size:           8
        .value_kind:     global_buffer
      - .actual_access:  read_only
        .address_space:  global
        .offset:         96
        .size:           8
        .value_kind:     global_buffer
      - .actual_access:  read_only
        .address_space:  global
        .offset:         104
        .size:           8
        .value_kind:     global_buffer
      - .actual_access:  read_only
        .address_space:  global
        .offset:         112
        .size:           8
        .value_kind:     global_buffer
      - .offset:         120
        .size:           4
        .value_kind:     by_value
      - .address_space:  global
        .offset:         128
        .size:           8
        .value_kind:     global_buffer
      - .address_space:  global
        .offset:         136
        .size:           8
        .value_kind:     global_buffer
      - .offset:         144
        .size:           4
        .value_kind:     hidden_block_count_x
      - .offset:         148
        .size:           4
        .value_kind:     hidden_block_count_y
      - .offset:         152
        .size:           4
        .value_kind:     hidden_block_count_z
      - .offset:         156
        .size:           2
        .value_kind:     hidden_group_size_x
      - .offset:         158
        .size:           2
        .value_kind:     hidden_group_size_y
      - .offset:         160
        .size:           2
        .value_kind:     hidden_group_size_z
      - .offset:         162
        .size:           2
        .value_kind:     hidden_remainder_x
      - .offset:         164
        .size:           2
        .value_kind:     hidden_remainder_y
      - .offset:         166
        .size:           2
        .value_kind:     hidden_remainder_z
      - .offset:         184
        .size:           8
        .value_kind:     hidden_global_offset_x
      - .offset:         192
        .size:           8
        .value_kind:     hidden_global_offset_y
      - .offset:         200
        .size:           8
        .value_kind:     hidden_global_offset_z
      - .offset:         208
        .size:           2
        .value_kind:     hidden_grid_dims
      - .offset:         224
        .size:           8
        .value_kind:     hidden_hostcall_buffer
    .group_segment_fixed_size: 0
    .kernarg_segment_align: 8
    .kernarg_segment_size: 400
    .language:       OpenCL C
    .language_version:
      - 2
      - 0
    .max_flat_workgroup_size: 256
    .name:           _Z39paged_attention_ll4mi_QKV_mfma16_kernelIDF16_hLN4vllm18Fp8KVCacheDataTypeE1EDF16_Li32ELi64ELi256ELb0ELi14EEvPKT_PKT0_S7_ifPKiS9_S9_iPKfiiiPfSC_PS2_PT2_iSB_SB_
    .private_segment_fixed_size: 64
    .sgpr_count:     36
    .sgpr_spill_count: 0
    .symbol:         _Z39paged_attention_ll4mi_QKV_mfma16_kernelIDF16_hLN4vllm18Fp8KVCacheDataTypeE1EDF16_Li32ELi64ELi256ELb0ELi14EEvPKT_PKT0_S7_ifPKiS9_S9_iPKfiiiPfSC_PS2_PT2_iSB_SB_.kd
    .uniform_work_group_size: 1
    .uses_dynamic_stack: false
    .vgpr_count:     51
    .vgpr_spill_count: 0
    .wavefront_size: 32
  - .args:
      - .actual_access:  read_only
        .address_space:  global
        .offset:         0
        .size:           8
        .value_kind:     global_buffer
      - .actual_access:  read_only
        .address_space:  global
        .offset:         8
        .size:           8
        .value_kind:     global_buffer
      - .actual_access:  read_only
        .address_space:  global
        .offset:         16
        .size:           8
        .value_kind:     global_buffer
      - .offset:         24
        .size:           4
        .value_kind:     by_value
      - .offset:         28
        .size:           4
        .value_kind:     by_value
      - .actual_access:  read_only
        .address_space:  global
        .offset:         32
        .size:           8
        .value_kind:     global_buffer
      - .actual_access:  read_only
        .address_space:  global
        .offset:         40
        .size:           8
        .value_kind:     global_buffer
      - .actual_access:  read_only
        .address_space:  global
        .offset:         48
        .size:           8
        .value_kind:     global_buffer
      - .offset:         56
        .size:           4
        .value_kind:     by_value
      - .actual_access:  read_only
        .address_space:  global
        .offset:         64
        .size:           8
        .value_kind:     global_buffer
      - .offset:         72
        .size:           4
        .value_kind:     by_value
      - .offset:         76
        .size:           4
        .value_kind:     by_value
      - .offset:         80
        .size:           4
        .value_kind:     by_value
      - .actual_access:  read_only
        .address_space:  global
        .offset:         88
        .size:           8
        .value_kind:     global_buffer
      - .actual_access:  read_only
        .address_space:  global
        .offset:         96
        .size:           8
        .value_kind:     global_buffer
      - .actual_access:  read_only
        .address_space:  global
        .offset:         104
        .size:           8
        .value_kind:     global_buffer
      - .actual_access:  read_only
        .address_space:  global
        .offset:         112
        .size:           8
        .value_kind:     global_buffer
      - .offset:         120
        .size:           4
        .value_kind:     by_value
      - .address_space:  global
        .offset:         128
        .size:           8
        .value_kind:     global_buffer
      - .address_space:  global
        .offset:         136
        .size:           8
        .value_kind:     global_buffer
      - .offset:         144
        .size:           4
        .value_kind:     hidden_block_count_x
      - .offset:         148
        .size:           4
        .value_kind:     hidden_block_count_y
      - .offset:         152
        .size:           4
        .value_kind:     hidden_block_count_z
      - .offset:         156
        .size:           2
        .value_kind:     hidden_group_size_x
      - .offset:         158
        .size:           2
        .value_kind:     hidden_group_size_y
      - .offset:         160
        .size:           2
        .value_kind:     hidden_group_size_z
      - .offset:         162
        .size:           2
        .value_kind:     hidden_remainder_x
      - .offset:         164
        .size:           2
        .value_kind:     hidden_remainder_y
      - .offset:         166
        .size:           2
        .value_kind:     hidden_remainder_z
      - .offset:         184
        .size:           8
        .value_kind:     hidden_global_offset_x
      - .offset:         192
        .size:           8
        .value_kind:     hidden_global_offset_y
      - .offset:         200
        .size:           8
        .value_kind:     hidden_global_offset_z
      - .offset:         208
        .size:           2
        .value_kind:     hidden_grid_dims
      - .offset:         224
        .size:           8
        .value_kind:     hidden_hostcall_buffer
    .group_segment_fixed_size: 0
    .kernarg_segment_align: 8
    .kernarg_segment_size: 400
    .language:       OpenCL C
    .language_version:
      - 2
      - 0
    .max_flat_workgroup_size: 256
    .name:           _Z39paged_attention_ll4mi_QKV_mfma16_kernelIDF16_hLN4vllm18Fp8KVCacheDataTypeE1EDF16_Li32ELi64ELi256ELb0ELi15EEvPKT_PKT0_S7_ifPKiS9_S9_iPKfiiiPfSC_PS2_PT2_iSB_SB_
    .private_segment_fixed_size: 64
    .sgpr_count:     36
    .sgpr_spill_count: 0
    .symbol:         _Z39paged_attention_ll4mi_QKV_mfma16_kernelIDF16_hLN4vllm18Fp8KVCacheDataTypeE1EDF16_Li32ELi64ELi256ELb0ELi15EEvPKT_PKT0_S7_ifPKiS9_S9_iPKfiiiPfSC_PS2_PT2_iSB_SB_.kd
    .uniform_work_group_size: 1
    .uses_dynamic_stack: false
    .vgpr_count:     51
    .vgpr_spill_count: 0
    .wavefront_size: 32
  - .args:
      - .actual_access:  read_only
        .address_space:  global
        .offset:         0
        .size:           8
        .value_kind:     global_buffer
      - .actual_access:  read_only
        .address_space:  global
        .offset:         8
        .size:           8
        .value_kind:     global_buffer
      - .actual_access:  read_only
        .address_space:  global
        .offset:         16
        .size:           8
        .value_kind:     global_buffer
      - .offset:         24
        .size:           4
        .value_kind:     by_value
      - .offset:         28
        .size:           4
        .value_kind:     by_value
      - .actual_access:  read_only
        .address_space:  global
        .offset:         32
        .size:           8
        .value_kind:     global_buffer
      - .actual_access:  read_only
        .address_space:  global
        .offset:         40
        .size:           8
        .value_kind:     global_buffer
      - .actual_access:  read_only
        .address_space:  global
        .offset:         48
        .size:           8
        .value_kind:     global_buffer
      - .offset:         56
        .size:           4
        .value_kind:     by_value
      - .actual_access:  read_only
        .address_space:  global
        .offset:         64
        .size:           8
        .value_kind:     global_buffer
      - .offset:         72
        .size:           4
        .value_kind:     by_value
      - .offset:         76
        .size:           4
        .value_kind:     by_value
      - .offset:         80
        .size:           4
        .value_kind:     by_value
      - .actual_access:  read_only
        .address_space:  global
        .offset:         88
        .size:           8
        .value_kind:     global_buffer
      - .actual_access:  read_only
        .address_space:  global
        .offset:         96
        .size:           8
        .value_kind:     global_buffer
      - .actual_access:  read_only
        .address_space:  global
        .offset:         104
        .size:           8
        .value_kind:     global_buffer
      - .actual_access:  read_only
        .address_space:  global
        .offset:         112
        .size:           8
        .value_kind:     global_buffer
      - .offset:         120
        .size:           4
        .value_kind:     by_value
      - .address_space:  global
        .offset:         128
        .size:           8
        .value_kind:     global_buffer
      - .address_space:  global
        .offset:         136
        .size:           8
        .value_kind:     global_buffer
      - .offset:         144
        .size:           4
        .value_kind:     hidden_block_count_x
      - .offset:         148
        .size:           4
        .value_kind:     hidden_block_count_y
      - .offset:         152
        .size:           4
        .value_kind:     hidden_block_count_z
      - .offset:         156
        .size:           2
        .value_kind:     hidden_group_size_x
      - .offset:         158
        .size:           2
        .value_kind:     hidden_group_size_y
      - .offset:         160
        .size:           2
        .value_kind:     hidden_group_size_z
      - .offset:         162
        .size:           2
        .value_kind:     hidden_remainder_x
      - .offset:         164
        .size:           2
        .value_kind:     hidden_remainder_y
      - .offset:         166
        .size:           2
        .value_kind:     hidden_remainder_z
      - .offset:         184
        .size:           8
        .value_kind:     hidden_global_offset_x
      - .offset:         192
        .size:           8
        .value_kind:     hidden_global_offset_y
      - .offset:         200
        .size:           8
        .value_kind:     hidden_global_offset_z
      - .offset:         208
        .size:           2
        .value_kind:     hidden_grid_dims
      - .offset:         224
        .size:           8
        .value_kind:     hidden_hostcall_buffer
    .group_segment_fixed_size: 0
    .kernarg_segment_align: 8
    .kernarg_segment_size: 400
    .language:       OpenCL C
    .language_version:
      - 2
      - 0
    .max_flat_workgroup_size: 256
    .name:           _Z39paged_attention_ll4mi_QKV_mfma16_kernelIDF16_hLN4vllm18Fp8KVCacheDataTypeE1EDF16_Li32ELi64ELi256ELb0ELi16EEvPKT_PKT0_S7_ifPKiS9_S9_iPKfiiiPfSC_PS2_PT2_iSB_SB_
    .private_segment_fixed_size: 64
    .sgpr_count:     36
    .sgpr_spill_count: 0
    .symbol:         _Z39paged_attention_ll4mi_QKV_mfma16_kernelIDF16_hLN4vllm18Fp8KVCacheDataTypeE1EDF16_Li32ELi64ELi256ELb0ELi16EEvPKT_PKT0_S7_ifPKiS9_S9_iPKfiiiPfSC_PS2_PT2_iSB_SB_.kd
    .uniform_work_group_size: 1
    .uses_dynamic_stack: false
    .vgpr_count:     51
    .vgpr_spill_count: 0
    .wavefront_size: 32
  - .args:
      - .actual_access:  read_only
        .address_space:  global
        .offset:         0
        .size:           8
        .value_kind:     global_buffer
      - .actual_access:  read_only
        .address_space:  global
        .offset:         8
        .size:           8
        .value_kind:     global_buffer
      - .actual_access:  read_only
        .address_space:  global
        .offset:         16
        .size:           8
        .value_kind:     global_buffer
      - .offset:         24
        .size:           4
        .value_kind:     by_value
      - .offset:         28
        .size:           4
        .value_kind:     by_value
      - .actual_access:  read_only
        .address_space:  global
        .offset:         32
        .size:           8
        .value_kind:     global_buffer
      - .actual_access:  read_only
        .address_space:  global
        .offset:         40
        .size:           8
        .value_kind:     global_buffer
      - .actual_access:  read_only
        .address_space:  global
        .offset:         48
        .size:           8
        .value_kind:     global_buffer
      - .offset:         56
        .size:           4
        .value_kind:     by_value
      - .actual_access:  read_only
        .address_space:  global
        .offset:         64
        .size:           8
        .value_kind:     global_buffer
      - .offset:         72
        .size:           4
        .value_kind:     by_value
      - .offset:         76
        .size:           4
        .value_kind:     by_value
      - .offset:         80
        .size:           4
        .value_kind:     by_value
      - .actual_access:  read_only
        .address_space:  global
        .offset:         88
        .size:           8
        .value_kind:     global_buffer
      - .actual_access:  read_only
        .address_space:  global
        .offset:         96
        .size:           8
        .value_kind:     global_buffer
      - .actual_access:  read_only
        .address_space:  global
        .offset:         104
        .size:           8
        .value_kind:     global_buffer
      - .actual_access:  read_only
        .address_space:  global
        .offset:         112
        .size:           8
        .value_kind:     global_buffer
      - .offset:         120
        .size:           4
        .value_kind:     by_value
      - .address_space:  global
        .offset:         128
        .size:           8
        .value_kind:     global_buffer
      - .address_space:  global
        .offset:         136
        .size:           8
        .value_kind:     global_buffer
      - .offset:         144
        .size:           4
        .value_kind:     hidden_block_count_x
      - .offset:         148
        .size:           4
        .value_kind:     hidden_block_count_y
      - .offset:         152
        .size:           4
        .value_kind:     hidden_block_count_z
      - .offset:         156
        .size:           2
        .value_kind:     hidden_group_size_x
      - .offset:         158
        .size:           2
        .value_kind:     hidden_group_size_y
      - .offset:         160
        .size:           2
        .value_kind:     hidden_group_size_z
      - .offset:         162
        .size:           2
        .value_kind:     hidden_remainder_x
      - .offset:         164
        .size:           2
        .value_kind:     hidden_remainder_y
      - .offset:         166
        .size:           2
        .value_kind:     hidden_remainder_z
      - .offset:         184
        .size:           8
        .value_kind:     hidden_global_offset_x
      - .offset:         192
        .size:           8
        .value_kind:     hidden_global_offset_y
      - .offset:         200
        .size:           8
        .value_kind:     hidden_global_offset_z
      - .offset:         208
        .size:           2
        .value_kind:     hidden_grid_dims
      - .offset:         224
        .size:           8
        .value_kind:     hidden_hostcall_buffer
    .group_segment_fixed_size: 0
    .kernarg_segment_align: 8
    .kernarg_segment_size: 400
    .language:       OpenCL C
    .language_version:
      - 2
      - 0
    .max_flat_workgroup_size: 256
    .name:           _Z39paged_attention_ll4mi_QKV_mfma16_kernelIDF16_hLN4vllm18Fp8KVCacheDataTypeE1EDF16_Li32ELi64ELi256ELb0ELi1EEvPKT_PKT0_S7_ifPKiS9_S9_iPKfiiiPfSC_PS2_PT2_iSB_SB_
    .private_segment_fixed_size: 64
    .sgpr_count:     36
    .sgpr_spill_count: 0
    .symbol:         _Z39paged_attention_ll4mi_QKV_mfma16_kernelIDF16_hLN4vllm18Fp8KVCacheDataTypeE1EDF16_Li32ELi64ELi256ELb0ELi1EEvPKT_PKT0_S7_ifPKiS9_S9_iPKfiiiPfSC_PS2_PT2_iSB_SB_.kd
    .uniform_work_group_size: 1
    .uses_dynamic_stack: false
    .vgpr_count:     51
    .vgpr_spill_count: 0
    .wavefront_size: 32
  - .args:
      - .actual_access:  read_only
        .address_space:  global
        .offset:         0
        .size:           8
        .value_kind:     global_buffer
      - .actual_access:  read_only
        .address_space:  global
        .offset:         8
        .size:           8
        .value_kind:     global_buffer
      - .actual_access:  read_only
        .address_space:  global
        .offset:         16
        .size:           8
        .value_kind:     global_buffer
      - .offset:         24
        .size:           4
        .value_kind:     by_value
      - .offset:         28
        .size:           4
        .value_kind:     by_value
      - .actual_access:  read_only
        .address_space:  global
        .offset:         32
        .size:           8
        .value_kind:     global_buffer
      - .actual_access:  read_only
        .address_space:  global
        .offset:         40
        .size:           8
        .value_kind:     global_buffer
      - .actual_access:  read_only
        .address_space:  global
        .offset:         48
        .size:           8
        .value_kind:     global_buffer
      - .offset:         56
        .size:           4
        .value_kind:     by_value
      - .actual_access:  read_only
        .address_space:  global
        .offset:         64
        .size:           8
        .value_kind:     global_buffer
      - .offset:         72
        .size:           4
        .value_kind:     by_value
      - .offset:         76
        .size:           4
        .value_kind:     by_value
      - .offset:         80
        .size:           4
        .value_kind:     by_value
      - .actual_access:  read_only
        .address_space:  global
        .offset:         88
        .size:           8
        .value_kind:     global_buffer
      - .actual_access:  read_only
        .address_space:  global
        .offset:         96
        .size:           8
        .value_kind:     global_buffer
      - .actual_access:  read_only
        .address_space:  global
        .offset:         104
        .size:           8
        .value_kind:     global_buffer
      - .actual_access:  read_only
        .address_space:  global
        .offset:         112
        .size:           8
        .value_kind:     global_buffer
      - .offset:         120
        .size:           4
        .value_kind:     by_value
      - .address_space:  global
        .offset:         128
        .size:           8
        .value_kind:     global_buffer
      - .address_space:  global
        .offset:         136
        .size:           8
        .value_kind:     global_buffer
      - .offset:         144
        .size:           4
        .value_kind:     hidden_block_count_x
      - .offset:         148
        .size:           4
        .value_kind:     hidden_block_count_y
      - .offset:         152
        .size:           4
        .value_kind:     hidden_block_count_z
      - .offset:         156
        .size:           2
        .value_kind:     hidden_group_size_x
      - .offset:         158
        .size:           2
        .value_kind:     hidden_group_size_y
      - .offset:         160
        .size:           2
        .value_kind:     hidden_group_size_z
      - .offset:         162
        .size:           2
        .value_kind:     hidden_remainder_x
      - .offset:         164
        .size:           2
        .value_kind:     hidden_remainder_y
      - .offset:         166
        .size:           2
        .value_kind:     hidden_remainder_z
      - .offset:         184
        .size:           8
        .value_kind:     hidden_global_offset_x
      - .offset:         192
        .size:           8
        .value_kind:     hidden_global_offset_y
      - .offset:         200
        .size:           8
        .value_kind:     hidden_global_offset_z
      - .offset:         208
        .size:           2
        .value_kind:     hidden_grid_dims
      - .offset:         224
        .size:           8
        .value_kind:     hidden_hostcall_buffer
    .group_segment_fixed_size: 0
    .kernarg_segment_align: 8
    .kernarg_segment_size: 400
    .language:       OpenCL C
    .language_version:
      - 2
      - 0
    .max_flat_workgroup_size: 256
    .name:           _Z39paged_attention_ll4mi_QKV_mfma16_kernelIDF16_hLN4vllm18Fp8KVCacheDataTypeE1EDF16_Li32ELi64ELi256ELb0ELi2EEvPKT_PKT0_S7_ifPKiS9_S9_iPKfiiiPfSC_PS2_PT2_iSB_SB_
    .private_segment_fixed_size: 64
    .sgpr_count:     36
    .sgpr_spill_count: 0
    .symbol:         _Z39paged_attention_ll4mi_QKV_mfma16_kernelIDF16_hLN4vllm18Fp8KVCacheDataTypeE1EDF16_Li32ELi64ELi256ELb0ELi2EEvPKT_PKT0_S7_ifPKiS9_S9_iPKfiiiPfSC_PS2_PT2_iSB_SB_.kd
    .uniform_work_group_size: 1
    .uses_dynamic_stack: false
    .vgpr_count:     51
    .vgpr_spill_count: 0
    .wavefront_size: 32
  - .args:
      - .actual_access:  read_only
        .address_space:  global
        .offset:         0
        .size:           8
        .value_kind:     global_buffer
      - .actual_access:  read_only
        .address_space:  global
        .offset:         8
        .size:           8
        .value_kind:     global_buffer
      - .actual_access:  read_only
        .address_space:  global
        .offset:         16
        .size:           8
        .value_kind:     global_buffer
      - .offset:         24
        .size:           4
        .value_kind:     by_value
      - .offset:         28
        .size:           4
        .value_kind:     by_value
      - .actual_access:  read_only
        .address_space:  global
        .offset:         32
        .size:           8
        .value_kind:     global_buffer
      - .actual_access:  read_only
        .address_space:  global
        .offset:         40
        .size:           8
        .value_kind:     global_buffer
      - .actual_access:  read_only
        .address_space:  global
        .offset:         48
        .size:           8
        .value_kind:     global_buffer
      - .offset:         56
        .size:           4
        .value_kind:     by_value
      - .actual_access:  read_only
        .address_space:  global
        .offset:         64
        .size:           8
        .value_kind:     global_buffer
      - .offset:         72
        .size:           4
        .value_kind:     by_value
      - .offset:         76
        .size:           4
        .value_kind:     by_value
      - .offset:         80
        .size:           4
        .value_kind:     by_value
      - .actual_access:  read_only
        .address_space:  global
        .offset:         88
        .size:           8
        .value_kind:     global_buffer
      - .actual_access:  read_only
        .address_space:  global
        .offset:         96
        .size:           8
        .value_kind:     global_buffer
      - .actual_access:  read_only
        .address_space:  global
        .offset:         104
        .size:           8
        .value_kind:     global_buffer
      - .actual_access:  read_only
        .address_space:  global
        .offset:         112
        .size:           8
        .value_kind:     global_buffer
      - .offset:         120
        .size:           4
        .value_kind:     by_value
      - .address_space:  global
        .offset:         128
        .size:           8
        .value_kind:     global_buffer
      - .address_space:  global
        .offset:         136
        .size:           8
        .value_kind:     global_buffer
      - .offset:         144
        .size:           4
        .value_kind:     hidden_block_count_x
      - .offset:         148
        .size:           4
        .value_kind:     hidden_block_count_y
      - .offset:         152
        .size:           4
        .value_kind:     hidden_block_count_z
      - .offset:         156
        .size:           2
        .value_kind:     hidden_group_size_x
      - .offset:         158
        .size:           2
        .value_kind:     hidden_group_size_y
      - .offset:         160
        .size:           2
        .value_kind:     hidden_group_size_z
      - .offset:         162
        .size:           2
        .value_kind:     hidden_remainder_x
      - .offset:         164
        .size:           2
        .value_kind:     hidden_remainder_y
      - .offset:         166
        .size:           2
        .value_kind:     hidden_remainder_z
      - .offset:         184
        .size:           8
        .value_kind:     hidden_global_offset_x
      - .offset:         192
        .size:           8
        .value_kind:     hidden_global_offset_y
      - .offset:         200
        .size:           8
        .value_kind:     hidden_global_offset_z
      - .offset:         208
        .size:           2
        .value_kind:     hidden_grid_dims
      - .offset:         224
        .size:           8
        .value_kind:     hidden_hostcall_buffer
    .group_segment_fixed_size: 0
    .kernarg_segment_align: 8
    .kernarg_segment_size: 400
    .language:       OpenCL C
    .language_version:
      - 2
      - 0
    .max_flat_workgroup_size: 256
    .name:           _Z39paged_attention_ll4mi_QKV_mfma16_kernelIDF16_hLN4vllm18Fp8KVCacheDataTypeE1EDF16_Li32ELi64ELi256ELb0ELi3EEvPKT_PKT0_S7_ifPKiS9_S9_iPKfiiiPfSC_PS2_PT2_iSB_SB_
    .private_segment_fixed_size: 64
    .sgpr_count:     36
    .sgpr_spill_count: 0
    .symbol:         _Z39paged_attention_ll4mi_QKV_mfma16_kernelIDF16_hLN4vllm18Fp8KVCacheDataTypeE1EDF16_Li32ELi64ELi256ELb0ELi3EEvPKT_PKT0_S7_ifPKiS9_S9_iPKfiiiPfSC_PS2_PT2_iSB_SB_.kd
    .uniform_work_group_size: 1
    .uses_dynamic_stack: false
    .vgpr_count:     51
    .vgpr_spill_count: 0
    .wavefront_size: 32
  - .args:
      - .actual_access:  read_only
        .address_space:  global
        .offset:         0
        .size:           8
        .value_kind:     global_buffer
      - .actual_access:  read_only
        .address_space:  global
        .offset:         8
        .size:           8
        .value_kind:     global_buffer
      - .actual_access:  read_only
        .address_space:  global
        .offset:         16
        .size:           8
        .value_kind:     global_buffer
      - .offset:         24
        .size:           4
        .value_kind:     by_value
      - .offset:         28
        .size:           4
        .value_kind:     by_value
      - .actual_access:  read_only
        .address_space:  global
        .offset:         32
        .size:           8
        .value_kind:     global_buffer
      - .actual_access:  read_only
        .address_space:  global
        .offset:         40
        .size:           8
        .value_kind:     global_buffer
      - .actual_access:  read_only
        .address_space:  global
        .offset:         48
        .size:           8
        .value_kind:     global_buffer
      - .offset:         56
        .size:           4
        .value_kind:     by_value
      - .actual_access:  read_only
        .address_space:  global
        .offset:         64
        .size:           8
        .value_kind:     global_buffer
      - .offset:         72
        .size:           4
        .value_kind:     by_value
      - .offset:         76
        .size:           4
        .value_kind:     by_value
      - .offset:         80
        .size:           4
        .value_kind:     by_value
      - .actual_access:  read_only
        .address_space:  global
        .offset:         88
        .size:           8
        .value_kind:     global_buffer
      - .actual_access:  read_only
        .address_space:  global
        .offset:         96
        .size:           8
        .value_kind:     global_buffer
      - .actual_access:  read_only
        .address_space:  global
        .offset:         104
        .size:           8
        .value_kind:     global_buffer
      - .actual_access:  read_only
        .address_space:  global
        .offset:         112
        .size:           8
        .value_kind:     global_buffer
      - .offset:         120
        .size:           4
        .value_kind:     by_value
      - .address_space:  global
        .offset:         128
        .size:           8
        .value_kind:     global_buffer
      - .address_space:  global
        .offset:         136
        .size:           8
        .value_kind:     global_buffer
      - .offset:         144
        .size:           4
        .value_kind:     hidden_block_count_x
      - .offset:         148
        .size:           4
        .value_kind:     hidden_block_count_y
      - .offset:         152
        .size:           4
        .value_kind:     hidden_block_count_z
      - .offset:         156
        .size:           2
        .value_kind:     hidden_group_size_x
      - .offset:         158
        .size:           2
        .value_kind:     hidden_group_size_y
      - .offset:         160
        .size:           2
        .value_kind:     hidden_group_size_z
      - .offset:         162
        .size:           2
        .value_kind:     hidden_remainder_x
      - .offset:         164
        .size:           2
        .value_kind:     hidden_remainder_y
      - .offset:         166
        .size:           2
        .value_kind:     hidden_remainder_z
      - .offset:         184
        .size:           8
        .value_kind:     hidden_global_offset_x
      - .offset:         192
        .size:           8
        .value_kind:     hidden_global_offset_y
      - .offset:         200
        .size:           8
        .value_kind:     hidden_global_offset_z
      - .offset:         208
        .size:           2
        .value_kind:     hidden_grid_dims
      - .offset:         224
        .size:           8
        .value_kind:     hidden_hostcall_buffer
    .group_segment_fixed_size: 0
    .kernarg_segment_align: 8
    .kernarg_segment_size: 400
    .language:       OpenCL C
    .language_version:
      - 2
      - 0
    .max_flat_workgroup_size: 256
    .name:           _Z39paged_attention_ll4mi_QKV_mfma16_kernelIDF16_hLN4vllm18Fp8KVCacheDataTypeE1EDF16_Li32ELi64ELi256ELb0ELi4EEvPKT_PKT0_S7_ifPKiS9_S9_iPKfiiiPfSC_PS2_PT2_iSB_SB_
    .private_segment_fixed_size: 64
    .sgpr_count:     36
    .sgpr_spill_count: 0
    .symbol:         _Z39paged_attention_ll4mi_QKV_mfma16_kernelIDF16_hLN4vllm18Fp8KVCacheDataTypeE1EDF16_Li32ELi64ELi256ELb0ELi4EEvPKT_PKT0_S7_ifPKiS9_S9_iPKfiiiPfSC_PS2_PT2_iSB_SB_.kd
    .uniform_work_group_size: 1
    .uses_dynamic_stack: false
    .vgpr_count:     51
    .vgpr_spill_count: 0
    .wavefront_size: 32
  - .args:
      - .actual_access:  read_only
        .address_space:  global
        .offset:         0
        .size:           8
        .value_kind:     global_buffer
      - .actual_access:  read_only
        .address_space:  global
        .offset:         8
        .size:           8
        .value_kind:     global_buffer
      - .actual_access:  read_only
        .address_space:  global
        .offset:         16
        .size:           8
        .value_kind:     global_buffer
      - .offset:         24
        .size:           4
        .value_kind:     by_value
      - .offset:         28
        .size:           4
        .value_kind:     by_value
      - .actual_access:  read_only
        .address_space:  global
        .offset:         32
        .size:           8
        .value_kind:     global_buffer
      - .actual_access:  read_only
        .address_space:  global
        .offset:         40
        .size:           8
        .value_kind:     global_buffer
      - .actual_access:  read_only
        .address_space:  global
        .offset:         48
        .size:           8
        .value_kind:     global_buffer
      - .offset:         56
        .size:           4
        .value_kind:     by_value
      - .actual_access:  read_only
        .address_space:  global
        .offset:         64
        .size:           8
        .value_kind:     global_buffer
      - .offset:         72
        .size:           4
        .value_kind:     by_value
      - .offset:         76
        .size:           4
        .value_kind:     by_value
      - .offset:         80
        .size:           4
        .value_kind:     by_value
      - .actual_access:  read_only
        .address_space:  global
        .offset:         88
        .size:           8
        .value_kind:     global_buffer
      - .actual_access:  read_only
        .address_space:  global
        .offset:         96
        .size:           8
        .value_kind:     global_buffer
      - .actual_access:  read_only
        .address_space:  global
        .offset:         104
        .size:           8
        .value_kind:     global_buffer
      - .actual_access:  read_only
        .address_space:  global
        .offset:         112
        .size:           8
        .value_kind:     global_buffer
      - .offset:         120
        .size:           4
        .value_kind:     by_value
      - .address_space:  global
        .offset:         128
        .size:           8
        .value_kind:     global_buffer
      - .address_space:  global
        .offset:         136
        .size:           8
        .value_kind:     global_buffer
      - .offset:         144
        .size:           4
        .value_kind:     hidden_block_count_x
      - .offset:         148
        .size:           4
        .value_kind:     hidden_block_count_y
      - .offset:         152
        .size:           4
        .value_kind:     hidden_block_count_z
      - .offset:         156
        .size:           2
        .value_kind:     hidden_group_size_x
      - .offset:         158
        .size:           2
        .value_kind:     hidden_group_size_y
      - .offset:         160
        .size:           2
        .value_kind:     hidden_group_size_z
      - .offset:         162
        .size:           2
        .value_kind:     hidden_remainder_x
      - .offset:         164
        .size:           2
        .value_kind:     hidden_remainder_y
      - .offset:         166
        .size:           2
        .value_kind:     hidden_remainder_z
      - .offset:         184
        .size:           8
        .value_kind:     hidden_global_offset_x
      - .offset:         192
        .size:           8
        .value_kind:     hidden_global_offset_y
      - .offset:         200
        .size:           8
        .value_kind:     hidden_global_offset_z
      - .offset:         208
        .size:           2
        .value_kind:     hidden_grid_dims
      - .offset:         224
        .size:           8
        .value_kind:     hidden_hostcall_buffer
    .group_segment_fixed_size: 0
    .kernarg_segment_align: 8
    .kernarg_segment_size: 400
    .language:       OpenCL C
    .language_version:
      - 2
      - 0
    .max_flat_workgroup_size: 256
    .name:           _Z38paged_attention_ll4mi_QKV_mfma4_kernelIDF16_hLN4vllm18Fp8KVCacheDataTypeE1EhLi16ELi128ELi256ELb1ELi1EEvPKT_PKT0_S7_ifPKiS9_S9_iPKfiiiPfSC_PS2_PT2_iSB_SB_
    .private_segment_fixed_size: 64
    .sgpr_count:     36
    .sgpr_spill_count: 0
    .symbol:         _Z38paged_attention_ll4mi_QKV_mfma4_kernelIDF16_hLN4vllm18Fp8KVCacheDataTypeE1EhLi16ELi128ELi256ELb1ELi1EEvPKT_PKT0_S7_ifPKiS9_S9_iPKfiiiPfSC_PS2_PT2_iSB_SB_.kd
    .uniform_work_group_size: 1
    .uses_dynamic_stack: false
    .vgpr_count:     51
    .vgpr_spill_count: 0
    .wavefront_size: 32
  - .args:
      - .actual_access:  read_only
        .address_space:  global
        .offset:         0
        .size:           8
        .value_kind:     global_buffer
      - .actual_access:  read_only
        .address_space:  global
        .offset:         8
        .size:           8
        .value_kind:     global_buffer
      - .actual_access:  read_only
        .address_space:  global
        .offset:         16
        .size:           8
        .value_kind:     global_buffer
      - .offset:         24
        .size:           4
        .value_kind:     by_value
      - .offset:         28
        .size:           4
        .value_kind:     by_value
      - .actual_access:  read_only
        .address_space:  global
        .offset:         32
        .size:           8
        .value_kind:     global_buffer
      - .actual_access:  read_only
        .address_space:  global
        .offset:         40
        .size:           8
        .value_kind:     global_buffer
      - .actual_access:  read_only
        .address_space:  global
        .offset:         48
        .size:           8
        .value_kind:     global_buffer
      - .offset:         56
        .size:           4
        .value_kind:     by_value
      - .actual_access:  read_only
        .address_space:  global
        .offset:         64
        .size:           8
        .value_kind:     global_buffer
      - .offset:         72
        .size:           4
        .value_kind:     by_value
      - .offset:         76
        .size:           4
        .value_kind:     by_value
      - .offset:         80
        .size:           4
        .value_kind:     by_value
      - .actual_access:  read_only
        .address_space:  global
        .offset:         88
        .size:           8
        .value_kind:     global_buffer
      - .actual_access:  read_only
        .address_space:  global
        .offset:         96
        .size:           8
        .value_kind:     global_buffer
      - .actual_access:  read_only
        .address_space:  global
        .offset:         104
        .size:           8
        .value_kind:     global_buffer
      - .actual_access:  read_only
        .address_space:  global
        .offset:         112
        .size:           8
        .value_kind:     global_buffer
      - .offset:         120
        .size:           4
        .value_kind:     by_value
      - .address_space:  global
        .offset:         128
        .size:           8
        .value_kind:     global_buffer
      - .address_space:  global
        .offset:         136
        .size:           8
        .value_kind:     global_buffer
      - .offset:         144
        .size:           4
        .value_kind:     hidden_block_count_x
      - .offset:         148
        .size:           4
        .value_kind:     hidden_block_count_y
      - .offset:         152
        .size:           4
        .value_kind:     hidden_block_count_z
      - .offset:         156
        .size:           2
        .value_kind:     hidden_group_size_x
      - .offset:         158
        .size:           2
        .value_kind:     hidden_group_size_y
      - .offset:         160
        .size:           2
        .value_kind:     hidden_group_size_z
      - .offset:         162
        .size:           2
        .value_kind:     hidden_remainder_x
      - .offset:         164
        .size:           2
        .value_kind:     hidden_remainder_y
      - .offset:         166
        .size:           2
        .value_kind:     hidden_remainder_z
      - .offset:         184
        .size:           8
        .value_kind:     hidden_global_offset_x
      - .offset:         192
        .size:           8
        .value_kind:     hidden_global_offset_y
      - .offset:         200
        .size:           8
        .value_kind:     hidden_global_offset_z
      - .offset:         208
        .size:           2
        .value_kind:     hidden_grid_dims
      - .offset:         224
        .size:           8
        .value_kind:     hidden_hostcall_buffer
    .group_segment_fixed_size: 0
    .kernarg_segment_align: 8
    .kernarg_segment_size: 400
    .language:       OpenCL C
    .language_version:
      - 2
      - 0
    .max_flat_workgroup_size: 256
    .name:           _Z38paged_attention_ll4mi_QKV_mfma4_kernelIDF16_hLN4vllm18Fp8KVCacheDataTypeE1EhLi16ELi128ELi256ELb1ELi2EEvPKT_PKT0_S7_ifPKiS9_S9_iPKfiiiPfSC_PS2_PT2_iSB_SB_
    .private_segment_fixed_size: 64
    .sgpr_count:     36
    .sgpr_spill_count: 0
    .symbol:         _Z38paged_attention_ll4mi_QKV_mfma4_kernelIDF16_hLN4vllm18Fp8KVCacheDataTypeE1EhLi16ELi128ELi256ELb1ELi2EEvPKT_PKT0_S7_ifPKiS9_S9_iPKfiiiPfSC_PS2_PT2_iSB_SB_.kd
    .uniform_work_group_size: 1
    .uses_dynamic_stack: false
    .vgpr_count:     51
    .vgpr_spill_count: 0
    .wavefront_size: 32
  - .args:
      - .actual_access:  read_only
        .address_space:  global
        .offset:         0
        .size:           8
        .value_kind:     global_buffer
      - .actual_access:  read_only
        .address_space:  global
        .offset:         8
        .size:           8
        .value_kind:     global_buffer
      - .actual_access:  read_only
        .address_space:  global
        .offset:         16
        .size:           8
        .value_kind:     global_buffer
      - .offset:         24
        .size:           4
        .value_kind:     by_value
      - .offset:         28
        .size:           4
        .value_kind:     by_value
      - .actual_access:  read_only
        .address_space:  global
        .offset:         32
        .size:           8
        .value_kind:     global_buffer
      - .actual_access:  read_only
        .address_space:  global
        .offset:         40
        .size:           8
        .value_kind:     global_buffer
      - .actual_access:  read_only
        .address_space:  global
        .offset:         48
        .size:           8
        .value_kind:     global_buffer
      - .offset:         56
        .size:           4
        .value_kind:     by_value
      - .actual_access:  read_only
        .address_space:  global
        .offset:         64
        .size:           8
        .value_kind:     global_buffer
      - .offset:         72
        .size:           4
        .value_kind:     by_value
      - .offset:         76
        .size:           4
        .value_kind:     by_value
      - .offset:         80
        .size:           4
        .value_kind:     by_value
      - .actual_access:  read_only
        .address_space:  global
        .offset:         88
        .size:           8
        .value_kind:     global_buffer
      - .actual_access:  read_only
        .address_space:  global
        .offset:         96
        .size:           8
        .value_kind:     global_buffer
      - .actual_access:  read_only
        .address_space:  global
        .offset:         104
        .size:           8
        .value_kind:     global_buffer
      - .actual_access:  read_only
        .address_space:  global
        .offset:         112
        .size:           8
        .value_kind:     global_buffer
      - .offset:         120
        .size:           4
        .value_kind:     by_value
      - .address_space:  global
        .offset:         128
        .size:           8
        .value_kind:     global_buffer
      - .address_space:  global
        .offset:         136
        .size:           8
        .value_kind:     global_buffer
      - .offset:         144
        .size:           4
        .value_kind:     hidden_block_count_x
      - .offset:         148
        .size:           4
        .value_kind:     hidden_block_count_y
      - .offset:         152
        .size:           4
        .value_kind:     hidden_block_count_z
      - .offset:         156
        .size:           2
        .value_kind:     hidden_group_size_x
      - .offset:         158
        .size:           2
        .value_kind:     hidden_group_size_y
      - .offset:         160
        .size:           2
        .value_kind:     hidden_group_size_z
      - .offset:         162
        .size:           2
        .value_kind:     hidden_remainder_x
      - .offset:         164
        .size:           2
        .value_kind:     hidden_remainder_y
      - .offset:         166
        .size:           2
        .value_kind:     hidden_remainder_z
      - .offset:         184
        .size:           8
        .value_kind:     hidden_global_offset_x
      - .offset:         192
        .size:           8
        .value_kind:     hidden_global_offset_y
      - .offset:         200
        .size:           8
        .value_kind:     hidden_global_offset_z
      - .offset:         208
        .size:           2
        .value_kind:     hidden_grid_dims
      - .offset:         224
        .size:           8
        .value_kind:     hidden_hostcall_buffer
    .group_segment_fixed_size: 0
    .kernarg_segment_align: 8
    .kernarg_segment_size: 400
    .language:       OpenCL C
    .language_version:
      - 2
      - 0
    .max_flat_workgroup_size: 256
    .name:           _Z38paged_attention_ll4mi_QKV_mfma4_kernelIDF16_hLN4vllm18Fp8KVCacheDataTypeE1EhLi16ELi128ELi256ELb1ELi3EEvPKT_PKT0_S7_ifPKiS9_S9_iPKfiiiPfSC_PS2_PT2_iSB_SB_
    .private_segment_fixed_size: 64
    .sgpr_count:     36
    .sgpr_spill_count: 0
    .symbol:         _Z38paged_attention_ll4mi_QKV_mfma4_kernelIDF16_hLN4vllm18Fp8KVCacheDataTypeE1EhLi16ELi128ELi256ELb1ELi3EEvPKT_PKT0_S7_ifPKiS9_S9_iPKfiiiPfSC_PS2_PT2_iSB_SB_.kd
    .uniform_work_group_size: 1
    .uses_dynamic_stack: false
    .vgpr_count:     51
    .vgpr_spill_count: 0
    .wavefront_size: 32
  - .args:
      - .actual_access:  read_only
        .address_space:  global
        .offset:         0
        .size:           8
        .value_kind:     global_buffer
      - .actual_access:  read_only
        .address_space:  global
        .offset:         8
        .size:           8
        .value_kind:     global_buffer
      - .actual_access:  read_only
        .address_space:  global
        .offset:         16
        .size:           8
        .value_kind:     global_buffer
      - .offset:         24
        .size:           4
        .value_kind:     by_value
      - .offset:         28
        .size:           4
        .value_kind:     by_value
      - .actual_access:  read_only
        .address_space:  global
        .offset:         32
        .size:           8
        .value_kind:     global_buffer
      - .actual_access:  read_only
        .address_space:  global
        .offset:         40
        .size:           8
        .value_kind:     global_buffer
      - .actual_access:  read_only
        .address_space:  global
        .offset:         48
        .size:           8
        .value_kind:     global_buffer
      - .offset:         56
        .size:           4
        .value_kind:     by_value
      - .actual_access:  read_only
        .address_space:  global
        .offset:         64
        .size:           8
        .value_kind:     global_buffer
      - .offset:         72
        .size:           4
        .value_kind:     by_value
      - .offset:         76
        .size:           4
        .value_kind:     by_value
      - .offset:         80
        .size:           4
        .value_kind:     by_value
      - .actual_access:  read_only
        .address_space:  global
        .offset:         88
        .size:           8
        .value_kind:     global_buffer
      - .actual_access:  read_only
        .address_space:  global
        .offset:         96
        .size:           8
        .value_kind:     global_buffer
      - .actual_access:  read_only
        .address_space:  global
        .offset:         104
        .size:           8
        .value_kind:     global_buffer
      - .actual_access:  read_only
        .address_space:  global
        .offset:         112
        .size:           8
        .value_kind:     global_buffer
      - .offset:         120
        .size:           4
        .value_kind:     by_value
      - .address_space:  global
        .offset:         128
        .size:           8
        .value_kind:     global_buffer
      - .address_space:  global
        .offset:         136
        .size:           8
        .value_kind:     global_buffer
      - .offset:         144
        .size:           4
        .value_kind:     hidden_block_count_x
      - .offset:         148
        .size:           4
        .value_kind:     hidden_block_count_y
      - .offset:         152
        .size:           4
        .value_kind:     hidden_block_count_z
      - .offset:         156
        .size:           2
        .value_kind:     hidden_group_size_x
      - .offset:         158
        .size:           2
        .value_kind:     hidden_group_size_y
      - .offset:         160
        .size:           2
        .value_kind:     hidden_group_size_z
      - .offset:         162
        .size:           2
        .value_kind:     hidden_remainder_x
      - .offset:         164
        .size:           2
        .value_kind:     hidden_remainder_y
      - .offset:         166
        .size:           2
        .value_kind:     hidden_remainder_z
      - .offset:         184
        .size:           8
        .value_kind:     hidden_global_offset_x
      - .offset:         192
        .size:           8
        .value_kind:     hidden_global_offset_y
      - .offset:         200
        .size:           8
        .value_kind:     hidden_global_offset_z
      - .offset:         208
        .size:           2
        .value_kind:     hidden_grid_dims
      - .offset:         224
        .size:           8
        .value_kind:     hidden_hostcall_buffer
    .group_segment_fixed_size: 0
    .kernarg_segment_align: 8
    .kernarg_segment_size: 400
    .language:       OpenCL C
    .language_version:
      - 2
      - 0
    .max_flat_workgroup_size: 256
    .name:           _Z38paged_attention_ll4mi_QKV_mfma4_kernelIDF16_hLN4vllm18Fp8KVCacheDataTypeE1EhLi16ELi128ELi256ELb1ELi4EEvPKT_PKT0_S7_ifPKiS9_S9_iPKfiiiPfSC_PS2_PT2_iSB_SB_
    .private_segment_fixed_size: 64
    .sgpr_count:     36
    .sgpr_spill_count: 0
    .symbol:         _Z38paged_attention_ll4mi_QKV_mfma4_kernelIDF16_hLN4vllm18Fp8KVCacheDataTypeE1EhLi16ELi128ELi256ELb1ELi4EEvPKT_PKT0_S7_ifPKiS9_S9_iPKfiiiPfSC_PS2_PT2_iSB_SB_.kd
    .uniform_work_group_size: 1
    .uses_dynamic_stack: false
    .vgpr_count:     51
    .vgpr_spill_count: 0
    .wavefront_size: 32
  - .args:
      - .actual_access:  read_only
        .address_space:  global
        .offset:         0
        .size:           8
        .value_kind:     global_buffer
      - .actual_access:  read_only
        .address_space:  global
        .offset:         8
        .size:           8
        .value_kind:     global_buffer
      - .actual_access:  read_only
        .address_space:  global
        .offset:         16
        .size:           8
        .value_kind:     global_buffer
      - .offset:         24
        .size:           4
        .value_kind:     by_value
      - .offset:         28
        .size:           4
        .value_kind:     by_value
      - .actual_access:  read_only
        .address_space:  global
        .offset:         32
        .size:           8
        .value_kind:     global_buffer
      - .actual_access:  read_only
        .address_space:  global
        .offset:         40
        .size:           8
        .value_kind:     global_buffer
      - .actual_access:  read_only
        .address_space:  global
        .offset:         48
        .size:           8
        .value_kind:     global_buffer
      - .offset:         56
        .size:           4
        .value_kind:     by_value
      - .actual_access:  read_only
        .address_space:  global
        .offset:         64
        .size:           8
        .value_kind:     global_buffer
      - .offset:         72
        .size:           4
        .value_kind:     by_value
      - .offset:         76
        .size:           4
        .value_kind:     by_value
      - .offset:         80
        .size:           4
        .value_kind:     by_value
      - .actual_access:  read_only
        .address_space:  global
        .offset:         88
        .size:           8
        .value_kind:     global_buffer
      - .actual_access:  read_only
        .address_space:  global
        .offset:         96
        .size:           8
        .value_kind:     global_buffer
      - .actual_access:  read_only
        .address_space:  global
        .offset:         104
        .size:           8
        .value_kind:     global_buffer
      - .actual_access:  read_only
        .address_space:  global
        .offset:         112
        .size:           8
        .value_kind:     global_buffer
      - .offset:         120
        .size:           4
        .value_kind:     by_value
      - .address_space:  global
        .offset:         128
        .size:           8
        .value_kind:     global_buffer
      - .address_space:  global
        .offset:         136
        .size:           8
        .value_kind:     global_buffer
      - .offset:         144
        .size:           4
        .value_kind:     hidden_block_count_x
      - .offset:         148
        .size:           4
        .value_kind:     hidden_block_count_y
      - .offset:         152
        .size:           4
        .value_kind:     hidden_block_count_z
      - .offset:         156
        .size:           2
        .value_kind:     hidden_group_size_x
      - .offset:         158
        .size:           2
        .value_kind:     hidden_group_size_y
      - .offset:         160
        .size:           2
        .value_kind:     hidden_group_size_z
      - .offset:         162
        .size:           2
        .value_kind:     hidden_remainder_x
      - .offset:         164
        .size:           2
        .value_kind:     hidden_remainder_y
      - .offset:         166
        .size:           2
        .value_kind:     hidden_remainder_z
      - .offset:         184
        .size:           8
        .value_kind:     hidden_global_offset_x
      - .offset:         192
        .size:           8
        .value_kind:     hidden_global_offset_y
      - .offset:         200
        .size:           8
        .value_kind:     hidden_global_offset_z
      - .offset:         208
        .size:           2
        .value_kind:     hidden_grid_dims
      - .offset:         224
        .size:           8
        .value_kind:     hidden_hostcall_buffer
    .group_segment_fixed_size: 0
    .kernarg_segment_align: 8
    .kernarg_segment_size: 400
    .language:       OpenCL C
    .language_version:
      - 2
      - 0
    .max_flat_workgroup_size: 256
    .name:           _Z39paged_attention_ll4mi_QKV_mfma16_kernelIDF16_hLN4vllm18Fp8KVCacheDataTypeE1EhLi16ELi128ELi256ELb1ELi5EEvPKT_PKT0_S7_ifPKiS9_S9_iPKfiiiPfSC_PS2_PT2_iSB_SB_
    .private_segment_fixed_size: 64
    .sgpr_count:     36
    .sgpr_spill_count: 0
    .symbol:         _Z39paged_attention_ll4mi_QKV_mfma16_kernelIDF16_hLN4vllm18Fp8KVCacheDataTypeE1EhLi16ELi128ELi256ELb1ELi5EEvPKT_PKT0_S7_ifPKiS9_S9_iPKfiiiPfSC_PS2_PT2_iSB_SB_.kd
    .uniform_work_group_size: 1
    .uses_dynamic_stack: false
    .vgpr_count:     51
    .vgpr_spill_count: 0
    .wavefront_size: 32
  - .args:
      - .actual_access:  read_only
        .address_space:  global
        .offset:         0
        .size:           8
        .value_kind:     global_buffer
      - .actual_access:  read_only
        .address_space:  global
        .offset:         8
        .size:           8
        .value_kind:     global_buffer
      - .actual_access:  read_only
        .address_space:  global
        .offset:         16
        .size:           8
        .value_kind:     global_buffer
      - .offset:         24
        .size:           4
        .value_kind:     by_value
      - .offset:         28
        .size:           4
        .value_kind:     by_value
      - .actual_access:  read_only
        .address_space:  global
        .offset:         32
        .size:           8
        .value_kind:     global_buffer
      - .actual_access:  read_only
        .address_space:  global
        .offset:         40
        .size:           8
        .value_kind:     global_buffer
      - .actual_access:  read_only
        .address_space:  global
        .offset:         48
        .size:           8
        .value_kind:     global_buffer
      - .offset:         56
        .size:           4
        .value_kind:     by_value
      - .actual_access:  read_only
        .address_space:  global
        .offset:         64
        .size:           8
        .value_kind:     global_buffer
      - .offset:         72
        .size:           4
        .value_kind:     by_value
      - .offset:         76
        .size:           4
        .value_kind:     by_value
      - .offset:         80
        .size:           4
        .value_kind:     by_value
      - .actual_access:  read_only
        .address_space:  global
        .offset:         88
        .size:           8
        .value_kind:     global_buffer
      - .actual_access:  read_only
        .address_space:  global
        .offset:         96
        .size:           8
        .value_kind:     global_buffer
      - .actual_access:  read_only
        .address_space:  global
        .offset:         104
        .size:           8
        .value_kind:     global_buffer
      - .actual_access:  read_only
        .address_space:  global
        .offset:         112
        .size:           8
        .value_kind:     global_buffer
      - .offset:         120
        .size:           4
        .value_kind:     by_value
      - .address_space:  global
        .offset:         128
        .size:           8
        .value_kind:     global_buffer
      - .address_space:  global
        .offset:         136
        .size:           8
        .value_kind:     global_buffer
      - .offset:         144
        .size:           4
        .value_kind:     hidden_block_count_x
      - .offset:         148
        .size:           4
        .value_kind:     hidden_block_count_y
      - .offset:         152
        .size:           4
        .value_kind:     hidden_block_count_z
      - .offset:         156
        .size:           2
        .value_kind:     hidden_group_size_x
      - .offset:         158
        .size:           2
        .value_kind:     hidden_group_size_y
      - .offset:         160
        .size:           2
        .value_kind:     hidden_group_size_z
      - .offset:         162
        .size:           2
        .value_kind:     hidden_remainder_x
      - .offset:         164
        .size:           2
        .value_kind:     hidden_remainder_y
      - .offset:         166
        .size:           2
        .value_kind:     hidden_remainder_z
      - .offset:         184
        .size:           8
        .value_kind:     hidden_global_offset_x
      - .offset:         192
        .size:           8
        .value_kind:     hidden_global_offset_y
      - .offset:         200
        .size:           8
        .value_kind:     hidden_global_offset_z
      - .offset:         208
        .size:           2
        .value_kind:     hidden_grid_dims
      - .offset:         224
        .size:           8
        .value_kind:     hidden_hostcall_buffer
    .group_segment_fixed_size: 0
    .kernarg_segment_align: 8
    .kernarg_segment_size: 400
    .language:       OpenCL C
    .language_version:
      - 2
      - 0
    .max_flat_workgroup_size: 256
    .name:           _Z39paged_attention_ll4mi_QKV_mfma16_kernelIDF16_hLN4vllm18Fp8KVCacheDataTypeE1EhLi16ELi128ELi256ELb1ELi6EEvPKT_PKT0_S7_ifPKiS9_S9_iPKfiiiPfSC_PS2_PT2_iSB_SB_
    .private_segment_fixed_size: 64
    .sgpr_count:     36
    .sgpr_spill_count: 0
    .symbol:         _Z39paged_attention_ll4mi_QKV_mfma16_kernelIDF16_hLN4vllm18Fp8KVCacheDataTypeE1EhLi16ELi128ELi256ELb1ELi6EEvPKT_PKT0_S7_ifPKiS9_S9_iPKfiiiPfSC_PS2_PT2_iSB_SB_.kd
    .uniform_work_group_size: 1
    .uses_dynamic_stack: false
    .vgpr_count:     51
    .vgpr_spill_count: 0
    .wavefront_size: 32
  - .args:
      - .actual_access:  read_only
        .address_space:  global
        .offset:         0
        .size:           8
        .value_kind:     global_buffer
      - .actual_access:  read_only
        .address_space:  global
        .offset:         8
        .size:           8
        .value_kind:     global_buffer
      - .actual_access:  read_only
        .address_space:  global
        .offset:         16
        .size:           8
        .value_kind:     global_buffer
      - .offset:         24
        .size:           4
        .value_kind:     by_value
      - .offset:         28
        .size:           4
        .value_kind:     by_value
      - .actual_access:  read_only
        .address_space:  global
        .offset:         32
        .size:           8
        .value_kind:     global_buffer
      - .actual_access:  read_only
        .address_space:  global
        .offset:         40
        .size:           8
        .value_kind:     global_buffer
      - .actual_access:  read_only
        .address_space:  global
        .offset:         48
        .size:           8
        .value_kind:     global_buffer
      - .offset:         56
        .size:           4
        .value_kind:     by_value
      - .actual_access:  read_only
        .address_space:  global
        .offset:         64
        .size:           8
        .value_kind:     global_buffer
      - .offset:         72
        .size:           4
        .value_kind:     by_value
      - .offset:         76
        .size:           4
        .value_kind:     by_value
      - .offset:         80
        .size:           4
        .value_kind:     by_value
      - .actual_access:  read_only
        .address_space:  global
        .offset:         88
        .size:           8
        .value_kind:     global_buffer
      - .actual_access:  read_only
        .address_space:  global
        .offset:         96
        .size:           8
        .value_kind:     global_buffer
      - .actual_access:  read_only
        .address_space:  global
        .offset:         104
        .size:           8
        .value_kind:     global_buffer
      - .actual_access:  read_only
        .address_space:  global
        .offset:         112
        .size:           8
        .value_kind:     global_buffer
      - .offset:         120
        .size:           4
        .value_kind:     by_value
      - .address_space:  global
        .offset:         128
        .size:           8
        .value_kind:     global_buffer
      - .address_space:  global
        .offset:         136
        .size:           8
        .value_kind:     global_buffer
      - .offset:         144
        .size:           4
        .value_kind:     hidden_block_count_x
      - .offset:         148
        .size:           4
        .value_kind:     hidden_block_count_y
      - .offset:         152
        .size:           4
        .value_kind:     hidden_block_count_z
      - .offset:         156
        .size:           2
        .value_kind:     hidden_group_size_x
      - .offset:         158
        .size:           2
        .value_kind:     hidden_group_size_y
      - .offset:         160
        .size:           2
        .value_kind:     hidden_group_size_z
      - .offset:         162
        .size:           2
        .value_kind:     hidden_remainder_x
      - .offset:         164
        .size:           2
        .value_kind:     hidden_remainder_y
      - .offset:         166
        .size:           2
        .value_kind:     hidden_remainder_z
      - .offset:         184
        .size:           8
        .value_kind:     hidden_global_offset_x
      - .offset:         192
        .size:           8
        .value_kind:     hidden_global_offset_y
      - .offset:         200
        .size:           8
        .value_kind:     hidden_global_offset_z
      - .offset:         208
        .size:           2
        .value_kind:     hidden_grid_dims
      - .offset:         224
        .size:           8
        .value_kind:     hidden_hostcall_buffer
    .group_segment_fixed_size: 0
    .kernarg_segment_align: 8
    .kernarg_segment_size: 400
    .language:       OpenCL C
    .language_version:
      - 2
      - 0
    .max_flat_workgroup_size: 256
    .name:           _Z39paged_attention_ll4mi_QKV_mfma16_kernelIDF16_hLN4vllm18Fp8KVCacheDataTypeE1EhLi16ELi128ELi256ELb1ELi7EEvPKT_PKT0_S7_ifPKiS9_S9_iPKfiiiPfSC_PS2_PT2_iSB_SB_
    .private_segment_fixed_size: 64
    .sgpr_count:     36
    .sgpr_spill_count: 0
    .symbol:         _Z39paged_attention_ll4mi_QKV_mfma16_kernelIDF16_hLN4vllm18Fp8KVCacheDataTypeE1EhLi16ELi128ELi256ELb1ELi7EEvPKT_PKT0_S7_ifPKiS9_S9_iPKfiiiPfSC_PS2_PT2_iSB_SB_.kd
    .uniform_work_group_size: 1
    .uses_dynamic_stack: false
    .vgpr_count:     51
    .vgpr_spill_count: 0
    .wavefront_size: 32
  - .args:
      - .actual_access:  read_only
        .address_space:  global
        .offset:         0
        .size:           8
        .value_kind:     global_buffer
      - .actual_access:  read_only
        .address_space:  global
        .offset:         8
        .size:           8
        .value_kind:     global_buffer
      - .actual_access:  read_only
        .address_space:  global
        .offset:         16
        .size:           8
        .value_kind:     global_buffer
      - .offset:         24
        .size:           4
        .value_kind:     by_value
      - .offset:         28
        .size:           4
        .value_kind:     by_value
      - .actual_access:  read_only
        .address_space:  global
        .offset:         32
        .size:           8
        .value_kind:     global_buffer
      - .actual_access:  read_only
        .address_space:  global
        .offset:         40
        .size:           8
        .value_kind:     global_buffer
      - .actual_access:  read_only
        .address_space:  global
        .offset:         48
        .size:           8
        .value_kind:     global_buffer
      - .offset:         56
        .size:           4
        .value_kind:     by_value
      - .actual_access:  read_only
        .address_space:  global
        .offset:         64
        .size:           8
        .value_kind:     global_buffer
      - .offset:         72
        .size:           4
        .value_kind:     by_value
      - .offset:         76
        .size:           4
        .value_kind:     by_value
      - .offset:         80
        .size:           4
        .value_kind:     by_value
      - .actual_access:  read_only
        .address_space:  global
        .offset:         88
        .size:           8
        .value_kind:     global_buffer
      - .actual_access:  read_only
        .address_space:  global
        .offset:         96
        .size:           8
        .value_kind:     global_buffer
      - .actual_access:  read_only
        .address_space:  global
        .offset:         104
        .size:           8
        .value_kind:     global_buffer
      - .actual_access:  read_only
        .address_space:  global
        .offset:         112
        .size:           8
        .value_kind:     global_buffer
      - .offset:         120
        .size:           4
        .value_kind:     by_value
      - .address_space:  global
        .offset:         128
        .size:           8
        .value_kind:     global_buffer
      - .address_space:  global
        .offset:         136
        .size:           8
        .value_kind:     global_buffer
      - .offset:         144
        .size:           4
        .value_kind:     hidden_block_count_x
      - .offset:         148
        .size:           4
        .value_kind:     hidden_block_count_y
      - .offset:         152
        .size:           4
        .value_kind:     hidden_block_count_z
      - .offset:         156
        .size:           2
        .value_kind:     hidden_group_size_x
      - .offset:         158
        .size:           2
        .value_kind:     hidden_group_size_y
      - .offset:         160
        .size:           2
        .value_kind:     hidden_group_size_z
      - .offset:         162
        .size:           2
        .value_kind:     hidden_remainder_x
      - .offset:         164
        .size:           2
        .value_kind:     hidden_remainder_y
      - .offset:         166
        .size:           2
        .value_kind:     hidden_remainder_z
      - .offset:         184
        .size:           8
        .value_kind:     hidden_global_offset_x
      - .offset:         192
        .size:           8
        .value_kind:     hidden_global_offset_y
      - .offset:         200
        .size:           8
        .value_kind:     hidden_global_offset_z
      - .offset:         208
        .size:           2
        .value_kind:     hidden_grid_dims
      - .offset:         224
        .size:           8
        .value_kind:     hidden_hostcall_buffer
    .group_segment_fixed_size: 0
    .kernarg_segment_align: 8
    .kernarg_segment_size: 400
    .language:       OpenCL C
    .language_version:
      - 2
      - 0
    .max_flat_workgroup_size: 256
    .name:           _Z39paged_attention_ll4mi_QKV_mfma16_kernelIDF16_hLN4vllm18Fp8KVCacheDataTypeE1EhLi16ELi128ELi256ELb1ELi8EEvPKT_PKT0_S7_ifPKiS9_S9_iPKfiiiPfSC_PS2_PT2_iSB_SB_
    .private_segment_fixed_size: 64
    .sgpr_count:     36
    .sgpr_spill_count: 0
    .symbol:         _Z39paged_attention_ll4mi_QKV_mfma16_kernelIDF16_hLN4vllm18Fp8KVCacheDataTypeE1EhLi16ELi128ELi256ELb1ELi8EEvPKT_PKT0_S7_ifPKiS9_S9_iPKfiiiPfSC_PS2_PT2_iSB_SB_.kd
    .uniform_work_group_size: 1
    .uses_dynamic_stack: false
    .vgpr_count:     51
    .vgpr_spill_count: 0
    .wavefront_size: 32
  - .args:
      - .actual_access:  read_only
        .address_space:  global
        .offset:         0
        .size:           8
        .value_kind:     global_buffer
      - .actual_access:  read_only
        .address_space:  global
        .offset:         8
        .size:           8
        .value_kind:     global_buffer
      - .actual_access:  read_only
        .address_space:  global
        .offset:         16
        .size:           8
        .value_kind:     global_buffer
      - .offset:         24
        .size:           4
        .value_kind:     by_value
      - .offset:         28
        .size:           4
        .value_kind:     by_value
      - .actual_access:  read_only
        .address_space:  global
        .offset:         32
        .size:           8
        .value_kind:     global_buffer
      - .actual_access:  read_only
        .address_space:  global
        .offset:         40
        .size:           8
        .value_kind:     global_buffer
      - .actual_access:  read_only
        .address_space:  global
        .offset:         48
        .size:           8
        .value_kind:     global_buffer
      - .offset:         56
        .size:           4
        .value_kind:     by_value
      - .actual_access:  read_only
        .address_space:  global
        .offset:         64
        .size:           8
        .value_kind:     global_buffer
      - .offset:         72
        .size:           4
        .value_kind:     by_value
      - .offset:         76
        .size:           4
        .value_kind:     by_value
      - .offset:         80
        .size:           4
        .value_kind:     by_value
      - .actual_access:  read_only
        .address_space:  global
        .offset:         88
        .size:           8
        .value_kind:     global_buffer
      - .actual_access:  read_only
        .address_space:  global
        .offset:         96
        .size:           8
        .value_kind:     global_buffer
      - .actual_access:  read_only
        .address_space:  global
        .offset:         104
        .size:           8
        .value_kind:     global_buffer
      - .actual_access:  read_only
        .address_space:  global
        .offset:         112
        .size:           8
        .value_kind:     global_buffer
      - .offset:         120
        .size:           4
        .value_kind:     by_value
      - .address_space:  global
        .offset:         128
        .size:           8
        .value_kind:     global_buffer
      - .address_space:  global
        .offset:         136
        .size:           8
        .value_kind:     global_buffer
      - .offset:         144
        .size:           4
        .value_kind:     hidden_block_count_x
      - .offset:         148
        .size:           4
        .value_kind:     hidden_block_count_y
      - .offset:         152
        .size:           4
        .value_kind:     hidden_block_count_z
      - .offset:         156
        .size:           2
        .value_kind:     hidden_group_size_x
      - .offset:         158
        .size:           2
        .value_kind:     hidden_group_size_y
      - .offset:         160
        .size:           2
        .value_kind:     hidden_group_size_z
      - .offset:         162
        .size:           2
        .value_kind:     hidden_remainder_x
      - .offset:         164
        .size:           2
        .value_kind:     hidden_remainder_y
      - .offset:         166
        .size:           2
        .value_kind:     hidden_remainder_z
      - .offset:         184
        .size:           8
        .value_kind:     hidden_global_offset_x
      - .offset:         192
        .size:           8
        .value_kind:     hidden_global_offset_y
      - .offset:         200
        .size:           8
        .value_kind:     hidden_global_offset_z
      - .offset:         208
        .size:           2
        .value_kind:     hidden_grid_dims
      - .offset:         224
        .size:           8
        .value_kind:     hidden_hostcall_buffer
    .group_segment_fixed_size: 0
    .kernarg_segment_align: 8
    .kernarg_segment_size: 400
    .language:       OpenCL C
    .language_version:
      - 2
      - 0
    .max_flat_workgroup_size: 256
    .name:           _Z39paged_attention_ll4mi_QKV_mfma16_kernelIDF16_hLN4vllm18Fp8KVCacheDataTypeE1EhLi16ELi128ELi256ELb1ELi9EEvPKT_PKT0_S7_ifPKiS9_S9_iPKfiiiPfSC_PS2_PT2_iSB_SB_
    .private_segment_fixed_size: 64
    .sgpr_count:     36
    .sgpr_spill_count: 0
    .symbol:         _Z39paged_attention_ll4mi_QKV_mfma16_kernelIDF16_hLN4vllm18Fp8KVCacheDataTypeE1EhLi16ELi128ELi256ELb1ELi9EEvPKT_PKT0_S7_ifPKiS9_S9_iPKfiiiPfSC_PS2_PT2_iSB_SB_.kd
    .uniform_work_group_size: 1
    .uses_dynamic_stack: false
    .vgpr_count:     51
    .vgpr_spill_count: 0
    .wavefront_size: 32
  - .args:
      - .actual_access:  read_only
        .address_space:  global
        .offset:         0
        .size:           8
        .value_kind:     global_buffer
      - .actual_access:  read_only
        .address_space:  global
        .offset:         8
        .size:           8
        .value_kind:     global_buffer
      - .actual_access:  read_only
        .address_space:  global
        .offset:         16
        .size:           8
        .value_kind:     global_buffer
      - .offset:         24
        .size:           4
        .value_kind:     by_value
      - .offset:         28
        .size:           4
        .value_kind:     by_value
      - .actual_access:  read_only
        .address_space:  global
        .offset:         32
        .size:           8
        .value_kind:     global_buffer
      - .actual_access:  read_only
        .address_space:  global
        .offset:         40
        .size:           8
        .value_kind:     global_buffer
      - .actual_access:  read_only
        .address_space:  global
        .offset:         48
        .size:           8
        .value_kind:     global_buffer
      - .offset:         56
        .size:           4
        .value_kind:     by_value
      - .actual_access:  read_only
        .address_space:  global
        .offset:         64
        .size:           8
        .value_kind:     global_buffer
      - .offset:         72
        .size:           4
        .value_kind:     by_value
      - .offset:         76
        .size:           4
        .value_kind:     by_value
      - .offset:         80
        .size:           4
        .value_kind:     by_value
      - .actual_access:  read_only
        .address_space:  global
        .offset:         88
        .size:           8
        .value_kind:     global_buffer
      - .actual_access:  read_only
        .address_space:  global
        .offset:         96
        .size:           8
        .value_kind:     global_buffer
      - .actual_access:  read_only
        .address_space:  global
        .offset:         104
        .size:           8
        .value_kind:     global_buffer
      - .actual_access:  read_only
        .address_space:  global
        .offset:         112
        .size:           8
        .value_kind:     global_buffer
      - .offset:         120
        .size:           4
        .value_kind:     by_value
      - .address_space:  global
        .offset:         128
        .size:           8
        .value_kind:     global_buffer
      - .address_space:  global
        .offset:         136
        .size:           8
        .value_kind:     global_buffer
      - .offset:         144
        .size:           4
        .value_kind:     hidden_block_count_x
      - .offset:         148
        .size:           4
        .value_kind:     hidden_block_count_y
      - .offset:         152
        .size:           4
        .value_kind:     hidden_block_count_z
      - .offset:         156
        .size:           2
        .value_kind:     hidden_group_size_x
      - .offset:         158
        .size:           2
        .value_kind:     hidden_group_size_y
      - .offset:         160
        .size:           2
        .value_kind:     hidden_group_size_z
      - .offset:         162
        .size:           2
        .value_kind:     hidden_remainder_x
      - .offset:         164
        .size:           2
        .value_kind:     hidden_remainder_y
      - .offset:         166
        .size:           2
        .value_kind:     hidden_remainder_z
      - .offset:         184
        .size:           8
        .value_kind:     hidden_global_offset_x
      - .offset:         192
        .size:           8
        .value_kind:     hidden_global_offset_y
      - .offset:         200
        .size:           8
        .value_kind:     hidden_global_offset_z
      - .offset:         208
        .size:           2
        .value_kind:     hidden_grid_dims
      - .offset:         224
        .size:           8
        .value_kind:     hidden_hostcall_buffer
    .group_segment_fixed_size: 0
    .kernarg_segment_align: 8
    .kernarg_segment_size: 400
    .language:       OpenCL C
    .language_version:
      - 2
      - 0
    .max_flat_workgroup_size: 256
    .name:           _Z39paged_attention_ll4mi_QKV_mfma16_kernelIDF16_hLN4vllm18Fp8KVCacheDataTypeE1EhLi16ELi128ELi256ELb1ELi10EEvPKT_PKT0_S7_ifPKiS9_S9_iPKfiiiPfSC_PS2_PT2_iSB_SB_
    .private_segment_fixed_size: 64
    .sgpr_count:     36
    .sgpr_spill_count: 0
    .symbol:         _Z39paged_attention_ll4mi_QKV_mfma16_kernelIDF16_hLN4vllm18Fp8KVCacheDataTypeE1EhLi16ELi128ELi256ELb1ELi10EEvPKT_PKT0_S7_ifPKiS9_S9_iPKfiiiPfSC_PS2_PT2_iSB_SB_.kd
    .uniform_work_group_size: 1
    .uses_dynamic_stack: false
    .vgpr_count:     51
    .vgpr_spill_count: 0
    .wavefront_size: 32
  - .args:
      - .actual_access:  read_only
        .address_space:  global
        .offset:         0
        .size:           8
        .value_kind:     global_buffer
      - .actual_access:  read_only
        .address_space:  global
        .offset:         8
        .size:           8
        .value_kind:     global_buffer
      - .actual_access:  read_only
        .address_space:  global
        .offset:         16
        .size:           8
        .value_kind:     global_buffer
      - .offset:         24
        .size:           4
        .value_kind:     by_value
      - .offset:         28
        .size:           4
        .value_kind:     by_value
      - .actual_access:  read_only
        .address_space:  global
        .offset:         32
        .size:           8
        .value_kind:     global_buffer
      - .actual_access:  read_only
        .address_space:  global
        .offset:         40
        .size:           8
        .value_kind:     global_buffer
      - .actual_access:  read_only
        .address_space:  global
        .offset:         48
        .size:           8
        .value_kind:     global_buffer
      - .offset:         56
        .size:           4
        .value_kind:     by_value
      - .actual_access:  read_only
        .address_space:  global
        .offset:         64
        .size:           8
        .value_kind:     global_buffer
      - .offset:         72
        .size:           4
        .value_kind:     by_value
      - .offset:         76
        .size:           4
        .value_kind:     by_value
      - .offset:         80
        .size:           4
        .value_kind:     by_value
      - .actual_access:  read_only
        .address_space:  global
        .offset:         88
        .size:           8
        .value_kind:     global_buffer
      - .actual_access:  read_only
        .address_space:  global
        .offset:         96
        .size:           8
        .value_kind:     global_buffer
      - .actual_access:  read_only
        .address_space:  global
        .offset:         104
        .size:           8
        .value_kind:     global_buffer
      - .actual_access:  read_only
        .address_space:  global
        .offset:         112
        .size:           8
        .value_kind:     global_buffer
      - .offset:         120
        .size:           4
        .value_kind:     by_value
      - .address_space:  global
        .offset:         128
        .size:           8
        .value_kind:     global_buffer
      - .address_space:  global
        .offset:         136
        .size:           8
        .value_kind:     global_buffer
      - .offset:         144
        .size:           4
        .value_kind:     hidden_block_count_x
      - .offset:         148
        .size:           4
        .value_kind:     hidden_block_count_y
      - .offset:         152
        .size:           4
        .value_kind:     hidden_block_count_z
      - .offset:         156
        .size:           2
        .value_kind:     hidden_group_size_x
      - .offset:         158
        .size:           2
        .value_kind:     hidden_group_size_y
      - .offset:         160
        .size:           2
        .value_kind:     hidden_group_size_z
      - .offset:         162
        .size:           2
        .value_kind:     hidden_remainder_x
      - .offset:         164
        .size:           2
        .value_kind:     hidden_remainder_y
      - .offset:         166
        .size:           2
        .value_kind:     hidden_remainder_z
      - .offset:         184
        .size:           8
        .value_kind:     hidden_global_offset_x
      - .offset:         192
        .size:           8
        .value_kind:     hidden_global_offset_y
      - .offset:         200
        .size:           8
        .value_kind:     hidden_global_offset_z
      - .offset:         208
        .size:           2
        .value_kind:     hidden_grid_dims
      - .offset:         224
        .size:           8
        .value_kind:     hidden_hostcall_buffer
    .group_segment_fixed_size: 0
    .kernarg_segment_align: 8
    .kernarg_segment_size: 400
    .language:       OpenCL C
    .language_version:
      - 2
      - 0
    .max_flat_workgroup_size: 256
    .name:           _Z39paged_attention_ll4mi_QKV_mfma16_kernelIDF16_hLN4vllm18Fp8KVCacheDataTypeE1EhLi16ELi128ELi256ELb1ELi11EEvPKT_PKT0_S7_ifPKiS9_S9_iPKfiiiPfSC_PS2_PT2_iSB_SB_
    .private_segment_fixed_size: 64
    .sgpr_count:     36
    .sgpr_spill_count: 0
    .symbol:         _Z39paged_attention_ll4mi_QKV_mfma16_kernelIDF16_hLN4vllm18Fp8KVCacheDataTypeE1EhLi16ELi128ELi256ELb1ELi11EEvPKT_PKT0_S7_ifPKiS9_S9_iPKfiiiPfSC_PS2_PT2_iSB_SB_.kd
    .uniform_work_group_size: 1
    .uses_dynamic_stack: false
    .vgpr_count:     51
    .vgpr_spill_count: 0
    .wavefront_size: 32
  - .args:
      - .actual_access:  read_only
        .address_space:  global
        .offset:         0
        .size:           8
        .value_kind:     global_buffer
      - .actual_access:  read_only
        .address_space:  global
        .offset:         8
        .size:           8
        .value_kind:     global_buffer
      - .actual_access:  read_only
        .address_space:  global
        .offset:         16
        .size:           8
        .value_kind:     global_buffer
      - .offset:         24
        .size:           4
        .value_kind:     by_value
      - .offset:         28
        .size:           4
        .value_kind:     by_value
      - .actual_access:  read_only
        .address_space:  global
        .offset:         32
        .size:           8
        .value_kind:     global_buffer
      - .actual_access:  read_only
        .address_space:  global
        .offset:         40
        .size:           8
        .value_kind:     global_buffer
      - .actual_access:  read_only
        .address_space:  global
        .offset:         48
        .size:           8
        .value_kind:     global_buffer
      - .offset:         56
        .size:           4
        .value_kind:     by_value
      - .actual_access:  read_only
        .address_space:  global
        .offset:         64
        .size:           8
        .value_kind:     global_buffer
      - .offset:         72
        .size:           4
        .value_kind:     by_value
      - .offset:         76
        .size:           4
        .value_kind:     by_value
      - .offset:         80
        .size:           4
        .value_kind:     by_value
      - .actual_access:  read_only
        .address_space:  global
        .offset:         88
        .size:           8
        .value_kind:     global_buffer
      - .actual_access:  read_only
        .address_space:  global
        .offset:         96
        .size:           8
        .value_kind:     global_buffer
      - .actual_access:  read_only
        .address_space:  global
        .offset:         104
        .size:           8
        .value_kind:     global_buffer
      - .actual_access:  read_only
        .address_space:  global
        .offset:         112
        .size:           8
        .value_kind:     global_buffer
      - .offset:         120
        .size:           4
        .value_kind:     by_value
      - .address_space:  global
        .offset:         128
        .size:           8
        .value_kind:     global_buffer
      - .address_space:  global
        .offset:         136
        .size:           8
        .value_kind:     global_buffer
      - .offset:         144
        .size:           4
        .value_kind:     hidden_block_count_x
      - .offset:         148
        .size:           4
        .value_kind:     hidden_block_count_y
      - .offset:         152
        .size:           4
        .value_kind:     hidden_block_count_z
      - .offset:         156
        .size:           2
        .value_kind:     hidden_group_size_x
      - .offset:         158
        .size:           2
        .value_kind:     hidden_group_size_y
      - .offset:         160
        .size:           2
        .value_kind:     hidden_group_size_z
      - .offset:         162
        .size:           2
        .value_kind:     hidden_remainder_x
      - .offset:         164
        .size:           2
        .value_kind:     hidden_remainder_y
      - .offset:         166
        .size:           2
        .value_kind:     hidden_remainder_z
      - .offset:         184
        .size:           8
        .value_kind:     hidden_global_offset_x
      - .offset:         192
        .size:           8
        .value_kind:     hidden_global_offset_y
      - .offset:         200
        .size:           8
        .value_kind:     hidden_global_offset_z
      - .offset:         208
        .size:           2
        .value_kind:     hidden_grid_dims
      - .offset:         224
        .size:           8
        .value_kind:     hidden_hostcall_buffer
    .group_segment_fixed_size: 0
    .kernarg_segment_align: 8
    .kernarg_segment_size: 400
    .language:       OpenCL C
    .language_version:
      - 2
      - 0
    .max_flat_workgroup_size: 256
    .name:           _Z39paged_attention_ll4mi_QKV_mfma16_kernelIDF16_hLN4vllm18Fp8KVCacheDataTypeE1EhLi16ELi128ELi256ELb1ELi12EEvPKT_PKT0_S7_ifPKiS9_S9_iPKfiiiPfSC_PS2_PT2_iSB_SB_
    .private_segment_fixed_size: 64
    .sgpr_count:     36
    .sgpr_spill_count: 0
    .symbol:         _Z39paged_attention_ll4mi_QKV_mfma16_kernelIDF16_hLN4vllm18Fp8KVCacheDataTypeE1EhLi16ELi128ELi256ELb1ELi12EEvPKT_PKT0_S7_ifPKiS9_S9_iPKfiiiPfSC_PS2_PT2_iSB_SB_.kd
    .uniform_work_group_size: 1
    .uses_dynamic_stack: false
    .vgpr_count:     51
    .vgpr_spill_count: 0
    .wavefront_size: 32
  - .args:
      - .actual_access:  read_only
        .address_space:  global
        .offset:         0
        .size:           8
        .value_kind:     global_buffer
      - .actual_access:  read_only
        .address_space:  global
        .offset:         8
        .size:           8
        .value_kind:     global_buffer
      - .actual_access:  read_only
        .address_space:  global
        .offset:         16
        .size:           8
        .value_kind:     global_buffer
      - .offset:         24
        .size:           4
        .value_kind:     by_value
      - .offset:         28
        .size:           4
        .value_kind:     by_value
      - .actual_access:  read_only
        .address_space:  global
        .offset:         32
        .size:           8
        .value_kind:     global_buffer
      - .actual_access:  read_only
        .address_space:  global
        .offset:         40
        .size:           8
        .value_kind:     global_buffer
      - .actual_access:  read_only
        .address_space:  global
        .offset:         48
        .size:           8
        .value_kind:     global_buffer
      - .offset:         56
        .size:           4
        .value_kind:     by_value
      - .actual_access:  read_only
        .address_space:  global
        .offset:         64
        .size:           8
        .value_kind:     global_buffer
      - .offset:         72
        .size:           4
        .value_kind:     by_value
      - .offset:         76
        .size:           4
        .value_kind:     by_value
      - .offset:         80
        .size:           4
        .value_kind:     by_value
      - .actual_access:  read_only
        .address_space:  global
        .offset:         88
        .size:           8
        .value_kind:     global_buffer
      - .actual_access:  read_only
        .address_space:  global
        .offset:         96
        .size:           8
        .value_kind:     global_buffer
      - .actual_access:  read_only
        .address_space:  global
        .offset:         104
        .size:           8
        .value_kind:     global_buffer
      - .actual_access:  read_only
        .address_space:  global
        .offset:         112
        .size:           8
        .value_kind:     global_buffer
      - .offset:         120
        .size:           4
        .value_kind:     by_value
      - .address_space:  global
        .offset:         128
        .size:           8
        .value_kind:     global_buffer
      - .address_space:  global
        .offset:         136
        .size:           8
        .value_kind:     global_buffer
      - .offset:         144
        .size:           4
        .value_kind:     hidden_block_count_x
      - .offset:         148
        .size:           4
        .value_kind:     hidden_block_count_y
      - .offset:         152
        .size:           4
        .value_kind:     hidden_block_count_z
      - .offset:         156
        .size:           2
        .value_kind:     hidden_group_size_x
      - .offset:         158
        .size:           2
        .value_kind:     hidden_group_size_y
      - .offset:         160
        .size:           2
        .value_kind:     hidden_group_size_z
      - .offset:         162
        .size:           2
        .value_kind:     hidden_remainder_x
      - .offset:         164
        .size:           2
        .value_kind:     hidden_remainder_y
      - .offset:         166
        .size:           2
        .value_kind:     hidden_remainder_z
      - .offset:         184
        .size:           8
        .value_kind:     hidden_global_offset_x
      - .offset:         192
        .size:           8
        .value_kind:     hidden_global_offset_y
      - .offset:         200
        .size:           8
        .value_kind:     hidden_global_offset_z
      - .offset:         208
        .size:           2
        .value_kind:     hidden_grid_dims
      - .offset:         224
        .size:           8
        .value_kind:     hidden_hostcall_buffer
    .group_segment_fixed_size: 0
    .kernarg_segment_align: 8
    .kernarg_segment_size: 400
    .language:       OpenCL C
    .language_version:
      - 2
      - 0
    .max_flat_workgroup_size: 256
    .name:           _Z39paged_attention_ll4mi_QKV_mfma16_kernelIDF16_hLN4vllm18Fp8KVCacheDataTypeE1EhLi16ELi128ELi256ELb1ELi13EEvPKT_PKT0_S7_ifPKiS9_S9_iPKfiiiPfSC_PS2_PT2_iSB_SB_
    .private_segment_fixed_size: 64
    .sgpr_count:     36
    .sgpr_spill_count: 0
    .symbol:         _Z39paged_attention_ll4mi_QKV_mfma16_kernelIDF16_hLN4vllm18Fp8KVCacheDataTypeE1EhLi16ELi128ELi256ELb1ELi13EEvPKT_PKT0_S7_ifPKiS9_S9_iPKfiiiPfSC_PS2_PT2_iSB_SB_.kd
    .uniform_work_group_size: 1
    .uses_dynamic_stack: false
    .vgpr_count:     51
    .vgpr_spill_count: 0
    .wavefront_size: 32
  - .args:
      - .actual_access:  read_only
        .address_space:  global
        .offset:         0
        .size:           8
        .value_kind:     global_buffer
      - .actual_access:  read_only
        .address_space:  global
        .offset:         8
        .size:           8
        .value_kind:     global_buffer
      - .actual_access:  read_only
        .address_space:  global
        .offset:         16
        .size:           8
        .value_kind:     global_buffer
      - .offset:         24
        .size:           4
        .value_kind:     by_value
      - .offset:         28
        .size:           4
        .value_kind:     by_value
      - .actual_access:  read_only
        .address_space:  global
        .offset:         32
        .size:           8
        .value_kind:     global_buffer
      - .actual_access:  read_only
        .address_space:  global
        .offset:         40
        .size:           8
        .value_kind:     global_buffer
      - .actual_access:  read_only
        .address_space:  global
        .offset:         48
        .size:           8
        .value_kind:     global_buffer
      - .offset:         56
        .size:           4
        .value_kind:     by_value
      - .actual_access:  read_only
        .address_space:  global
        .offset:         64
        .size:           8
        .value_kind:     global_buffer
      - .offset:         72
        .size:           4
        .value_kind:     by_value
      - .offset:         76
        .size:           4
        .value_kind:     by_value
      - .offset:         80
        .size:           4
        .value_kind:     by_value
      - .actual_access:  read_only
        .address_space:  global
        .offset:         88
        .size:           8
        .value_kind:     global_buffer
      - .actual_access:  read_only
        .address_space:  global
        .offset:         96
        .size:           8
        .value_kind:     global_buffer
      - .actual_access:  read_only
        .address_space:  global
        .offset:         104
        .size:           8
        .value_kind:     global_buffer
      - .actual_access:  read_only
        .address_space:  global
        .offset:         112
        .size:           8
        .value_kind:     global_buffer
      - .offset:         120
        .size:           4
        .value_kind:     by_value
      - .address_space:  global
        .offset:         128
        .size:           8
        .value_kind:     global_buffer
      - .address_space:  global
        .offset:         136
        .size:           8
        .value_kind:     global_buffer
      - .offset:         144
        .size:           4
        .value_kind:     hidden_block_count_x
      - .offset:         148
        .size:           4
        .value_kind:     hidden_block_count_y
      - .offset:         152
        .size:           4
        .value_kind:     hidden_block_count_z
      - .offset:         156
        .size:           2
        .value_kind:     hidden_group_size_x
      - .offset:         158
        .size:           2
        .value_kind:     hidden_group_size_y
      - .offset:         160
        .size:           2
        .value_kind:     hidden_group_size_z
      - .offset:         162
        .size:           2
        .value_kind:     hidden_remainder_x
      - .offset:         164
        .size:           2
        .value_kind:     hidden_remainder_y
      - .offset:         166
        .size:           2
        .value_kind:     hidden_remainder_z
      - .offset:         184
        .size:           8
        .value_kind:     hidden_global_offset_x
      - .offset:         192
        .size:           8
        .value_kind:     hidden_global_offset_y
      - .offset:         200
        .size:           8
        .value_kind:     hidden_global_offset_z
      - .offset:         208
        .size:           2
        .value_kind:     hidden_grid_dims
      - .offset:         224
        .size:           8
        .value_kind:     hidden_hostcall_buffer
    .group_segment_fixed_size: 0
    .kernarg_segment_align: 8
    .kernarg_segment_size: 400
    .language:       OpenCL C
    .language_version:
      - 2
      - 0
    .max_flat_workgroup_size: 256
    .name:           _Z39paged_attention_ll4mi_QKV_mfma16_kernelIDF16_hLN4vllm18Fp8KVCacheDataTypeE1EhLi16ELi128ELi256ELb1ELi14EEvPKT_PKT0_S7_ifPKiS9_S9_iPKfiiiPfSC_PS2_PT2_iSB_SB_
    .private_segment_fixed_size: 64
    .sgpr_count:     36
    .sgpr_spill_count: 0
    .symbol:         _Z39paged_attention_ll4mi_QKV_mfma16_kernelIDF16_hLN4vllm18Fp8KVCacheDataTypeE1EhLi16ELi128ELi256ELb1ELi14EEvPKT_PKT0_S7_ifPKiS9_S9_iPKfiiiPfSC_PS2_PT2_iSB_SB_.kd
    .uniform_work_group_size: 1
    .uses_dynamic_stack: false
    .vgpr_count:     51
    .vgpr_spill_count: 0
    .wavefront_size: 32
  - .args:
      - .actual_access:  read_only
        .address_space:  global
        .offset:         0
        .size:           8
        .value_kind:     global_buffer
      - .actual_access:  read_only
        .address_space:  global
        .offset:         8
        .size:           8
        .value_kind:     global_buffer
      - .actual_access:  read_only
        .address_space:  global
        .offset:         16
        .size:           8
        .value_kind:     global_buffer
      - .offset:         24
        .size:           4
        .value_kind:     by_value
      - .offset:         28
        .size:           4
        .value_kind:     by_value
      - .actual_access:  read_only
        .address_space:  global
        .offset:         32
        .size:           8
        .value_kind:     global_buffer
      - .actual_access:  read_only
        .address_space:  global
        .offset:         40
        .size:           8
        .value_kind:     global_buffer
      - .actual_access:  read_only
        .address_space:  global
        .offset:         48
        .size:           8
        .value_kind:     global_buffer
      - .offset:         56
        .size:           4
        .value_kind:     by_value
      - .actual_access:  read_only
        .address_space:  global
        .offset:         64
        .size:           8
        .value_kind:     global_buffer
      - .offset:         72
        .size:           4
        .value_kind:     by_value
      - .offset:         76
        .size:           4
        .value_kind:     by_value
      - .offset:         80
        .size:           4
        .value_kind:     by_value
      - .actual_access:  read_only
        .address_space:  global
        .offset:         88
        .size:           8
        .value_kind:     global_buffer
      - .actual_access:  read_only
        .address_space:  global
        .offset:         96
        .size:           8
        .value_kind:     global_buffer
      - .actual_access:  read_only
        .address_space:  global
        .offset:         104
        .size:           8
        .value_kind:     global_buffer
      - .actual_access:  read_only
        .address_space:  global
        .offset:         112
        .size:           8
        .value_kind:     global_buffer
      - .offset:         120
        .size:           4
        .value_kind:     by_value
      - .address_space:  global
        .offset:         128
        .size:           8
        .value_kind:     global_buffer
      - .address_space:  global
        .offset:         136
        .size:           8
        .value_kind:     global_buffer
      - .offset:         144
        .size:           4
        .value_kind:     hidden_block_count_x
      - .offset:         148
        .size:           4
        .value_kind:     hidden_block_count_y
      - .offset:         152
        .size:           4
        .value_kind:     hidden_block_count_z
      - .offset:         156
        .size:           2
        .value_kind:     hidden_group_size_x
      - .offset:         158
        .size:           2
        .value_kind:     hidden_group_size_y
      - .offset:         160
        .size:           2
        .value_kind:     hidden_group_size_z
      - .offset:         162
        .size:           2
        .value_kind:     hidden_remainder_x
      - .offset:         164
        .size:           2
        .value_kind:     hidden_remainder_y
      - .offset:         166
        .size:           2
        .value_kind:     hidden_remainder_z
      - .offset:         184
        .size:           8
        .value_kind:     hidden_global_offset_x
      - .offset:         192
        .size:           8
        .value_kind:     hidden_global_offset_y
      - .offset:         200
        .size:           8
        .value_kind:     hidden_global_offset_z
      - .offset:         208
        .size:           2
        .value_kind:     hidden_grid_dims
      - .offset:         224
        .size:           8
        .value_kind:     hidden_hostcall_buffer
    .group_segment_fixed_size: 0
    .kernarg_segment_align: 8
    .kernarg_segment_size: 400
    .language:       OpenCL C
    .language_version:
      - 2
      - 0
    .max_flat_workgroup_size: 256
    .name:           _Z39paged_attention_ll4mi_QKV_mfma16_kernelIDF16_hLN4vllm18Fp8KVCacheDataTypeE1EhLi16ELi128ELi256ELb1ELi15EEvPKT_PKT0_S7_ifPKiS9_S9_iPKfiiiPfSC_PS2_PT2_iSB_SB_
    .private_segment_fixed_size: 64
    .sgpr_count:     36
    .sgpr_spill_count: 0
    .symbol:         _Z39paged_attention_ll4mi_QKV_mfma16_kernelIDF16_hLN4vllm18Fp8KVCacheDataTypeE1EhLi16ELi128ELi256ELb1ELi15EEvPKT_PKT0_S7_ifPKiS9_S9_iPKfiiiPfSC_PS2_PT2_iSB_SB_.kd
    .uniform_work_group_size: 1
    .uses_dynamic_stack: false
    .vgpr_count:     51
    .vgpr_spill_count: 0
    .wavefront_size: 32
  - .args:
      - .actual_access:  read_only
        .address_space:  global
        .offset:         0
        .size:           8
        .value_kind:     global_buffer
      - .actual_access:  read_only
        .address_space:  global
        .offset:         8
        .size:           8
        .value_kind:     global_buffer
      - .actual_access:  read_only
        .address_space:  global
        .offset:         16
        .size:           8
        .value_kind:     global_buffer
      - .offset:         24
        .size:           4
        .value_kind:     by_value
      - .offset:         28
        .size:           4
        .value_kind:     by_value
      - .actual_access:  read_only
        .address_space:  global
        .offset:         32
        .size:           8
        .value_kind:     global_buffer
      - .actual_access:  read_only
        .address_space:  global
        .offset:         40
        .size:           8
        .value_kind:     global_buffer
      - .actual_access:  read_only
        .address_space:  global
        .offset:         48
        .size:           8
        .value_kind:     global_buffer
      - .offset:         56
        .size:           4
        .value_kind:     by_value
      - .actual_access:  read_only
        .address_space:  global
        .offset:         64
        .size:           8
        .value_kind:     global_buffer
      - .offset:         72
        .size:           4
        .value_kind:     by_value
      - .offset:         76
        .size:           4
        .value_kind:     by_value
      - .offset:         80
        .size:           4
        .value_kind:     by_value
      - .actual_access:  read_only
        .address_space:  global
        .offset:         88
        .size:           8
        .value_kind:     global_buffer
      - .actual_access:  read_only
        .address_space:  global
        .offset:         96
        .size:           8
        .value_kind:     global_buffer
      - .actual_access:  read_only
        .address_space:  global
        .offset:         104
        .size:           8
        .value_kind:     global_buffer
      - .actual_access:  read_only
        .address_space:  global
        .offset:         112
        .size:           8
        .value_kind:     global_buffer
      - .offset:         120
        .size:           4
        .value_kind:     by_value
      - .address_space:  global
        .offset:         128
        .size:           8
        .value_kind:     global_buffer
      - .address_space:  global
        .offset:         136
        .size:           8
        .value_kind:     global_buffer
      - .offset:         144
        .size:           4
        .value_kind:     hidden_block_count_x
      - .offset:         148
        .size:           4
        .value_kind:     hidden_block_count_y
      - .offset:         152
        .size:           4
        .value_kind:     hidden_block_count_z
      - .offset:         156
        .size:           2
        .value_kind:     hidden_group_size_x
      - .offset:         158
        .size:           2
        .value_kind:     hidden_group_size_y
      - .offset:         160
        .size:           2
        .value_kind:     hidden_group_size_z
      - .offset:         162
        .size:           2
        .value_kind:     hidden_remainder_x
      - .offset:         164
        .size:           2
        .value_kind:     hidden_remainder_y
      - .offset:         166
        .size:           2
        .value_kind:     hidden_remainder_z
      - .offset:         184
        .size:           8
        .value_kind:     hidden_global_offset_x
      - .offset:         192
        .size:           8
        .value_kind:     hidden_global_offset_y
      - .offset:         200
        .size:           8
        .value_kind:     hidden_global_offset_z
      - .offset:         208
        .size:           2
        .value_kind:     hidden_grid_dims
      - .offset:         224
        .size:           8
        .value_kind:     hidden_hostcall_buffer
    .group_segment_fixed_size: 0
    .kernarg_segment_align: 8
    .kernarg_segment_size: 400
    .language:       OpenCL C
    .language_version:
      - 2
      - 0
    .max_flat_workgroup_size: 256
    .name:           _Z39paged_attention_ll4mi_QKV_mfma16_kernelIDF16_hLN4vllm18Fp8KVCacheDataTypeE1EhLi16ELi128ELi256ELb1ELi16EEvPKT_PKT0_S7_ifPKiS9_S9_iPKfiiiPfSC_PS2_PT2_iSB_SB_
    .private_segment_fixed_size: 64
    .sgpr_count:     36
    .sgpr_spill_count: 0
    .symbol:         _Z39paged_attention_ll4mi_QKV_mfma16_kernelIDF16_hLN4vllm18Fp8KVCacheDataTypeE1EhLi16ELi128ELi256ELb1ELi16EEvPKT_PKT0_S7_ifPKiS9_S9_iPKfiiiPfSC_PS2_PT2_iSB_SB_.kd
    .uniform_work_group_size: 1
    .uses_dynamic_stack: false
    .vgpr_count:     51
    .vgpr_spill_count: 0
    .wavefront_size: 32
  - .args:
      - .actual_access:  read_only
        .address_space:  global
        .offset:         0
        .size:           8
        .value_kind:     global_buffer
      - .actual_access:  read_only
        .address_space:  global
        .offset:         8
        .size:           8
        .value_kind:     global_buffer
      - .actual_access:  read_only
        .address_space:  global
        .offset:         16
        .size:           8
        .value_kind:     global_buffer
      - .offset:         24
        .size:           4
        .value_kind:     by_value
      - .offset:         28
        .size:           4
        .value_kind:     by_value
      - .actual_access:  read_only
        .address_space:  global
        .offset:         32
        .size:           8
        .value_kind:     global_buffer
      - .actual_access:  read_only
        .address_space:  global
        .offset:         40
        .size:           8
        .value_kind:     global_buffer
      - .actual_access:  read_only
        .address_space:  global
        .offset:         48
        .size:           8
        .value_kind:     global_buffer
      - .offset:         56
        .size:           4
        .value_kind:     by_value
      - .actual_access:  read_only
        .address_space:  global
        .offset:         64
        .size:           8
        .value_kind:     global_buffer
      - .offset:         72
        .size:           4
        .value_kind:     by_value
      - .offset:         76
        .size:           4
        .value_kind:     by_value
      - .offset:         80
        .size:           4
        .value_kind:     by_value
      - .actual_access:  read_only
        .address_space:  global
        .offset:         88
        .size:           8
        .value_kind:     global_buffer
      - .actual_access:  read_only
        .address_space:  global
        .offset:         96
        .size:           8
        .value_kind:     global_buffer
      - .actual_access:  read_only
        .address_space:  global
        .offset:         104
        .size:           8
        .value_kind:     global_buffer
      - .actual_access:  read_only
        .address_space:  global
        .offset:         112
        .size:           8
        .value_kind:     global_buffer
      - .offset:         120
        .size:           4
        .value_kind:     by_value
      - .address_space:  global
        .offset:         128
        .size:           8
        .value_kind:     global_buffer
      - .address_space:  global
        .offset:         136
        .size:           8
        .value_kind:     global_buffer
      - .offset:         144
        .size:           4
        .value_kind:     hidden_block_count_x
      - .offset:         148
        .size:           4
        .value_kind:     hidden_block_count_y
      - .offset:         152
        .size:           4
        .value_kind:     hidden_block_count_z
      - .offset:         156
        .size:           2
        .value_kind:     hidden_group_size_x
      - .offset:         158
        .size:           2
        .value_kind:     hidden_group_size_y
      - .offset:         160
        .size:           2
        .value_kind:     hidden_group_size_z
      - .offset:         162
        .size:           2
        .value_kind:     hidden_remainder_x
      - .offset:         164
        .size:           2
        .value_kind:     hidden_remainder_y
      - .offset:         166
        .size:           2
        .value_kind:     hidden_remainder_z
      - .offset:         184
        .size:           8
        .value_kind:     hidden_global_offset_x
      - .offset:         192
        .size:           8
        .value_kind:     hidden_global_offset_y
      - .offset:         200
        .size:           8
        .value_kind:     hidden_global_offset_z
      - .offset:         208
        .size:           2
        .value_kind:     hidden_grid_dims
      - .offset:         224
        .size:           8
        .value_kind:     hidden_hostcall_buffer
    .group_segment_fixed_size: 0
    .kernarg_segment_align: 8
    .kernarg_segment_size: 400
    .language:       OpenCL C
    .language_version:
      - 2
      - 0
    .max_flat_workgroup_size: 256
    .name:           _Z39paged_attention_ll4mi_QKV_mfma16_kernelIDF16_hLN4vllm18Fp8KVCacheDataTypeE1EhLi16ELi128ELi256ELb1ELi1EEvPKT_PKT0_S7_ifPKiS9_S9_iPKfiiiPfSC_PS2_PT2_iSB_SB_
    .private_segment_fixed_size: 64
    .sgpr_count:     36
    .sgpr_spill_count: 0
    .symbol:         _Z39paged_attention_ll4mi_QKV_mfma16_kernelIDF16_hLN4vllm18Fp8KVCacheDataTypeE1EhLi16ELi128ELi256ELb1ELi1EEvPKT_PKT0_S7_ifPKiS9_S9_iPKfiiiPfSC_PS2_PT2_iSB_SB_.kd
    .uniform_work_group_size: 1
    .uses_dynamic_stack: false
    .vgpr_count:     51
    .vgpr_spill_count: 0
    .wavefront_size: 32
  - .args:
      - .actual_access:  read_only
        .address_space:  global
        .offset:         0
        .size:           8
        .value_kind:     global_buffer
      - .actual_access:  read_only
        .address_space:  global
        .offset:         8
        .size:           8
        .value_kind:     global_buffer
      - .actual_access:  read_only
        .address_space:  global
        .offset:         16
        .size:           8
        .value_kind:     global_buffer
      - .offset:         24
        .size:           4
        .value_kind:     by_value
      - .offset:         28
        .size:           4
        .value_kind:     by_value
      - .actual_access:  read_only
        .address_space:  global
        .offset:         32
        .size:           8
        .value_kind:     global_buffer
      - .actual_access:  read_only
        .address_space:  global
        .offset:         40
        .size:           8
        .value_kind:     global_buffer
      - .actual_access:  read_only
        .address_space:  global
        .offset:         48
        .size:           8
        .value_kind:     global_buffer
      - .offset:         56
        .size:           4
        .value_kind:     by_value
      - .actual_access:  read_only
        .address_space:  global
        .offset:         64
        .size:           8
        .value_kind:     global_buffer
      - .offset:         72
        .size:           4
        .value_kind:     by_value
      - .offset:         76
        .size:           4
        .value_kind:     by_value
      - .offset:         80
        .size:           4
        .value_kind:     by_value
      - .actual_access:  read_only
        .address_space:  global
        .offset:         88
        .size:           8
        .value_kind:     global_buffer
      - .actual_access:  read_only
        .address_space:  global
        .offset:         96
        .size:           8
        .value_kind:     global_buffer
      - .actual_access:  read_only
        .address_space:  global
        .offset:         104
        .size:           8
        .value_kind:     global_buffer
      - .actual_access:  read_only
        .address_space:  global
        .offset:         112
        .size:           8
        .value_kind:     global_buffer
      - .offset:         120
        .size:           4
        .value_kind:     by_value
      - .address_space:  global
        .offset:         128
        .size:           8
        .value_kind:     global_buffer
      - .address_space:  global
        .offset:         136
        .size:           8
        .value_kind:     global_buffer
      - .offset:         144
        .size:           4
        .value_kind:     hidden_block_count_x
      - .offset:         148
        .size:           4
        .value_kind:     hidden_block_count_y
      - .offset:         152
        .size:           4
        .value_kind:     hidden_block_count_z
      - .offset:         156
        .size:           2
        .value_kind:     hidden_group_size_x
      - .offset:         158
        .size:           2
        .value_kind:     hidden_group_size_y
      - .offset:         160
        .size:           2
        .value_kind:     hidden_group_size_z
      - .offset:         162
        .size:           2
        .value_kind:     hidden_remainder_x
      - .offset:         164
        .size:           2
        .value_kind:     hidden_remainder_y
      - .offset:         166
        .size:           2
        .value_kind:     hidden_remainder_z
      - .offset:         184
        .size:           8
        .value_kind:     hidden_global_offset_x
      - .offset:         192
        .size:           8
        .value_kind:     hidden_global_offset_y
      - .offset:         200
        .size:           8
        .value_kind:     hidden_global_offset_z
      - .offset:         208
        .size:           2
        .value_kind:     hidden_grid_dims
      - .offset:         224
        .size:           8
        .value_kind:     hidden_hostcall_buffer
    .group_segment_fixed_size: 0
    .kernarg_segment_align: 8
    .kernarg_segment_size: 400
    .language:       OpenCL C
    .language_version:
      - 2
      - 0
    .max_flat_workgroup_size: 256
    .name:           _Z39paged_attention_ll4mi_QKV_mfma16_kernelIDF16_hLN4vllm18Fp8KVCacheDataTypeE1EhLi16ELi128ELi256ELb1ELi2EEvPKT_PKT0_S7_ifPKiS9_S9_iPKfiiiPfSC_PS2_PT2_iSB_SB_
    .private_segment_fixed_size: 64
    .sgpr_count:     36
    .sgpr_spill_count: 0
    .symbol:         _Z39paged_attention_ll4mi_QKV_mfma16_kernelIDF16_hLN4vllm18Fp8KVCacheDataTypeE1EhLi16ELi128ELi256ELb1ELi2EEvPKT_PKT0_S7_ifPKiS9_S9_iPKfiiiPfSC_PS2_PT2_iSB_SB_.kd
    .uniform_work_group_size: 1
    .uses_dynamic_stack: false
    .vgpr_count:     51
    .vgpr_spill_count: 0
    .wavefront_size: 32
  - .args:
      - .actual_access:  read_only
        .address_space:  global
        .offset:         0
        .size:           8
        .value_kind:     global_buffer
      - .actual_access:  read_only
        .address_space:  global
        .offset:         8
        .size:           8
        .value_kind:     global_buffer
      - .actual_access:  read_only
        .address_space:  global
        .offset:         16
        .size:           8
        .value_kind:     global_buffer
      - .offset:         24
        .size:           4
        .value_kind:     by_value
      - .offset:         28
        .size:           4
        .value_kind:     by_value
      - .actual_access:  read_only
        .address_space:  global
        .offset:         32
        .size:           8
        .value_kind:     global_buffer
      - .actual_access:  read_only
        .address_space:  global
        .offset:         40
        .size:           8
        .value_kind:     global_buffer
      - .actual_access:  read_only
        .address_space:  global
        .offset:         48
        .size:           8
        .value_kind:     global_buffer
      - .offset:         56
        .size:           4
        .value_kind:     by_value
      - .actual_access:  read_only
        .address_space:  global
        .offset:         64
        .size:           8
        .value_kind:     global_buffer
      - .offset:         72
        .size:           4
        .value_kind:     by_value
      - .offset:         76
        .size:           4
        .value_kind:     by_value
      - .offset:         80
        .size:           4
        .value_kind:     by_value
      - .actual_access:  read_only
        .address_space:  global
        .offset:         88
        .size:           8
        .value_kind:     global_buffer
      - .actual_access:  read_only
        .address_space:  global
        .offset:         96
        .size:           8
        .value_kind:     global_buffer
      - .actual_access:  read_only
        .address_space:  global
        .offset:         104
        .size:           8
        .value_kind:     global_buffer
      - .actual_access:  read_only
        .address_space:  global
        .offset:         112
        .size:           8
        .value_kind:     global_buffer
      - .offset:         120
        .size:           4
        .value_kind:     by_value
      - .address_space:  global
        .offset:         128
        .size:           8
        .value_kind:     global_buffer
      - .address_space:  global
        .offset:         136
        .size:           8
        .value_kind:     global_buffer
      - .offset:         144
        .size:           4
        .value_kind:     hidden_block_count_x
      - .offset:         148
        .size:           4
        .value_kind:     hidden_block_count_y
      - .offset:         152
        .size:           4
        .value_kind:     hidden_block_count_z
      - .offset:         156
        .size:           2
        .value_kind:     hidden_group_size_x
      - .offset:         158
        .size:           2
        .value_kind:     hidden_group_size_y
      - .offset:         160
        .size:           2
        .value_kind:     hidden_group_size_z
      - .offset:         162
        .size:           2
        .value_kind:     hidden_remainder_x
      - .offset:         164
        .size:           2
        .value_kind:     hidden_remainder_y
      - .offset:         166
        .size:           2
        .value_kind:     hidden_remainder_z
      - .offset:         184
        .size:           8
        .value_kind:     hidden_global_offset_x
      - .offset:         192
        .size:           8
        .value_kind:     hidden_global_offset_y
      - .offset:         200
        .size:           8
        .value_kind:     hidden_global_offset_z
      - .offset:         208
        .size:           2
        .value_kind:     hidden_grid_dims
      - .offset:         224
        .size:           8
        .value_kind:     hidden_hostcall_buffer
    .group_segment_fixed_size: 0
    .kernarg_segment_align: 8
    .kernarg_segment_size: 400
    .language:       OpenCL C
    .language_version:
      - 2
      - 0
    .max_flat_workgroup_size: 256
    .name:           _Z39paged_attention_ll4mi_QKV_mfma16_kernelIDF16_hLN4vllm18Fp8KVCacheDataTypeE1EhLi16ELi128ELi256ELb1ELi3EEvPKT_PKT0_S7_ifPKiS9_S9_iPKfiiiPfSC_PS2_PT2_iSB_SB_
    .private_segment_fixed_size: 64
    .sgpr_count:     36
    .sgpr_spill_count: 0
    .symbol:         _Z39paged_attention_ll4mi_QKV_mfma16_kernelIDF16_hLN4vllm18Fp8KVCacheDataTypeE1EhLi16ELi128ELi256ELb1ELi3EEvPKT_PKT0_S7_ifPKiS9_S9_iPKfiiiPfSC_PS2_PT2_iSB_SB_.kd
    .uniform_work_group_size: 1
    .uses_dynamic_stack: false
    .vgpr_count:     51
    .vgpr_spill_count: 0
    .wavefront_size: 32
  - .args:
      - .actual_access:  read_only
        .address_space:  global
        .offset:         0
        .size:           8
        .value_kind:     global_buffer
      - .actual_access:  read_only
        .address_space:  global
        .offset:         8
        .size:           8
        .value_kind:     global_buffer
      - .actual_access:  read_only
        .address_space:  global
        .offset:         16
        .size:           8
        .value_kind:     global_buffer
      - .offset:         24
        .size:           4
        .value_kind:     by_value
      - .offset:         28
        .size:           4
        .value_kind:     by_value
      - .actual_access:  read_only
        .address_space:  global
        .offset:         32
        .size:           8
        .value_kind:     global_buffer
      - .actual_access:  read_only
        .address_space:  global
        .offset:         40
        .size:           8
        .value_kind:     global_buffer
      - .actual_access:  read_only
        .address_space:  global
        .offset:         48
        .size:           8
        .value_kind:     global_buffer
      - .offset:         56
        .size:           4
        .value_kind:     by_value
      - .actual_access:  read_only
        .address_space:  global
        .offset:         64
        .size:           8
        .value_kind:     global_buffer
      - .offset:         72
        .size:           4
        .value_kind:     by_value
      - .offset:         76
        .size:           4
        .value_kind:     by_value
      - .offset:         80
        .size:           4
        .value_kind:     by_value
      - .actual_access:  read_only
        .address_space:  global
        .offset:         88
        .size:           8
        .value_kind:     global_buffer
      - .actual_access:  read_only
        .address_space:  global
        .offset:         96
        .size:           8
        .value_kind:     global_buffer
      - .actual_access:  read_only
        .address_space:  global
        .offset:         104
        .size:           8
        .value_kind:     global_buffer
      - .actual_access:  read_only
        .address_space:  global
        .offset:         112
        .size:           8
        .value_kind:     global_buffer
      - .offset:         120
        .size:           4
        .value_kind:     by_value
      - .address_space:  global
        .offset:         128
        .size:           8
        .value_kind:     global_buffer
      - .address_space:  global
        .offset:         136
        .size:           8
        .value_kind:     global_buffer
      - .offset:         144
        .size:           4
        .value_kind:     hidden_block_count_x
      - .offset:         148
        .size:           4
        .value_kind:     hidden_block_count_y
      - .offset:         152
        .size:           4
        .value_kind:     hidden_block_count_z
      - .offset:         156
        .size:           2
        .value_kind:     hidden_group_size_x
      - .offset:         158
        .size:           2
        .value_kind:     hidden_group_size_y
      - .offset:         160
        .size:           2
        .value_kind:     hidden_group_size_z
      - .offset:         162
        .size:           2
        .value_kind:     hidden_remainder_x
      - .offset:         164
        .size:           2
        .value_kind:     hidden_remainder_y
      - .offset:         166
        .size:           2
        .value_kind:     hidden_remainder_z
      - .offset:         184
        .size:           8
        .value_kind:     hidden_global_offset_x
      - .offset:         192
        .size:           8
        .value_kind:     hidden_global_offset_y
      - .offset:         200
        .size:           8
        .value_kind:     hidden_global_offset_z
      - .offset:         208
        .size:           2
        .value_kind:     hidden_grid_dims
      - .offset:         224
        .size:           8
        .value_kind:     hidden_hostcall_buffer
    .group_segment_fixed_size: 0
    .kernarg_segment_align: 8
    .kernarg_segment_size: 400
    .language:       OpenCL C
    .language_version:
      - 2
      - 0
    .max_flat_workgroup_size: 256
    .name:           _Z39paged_attention_ll4mi_QKV_mfma16_kernelIDF16_hLN4vllm18Fp8KVCacheDataTypeE1EhLi16ELi128ELi256ELb1ELi4EEvPKT_PKT0_S7_ifPKiS9_S9_iPKfiiiPfSC_PS2_PT2_iSB_SB_
    .private_segment_fixed_size: 64
    .sgpr_count:     36
    .sgpr_spill_count: 0
    .symbol:         _Z39paged_attention_ll4mi_QKV_mfma16_kernelIDF16_hLN4vllm18Fp8KVCacheDataTypeE1EhLi16ELi128ELi256ELb1ELi4EEvPKT_PKT0_S7_ifPKiS9_S9_iPKfiiiPfSC_PS2_PT2_iSB_SB_.kd
    .uniform_work_group_size: 1
    .uses_dynamic_stack: false
    .vgpr_count:     51
    .vgpr_spill_count: 0
    .wavefront_size: 32
  - .args:
      - .actual_access:  read_only
        .address_space:  global
        .offset:         0
        .size:           8
        .value_kind:     global_buffer
      - .actual_access:  read_only
        .address_space:  global
        .offset:         8
        .size:           8
        .value_kind:     global_buffer
      - .actual_access:  read_only
        .address_space:  global
        .offset:         16
        .size:           8
        .value_kind:     global_buffer
      - .offset:         24
        .size:           4
        .value_kind:     by_value
      - .offset:         28
        .size:           4
        .value_kind:     by_value
      - .actual_access:  read_only
        .address_space:  global
        .offset:         32
        .size:           8
        .value_kind:     global_buffer
      - .actual_access:  read_only
        .address_space:  global
        .offset:         40
        .size:           8
        .value_kind:     global_buffer
      - .actual_access:  read_only
        .address_space:  global
        .offset:         48
        .size:           8
        .value_kind:     global_buffer
      - .offset:         56
        .size:           4
        .value_kind:     by_value
      - .actual_access:  read_only
        .address_space:  global
        .offset:         64
        .size:           8
        .value_kind:     global_buffer
      - .offset:         72
        .size:           4
        .value_kind:     by_value
      - .offset:         76
        .size:           4
        .value_kind:     by_value
      - .offset:         80
        .size:           4
        .value_kind:     by_value
      - .actual_access:  read_only
        .address_space:  global
        .offset:         88
        .size:           8
        .value_kind:     global_buffer
      - .actual_access:  read_only
        .address_space:  global
        .offset:         96
        .size:           8
        .value_kind:     global_buffer
      - .actual_access:  read_only
        .address_space:  global
        .offset:         104
        .size:           8
        .value_kind:     global_buffer
      - .actual_access:  read_only
        .address_space:  global
        .offset:         112
        .size:           8
        .value_kind:     global_buffer
      - .offset:         120
        .size:           4
        .value_kind:     by_value
      - .address_space:  global
        .offset:         128
        .size:           8
        .value_kind:     global_buffer
      - .address_space:  global
        .offset:         136
        .size:           8
        .value_kind:     global_buffer
      - .offset:         144
        .size:           4
        .value_kind:     hidden_block_count_x
      - .offset:         148
        .size:           4
        .value_kind:     hidden_block_count_y
      - .offset:         152
        .size:           4
        .value_kind:     hidden_block_count_z
      - .offset:         156
        .size:           2
        .value_kind:     hidden_group_size_x
      - .offset:         158
        .size:           2
        .value_kind:     hidden_group_size_y
      - .offset:         160
        .size:           2
        .value_kind:     hidden_group_size_z
      - .offset:         162
        .size:           2
        .value_kind:     hidden_remainder_x
      - .offset:         164
        .size:           2
        .value_kind:     hidden_remainder_y
      - .offset:         166
        .size:           2
        .value_kind:     hidden_remainder_z
      - .offset:         184
        .size:           8
        .value_kind:     hidden_global_offset_x
      - .offset:         192
        .size:           8
        .value_kind:     hidden_global_offset_y
      - .offset:         200
        .size:           8
        .value_kind:     hidden_global_offset_z
      - .offset:         208
        .size:           2
        .value_kind:     hidden_grid_dims
      - .offset:         224
        .size:           8
        .value_kind:     hidden_hostcall_buffer
    .group_segment_fixed_size: 0
    .kernarg_segment_align: 8
    .kernarg_segment_size: 400
    .language:       OpenCL C
    .language_version:
      - 2
      - 0
    .max_flat_workgroup_size: 256
    .name:           _Z38paged_attention_ll4mi_QKV_mfma4_kernelIDF16_hLN4vllm18Fp8KVCacheDataTypeE1EhLi16ELi128ELi256ELb0ELi1EEvPKT_PKT0_S7_ifPKiS9_S9_iPKfiiiPfSC_PS2_PT2_iSB_SB_
    .private_segment_fixed_size: 64
    .sgpr_count:     36
    .sgpr_spill_count: 0
    .symbol:         _Z38paged_attention_ll4mi_QKV_mfma4_kernelIDF16_hLN4vllm18Fp8KVCacheDataTypeE1EhLi16ELi128ELi256ELb0ELi1EEvPKT_PKT0_S7_ifPKiS9_S9_iPKfiiiPfSC_PS2_PT2_iSB_SB_.kd
    .uniform_work_group_size: 1
    .uses_dynamic_stack: false
    .vgpr_count:     51
    .vgpr_spill_count: 0
    .wavefront_size: 32
  - .args:
      - .actual_access:  read_only
        .address_space:  global
        .offset:         0
        .size:           8
        .value_kind:     global_buffer
      - .actual_access:  read_only
        .address_space:  global
        .offset:         8
        .size:           8
        .value_kind:     global_buffer
      - .actual_access:  read_only
        .address_space:  global
        .offset:         16
        .size:           8
        .value_kind:     global_buffer
      - .offset:         24
        .size:           4
        .value_kind:     by_value
      - .offset:         28
        .size:           4
        .value_kind:     by_value
      - .actual_access:  read_only
        .address_space:  global
        .offset:         32
        .size:           8
        .value_kind:     global_buffer
      - .actual_access:  read_only
        .address_space:  global
        .offset:         40
        .size:           8
        .value_kind:     global_buffer
      - .actual_access:  read_only
        .address_space:  global
        .offset:         48
        .size:           8
        .value_kind:     global_buffer
      - .offset:         56
        .size:           4
        .value_kind:     by_value
      - .actual_access:  read_only
        .address_space:  global
        .offset:         64
        .size:           8
        .value_kind:     global_buffer
      - .offset:         72
        .size:           4
        .value_kind:     by_value
      - .offset:         76
        .size:           4
        .value_kind:     by_value
      - .offset:         80
        .size:           4
        .value_kind:     by_value
      - .actual_access:  read_only
        .address_space:  global
        .offset:         88
        .size:           8
        .value_kind:     global_buffer
      - .actual_access:  read_only
        .address_space:  global
        .offset:         96
        .size:           8
        .value_kind:     global_buffer
      - .actual_access:  read_only
        .address_space:  global
        .offset:         104
        .size:           8
        .value_kind:     global_buffer
      - .actual_access:  read_only
        .address_space:  global
        .offset:         112
        .size:           8
        .value_kind:     global_buffer
      - .offset:         120
        .size:           4
        .value_kind:     by_value
      - .address_space:  global
        .offset:         128
        .size:           8
        .value_kind:     global_buffer
      - .address_space:  global
        .offset:         136
        .size:           8
        .value_kind:     global_buffer
      - .offset:         144
        .size:           4
        .value_kind:     hidden_block_count_x
      - .offset:         148
        .size:           4
        .value_kind:     hidden_block_count_y
      - .offset:         152
        .size:           4
        .value_kind:     hidden_block_count_z
      - .offset:         156
        .size:           2
        .value_kind:     hidden_group_size_x
      - .offset:         158
        .size:           2
        .value_kind:     hidden_group_size_y
      - .offset:         160
        .size:           2
        .value_kind:     hidden_group_size_z
      - .offset:         162
        .size:           2
        .value_kind:     hidden_remainder_x
      - .offset:         164
        .size:           2
        .value_kind:     hidden_remainder_y
      - .offset:         166
        .size:           2
        .value_kind:     hidden_remainder_z
      - .offset:         184
        .size:           8
        .value_kind:     hidden_global_offset_x
      - .offset:         192
        .size:           8
        .value_kind:     hidden_global_offset_y
      - .offset:         200
        .size:           8
        .value_kind:     hidden_global_offset_z
      - .offset:         208
        .size:           2
        .value_kind:     hidden_grid_dims
      - .offset:         224
        .size:           8
        .value_kind:     hidden_hostcall_buffer
    .group_segment_fixed_size: 0
    .kernarg_segment_align: 8
    .kernarg_segment_size: 400
    .language:       OpenCL C
    .language_version:
      - 2
      - 0
    .max_flat_workgroup_size: 256
    .name:           _Z38paged_attention_ll4mi_QKV_mfma4_kernelIDF16_hLN4vllm18Fp8KVCacheDataTypeE1EhLi16ELi128ELi256ELb0ELi2EEvPKT_PKT0_S7_ifPKiS9_S9_iPKfiiiPfSC_PS2_PT2_iSB_SB_
    .private_segment_fixed_size: 64
    .sgpr_count:     36
    .sgpr_spill_count: 0
    .symbol:         _Z38paged_attention_ll4mi_QKV_mfma4_kernelIDF16_hLN4vllm18Fp8KVCacheDataTypeE1EhLi16ELi128ELi256ELb0ELi2EEvPKT_PKT0_S7_ifPKiS9_S9_iPKfiiiPfSC_PS2_PT2_iSB_SB_.kd
    .uniform_work_group_size: 1
    .uses_dynamic_stack: false
    .vgpr_count:     51
    .vgpr_spill_count: 0
    .wavefront_size: 32
  - .args:
      - .actual_access:  read_only
        .address_space:  global
        .offset:         0
        .size:           8
        .value_kind:     global_buffer
      - .actual_access:  read_only
        .address_space:  global
        .offset:         8
        .size:           8
        .value_kind:     global_buffer
      - .actual_access:  read_only
        .address_space:  global
        .offset:         16
        .size:           8
        .value_kind:     global_buffer
      - .offset:         24
        .size:           4
        .value_kind:     by_value
      - .offset:         28
        .size:           4
        .value_kind:     by_value
      - .actual_access:  read_only
        .address_space:  global
        .offset:         32
        .size:           8
        .value_kind:     global_buffer
      - .actual_access:  read_only
        .address_space:  global
        .offset:         40
        .size:           8
        .value_kind:     global_buffer
      - .actual_access:  read_only
        .address_space:  global
        .offset:         48
        .size:           8
        .value_kind:     global_buffer
      - .offset:         56
        .size:           4
        .value_kind:     by_value
      - .actual_access:  read_only
        .address_space:  global
        .offset:         64
        .size:           8
        .value_kind:     global_buffer
      - .offset:         72
        .size:           4
        .value_kind:     by_value
      - .offset:         76
        .size:           4
        .value_kind:     by_value
      - .offset:         80
        .size:           4
        .value_kind:     by_value
      - .actual_access:  read_only
        .address_space:  global
        .offset:         88
        .size:           8
        .value_kind:     global_buffer
      - .actual_access:  read_only
        .address_space:  global
        .offset:         96
        .size:           8
        .value_kind:     global_buffer
      - .actual_access:  read_only
        .address_space:  global
        .offset:         104
        .size:           8
        .value_kind:     global_buffer
      - .actual_access:  read_only
        .address_space:  global
        .offset:         112
        .size:           8
        .value_kind:     global_buffer
      - .offset:         120
        .size:           4
        .value_kind:     by_value
      - .address_space:  global
        .offset:         128
        .size:           8
        .value_kind:     global_buffer
      - .address_space:  global
        .offset:         136
        .size:           8
        .value_kind:     global_buffer
      - .offset:         144
        .size:           4
        .value_kind:     hidden_block_count_x
      - .offset:         148
        .size:           4
        .value_kind:     hidden_block_count_y
      - .offset:         152
        .size:           4
        .value_kind:     hidden_block_count_z
      - .offset:         156
        .size:           2
        .value_kind:     hidden_group_size_x
      - .offset:         158
        .size:           2
        .value_kind:     hidden_group_size_y
      - .offset:         160
        .size:           2
        .value_kind:     hidden_group_size_z
      - .offset:         162
        .size:           2
        .value_kind:     hidden_remainder_x
      - .offset:         164
        .size:           2
        .value_kind:     hidden_remainder_y
      - .offset:         166
        .size:           2
        .value_kind:     hidden_remainder_z
      - .offset:         184
        .size:           8
        .value_kind:     hidden_global_offset_x
      - .offset:         192
        .size:           8
        .value_kind:     hidden_global_offset_y
      - .offset:         200
        .size:           8
        .value_kind:     hidden_global_offset_z
      - .offset:         208
        .size:           2
        .value_kind:     hidden_grid_dims
      - .offset:         224
        .size:           8
        .value_kind:     hidden_hostcall_buffer
    .group_segment_fixed_size: 0
    .kernarg_segment_align: 8
    .kernarg_segment_size: 400
    .language:       OpenCL C
    .language_version:
      - 2
      - 0
    .max_flat_workgroup_size: 256
    .name:           _Z38paged_attention_ll4mi_QKV_mfma4_kernelIDF16_hLN4vllm18Fp8KVCacheDataTypeE1EhLi16ELi128ELi256ELb0ELi3EEvPKT_PKT0_S7_ifPKiS9_S9_iPKfiiiPfSC_PS2_PT2_iSB_SB_
    .private_segment_fixed_size: 64
    .sgpr_count:     36
    .sgpr_spill_count: 0
    .symbol:         _Z38paged_attention_ll4mi_QKV_mfma4_kernelIDF16_hLN4vllm18Fp8KVCacheDataTypeE1EhLi16ELi128ELi256ELb0ELi3EEvPKT_PKT0_S7_ifPKiS9_S9_iPKfiiiPfSC_PS2_PT2_iSB_SB_.kd
    .uniform_work_group_size: 1
    .uses_dynamic_stack: false
    .vgpr_count:     51
    .vgpr_spill_count: 0
    .wavefront_size: 32
  - .args:
      - .actual_access:  read_only
        .address_space:  global
        .offset:         0
        .size:           8
        .value_kind:     global_buffer
      - .actual_access:  read_only
        .address_space:  global
        .offset:         8
        .size:           8
        .value_kind:     global_buffer
      - .actual_access:  read_only
        .address_space:  global
        .offset:         16
        .size:           8
        .value_kind:     global_buffer
      - .offset:         24
        .size:           4
        .value_kind:     by_value
      - .offset:         28
        .size:           4
        .value_kind:     by_value
      - .actual_access:  read_only
        .address_space:  global
        .offset:         32
        .size:           8
        .value_kind:     global_buffer
      - .actual_access:  read_only
        .address_space:  global
        .offset:         40
        .size:           8
        .value_kind:     global_buffer
      - .actual_access:  read_only
        .address_space:  global
        .offset:         48
        .size:           8
        .value_kind:     global_buffer
      - .offset:         56
        .size:           4
        .value_kind:     by_value
      - .actual_access:  read_only
        .address_space:  global
        .offset:         64
        .size:           8
        .value_kind:     global_buffer
      - .offset:         72
        .size:           4
        .value_kind:     by_value
      - .offset:         76
        .size:           4
        .value_kind:     by_value
      - .offset:         80
        .size:           4
        .value_kind:     by_value
      - .actual_access:  read_only
        .address_space:  global
        .offset:         88
        .size:           8
        .value_kind:     global_buffer
      - .actual_access:  read_only
        .address_space:  global
        .offset:         96
        .size:           8
        .value_kind:     global_buffer
      - .actual_access:  read_only
        .address_space:  global
        .offset:         104
        .size:           8
        .value_kind:     global_buffer
      - .actual_access:  read_only
        .address_space:  global
        .offset:         112
        .size:           8
        .value_kind:     global_buffer
      - .offset:         120
        .size:           4
        .value_kind:     by_value
      - .address_space:  global
        .offset:         128
        .size:           8
        .value_kind:     global_buffer
      - .address_space:  global
        .offset:         136
        .size:           8
        .value_kind:     global_buffer
      - .offset:         144
        .size:           4
        .value_kind:     hidden_block_count_x
      - .offset:         148
        .size:           4
        .value_kind:     hidden_block_count_y
      - .offset:         152
        .size:           4
        .value_kind:     hidden_block_count_z
      - .offset:         156
        .size:           2
        .value_kind:     hidden_group_size_x
      - .offset:         158
        .size:           2
        .value_kind:     hidden_group_size_y
      - .offset:         160
        .size:           2
        .value_kind:     hidden_group_size_z
      - .offset:         162
        .size:           2
        .value_kind:     hidden_remainder_x
      - .offset:         164
        .size:           2
        .value_kind:     hidden_remainder_y
      - .offset:         166
        .size:           2
        .value_kind:     hidden_remainder_z
      - .offset:         184
        .size:           8
        .value_kind:     hidden_global_offset_x
      - .offset:         192
        .size:           8
        .value_kind:     hidden_global_offset_y
      - .offset:         200
        .size:           8
        .value_kind:     hidden_global_offset_z
      - .offset:         208
        .size:           2
        .value_kind:     hidden_grid_dims
      - .offset:         224
        .size:           8
        .value_kind:     hidden_hostcall_buffer
    .group_segment_fixed_size: 0
    .kernarg_segment_align: 8
    .kernarg_segment_size: 400
    .language:       OpenCL C
    .language_version:
      - 2
      - 0
    .max_flat_workgroup_size: 256
    .name:           _Z38paged_attention_ll4mi_QKV_mfma4_kernelIDF16_hLN4vllm18Fp8KVCacheDataTypeE1EhLi16ELi128ELi256ELb0ELi4EEvPKT_PKT0_S7_ifPKiS9_S9_iPKfiiiPfSC_PS2_PT2_iSB_SB_
    .private_segment_fixed_size: 64
    .sgpr_count:     36
    .sgpr_spill_count: 0
    .symbol:         _Z38paged_attention_ll4mi_QKV_mfma4_kernelIDF16_hLN4vllm18Fp8KVCacheDataTypeE1EhLi16ELi128ELi256ELb0ELi4EEvPKT_PKT0_S7_ifPKiS9_S9_iPKfiiiPfSC_PS2_PT2_iSB_SB_.kd
    .uniform_work_group_size: 1
    .uses_dynamic_stack: false
    .vgpr_count:     51
    .vgpr_spill_count: 0
    .wavefront_size: 32
  - .args:
      - .actual_access:  read_only
        .address_space:  global
        .offset:         0
        .size:           8
        .value_kind:     global_buffer
      - .actual_access:  read_only
        .address_space:  global
        .offset:         8
        .size:           8
        .value_kind:     global_buffer
      - .actual_access:  read_only
        .address_space:  global
        .offset:         16
        .size:           8
        .value_kind:     global_buffer
      - .offset:         24
        .size:           4
        .value_kind:     by_value
      - .offset:         28
        .size:           4
        .value_kind:     by_value
      - .actual_access:  read_only
        .address_space:  global
        .offset:         32
        .size:           8
        .value_kind:     global_buffer
      - .actual_access:  read_only
        .address_space:  global
        .offset:         40
        .size:           8
        .value_kind:     global_buffer
      - .actual_access:  read_only
        .address_space:  global
        .offset:         48
        .size:           8
        .value_kind:     global_buffer
      - .offset:         56
        .size:           4
        .value_kind:     by_value
      - .actual_access:  read_only
        .address_space:  global
        .offset:         64
        .size:           8
        .value_kind:     global_buffer
      - .offset:         72
        .size:           4
        .value_kind:     by_value
      - .offset:         76
        .size:           4
        .value_kind:     by_value
      - .offset:         80
        .size:           4
        .value_kind:     by_value
      - .actual_access:  read_only
        .address_space:  global
        .offset:         88
        .size:           8
        .value_kind:     global_buffer
      - .actual_access:  read_only
        .address_space:  global
        .offset:         96
        .size:           8
        .value_kind:     global_buffer
      - .actual_access:  read_only
        .address_space:  global
        .offset:         104
        .size:           8
        .value_kind:     global_buffer
      - .actual_access:  read_only
        .address_space:  global
        .offset:         112
        .size:           8
        .value_kind:     global_buffer
      - .offset:         120
        .size:           4
        .value_kind:     by_value
      - .address_space:  global
        .offset:         128
        .size:           8
        .value_kind:     global_buffer
      - .address_space:  global
        .offset:         136
        .size:           8
        .value_kind:     global_buffer
      - .offset:         144
        .size:           4
        .value_kind:     hidden_block_count_x
      - .offset:         148
        .size:           4
        .value_kind:     hidden_block_count_y
      - .offset:         152
        .size:           4
        .value_kind:     hidden_block_count_z
      - .offset:         156
        .size:           2
        .value_kind:     hidden_group_size_x
      - .offset:         158
        .size:           2
        .value_kind:     hidden_group_size_y
      - .offset:         160
        .size:           2
        .value_kind:     hidden_group_size_z
      - .offset:         162
        .size:           2
        .value_kind:     hidden_remainder_x
      - .offset:         164
        .size:           2
        .value_kind:     hidden_remainder_y
      - .offset:         166
        .size:           2
        .value_kind:     hidden_remainder_z
      - .offset:         184
        .size:           8
        .value_kind:     hidden_global_offset_x
      - .offset:         192
        .size:           8
        .value_kind:     hidden_global_offset_y
      - .offset:         200
        .size:           8
        .value_kind:     hidden_global_offset_z
      - .offset:         208
        .size:           2
        .value_kind:     hidden_grid_dims
      - .offset:         224
        .size:           8
        .value_kind:     hidden_hostcall_buffer
    .group_segment_fixed_size: 0
    .kernarg_segment_align: 8
    .kernarg_segment_size: 400
    .language:       OpenCL C
    .language_version:
      - 2
      - 0
    .max_flat_workgroup_size: 256
    .name:           _Z39paged_attention_ll4mi_QKV_mfma16_kernelIDF16_hLN4vllm18Fp8KVCacheDataTypeE1EhLi16ELi128ELi256ELb0ELi5EEvPKT_PKT0_S7_ifPKiS9_S9_iPKfiiiPfSC_PS2_PT2_iSB_SB_
    .private_segment_fixed_size: 64
    .sgpr_count:     36
    .sgpr_spill_count: 0
    .symbol:         _Z39paged_attention_ll4mi_QKV_mfma16_kernelIDF16_hLN4vllm18Fp8KVCacheDataTypeE1EhLi16ELi128ELi256ELb0ELi5EEvPKT_PKT0_S7_ifPKiS9_S9_iPKfiiiPfSC_PS2_PT2_iSB_SB_.kd
    .uniform_work_group_size: 1
    .uses_dynamic_stack: false
    .vgpr_count:     51
    .vgpr_spill_count: 0
    .wavefront_size: 32
  - .args:
      - .actual_access:  read_only
        .address_space:  global
        .offset:         0
        .size:           8
        .value_kind:     global_buffer
      - .actual_access:  read_only
        .address_space:  global
        .offset:         8
        .size:           8
        .value_kind:     global_buffer
      - .actual_access:  read_only
        .address_space:  global
        .offset:         16
        .size:           8
        .value_kind:     global_buffer
      - .offset:         24
        .size:           4
        .value_kind:     by_value
      - .offset:         28
        .size:           4
        .value_kind:     by_value
      - .actual_access:  read_only
        .address_space:  global
        .offset:         32
        .size:           8
        .value_kind:     global_buffer
      - .actual_access:  read_only
        .address_space:  global
        .offset:         40
        .size:           8
        .value_kind:     global_buffer
      - .actual_access:  read_only
        .address_space:  global
        .offset:         48
        .size:           8
        .value_kind:     global_buffer
      - .offset:         56
        .size:           4
        .value_kind:     by_value
      - .actual_access:  read_only
        .address_space:  global
        .offset:         64
        .size:           8
        .value_kind:     global_buffer
      - .offset:         72
        .size:           4
        .value_kind:     by_value
      - .offset:         76
        .size:           4
        .value_kind:     by_value
      - .offset:         80
        .size:           4
        .value_kind:     by_value
      - .actual_access:  read_only
        .address_space:  global
        .offset:         88
        .size:           8
        .value_kind:     global_buffer
      - .actual_access:  read_only
        .address_space:  global
        .offset:         96
        .size:           8
        .value_kind:     global_buffer
      - .actual_access:  read_only
        .address_space:  global
        .offset:         104
        .size:           8
        .value_kind:     global_buffer
      - .actual_access:  read_only
        .address_space:  global
        .offset:         112
        .size:           8
        .value_kind:     global_buffer
      - .offset:         120
        .size:           4
        .value_kind:     by_value
      - .address_space:  global
        .offset:         128
        .size:           8
        .value_kind:     global_buffer
      - .address_space:  global
        .offset:         136
        .size:           8
        .value_kind:     global_buffer
      - .offset:         144
        .size:           4
        .value_kind:     hidden_block_count_x
      - .offset:         148
        .size:           4
        .value_kind:     hidden_block_count_y
      - .offset:         152
        .size:           4
        .value_kind:     hidden_block_count_z
      - .offset:         156
        .size:           2
        .value_kind:     hidden_group_size_x
      - .offset:         158
        .size:           2
        .value_kind:     hidden_group_size_y
      - .offset:         160
        .size:           2
        .value_kind:     hidden_group_size_z
      - .offset:         162
        .size:           2
        .value_kind:     hidden_remainder_x
      - .offset:         164
        .size:           2
        .value_kind:     hidden_remainder_y
      - .offset:         166
        .size:           2
        .value_kind:     hidden_remainder_z
      - .offset:         184
        .size:           8
        .value_kind:     hidden_global_offset_x
      - .offset:         192
        .size:           8
        .value_kind:     hidden_global_offset_y
      - .offset:         200
        .size:           8
        .value_kind:     hidden_global_offset_z
      - .offset:         208
        .size:           2
        .value_kind:     hidden_grid_dims
      - .offset:         224
        .size:           8
        .value_kind:     hidden_hostcall_buffer
    .group_segment_fixed_size: 0
    .kernarg_segment_align: 8
    .kernarg_segment_size: 400
    .language:       OpenCL C
    .language_version:
      - 2
      - 0
    .max_flat_workgroup_size: 256
    .name:           _Z39paged_attention_ll4mi_QKV_mfma16_kernelIDF16_hLN4vllm18Fp8KVCacheDataTypeE1EhLi16ELi128ELi256ELb0ELi6EEvPKT_PKT0_S7_ifPKiS9_S9_iPKfiiiPfSC_PS2_PT2_iSB_SB_
    .private_segment_fixed_size: 64
    .sgpr_count:     36
    .sgpr_spill_count: 0
    .symbol:         _Z39paged_attention_ll4mi_QKV_mfma16_kernelIDF16_hLN4vllm18Fp8KVCacheDataTypeE1EhLi16ELi128ELi256ELb0ELi6EEvPKT_PKT0_S7_ifPKiS9_S9_iPKfiiiPfSC_PS2_PT2_iSB_SB_.kd
    .uniform_work_group_size: 1
    .uses_dynamic_stack: false
    .vgpr_count:     51
    .vgpr_spill_count: 0
    .wavefront_size: 32
  - .args:
      - .actual_access:  read_only
        .address_space:  global
        .offset:         0
        .size:           8
        .value_kind:     global_buffer
      - .actual_access:  read_only
        .address_space:  global
        .offset:         8
        .size:           8
        .value_kind:     global_buffer
      - .actual_access:  read_only
        .address_space:  global
        .offset:         16
        .size:           8
        .value_kind:     global_buffer
      - .offset:         24
        .size:           4
        .value_kind:     by_value
      - .offset:         28
        .size:           4
        .value_kind:     by_value
      - .actual_access:  read_only
        .address_space:  global
        .offset:         32
        .size:           8
        .value_kind:     global_buffer
      - .actual_access:  read_only
        .address_space:  global
        .offset:         40
        .size:           8
        .value_kind:     global_buffer
      - .actual_access:  read_only
        .address_space:  global
        .offset:         48
        .size:           8
        .value_kind:     global_buffer
      - .offset:         56
        .size:           4
        .value_kind:     by_value
      - .actual_access:  read_only
        .address_space:  global
        .offset:         64
        .size:           8
        .value_kind:     global_buffer
      - .offset:         72
        .size:           4
        .value_kind:     by_value
      - .offset:         76
        .size:           4
        .value_kind:     by_value
      - .offset:         80
        .size:           4
        .value_kind:     by_value
      - .actual_access:  read_only
        .address_space:  global
        .offset:         88
        .size:           8
        .value_kind:     global_buffer
      - .actual_access:  read_only
        .address_space:  global
        .offset:         96
        .size:           8
        .value_kind:     global_buffer
      - .actual_access:  read_only
        .address_space:  global
        .offset:         104
        .size:           8
        .value_kind:     global_buffer
      - .actual_access:  read_only
        .address_space:  global
        .offset:         112
        .size:           8
        .value_kind:     global_buffer
      - .offset:         120
        .size:           4
        .value_kind:     by_value
      - .address_space:  global
        .offset:         128
        .size:           8
        .value_kind:     global_buffer
      - .address_space:  global
        .offset:         136
        .size:           8
        .value_kind:     global_buffer
      - .offset:         144
        .size:           4
        .value_kind:     hidden_block_count_x
      - .offset:         148
        .size:           4
        .value_kind:     hidden_block_count_y
      - .offset:         152
        .size:           4
        .value_kind:     hidden_block_count_z
      - .offset:         156
        .size:           2
        .value_kind:     hidden_group_size_x
      - .offset:         158
        .size:           2
        .value_kind:     hidden_group_size_y
      - .offset:         160
        .size:           2
        .value_kind:     hidden_group_size_z
      - .offset:         162
        .size:           2
        .value_kind:     hidden_remainder_x
      - .offset:         164
        .size:           2
        .value_kind:     hidden_remainder_y
      - .offset:         166
        .size:           2
        .value_kind:     hidden_remainder_z
      - .offset:         184
        .size:           8
        .value_kind:     hidden_global_offset_x
      - .offset:         192
        .size:           8
        .value_kind:     hidden_global_offset_y
      - .offset:         200
        .size:           8
        .value_kind:     hidden_global_offset_z
      - .offset:         208
        .size:           2
        .value_kind:     hidden_grid_dims
      - .offset:         224
        .size:           8
        .value_kind:     hidden_hostcall_buffer
    .group_segment_fixed_size: 0
    .kernarg_segment_align: 8
    .kernarg_segment_size: 400
    .language:       OpenCL C
    .language_version:
      - 2
      - 0
    .max_flat_workgroup_size: 256
    .name:           _Z39paged_attention_ll4mi_QKV_mfma16_kernelIDF16_hLN4vllm18Fp8KVCacheDataTypeE1EhLi16ELi128ELi256ELb0ELi7EEvPKT_PKT0_S7_ifPKiS9_S9_iPKfiiiPfSC_PS2_PT2_iSB_SB_
    .private_segment_fixed_size: 64
    .sgpr_count:     36
    .sgpr_spill_count: 0
    .symbol:         _Z39paged_attention_ll4mi_QKV_mfma16_kernelIDF16_hLN4vllm18Fp8KVCacheDataTypeE1EhLi16ELi128ELi256ELb0ELi7EEvPKT_PKT0_S7_ifPKiS9_S9_iPKfiiiPfSC_PS2_PT2_iSB_SB_.kd
    .uniform_work_group_size: 1
    .uses_dynamic_stack: false
    .vgpr_count:     51
    .vgpr_spill_count: 0
    .wavefront_size: 32
  - .args:
      - .actual_access:  read_only
        .address_space:  global
        .offset:         0
        .size:           8
        .value_kind:     global_buffer
      - .actual_access:  read_only
        .address_space:  global
        .offset:         8
        .size:           8
        .value_kind:     global_buffer
      - .actual_access:  read_only
        .address_space:  global
        .offset:         16
        .size:           8
        .value_kind:     global_buffer
      - .offset:         24
        .size:           4
        .value_kind:     by_value
      - .offset:         28
        .size:           4
        .value_kind:     by_value
      - .actual_access:  read_only
        .address_space:  global
        .offset:         32
        .size:           8
        .value_kind:     global_buffer
      - .actual_access:  read_only
        .address_space:  global
        .offset:         40
        .size:           8
        .value_kind:     global_buffer
      - .actual_access:  read_only
        .address_space:  global
        .offset:         48
        .size:           8
        .value_kind:     global_buffer
      - .offset:         56
        .size:           4
        .value_kind:     by_value
      - .actual_access:  read_only
        .address_space:  global
        .offset:         64
        .size:           8
        .value_kind:     global_buffer
      - .offset:         72
        .size:           4
        .value_kind:     by_value
      - .offset:         76
        .size:           4
        .value_kind:     by_value
      - .offset:         80
        .size:           4
        .value_kind:     by_value
      - .actual_access:  read_only
        .address_space:  global
        .offset:         88
        .size:           8
        .value_kind:     global_buffer
      - .actual_access:  read_only
        .address_space:  global
        .offset:         96
        .size:           8
        .value_kind:     global_buffer
      - .actual_access:  read_only
        .address_space:  global
        .offset:         104
        .size:           8
        .value_kind:     global_buffer
      - .actual_access:  read_only
        .address_space:  global
        .offset:         112
        .size:           8
        .value_kind:     global_buffer
      - .offset:         120
        .size:           4
        .value_kind:     by_value
      - .address_space:  global
        .offset:         128
        .size:           8
        .value_kind:     global_buffer
      - .address_space:  global
        .offset:         136
        .size:           8
        .value_kind:     global_buffer
      - .offset:         144
        .size:           4
        .value_kind:     hidden_block_count_x
      - .offset:         148
        .size:           4
        .value_kind:     hidden_block_count_y
      - .offset:         152
        .size:           4
        .value_kind:     hidden_block_count_z
      - .offset:         156
        .size:           2
        .value_kind:     hidden_group_size_x
      - .offset:         158
        .size:           2
        .value_kind:     hidden_group_size_y
      - .offset:         160
        .size:           2
        .value_kind:     hidden_group_size_z
      - .offset:         162
        .size:           2
        .value_kind:     hidden_remainder_x
      - .offset:         164
        .size:           2
        .value_kind:     hidden_remainder_y
      - .offset:         166
        .size:           2
        .value_kind:     hidden_remainder_z
      - .offset:         184
        .size:           8
        .value_kind:     hidden_global_offset_x
      - .offset:         192
        .size:           8
        .value_kind:     hidden_global_offset_y
      - .offset:         200
        .size:           8
        .value_kind:     hidden_global_offset_z
      - .offset:         208
        .size:           2
        .value_kind:     hidden_grid_dims
      - .offset:         224
        .size:           8
        .value_kind:     hidden_hostcall_buffer
    .group_segment_fixed_size: 0
    .kernarg_segment_align: 8
    .kernarg_segment_size: 400
    .language:       OpenCL C
    .language_version:
      - 2
      - 0
    .max_flat_workgroup_size: 256
    .name:           _Z39paged_attention_ll4mi_QKV_mfma16_kernelIDF16_hLN4vllm18Fp8KVCacheDataTypeE1EhLi16ELi128ELi256ELb0ELi8EEvPKT_PKT0_S7_ifPKiS9_S9_iPKfiiiPfSC_PS2_PT2_iSB_SB_
    .private_segment_fixed_size: 64
    .sgpr_count:     36
    .sgpr_spill_count: 0
    .symbol:         _Z39paged_attention_ll4mi_QKV_mfma16_kernelIDF16_hLN4vllm18Fp8KVCacheDataTypeE1EhLi16ELi128ELi256ELb0ELi8EEvPKT_PKT0_S7_ifPKiS9_S9_iPKfiiiPfSC_PS2_PT2_iSB_SB_.kd
    .uniform_work_group_size: 1
    .uses_dynamic_stack: false
    .vgpr_count:     51
    .vgpr_spill_count: 0
    .wavefront_size: 32
  - .args:
      - .actual_access:  read_only
        .address_space:  global
        .offset:         0
        .size:           8
        .value_kind:     global_buffer
      - .actual_access:  read_only
        .address_space:  global
        .offset:         8
        .size:           8
        .value_kind:     global_buffer
      - .actual_access:  read_only
        .address_space:  global
        .offset:         16
        .size:           8
        .value_kind:     global_buffer
      - .offset:         24
        .size:           4
        .value_kind:     by_value
      - .offset:         28
        .size:           4
        .value_kind:     by_value
      - .actual_access:  read_only
        .address_space:  global
        .offset:         32
        .size:           8
        .value_kind:     global_buffer
      - .actual_access:  read_only
        .address_space:  global
        .offset:         40
        .size:           8
        .value_kind:     global_buffer
      - .actual_access:  read_only
        .address_space:  global
        .offset:         48
        .size:           8
        .value_kind:     global_buffer
      - .offset:         56
        .size:           4
        .value_kind:     by_value
      - .actual_access:  read_only
        .address_space:  global
        .offset:         64
        .size:           8
        .value_kind:     global_buffer
      - .offset:         72
        .size:           4
        .value_kind:     by_value
      - .offset:         76
        .size:           4
        .value_kind:     by_value
      - .offset:         80
        .size:           4
        .value_kind:     by_value
      - .actual_access:  read_only
        .address_space:  global
        .offset:         88
        .size:           8
        .value_kind:     global_buffer
      - .actual_access:  read_only
        .address_space:  global
        .offset:         96
        .size:           8
        .value_kind:     global_buffer
      - .actual_access:  read_only
        .address_space:  global
        .offset:         104
        .size:           8
        .value_kind:     global_buffer
      - .actual_access:  read_only
        .address_space:  global
        .offset:         112
        .size:           8
        .value_kind:     global_buffer
      - .offset:         120
        .size:           4
        .value_kind:     by_value
      - .address_space:  global
        .offset:         128
        .size:           8
        .value_kind:     global_buffer
      - .address_space:  global
        .offset:         136
        .size:           8
        .value_kind:     global_buffer
      - .offset:         144
        .size:           4
        .value_kind:     hidden_block_count_x
      - .offset:         148
        .size:           4
        .value_kind:     hidden_block_count_y
      - .offset:         152
        .size:           4
        .value_kind:     hidden_block_count_z
      - .offset:         156
        .size:           2
        .value_kind:     hidden_group_size_x
      - .offset:         158
        .size:           2
        .value_kind:     hidden_group_size_y
      - .offset:         160
        .size:           2
        .value_kind:     hidden_group_size_z
      - .offset:         162
        .size:           2
        .value_kind:     hidden_remainder_x
      - .offset:         164
        .size:           2
        .value_kind:     hidden_remainder_y
      - .offset:         166
        .size:           2
        .value_kind:     hidden_remainder_z
      - .offset:         184
        .size:           8
        .value_kind:     hidden_global_offset_x
      - .offset:         192
        .size:           8
        .value_kind:     hidden_global_offset_y
      - .offset:         200
        .size:           8
        .value_kind:     hidden_global_offset_z
      - .offset:         208
        .size:           2
        .value_kind:     hidden_grid_dims
      - .offset:         224
        .size:           8
        .value_kind:     hidden_hostcall_buffer
    .group_segment_fixed_size: 0
    .kernarg_segment_align: 8
    .kernarg_segment_size: 400
    .language:       OpenCL C
    .language_version:
      - 2
      - 0
    .max_flat_workgroup_size: 256
    .name:           _Z39paged_attention_ll4mi_QKV_mfma16_kernelIDF16_hLN4vllm18Fp8KVCacheDataTypeE1EhLi16ELi128ELi256ELb0ELi9EEvPKT_PKT0_S7_ifPKiS9_S9_iPKfiiiPfSC_PS2_PT2_iSB_SB_
    .private_segment_fixed_size: 64
    .sgpr_count:     36
    .sgpr_spill_count: 0
    .symbol:         _Z39paged_attention_ll4mi_QKV_mfma16_kernelIDF16_hLN4vllm18Fp8KVCacheDataTypeE1EhLi16ELi128ELi256ELb0ELi9EEvPKT_PKT0_S7_ifPKiS9_S9_iPKfiiiPfSC_PS2_PT2_iSB_SB_.kd
    .uniform_work_group_size: 1
    .uses_dynamic_stack: false
    .vgpr_count:     51
    .vgpr_spill_count: 0
    .wavefront_size: 32
  - .args:
      - .actual_access:  read_only
        .address_space:  global
        .offset:         0
        .size:           8
        .value_kind:     global_buffer
      - .actual_access:  read_only
        .address_space:  global
        .offset:         8
        .size:           8
        .value_kind:     global_buffer
      - .actual_access:  read_only
        .address_space:  global
        .offset:         16
        .size:           8
        .value_kind:     global_buffer
      - .offset:         24
        .size:           4
        .value_kind:     by_value
      - .offset:         28
        .size:           4
        .value_kind:     by_value
      - .actual_access:  read_only
        .address_space:  global
        .offset:         32
        .size:           8
        .value_kind:     global_buffer
      - .actual_access:  read_only
        .address_space:  global
        .offset:         40
        .size:           8
        .value_kind:     global_buffer
      - .actual_access:  read_only
        .address_space:  global
        .offset:         48
        .size:           8
        .value_kind:     global_buffer
      - .offset:         56
        .size:           4
        .value_kind:     by_value
      - .actual_access:  read_only
        .address_space:  global
        .offset:         64
        .size:           8
        .value_kind:     global_buffer
      - .offset:         72
        .size:           4
        .value_kind:     by_value
      - .offset:         76
        .size:           4
        .value_kind:     by_value
      - .offset:         80
        .size:           4
        .value_kind:     by_value
      - .actual_access:  read_only
        .address_space:  global
        .offset:         88
        .size:           8
        .value_kind:     global_buffer
      - .actual_access:  read_only
        .address_space:  global
        .offset:         96
        .size:           8
        .value_kind:     global_buffer
      - .actual_access:  read_only
        .address_space:  global
        .offset:         104
        .size:           8
        .value_kind:     global_buffer
      - .actual_access:  read_only
        .address_space:  global
        .offset:         112
        .size:           8
        .value_kind:     global_buffer
      - .offset:         120
        .size:           4
        .value_kind:     by_value
      - .address_space:  global
        .offset:         128
        .size:           8
        .value_kind:     global_buffer
      - .address_space:  global
        .offset:         136
        .size:           8
        .value_kind:     global_buffer
      - .offset:         144
        .size:           4
        .value_kind:     hidden_block_count_x
      - .offset:         148
        .size:           4
        .value_kind:     hidden_block_count_y
      - .offset:         152
        .size:           4
        .value_kind:     hidden_block_count_z
      - .offset:         156
        .size:           2
        .value_kind:     hidden_group_size_x
      - .offset:         158
        .size:           2
        .value_kind:     hidden_group_size_y
      - .offset:         160
        .size:           2
        .value_kind:     hidden_group_size_z
      - .offset:         162
        .size:           2
        .value_kind:     hidden_remainder_x
      - .offset:         164
        .size:           2
        .value_kind:     hidden_remainder_y
      - .offset:         166
        .size:           2
        .value_kind:     hidden_remainder_z
      - .offset:         184
        .size:           8
        .value_kind:     hidden_global_offset_x
      - .offset:         192
        .size:           8
        .value_kind:     hidden_global_offset_y
      - .offset:         200
        .size:           8
        .value_kind:     hidden_global_offset_z
      - .offset:         208
        .size:           2
        .value_kind:     hidden_grid_dims
      - .offset:         224
        .size:           8
        .value_kind:     hidden_hostcall_buffer
    .group_segment_fixed_size: 0
    .kernarg_segment_align: 8
    .kernarg_segment_size: 400
    .language:       OpenCL C
    .language_version:
      - 2
      - 0
    .max_flat_workgroup_size: 256
    .name:           _Z39paged_attention_ll4mi_QKV_mfma16_kernelIDF16_hLN4vllm18Fp8KVCacheDataTypeE1EhLi16ELi128ELi256ELb0ELi10EEvPKT_PKT0_S7_ifPKiS9_S9_iPKfiiiPfSC_PS2_PT2_iSB_SB_
    .private_segment_fixed_size: 64
    .sgpr_count:     36
    .sgpr_spill_count: 0
    .symbol:         _Z39paged_attention_ll4mi_QKV_mfma16_kernelIDF16_hLN4vllm18Fp8KVCacheDataTypeE1EhLi16ELi128ELi256ELb0ELi10EEvPKT_PKT0_S7_ifPKiS9_S9_iPKfiiiPfSC_PS2_PT2_iSB_SB_.kd
    .uniform_work_group_size: 1
    .uses_dynamic_stack: false
    .vgpr_count:     51
    .vgpr_spill_count: 0
    .wavefront_size: 32
  - .args:
      - .actual_access:  read_only
        .address_space:  global
        .offset:         0
        .size:           8
        .value_kind:     global_buffer
      - .actual_access:  read_only
        .address_space:  global
        .offset:         8
        .size:           8
        .value_kind:     global_buffer
      - .actual_access:  read_only
        .address_space:  global
        .offset:         16
        .size:           8
        .value_kind:     global_buffer
      - .offset:         24
        .size:           4
        .value_kind:     by_value
      - .offset:         28
        .size:           4
        .value_kind:     by_value
      - .actual_access:  read_only
        .address_space:  global
        .offset:         32
        .size:           8
        .value_kind:     global_buffer
      - .actual_access:  read_only
        .address_space:  global
        .offset:         40
        .size:           8
        .value_kind:     global_buffer
      - .actual_access:  read_only
        .address_space:  global
        .offset:         48
        .size:           8
        .value_kind:     global_buffer
      - .offset:         56
        .size:           4
        .value_kind:     by_value
      - .actual_access:  read_only
        .address_space:  global
        .offset:         64
        .size:           8
        .value_kind:     global_buffer
      - .offset:         72
        .size:           4
        .value_kind:     by_value
      - .offset:         76
        .size:           4
        .value_kind:     by_value
      - .offset:         80
        .size:           4
        .value_kind:     by_value
      - .actual_access:  read_only
        .address_space:  global
        .offset:         88
        .size:           8
        .value_kind:     global_buffer
      - .actual_access:  read_only
        .address_space:  global
        .offset:         96
        .size:           8
        .value_kind:     global_buffer
      - .actual_access:  read_only
        .address_space:  global
        .offset:         104
        .size:           8
        .value_kind:     global_buffer
      - .actual_access:  read_only
        .address_space:  global
        .offset:         112
        .size:           8
        .value_kind:     global_buffer
      - .offset:         120
        .size:           4
        .value_kind:     by_value
      - .address_space:  global
        .offset:         128
        .size:           8
        .value_kind:     global_buffer
      - .address_space:  global
        .offset:         136
        .size:           8
        .value_kind:     global_buffer
      - .offset:         144
        .size:           4
        .value_kind:     hidden_block_count_x
      - .offset:         148
        .size:           4
        .value_kind:     hidden_block_count_y
      - .offset:         152
        .size:           4
        .value_kind:     hidden_block_count_z
      - .offset:         156
        .size:           2
        .value_kind:     hidden_group_size_x
      - .offset:         158
        .size:           2
        .value_kind:     hidden_group_size_y
      - .offset:         160
        .size:           2
        .value_kind:     hidden_group_size_z
      - .offset:         162
        .size:           2
        .value_kind:     hidden_remainder_x
      - .offset:         164
        .size:           2
        .value_kind:     hidden_remainder_y
      - .offset:         166
        .size:           2
        .value_kind:     hidden_remainder_z
      - .offset:         184
        .size:           8
        .value_kind:     hidden_global_offset_x
      - .offset:         192
        .size:           8
        .value_kind:     hidden_global_offset_y
      - .offset:         200
        .size:           8
        .value_kind:     hidden_global_offset_z
      - .offset:         208
        .size:           2
        .value_kind:     hidden_grid_dims
      - .offset:         224
        .size:           8
        .value_kind:     hidden_hostcall_buffer
    .group_segment_fixed_size: 0
    .kernarg_segment_align: 8
    .kernarg_segment_size: 400
    .language:       OpenCL C
    .language_version:
      - 2
      - 0
    .max_flat_workgroup_size: 256
    .name:           _Z39paged_attention_ll4mi_QKV_mfma16_kernelIDF16_hLN4vllm18Fp8KVCacheDataTypeE1EhLi16ELi128ELi256ELb0ELi11EEvPKT_PKT0_S7_ifPKiS9_S9_iPKfiiiPfSC_PS2_PT2_iSB_SB_
    .private_segment_fixed_size: 64
    .sgpr_count:     36
    .sgpr_spill_count: 0
    .symbol:         _Z39paged_attention_ll4mi_QKV_mfma16_kernelIDF16_hLN4vllm18Fp8KVCacheDataTypeE1EhLi16ELi128ELi256ELb0ELi11EEvPKT_PKT0_S7_ifPKiS9_S9_iPKfiiiPfSC_PS2_PT2_iSB_SB_.kd
    .uniform_work_group_size: 1
    .uses_dynamic_stack: false
    .vgpr_count:     51
    .vgpr_spill_count: 0
    .wavefront_size: 32
  - .args:
      - .actual_access:  read_only
        .address_space:  global
        .offset:         0
        .size:           8
        .value_kind:     global_buffer
      - .actual_access:  read_only
        .address_space:  global
        .offset:         8
        .size:           8
        .value_kind:     global_buffer
      - .actual_access:  read_only
        .address_space:  global
        .offset:         16
        .size:           8
        .value_kind:     global_buffer
      - .offset:         24
        .size:           4
        .value_kind:     by_value
      - .offset:         28
        .size:           4
        .value_kind:     by_value
      - .actual_access:  read_only
        .address_space:  global
        .offset:         32
        .size:           8
        .value_kind:     global_buffer
      - .actual_access:  read_only
        .address_space:  global
        .offset:         40
        .size:           8
        .value_kind:     global_buffer
      - .actual_access:  read_only
        .address_space:  global
        .offset:         48
        .size:           8
        .value_kind:     global_buffer
      - .offset:         56
        .size:           4
        .value_kind:     by_value
      - .actual_access:  read_only
        .address_space:  global
        .offset:         64
        .size:           8
        .value_kind:     global_buffer
      - .offset:         72
        .size:           4
        .value_kind:     by_value
      - .offset:         76
        .size:           4
        .value_kind:     by_value
      - .offset:         80
        .size:           4
        .value_kind:     by_value
      - .actual_access:  read_only
        .address_space:  global
        .offset:         88
        .size:           8
        .value_kind:     global_buffer
      - .actual_access:  read_only
        .address_space:  global
        .offset:         96
        .size:           8
        .value_kind:     global_buffer
      - .actual_access:  read_only
        .address_space:  global
        .offset:         104
        .size:           8
        .value_kind:     global_buffer
      - .actual_access:  read_only
        .address_space:  global
        .offset:         112
        .size:           8
        .value_kind:     global_buffer
      - .offset:         120
        .size:           4
        .value_kind:     by_value
      - .address_space:  global
        .offset:         128
        .size:           8
        .value_kind:     global_buffer
      - .address_space:  global
        .offset:         136
        .size:           8
        .value_kind:     global_buffer
      - .offset:         144
        .size:           4
        .value_kind:     hidden_block_count_x
      - .offset:         148
        .size:           4
        .value_kind:     hidden_block_count_y
      - .offset:         152
        .size:           4
        .value_kind:     hidden_block_count_z
      - .offset:         156
        .size:           2
        .value_kind:     hidden_group_size_x
      - .offset:         158
        .size:           2
        .value_kind:     hidden_group_size_y
      - .offset:         160
        .size:           2
        .value_kind:     hidden_group_size_z
      - .offset:         162
        .size:           2
        .value_kind:     hidden_remainder_x
      - .offset:         164
        .size:           2
        .value_kind:     hidden_remainder_y
      - .offset:         166
        .size:           2
        .value_kind:     hidden_remainder_z
      - .offset:         184
        .size:           8
        .value_kind:     hidden_global_offset_x
      - .offset:         192
        .size:           8
        .value_kind:     hidden_global_offset_y
      - .offset:         200
        .size:           8
        .value_kind:     hidden_global_offset_z
      - .offset:         208
        .size:           2
        .value_kind:     hidden_grid_dims
      - .offset:         224
        .size:           8
        .value_kind:     hidden_hostcall_buffer
    .group_segment_fixed_size: 0
    .kernarg_segment_align: 8
    .kernarg_segment_size: 400
    .language:       OpenCL C
    .language_version:
      - 2
      - 0
    .max_flat_workgroup_size: 256
    .name:           _Z39paged_attention_ll4mi_QKV_mfma16_kernelIDF16_hLN4vllm18Fp8KVCacheDataTypeE1EhLi16ELi128ELi256ELb0ELi12EEvPKT_PKT0_S7_ifPKiS9_S9_iPKfiiiPfSC_PS2_PT2_iSB_SB_
    .private_segment_fixed_size: 64
    .sgpr_count:     36
    .sgpr_spill_count: 0
    .symbol:         _Z39paged_attention_ll4mi_QKV_mfma16_kernelIDF16_hLN4vllm18Fp8KVCacheDataTypeE1EhLi16ELi128ELi256ELb0ELi12EEvPKT_PKT0_S7_ifPKiS9_S9_iPKfiiiPfSC_PS2_PT2_iSB_SB_.kd
    .uniform_work_group_size: 1
    .uses_dynamic_stack: false
    .vgpr_count:     51
    .vgpr_spill_count: 0
    .wavefront_size: 32
  - .args:
      - .actual_access:  read_only
        .address_space:  global
        .offset:         0
        .size:           8
        .value_kind:     global_buffer
      - .actual_access:  read_only
        .address_space:  global
        .offset:         8
        .size:           8
        .value_kind:     global_buffer
      - .actual_access:  read_only
        .address_space:  global
        .offset:         16
        .size:           8
        .value_kind:     global_buffer
      - .offset:         24
        .size:           4
        .value_kind:     by_value
      - .offset:         28
        .size:           4
        .value_kind:     by_value
      - .actual_access:  read_only
        .address_space:  global
        .offset:         32
        .size:           8
        .value_kind:     global_buffer
      - .actual_access:  read_only
        .address_space:  global
        .offset:         40
        .size:           8
        .value_kind:     global_buffer
      - .actual_access:  read_only
        .address_space:  global
        .offset:         48
        .size:           8
        .value_kind:     global_buffer
      - .offset:         56
        .size:           4
        .value_kind:     by_value
      - .actual_access:  read_only
        .address_space:  global
        .offset:         64
        .size:           8
        .value_kind:     global_buffer
      - .offset:         72
        .size:           4
        .value_kind:     by_value
      - .offset:         76
        .size:           4
        .value_kind:     by_value
      - .offset:         80
        .size:           4
        .value_kind:     by_value
      - .actual_access:  read_only
        .address_space:  global
        .offset:         88
        .size:           8
        .value_kind:     global_buffer
      - .actual_access:  read_only
        .address_space:  global
        .offset:         96
        .size:           8
        .value_kind:     global_buffer
      - .actual_access:  read_only
        .address_space:  global
        .offset:         104
        .size:           8
        .value_kind:     global_buffer
      - .actual_access:  read_only
        .address_space:  global
        .offset:         112
        .size:           8
        .value_kind:     global_buffer
      - .offset:         120
        .size:           4
        .value_kind:     by_value
      - .address_space:  global
        .offset:         128
        .size:           8
        .value_kind:     global_buffer
      - .address_space:  global
        .offset:         136
        .size:           8
        .value_kind:     global_buffer
      - .offset:         144
        .size:           4
        .value_kind:     hidden_block_count_x
      - .offset:         148
        .size:           4
        .value_kind:     hidden_block_count_y
      - .offset:         152
        .size:           4
        .value_kind:     hidden_block_count_z
      - .offset:         156
        .size:           2
        .value_kind:     hidden_group_size_x
      - .offset:         158
        .size:           2
        .value_kind:     hidden_group_size_y
      - .offset:         160
        .size:           2
        .value_kind:     hidden_group_size_z
      - .offset:         162
        .size:           2
        .value_kind:     hidden_remainder_x
      - .offset:         164
        .size:           2
        .value_kind:     hidden_remainder_y
      - .offset:         166
        .size:           2
        .value_kind:     hidden_remainder_z
      - .offset:         184
        .size:           8
        .value_kind:     hidden_global_offset_x
      - .offset:         192
        .size:           8
        .value_kind:     hidden_global_offset_y
      - .offset:         200
        .size:           8
        .value_kind:     hidden_global_offset_z
      - .offset:         208
        .size:           2
        .value_kind:     hidden_grid_dims
      - .offset:         224
        .size:           8
        .value_kind:     hidden_hostcall_buffer
    .group_segment_fixed_size: 0
    .kernarg_segment_align: 8
    .kernarg_segment_size: 400
    .language:       OpenCL C
    .language_version:
      - 2
      - 0
    .max_flat_workgroup_size: 256
    .name:           _Z39paged_attention_ll4mi_QKV_mfma16_kernelIDF16_hLN4vllm18Fp8KVCacheDataTypeE1EhLi16ELi128ELi256ELb0ELi13EEvPKT_PKT0_S7_ifPKiS9_S9_iPKfiiiPfSC_PS2_PT2_iSB_SB_
    .private_segment_fixed_size: 64
    .sgpr_count:     36
    .sgpr_spill_count: 0
    .symbol:         _Z39paged_attention_ll4mi_QKV_mfma16_kernelIDF16_hLN4vllm18Fp8KVCacheDataTypeE1EhLi16ELi128ELi256ELb0ELi13EEvPKT_PKT0_S7_ifPKiS9_S9_iPKfiiiPfSC_PS2_PT2_iSB_SB_.kd
    .uniform_work_group_size: 1
    .uses_dynamic_stack: false
    .vgpr_count:     51
    .vgpr_spill_count: 0
    .wavefront_size: 32
  - .args:
      - .actual_access:  read_only
        .address_space:  global
        .offset:         0
        .size:           8
        .value_kind:     global_buffer
      - .actual_access:  read_only
        .address_space:  global
        .offset:         8
        .size:           8
        .value_kind:     global_buffer
      - .actual_access:  read_only
        .address_space:  global
        .offset:         16
        .size:           8
        .value_kind:     global_buffer
      - .offset:         24
        .size:           4
        .value_kind:     by_value
      - .offset:         28
        .size:           4
        .value_kind:     by_value
      - .actual_access:  read_only
        .address_space:  global
        .offset:         32
        .size:           8
        .value_kind:     global_buffer
      - .actual_access:  read_only
        .address_space:  global
        .offset:         40
        .size:           8
        .value_kind:     global_buffer
      - .actual_access:  read_only
        .address_space:  global
        .offset:         48
        .size:           8
        .value_kind:     global_buffer
      - .offset:         56
        .size:           4
        .value_kind:     by_value
      - .actual_access:  read_only
        .address_space:  global
        .offset:         64
        .size:           8
        .value_kind:     global_buffer
      - .offset:         72
        .size:           4
        .value_kind:     by_value
      - .offset:         76
        .size:           4
        .value_kind:     by_value
      - .offset:         80
        .size:           4
        .value_kind:     by_value
      - .actual_access:  read_only
        .address_space:  global
        .offset:         88
        .size:           8
        .value_kind:     global_buffer
      - .actual_access:  read_only
        .address_space:  global
        .offset:         96
        .size:           8
        .value_kind:     global_buffer
      - .actual_access:  read_only
        .address_space:  global
        .offset:         104
        .size:           8
        .value_kind:     global_buffer
      - .actual_access:  read_only
        .address_space:  global
        .offset:         112
        .size:           8
        .value_kind:     global_buffer
      - .offset:         120
        .size:           4
        .value_kind:     by_value
      - .address_space:  global
        .offset:         128
        .size:           8
        .value_kind:     global_buffer
      - .address_space:  global
        .offset:         136
        .size:           8
        .value_kind:     global_buffer
      - .offset:         144
        .size:           4
        .value_kind:     hidden_block_count_x
      - .offset:         148
        .size:           4
        .value_kind:     hidden_block_count_y
      - .offset:         152
        .size:           4
        .value_kind:     hidden_block_count_z
      - .offset:         156
        .size:           2
        .value_kind:     hidden_group_size_x
      - .offset:         158
        .size:           2
        .value_kind:     hidden_group_size_y
      - .offset:         160
        .size:           2
        .value_kind:     hidden_group_size_z
      - .offset:         162
        .size:           2
        .value_kind:     hidden_remainder_x
      - .offset:         164
        .size:           2
        .value_kind:     hidden_remainder_y
      - .offset:         166
        .size:           2
        .value_kind:     hidden_remainder_z
      - .offset:         184
        .size:           8
        .value_kind:     hidden_global_offset_x
      - .offset:         192
        .size:           8
        .value_kind:     hidden_global_offset_y
      - .offset:         200
        .size:           8
        .value_kind:     hidden_global_offset_z
      - .offset:         208
        .size:           2
        .value_kind:     hidden_grid_dims
      - .offset:         224
        .size:           8
        .value_kind:     hidden_hostcall_buffer
    .group_segment_fixed_size: 0
    .kernarg_segment_align: 8
    .kernarg_segment_size: 400
    .language:       OpenCL C
    .language_version:
      - 2
      - 0
    .max_flat_workgroup_size: 256
    .name:           _Z39paged_attention_ll4mi_QKV_mfma16_kernelIDF16_hLN4vllm18Fp8KVCacheDataTypeE1EhLi16ELi128ELi256ELb0ELi14EEvPKT_PKT0_S7_ifPKiS9_S9_iPKfiiiPfSC_PS2_PT2_iSB_SB_
    .private_segment_fixed_size: 64
    .sgpr_count:     36
    .sgpr_spill_count: 0
    .symbol:         _Z39paged_attention_ll4mi_QKV_mfma16_kernelIDF16_hLN4vllm18Fp8KVCacheDataTypeE1EhLi16ELi128ELi256ELb0ELi14EEvPKT_PKT0_S7_ifPKiS9_S9_iPKfiiiPfSC_PS2_PT2_iSB_SB_.kd
    .uniform_work_group_size: 1
    .uses_dynamic_stack: false
    .vgpr_count:     51
    .vgpr_spill_count: 0
    .wavefront_size: 32
  - .args:
      - .actual_access:  read_only
        .address_space:  global
        .offset:         0
        .size:           8
        .value_kind:     global_buffer
      - .actual_access:  read_only
        .address_space:  global
        .offset:         8
        .size:           8
        .value_kind:     global_buffer
      - .actual_access:  read_only
        .address_space:  global
        .offset:         16
        .size:           8
        .value_kind:     global_buffer
      - .offset:         24
        .size:           4
        .value_kind:     by_value
      - .offset:         28
        .size:           4
        .value_kind:     by_value
      - .actual_access:  read_only
        .address_space:  global
        .offset:         32
        .size:           8
        .value_kind:     global_buffer
      - .actual_access:  read_only
        .address_space:  global
        .offset:         40
        .size:           8
        .value_kind:     global_buffer
      - .actual_access:  read_only
        .address_space:  global
        .offset:         48
        .size:           8
        .value_kind:     global_buffer
      - .offset:         56
        .size:           4
        .value_kind:     by_value
      - .actual_access:  read_only
        .address_space:  global
        .offset:         64
        .size:           8
        .value_kind:     global_buffer
      - .offset:         72
        .size:           4
        .value_kind:     by_value
      - .offset:         76
        .size:           4
        .value_kind:     by_value
      - .offset:         80
        .size:           4
        .value_kind:     by_value
      - .actual_access:  read_only
        .address_space:  global
        .offset:         88
        .size:           8
        .value_kind:     global_buffer
      - .actual_access:  read_only
        .address_space:  global
        .offset:         96
        .size:           8
        .value_kind:     global_buffer
      - .actual_access:  read_only
        .address_space:  global
        .offset:         104
        .size:           8
        .value_kind:     global_buffer
      - .actual_access:  read_only
        .address_space:  global
        .offset:         112
        .size:           8
        .value_kind:     global_buffer
      - .offset:         120
        .size:           4
        .value_kind:     by_value
      - .address_space:  global
        .offset:         128
        .size:           8
        .value_kind:     global_buffer
      - .address_space:  global
        .offset:         136
        .size:           8
        .value_kind:     global_buffer
      - .offset:         144
        .size:           4
        .value_kind:     hidden_block_count_x
      - .offset:         148
        .size:           4
        .value_kind:     hidden_block_count_y
      - .offset:         152
        .size:           4
        .value_kind:     hidden_block_count_z
      - .offset:         156
        .size:           2
        .value_kind:     hidden_group_size_x
      - .offset:         158
        .size:           2
        .value_kind:     hidden_group_size_y
      - .offset:         160
        .size:           2
        .value_kind:     hidden_group_size_z
      - .offset:         162
        .size:           2
        .value_kind:     hidden_remainder_x
      - .offset:         164
        .size:           2
        .value_kind:     hidden_remainder_y
      - .offset:         166
        .size:           2
        .value_kind:     hidden_remainder_z
      - .offset:         184
        .size:           8
        .value_kind:     hidden_global_offset_x
      - .offset:         192
        .size:           8
        .value_kind:     hidden_global_offset_y
      - .offset:         200
        .size:           8
        .value_kind:     hidden_global_offset_z
      - .offset:         208
        .size:           2
        .value_kind:     hidden_grid_dims
      - .offset:         224
        .size:           8
        .value_kind:     hidden_hostcall_buffer
    .group_segment_fixed_size: 0
    .kernarg_segment_align: 8
    .kernarg_segment_size: 400
    .language:       OpenCL C
    .language_version:
      - 2
      - 0
    .max_flat_workgroup_size: 256
    .name:           _Z39paged_attention_ll4mi_QKV_mfma16_kernelIDF16_hLN4vllm18Fp8KVCacheDataTypeE1EhLi16ELi128ELi256ELb0ELi15EEvPKT_PKT0_S7_ifPKiS9_S9_iPKfiiiPfSC_PS2_PT2_iSB_SB_
    .private_segment_fixed_size: 64
    .sgpr_count:     36
    .sgpr_spill_count: 0
    .symbol:         _Z39paged_attention_ll4mi_QKV_mfma16_kernelIDF16_hLN4vllm18Fp8KVCacheDataTypeE1EhLi16ELi128ELi256ELb0ELi15EEvPKT_PKT0_S7_ifPKiS9_S9_iPKfiiiPfSC_PS2_PT2_iSB_SB_.kd
    .uniform_work_group_size: 1
    .uses_dynamic_stack: false
    .vgpr_count:     51
    .vgpr_spill_count: 0
    .wavefront_size: 32
  - .args:
      - .actual_access:  read_only
        .address_space:  global
        .offset:         0
        .size:           8
        .value_kind:     global_buffer
      - .actual_access:  read_only
        .address_space:  global
        .offset:         8
        .size:           8
        .value_kind:     global_buffer
      - .actual_access:  read_only
        .address_space:  global
        .offset:         16
        .size:           8
        .value_kind:     global_buffer
      - .offset:         24
        .size:           4
        .value_kind:     by_value
      - .offset:         28
        .size:           4
        .value_kind:     by_value
      - .actual_access:  read_only
        .address_space:  global
        .offset:         32
        .size:           8
        .value_kind:     global_buffer
      - .actual_access:  read_only
        .address_space:  global
        .offset:         40
        .size:           8
        .value_kind:     global_buffer
      - .actual_access:  read_only
        .address_space:  global
        .offset:         48
        .size:           8
        .value_kind:     global_buffer
      - .offset:         56
        .size:           4
        .value_kind:     by_value
      - .actual_access:  read_only
        .address_space:  global
        .offset:         64
        .size:           8
        .value_kind:     global_buffer
      - .offset:         72
        .size:           4
        .value_kind:     by_value
      - .offset:         76
        .size:           4
        .value_kind:     by_value
      - .offset:         80
        .size:           4
        .value_kind:     by_value
      - .actual_access:  read_only
        .address_space:  global
        .offset:         88
        .size:           8
        .value_kind:     global_buffer
      - .actual_access:  read_only
        .address_space:  global
        .offset:         96
        .size:           8
        .value_kind:     global_buffer
      - .actual_access:  read_only
        .address_space:  global
        .offset:         104
        .size:           8
        .value_kind:     global_buffer
      - .actual_access:  read_only
        .address_space:  global
        .offset:         112
        .size:           8
        .value_kind:     global_buffer
      - .offset:         120
        .size:           4
        .value_kind:     by_value
      - .address_space:  global
        .offset:         128
        .size:           8
        .value_kind:     global_buffer
      - .address_space:  global
        .offset:         136
        .size:           8
        .value_kind:     global_buffer
      - .offset:         144
        .size:           4
        .value_kind:     hidden_block_count_x
      - .offset:         148
        .size:           4
        .value_kind:     hidden_block_count_y
      - .offset:         152
        .size:           4
        .value_kind:     hidden_block_count_z
      - .offset:         156
        .size:           2
        .value_kind:     hidden_group_size_x
      - .offset:         158
        .size:           2
        .value_kind:     hidden_group_size_y
      - .offset:         160
        .size:           2
        .value_kind:     hidden_group_size_z
      - .offset:         162
        .size:           2
        .value_kind:     hidden_remainder_x
      - .offset:         164
        .size:           2
        .value_kind:     hidden_remainder_y
      - .offset:         166
        .size:           2
        .value_kind:     hidden_remainder_z
      - .offset:         184
        .size:           8
        .value_kind:     hidden_global_offset_x
      - .offset:         192
        .size:           8
        .value_kind:     hidden_global_offset_y
      - .offset:         200
        .size:           8
        .value_kind:     hidden_global_offset_z
      - .offset:         208
        .size:           2
        .value_kind:     hidden_grid_dims
      - .offset:         224
        .size:           8
        .value_kind:     hidden_hostcall_buffer
    .group_segment_fixed_size: 0
    .kernarg_segment_align: 8
    .kernarg_segment_size: 400
    .language:       OpenCL C
    .language_version:
      - 2
      - 0
    .max_flat_workgroup_size: 256
    .name:           _Z39paged_attention_ll4mi_QKV_mfma16_kernelIDF16_hLN4vllm18Fp8KVCacheDataTypeE1EhLi16ELi128ELi256ELb0ELi16EEvPKT_PKT0_S7_ifPKiS9_S9_iPKfiiiPfSC_PS2_PT2_iSB_SB_
    .private_segment_fixed_size: 64
    .sgpr_count:     36
    .sgpr_spill_count: 0
    .symbol:         _Z39paged_attention_ll4mi_QKV_mfma16_kernelIDF16_hLN4vllm18Fp8KVCacheDataTypeE1EhLi16ELi128ELi256ELb0ELi16EEvPKT_PKT0_S7_ifPKiS9_S9_iPKfiiiPfSC_PS2_PT2_iSB_SB_.kd
    .uniform_work_group_size: 1
    .uses_dynamic_stack: false
    .vgpr_count:     51
    .vgpr_spill_count: 0
    .wavefront_size: 32
  - .args:
      - .actual_access:  read_only
        .address_space:  global
        .offset:         0
        .size:           8
        .value_kind:     global_buffer
      - .actual_access:  read_only
        .address_space:  global
        .offset:         8
        .size:           8
        .value_kind:     global_buffer
      - .actual_access:  read_only
        .address_space:  global
        .offset:         16
        .size:           8
        .value_kind:     global_buffer
      - .offset:         24
        .size:           4
        .value_kind:     by_value
      - .offset:         28
        .size:           4
        .value_kind:     by_value
      - .actual_access:  read_only
        .address_space:  global
        .offset:         32
        .size:           8
        .value_kind:     global_buffer
      - .actual_access:  read_only
        .address_space:  global
        .offset:         40
        .size:           8
        .value_kind:     global_buffer
      - .actual_access:  read_only
        .address_space:  global
        .offset:         48
        .size:           8
        .value_kind:     global_buffer
      - .offset:         56
        .size:           4
        .value_kind:     by_value
      - .actual_access:  read_only
        .address_space:  global
        .offset:         64
        .size:           8
        .value_kind:     global_buffer
      - .offset:         72
        .size:           4
        .value_kind:     by_value
      - .offset:         76
        .size:           4
        .value_kind:     by_value
      - .offset:         80
        .size:           4
        .value_kind:     by_value
      - .actual_access:  read_only
        .address_space:  global
        .offset:         88
        .size:           8
        .value_kind:     global_buffer
      - .actual_access:  read_only
        .address_space:  global
        .offset:         96
        .size:           8
        .value_kind:     global_buffer
      - .actual_access:  read_only
        .address_space:  global
        .offset:         104
        .size:           8
        .value_kind:     global_buffer
      - .actual_access:  read_only
        .address_space:  global
        .offset:         112
        .size:           8
        .value_kind:     global_buffer
      - .offset:         120
        .size:           4
        .value_kind:     by_value
      - .address_space:  global
        .offset:         128
        .size:           8
        .value_kind:     global_buffer
      - .address_space:  global
        .offset:         136
        .size:           8
        .value_kind:     global_buffer
      - .offset:         144
        .size:           4
        .value_kind:     hidden_block_count_x
      - .offset:         148
        .size:           4
        .value_kind:     hidden_block_count_y
      - .offset:         152
        .size:           4
        .value_kind:     hidden_block_count_z
      - .offset:         156
        .size:           2
        .value_kind:     hidden_group_size_x
      - .offset:         158
        .size:           2
        .value_kind:     hidden_group_size_y
      - .offset:         160
        .size:           2
        .value_kind:     hidden_group_size_z
      - .offset:         162
        .size:           2
        .value_kind:     hidden_remainder_x
      - .offset:         164
        .size:           2
        .value_kind:     hidden_remainder_y
      - .offset:         166
        .size:           2
        .value_kind:     hidden_remainder_z
      - .offset:         184
        .size:           8
        .value_kind:     hidden_global_offset_x
      - .offset:         192
        .size:           8
        .value_kind:     hidden_global_offset_y
      - .offset:         200
        .size:           8
        .value_kind:     hidden_global_offset_z
      - .offset:         208
        .size:           2
        .value_kind:     hidden_grid_dims
      - .offset:         224
        .size:           8
        .value_kind:     hidden_hostcall_buffer
    .group_segment_fixed_size: 0
    .kernarg_segment_align: 8
    .kernarg_segment_size: 400
    .language:       OpenCL C
    .language_version:
      - 2
      - 0
    .max_flat_workgroup_size: 256
    .name:           _Z39paged_attention_ll4mi_QKV_mfma16_kernelIDF16_hLN4vllm18Fp8KVCacheDataTypeE1EhLi16ELi128ELi256ELb0ELi1EEvPKT_PKT0_S7_ifPKiS9_S9_iPKfiiiPfSC_PS2_PT2_iSB_SB_
    .private_segment_fixed_size: 64
    .sgpr_count:     36
    .sgpr_spill_count: 0
    .symbol:         _Z39paged_attention_ll4mi_QKV_mfma16_kernelIDF16_hLN4vllm18Fp8KVCacheDataTypeE1EhLi16ELi128ELi256ELb0ELi1EEvPKT_PKT0_S7_ifPKiS9_S9_iPKfiiiPfSC_PS2_PT2_iSB_SB_.kd
    .uniform_work_group_size: 1
    .uses_dynamic_stack: false
    .vgpr_count:     51
    .vgpr_spill_count: 0
    .wavefront_size: 32
  - .args:
      - .actual_access:  read_only
        .address_space:  global
        .offset:         0
        .size:           8
        .value_kind:     global_buffer
      - .actual_access:  read_only
        .address_space:  global
        .offset:         8
        .size:           8
        .value_kind:     global_buffer
      - .actual_access:  read_only
        .address_space:  global
        .offset:         16
        .size:           8
        .value_kind:     global_buffer
      - .offset:         24
        .size:           4
        .value_kind:     by_value
      - .offset:         28
        .size:           4
        .value_kind:     by_value
      - .actual_access:  read_only
        .address_space:  global
        .offset:         32
        .size:           8
        .value_kind:     global_buffer
      - .actual_access:  read_only
        .address_space:  global
        .offset:         40
        .size:           8
        .value_kind:     global_buffer
      - .actual_access:  read_only
        .address_space:  global
        .offset:         48
        .size:           8
        .value_kind:     global_buffer
      - .offset:         56
        .size:           4
        .value_kind:     by_value
      - .actual_access:  read_only
        .address_space:  global
        .offset:         64
        .size:           8
        .value_kind:     global_buffer
      - .offset:         72
        .size:           4
        .value_kind:     by_value
      - .offset:         76
        .size:           4
        .value_kind:     by_value
      - .offset:         80
        .size:           4
        .value_kind:     by_value
      - .actual_access:  read_only
        .address_space:  global
        .offset:         88
        .size:           8
        .value_kind:     global_buffer
      - .actual_access:  read_only
        .address_space:  global
        .offset:         96
        .size:           8
        .value_kind:     global_buffer
      - .actual_access:  read_only
        .address_space:  global
        .offset:         104
        .size:           8
        .value_kind:     global_buffer
      - .actual_access:  read_only
        .address_space:  global
        .offset:         112
        .size:           8
        .value_kind:     global_buffer
      - .offset:         120
        .size:           4
        .value_kind:     by_value
      - .address_space:  global
        .offset:         128
        .size:           8
        .value_kind:     global_buffer
      - .address_space:  global
        .offset:         136
        .size:           8
        .value_kind:     global_buffer
      - .offset:         144
        .size:           4
        .value_kind:     hidden_block_count_x
      - .offset:         148
        .size:           4
        .value_kind:     hidden_block_count_y
      - .offset:         152
        .size:           4
        .value_kind:     hidden_block_count_z
      - .offset:         156
        .size:           2
        .value_kind:     hidden_group_size_x
      - .offset:         158
        .size:           2
        .value_kind:     hidden_group_size_y
      - .offset:         160
        .size:           2
        .value_kind:     hidden_group_size_z
      - .offset:         162
        .size:           2
        .value_kind:     hidden_remainder_x
      - .offset:         164
        .size:           2
        .value_kind:     hidden_remainder_y
      - .offset:         166
        .size:           2
        .value_kind:     hidden_remainder_z
      - .offset:         184
        .size:           8
        .value_kind:     hidden_global_offset_x
      - .offset:         192
        .size:           8
        .value_kind:     hidden_global_offset_y
      - .offset:         200
        .size:           8
        .value_kind:     hidden_global_offset_z
      - .offset:         208
        .size:           2
        .value_kind:     hidden_grid_dims
      - .offset:         224
        .size:           8
        .value_kind:     hidden_hostcall_buffer
    .group_segment_fixed_size: 0
    .kernarg_segment_align: 8
    .kernarg_segment_size: 400
    .language:       OpenCL C
    .language_version:
      - 2
      - 0
    .max_flat_workgroup_size: 256
    .name:           _Z39paged_attention_ll4mi_QKV_mfma16_kernelIDF16_hLN4vllm18Fp8KVCacheDataTypeE1EhLi16ELi128ELi256ELb0ELi2EEvPKT_PKT0_S7_ifPKiS9_S9_iPKfiiiPfSC_PS2_PT2_iSB_SB_
    .private_segment_fixed_size: 64
    .sgpr_count:     36
    .sgpr_spill_count: 0
    .symbol:         _Z39paged_attention_ll4mi_QKV_mfma16_kernelIDF16_hLN4vllm18Fp8KVCacheDataTypeE1EhLi16ELi128ELi256ELb0ELi2EEvPKT_PKT0_S7_ifPKiS9_S9_iPKfiiiPfSC_PS2_PT2_iSB_SB_.kd
    .uniform_work_group_size: 1
    .uses_dynamic_stack: false
    .vgpr_count:     51
    .vgpr_spill_count: 0
    .wavefront_size: 32
  - .args:
      - .actual_access:  read_only
        .address_space:  global
        .offset:         0
        .size:           8
        .value_kind:     global_buffer
      - .actual_access:  read_only
        .address_space:  global
        .offset:         8
        .size:           8
        .value_kind:     global_buffer
      - .actual_access:  read_only
        .address_space:  global
        .offset:         16
        .size:           8
        .value_kind:     global_buffer
      - .offset:         24
        .size:           4
        .value_kind:     by_value
      - .offset:         28
        .size:           4
        .value_kind:     by_value
      - .actual_access:  read_only
        .address_space:  global
        .offset:         32
        .size:           8
        .value_kind:     global_buffer
      - .actual_access:  read_only
        .address_space:  global
        .offset:         40
        .size:           8
        .value_kind:     global_buffer
      - .actual_access:  read_only
        .address_space:  global
        .offset:         48
        .size:           8
        .value_kind:     global_buffer
      - .offset:         56
        .size:           4
        .value_kind:     by_value
      - .actual_access:  read_only
        .address_space:  global
        .offset:         64
        .size:           8
        .value_kind:     global_buffer
      - .offset:         72
        .size:           4
        .value_kind:     by_value
      - .offset:         76
        .size:           4
        .value_kind:     by_value
      - .offset:         80
        .size:           4
        .value_kind:     by_value
      - .actual_access:  read_only
        .address_space:  global
        .offset:         88
        .size:           8
        .value_kind:     global_buffer
      - .actual_access:  read_only
        .address_space:  global
        .offset:         96
        .size:           8
        .value_kind:     global_buffer
      - .actual_access:  read_only
        .address_space:  global
        .offset:         104
        .size:           8
        .value_kind:     global_buffer
      - .actual_access:  read_only
        .address_space:  global
        .offset:         112
        .size:           8
        .value_kind:     global_buffer
      - .offset:         120
        .size:           4
        .value_kind:     by_value
      - .address_space:  global
        .offset:         128
        .size:           8
        .value_kind:     global_buffer
      - .address_space:  global
        .offset:         136
        .size:           8
        .value_kind:     global_buffer
      - .offset:         144
        .size:           4
        .value_kind:     hidden_block_count_x
      - .offset:         148
        .size:           4
        .value_kind:     hidden_block_count_y
      - .offset:         152
        .size:           4
        .value_kind:     hidden_block_count_z
      - .offset:         156
        .size:           2
        .value_kind:     hidden_group_size_x
      - .offset:         158
        .size:           2
        .value_kind:     hidden_group_size_y
      - .offset:         160
        .size:           2
        .value_kind:     hidden_group_size_z
      - .offset:         162
        .size:           2
        .value_kind:     hidden_remainder_x
      - .offset:         164
        .size:           2
        .value_kind:     hidden_remainder_y
      - .offset:         166
        .size:           2
        .value_kind:     hidden_remainder_z
      - .offset:         184
        .size:           8
        .value_kind:     hidden_global_offset_x
      - .offset:         192
        .size:           8
        .value_kind:     hidden_global_offset_y
      - .offset:         200
        .size:           8
        .value_kind:     hidden_global_offset_z
      - .offset:         208
        .size:           2
        .value_kind:     hidden_grid_dims
      - .offset:         224
        .size:           8
        .value_kind:     hidden_hostcall_buffer
    .group_segment_fixed_size: 0
    .kernarg_segment_align: 8
    .kernarg_segment_size: 400
    .language:       OpenCL C
    .language_version:
      - 2
      - 0
    .max_flat_workgroup_size: 256
    .name:           _Z39paged_attention_ll4mi_QKV_mfma16_kernelIDF16_hLN4vllm18Fp8KVCacheDataTypeE1EhLi16ELi128ELi256ELb0ELi3EEvPKT_PKT0_S7_ifPKiS9_S9_iPKfiiiPfSC_PS2_PT2_iSB_SB_
    .private_segment_fixed_size: 64
    .sgpr_count:     36
    .sgpr_spill_count: 0
    .symbol:         _Z39paged_attention_ll4mi_QKV_mfma16_kernelIDF16_hLN4vllm18Fp8KVCacheDataTypeE1EhLi16ELi128ELi256ELb0ELi3EEvPKT_PKT0_S7_ifPKiS9_S9_iPKfiiiPfSC_PS2_PT2_iSB_SB_.kd
    .uniform_work_group_size: 1
    .uses_dynamic_stack: false
    .vgpr_count:     51
    .vgpr_spill_count: 0
    .wavefront_size: 32
  - .args:
      - .actual_access:  read_only
        .address_space:  global
        .offset:         0
        .size:           8
        .value_kind:     global_buffer
      - .actual_access:  read_only
        .address_space:  global
        .offset:         8
        .size:           8
        .value_kind:     global_buffer
      - .actual_access:  read_only
        .address_space:  global
        .offset:         16
        .size:           8
        .value_kind:     global_buffer
      - .offset:         24
        .size:           4
        .value_kind:     by_value
      - .offset:         28
        .size:           4
        .value_kind:     by_value
      - .actual_access:  read_only
        .address_space:  global
        .offset:         32
        .size:           8
        .value_kind:     global_buffer
      - .actual_access:  read_only
        .address_space:  global
        .offset:         40
        .size:           8
        .value_kind:     global_buffer
      - .actual_access:  read_only
        .address_space:  global
        .offset:         48
        .size:           8
        .value_kind:     global_buffer
      - .offset:         56
        .size:           4
        .value_kind:     by_value
      - .actual_access:  read_only
        .address_space:  global
        .offset:         64
        .size:           8
        .value_kind:     global_buffer
      - .offset:         72
        .size:           4
        .value_kind:     by_value
      - .offset:         76
        .size:           4
        .value_kind:     by_value
      - .offset:         80
        .size:           4
        .value_kind:     by_value
      - .actual_access:  read_only
        .address_space:  global
        .offset:         88
        .size:           8
        .value_kind:     global_buffer
      - .actual_access:  read_only
        .address_space:  global
        .offset:         96
        .size:           8
        .value_kind:     global_buffer
      - .actual_access:  read_only
        .address_space:  global
        .offset:         104
        .size:           8
        .value_kind:     global_buffer
      - .actual_access:  read_only
        .address_space:  global
        .offset:         112
        .size:           8
        .value_kind:     global_buffer
      - .offset:         120
        .size:           4
        .value_kind:     by_value
      - .address_space:  global
        .offset:         128
        .size:           8
        .value_kind:     global_buffer
      - .address_space:  global
        .offset:         136
        .size:           8
        .value_kind:     global_buffer
      - .offset:         144
        .size:           4
        .value_kind:     hidden_block_count_x
      - .offset:         148
        .size:           4
        .value_kind:     hidden_block_count_y
      - .offset:         152
        .size:           4
        .value_kind:     hidden_block_count_z
      - .offset:         156
        .size:           2
        .value_kind:     hidden_group_size_x
      - .offset:         158
        .size:           2
        .value_kind:     hidden_group_size_y
      - .offset:         160
        .size:           2
        .value_kind:     hidden_group_size_z
      - .offset:         162
        .size:           2
        .value_kind:     hidden_remainder_x
      - .offset:         164
        .size:           2
        .value_kind:     hidden_remainder_y
      - .offset:         166
        .size:           2
        .value_kind:     hidden_remainder_z
      - .offset:         184
        .size:           8
        .value_kind:     hidden_global_offset_x
      - .offset:         192
        .size:           8
        .value_kind:     hidden_global_offset_y
      - .offset:         200
        .size:           8
        .value_kind:     hidden_global_offset_z
      - .offset:         208
        .size:           2
        .value_kind:     hidden_grid_dims
      - .offset:         224
        .size:           8
        .value_kind:     hidden_hostcall_buffer
    .group_segment_fixed_size: 0
    .kernarg_segment_align: 8
    .kernarg_segment_size: 400
    .language:       OpenCL C
    .language_version:
      - 2
      - 0
    .max_flat_workgroup_size: 256
    .name:           _Z39paged_attention_ll4mi_QKV_mfma16_kernelIDF16_hLN4vllm18Fp8KVCacheDataTypeE1EhLi16ELi128ELi256ELb0ELi4EEvPKT_PKT0_S7_ifPKiS9_S9_iPKfiiiPfSC_PS2_PT2_iSB_SB_
    .private_segment_fixed_size: 64
    .sgpr_count:     36
    .sgpr_spill_count: 0
    .symbol:         _Z39paged_attention_ll4mi_QKV_mfma16_kernelIDF16_hLN4vllm18Fp8KVCacheDataTypeE1EhLi16ELi128ELi256ELb0ELi4EEvPKT_PKT0_S7_ifPKiS9_S9_iPKfiiiPfSC_PS2_PT2_iSB_SB_.kd
    .uniform_work_group_size: 1
    .uses_dynamic_stack: false
    .vgpr_count:     51
    .vgpr_spill_count: 0
    .wavefront_size: 32
  - .args:
      - .actual_access:  read_only
        .address_space:  global
        .offset:         0
        .size:           8
        .value_kind:     global_buffer
      - .actual_access:  read_only
        .address_space:  global
        .offset:         8
        .size:           8
        .value_kind:     global_buffer
      - .actual_access:  read_only
        .address_space:  global
        .offset:         16
        .size:           8
        .value_kind:     global_buffer
      - .offset:         24
        .size:           4
        .value_kind:     by_value
      - .offset:         28
        .size:           4
        .value_kind:     by_value
      - .actual_access:  read_only
        .address_space:  global
        .offset:         32
        .size:           8
        .value_kind:     global_buffer
      - .actual_access:  read_only
        .address_space:  global
        .offset:         40
        .size:           8
        .value_kind:     global_buffer
      - .actual_access:  read_only
        .address_space:  global
        .offset:         48
        .size:           8
        .value_kind:     global_buffer
      - .offset:         56
        .size:           4
        .value_kind:     by_value
      - .actual_access:  read_only
        .address_space:  global
        .offset:         64
        .size:           8
        .value_kind:     global_buffer
      - .offset:         72
        .size:           4
        .value_kind:     by_value
      - .offset:         76
        .size:           4
        .value_kind:     by_value
      - .offset:         80
        .size:           4
        .value_kind:     by_value
      - .actual_access:  read_only
        .address_space:  global
        .offset:         88
        .size:           8
        .value_kind:     global_buffer
      - .actual_access:  read_only
        .address_space:  global
        .offset:         96
        .size:           8
        .value_kind:     global_buffer
      - .actual_access:  read_only
        .address_space:  global
        .offset:         104
        .size:           8
        .value_kind:     global_buffer
      - .actual_access:  read_only
        .address_space:  global
        .offset:         112
        .size:           8
        .value_kind:     global_buffer
      - .offset:         120
        .size:           4
        .value_kind:     by_value
      - .address_space:  global
        .offset:         128
        .size:           8
        .value_kind:     global_buffer
      - .address_space:  global
        .offset:         136
        .size:           8
        .value_kind:     global_buffer
      - .offset:         144
        .size:           4
        .value_kind:     hidden_block_count_x
      - .offset:         148
        .size:           4
        .value_kind:     hidden_block_count_y
      - .offset:         152
        .size:           4
        .value_kind:     hidden_block_count_z
      - .offset:         156
        .size:           2
        .value_kind:     hidden_group_size_x
      - .offset:         158
        .size:           2
        .value_kind:     hidden_group_size_y
      - .offset:         160
        .size:           2
        .value_kind:     hidden_group_size_z
      - .offset:         162
        .size:           2
        .value_kind:     hidden_remainder_x
      - .offset:         164
        .size:           2
        .value_kind:     hidden_remainder_y
      - .offset:         166
        .size:           2
        .value_kind:     hidden_remainder_z
      - .offset:         184
        .size:           8
        .value_kind:     hidden_global_offset_x
      - .offset:         192
        .size:           8
        .value_kind:     hidden_global_offset_y
      - .offset:         200
        .size:           8
        .value_kind:     hidden_global_offset_z
      - .offset:         208
        .size:           2
        .value_kind:     hidden_grid_dims
      - .offset:         224
        .size:           8
        .value_kind:     hidden_hostcall_buffer
    .group_segment_fixed_size: 0
    .kernarg_segment_align: 8
    .kernarg_segment_size: 400
    .language:       OpenCL C
    .language_version:
      - 2
      - 0
    .max_flat_workgroup_size: 256
    .name:           _Z38paged_attention_ll4mi_QKV_mfma4_kernelIDF16_hLN4vllm18Fp8KVCacheDataTypeE1EDF16_Li16ELi128ELi256ELb1ELi1EEvPKT_PKT0_S7_ifPKiS9_S9_iPKfiiiPfSC_PS2_PT2_iSB_SB_
    .private_segment_fixed_size: 64
    .sgpr_count:     36
    .sgpr_spill_count: 0
    .symbol:         _Z38paged_attention_ll4mi_QKV_mfma4_kernelIDF16_hLN4vllm18Fp8KVCacheDataTypeE1EDF16_Li16ELi128ELi256ELb1ELi1EEvPKT_PKT0_S7_ifPKiS9_S9_iPKfiiiPfSC_PS2_PT2_iSB_SB_.kd
    .uniform_work_group_size: 1
    .uses_dynamic_stack: false
    .vgpr_count:     51
    .vgpr_spill_count: 0
    .wavefront_size: 32
  - .args:
      - .actual_access:  read_only
        .address_space:  global
        .offset:         0
        .size:           8
        .value_kind:     global_buffer
      - .actual_access:  read_only
        .address_space:  global
        .offset:         8
        .size:           8
        .value_kind:     global_buffer
      - .actual_access:  read_only
        .address_space:  global
        .offset:         16
        .size:           8
        .value_kind:     global_buffer
      - .offset:         24
        .size:           4
        .value_kind:     by_value
      - .offset:         28
        .size:           4
        .value_kind:     by_value
      - .actual_access:  read_only
        .address_space:  global
        .offset:         32
        .size:           8
        .value_kind:     global_buffer
      - .actual_access:  read_only
        .address_space:  global
        .offset:         40
        .size:           8
        .value_kind:     global_buffer
      - .actual_access:  read_only
        .address_space:  global
        .offset:         48
        .size:           8
        .value_kind:     global_buffer
      - .offset:         56
        .size:           4
        .value_kind:     by_value
      - .actual_access:  read_only
        .address_space:  global
        .offset:         64
        .size:           8
        .value_kind:     global_buffer
      - .offset:         72
        .size:           4
        .value_kind:     by_value
      - .offset:         76
        .size:           4
        .value_kind:     by_value
      - .offset:         80
        .size:           4
        .value_kind:     by_value
      - .actual_access:  read_only
        .address_space:  global
        .offset:         88
        .size:           8
        .value_kind:     global_buffer
      - .actual_access:  read_only
        .address_space:  global
        .offset:         96
        .size:           8
        .value_kind:     global_buffer
      - .actual_access:  read_only
        .address_space:  global
        .offset:         104
        .size:           8
        .value_kind:     global_buffer
      - .actual_access:  read_only
        .address_space:  global
        .offset:         112
        .size:           8
        .value_kind:     global_buffer
      - .offset:         120
        .size:           4
        .value_kind:     by_value
      - .address_space:  global
        .offset:         128
        .size:           8
        .value_kind:     global_buffer
      - .address_space:  global
        .offset:         136
        .size:           8
        .value_kind:     global_buffer
      - .offset:         144
        .size:           4
        .value_kind:     hidden_block_count_x
      - .offset:         148
        .size:           4
        .value_kind:     hidden_block_count_y
      - .offset:         152
        .size:           4
        .value_kind:     hidden_block_count_z
      - .offset:         156
        .size:           2
        .value_kind:     hidden_group_size_x
      - .offset:         158
        .size:           2
        .value_kind:     hidden_group_size_y
      - .offset:         160
        .size:           2
        .value_kind:     hidden_group_size_z
      - .offset:         162
        .size:           2
        .value_kind:     hidden_remainder_x
      - .offset:         164
        .size:           2
        .value_kind:     hidden_remainder_y
      - .offset:         166
        .size:           2
        .value_kind:     hidden_remainder_z
      - .offset:         184
        .size:           8
        .value_kind:     hidden_global_offset_x
      - .offset:         192
        .size:           8
        .value_kind:     hidden_global_offset_y
      - .offset:         200
        .size:           8
        .value_kind:     hidden_global_offset_z
      - .offset:         208
        .size:           2
        .value_kind:     hidden_grid_dims
      - .offset:         224
        .size:           8
        .value_kind:     hidden_hostcall_buffer
    .group_segment_fixed_size: 0
    .kernarg_segment_align: 8
    .kernarg_segment_size: 400
    .language:       OpenCL C
    .language_version:
      - 2
      - 0
    .max_flat_workgroup_size: 256
    .name:           _Z38paged_attention_ll4mi_QKV_mfma4_kernelIDF16_hLN4vllm18Fp8KVCacheDataTypeE1EDF16_Li16ELi128ELi256ELb1ELi2EEvPKT_PKT0_S7_ifPKiS9_S9_iPKfiiiPfSC_PS2_PT2_iSB_SB_
    .private_segment_fixed_size: 64
    .sgpr_count:     36
    .sgpr_spill_count: 0
    .symbol:         _Z38paged_attention_ll4mi_QKV_mfma4_kernelIDF16_hLN4vllm18Fp8KVCacheDataTypeE1EDF16_Li16ELi128ELi256ELb1ELi2EEvPKT_PKT0_S7_ifPKiS9_S9_iPKfiiiPfSC_PS2_PT2_iSB_SB_.kd
    .uniform_work_group_size: 1
    .uses_dynamic_stack: false
    .vgpr_count:     51
    .vgpr_spill_count: 0
    .wavefront_size: 32
  - .args:
      - .actual_access:  read_only
        .address_space:  global
        .offset:         0
        .size:           8
        .value_kind:     global_buffer
      - .actual_access:  read_only
        .address_space:  global
        .offset:         8
        .size:           8
        .value_kind:     global_buffer
      - .actual_access:  read_only
        .address_space:  global
        .offset:         16
        .size:           8
        .value_kind:     global_buffer
      - .offset:         24
        .size:           4
        .value_kind:     by_value
      - .offset:         28
        .size:           4
        .value_kind:     by_value
      - .actual_access:  read_only
        .address_space:  global
        .offset:         32
        .size:           8
        .value_kind:     global_buffer
      - .actual_access:  read_only
        .address_space:  global
        .offset:         40
        .size:           8
        .value_kind:     global_buffer
      - .actual_access:  read_only
        .address_space:  global
        .offset:         48
        .size:           8
        .value_kind:     global_buffer
      - .offset:         56
        .size:           4
        .value_kind:     by_value
      - .actual_access:  read_only
        .address_space:  global
        .offset:         64
        .size:           8
        .value_kind:     global_buffer
      - .offset:         72
        .size:           4
        .value_kind:     by_value
      - .offset:         76
        .size:           4
        .value_kind:     by_value
      - .offset:         80
        .size:           4
        .value_kind:     by_value
      - .actual_access:  read_only
        .address_space:  global
        .offset:         88
        .size:           8
        .value_kind:     global_buffer
      - .actual_access:  read_only
        .address_space:  global
        .offset:         96
        .size:           8
        .value_kind:     global_buffer
      - .actual_access:  read_only
        .address_space:  global
        .offset:         104
        .size:           8
        .value_kind:     global_buffer
      - .actual_access:  read_only
        .address_space:  global
        .offset:         112
        .size:           8
        .value_kind:     global_buffer
      - .offset:         120
        .size:           4
        .value_kind:     by_value
      - .address_space:  global
        .offset:         128
        .size:           8
        .value_kind:     global_buffer
      - .address_space:  global
        .offset:         136
        .size:           8
        .value_kind:     global_buffer
      - .offset:         144
        .size:           4
        .value_kind:     hidden_block_count_x
      - .offset:         148
        .size:           4
        .value_kind:     hidden_block_count_y
      - .offset:         152
        .size:           4
        .value_kind:     hidden_block_count_z
      - .offset:         156
        .size:           2
        .value_kind:     hidden_group_size_x
      - .offset:         158
        .size:           2
        .value_kind:     hidden_group_size_y
      - .offset:         160
        .size:           2
        .value_kind:     hidden_group_size_z
      - .offset:         162
        .size:           2
        .value_kind:     hidden_remainder_x
      - .offset:         164
        .size:           2
        .value_kind:     hidden_remainder_y
      - .offset:         166
        .size:           2
        .value_kind:     hidden_remainder_z
      - .offset:         184
        .size:           8
        .value_kind:     hidden_global_offset_x
      - .offset:         192
        .size:           8
        .value_kind:     hidden_global_offset_y
      - .offset:         200
        .size:           8
        .value_kind:     hidden_global_offset_z
      - .offset:         208
        .size:           2
        .value_kind:     hidden_grid_dims
      - .offset:         224
        .size:           8
        .value_kind:     hidden_hostcall_buffer
    .group_segment_fixed_size: 0
    .kernarg_segment_align: 8
    .kernarg_segment_size: 400
    .language:       OpenCL C
    .language_version:
      - 2
      - 0
    .max_flat_workgroup_size: 256
    .name:           _Z38paged_attention_ll4mi_QKV_mfma4_kernelIDF16_hLN4vllm18Fp8KVCacheDataTypeE1EDF16_Li16ELi128ELi256ELb1ELi3EEvPKT_PKT0_S7_ifPKiS9_S9_iPKfiiiPfSC_PS2_PT2_iSB_SB_
    .private_segment_fixed_size: 64
    .sgpr_count:     36
    .sgpr_spill_count: 0
    .symbol:         _Z38paged_attention_ll4mi_QKV_mfma4_kernelIDF16_hLN4vllm18Fp8KVCacheDataTypeE1EDF16_Li16ELi128ELi256ELb1ELi3EEvPKT_PKT0_S7_ifPKiS9_S9_iPKfiiiPfSC_PS2_PT2_iSB_SB_.kd
    .uniform_work_group_size: 1
    .uses_dynamic_stack: false
    .vgpr_count:     51
    .vgpr_spill_count: 0
    .wavefront_size: 32
  - .args:
      - .actual_access:  read_only
        .address_space:  global
        .offset:         0
        .size:           8
        .value_kind:     global_buffer
      - .actual_access:  read_only
        .address_space:  global
        .offset:         8
        .size:           8
        .value_kind:     global_buffer
      - .actual_access:  read_only
        .address_space:  global
        .offset:         16
        .size:           8
        .value_kind:     global_buffer
      - .offset:         24
        .size:           4
        .value_kind:     by_value
      - .offset:         28
        .size:           4
        .value_kind:     by_value
      - .actual_access:  read_only
        .address_space:  global
        .offset:         32
        .size:           8
        .value_kind:     global_buffer
      - .actual_access:  read_only
        .address_space:  global
        .offset:         40
        .size:           8
        .value_kind:     global_buffer
      - .actual_access:  read_only
        .address_space:  global
        .offset:         48
        .size:           8
        .value_kind:     global_buffer
      - .offset:         56
        .size:           4
        .value_kind:     by_value
      - .actual_access:  read_only
        .address_space:  global
        .offset:         64
        .size:           8
        .value_kind:     global_buffer
      - .offset:         72
        .size:           4
        .value_kind:     by_value
      - .offset:         76
        .size:           4
        .value_kind:     by_value
      - .offset:         80
        .size:           4
        .value_kind:     by_value
      - .actual_access:  read_only
        .address_space:  global
        .offset:         88
        .size:           8
        .value_kind:     global_buffer
      - .actual_access:  read_only
        .address_space:  global
        .offset:         96
        .size:           8
        .value_kind:     global_buffer
      - .actual_access:  read_only
        .address_space:  global
        .offset:         104
        .size:           8
        .value_kind:     global_buffer
      - .actual_access:  read_only
        .address_space:  global
        .offset:         112
        .size:           8
        .value_kind:     global_buffer
      - .offset:         120
        .size:           4
        .value_kind:     by_value
      - .address_space:  global
        .offset:         128
        .size:           8
        .value_kind:     global_buffer
      - .address_space:  global
        .offset:         136
        .size:           8
        .value_kind:     global_buffer
      - .offset:         144
        .size:           4
        .value_kind:     hidden_block_count_x
      - .offset:         148
        .size:           4
        .value_kind:     hidden_block_count_y
      - .offset:         152
        .size:           4
        .value_kind:     hidden_block_count_z
      - .offset:         156
        .size:           2
        .value_kind:     hidden_group_size_x
      - .offset:         158
        .size:           2
        .value_kind:     hidden_group_size_y
      - .offset:         160
        .size:           2
        .value_kind:     hidden_group_size_z
      - .offset:         162
        .size:           2
        .value_kind:     hidden_remainder_x
      - .offset:         164
        .size:           2
        .value_kind:     hidden_remainder_y
      - .offset:         166
        .size:           2
        .value_kind:     hidden_remainder_z
      - .offset:         184
        .size:           8
        .value_kind:     hidden_global_offset_x
      - .offset:         192
        .size:           8
        .value_kind:     hidden_global_offset_y
      - .offset:         200
        .size:           8
        .value_kind:     hidden_global_offset_z
      - .offset:         208
        .size:           2
        .value_kind:     hidden_grid_dims
      - .offset:         224
        .size:           8
        .value_kind:     hidden_hostcall_buffer
    .group_segment_fixed_size: 0
    .kernarg_segment_align: 8
    .kernarg_segment_size: 400
    .language:       OpenCL C
    .language_version:
      - 2
      - 0
    .max_flat_workgroup_size: 256
    .name:           _Z38paged_attention_ll4mi_QKV_mfma4_kernelIDF16_hLN4vllm18Fp8KVCacheDataTypeE1EDF16_Li16ELi128ELi256ELb1ELi4EEvPKT_PKT0_S7_ifPKiS9_S9_iPKfiiiPfSC_PS2_PT2_iSB_SB_
    .private_segment_fixed_size: 64
    .sgpr_count:     36
    .sgpr_spill_count: 0
    .symbol:         _Z38paged_attention_ll4mi_QKV_mfma4_kernelIDF16_hLN4vllm18Fp8KVCacheDataTypeE1EDF16_Li16ELi128ELi256ELb1ELi4EEvPKT_PKT0_S7_ifPKiS9_S9_iPKfiiiPfSC_PS2_PT2_iSB_SB_.kd
    .uniform_work_group_size: 1
    .uses_dynamic_stack: false
    .vgpr_count:     51
    .vgpr_spill_count: 0
    .wavefront_size: 32
  - .args:
      - .actual_access:  read_only
        .address_space:  global
        .offset:         0
        .size:           8
        .value_kind:     global_buffer
      - .actual_access:  read_only
        .address_space:  global
        .offset:         8
        .size:           8
        .value_kind:     global_buffer
      - .actual_access:  read_only
        .address_space:  global
        .offset:         16
        .size:           8
        .value_kind:     global_buffer
      - .offset:         24
        .size:           4
        .value_kind:     by_value
      - .offset:         28
        .size:           4
        .value_kind:     by_value
      - .actual_access:  read_only
        .address_space:  global
        .offset:         32
        .size:           8
        .value_kind:     global_buffer
      - .actual_access:  read_only
        .address_space:  global
        .offset:         40
        .size:           8
        .value_kind:     global_buffer
      - .actual_access:  read_only
        .address_space:  global
        .offset:         48
        .size:           8
        .value_kind:     global_buffer
      - .offset:         56
        .size:           4
        .value_kind:     by_value
      - .actual_access:  read_only
        .address_space:  global
        .offset:         64
        .size:           8
        .value_kind:     global_buffer
      - .offset:         72
        .size:           4
        .value_kind:     by_value
      - .offset:         76
        .size:           4
        .value_kind:     by_value
      - .offset:         80
        .size:           4
        .value_kind:     by_value
      - .actual_access:  read_only
        .address_space:  global
        .offset:         88
        .size:           8
        .value_kind:     global_buffer
      - .actual_access:  read_only
        .address_space:  global
        .offset:         96
        .size:           8
        .value_kind:     global_buffer
      - .actual_access:  read_only
        .address_space:  global
        .offset:         104
        .size:           8
        .value_kind:     global_buffer
      - .actual_access:  read_only
        .address_space:  global
        .offset:         112
        .size:           8
        .value_kind:     global_buffer
      - .offset:         120
        .size:           4
        .value_kind:     by_value
      - .address_space:  global
        .offset:         128
        .size:           8
        .value_kind:     global_buffer
      - .address_space:  global
        .offset:         136
        .size:           8
        .value_kind:     global_buffer
      - .offset:         144
        .size:           4
        .value_kind:     hidden_block_count_x
      - .offset:         148
        .size:           4
        .value_kind:     hidden_block_count_y
      - .offset:         152
        .size:           4
        .value_kind:     hidden_block_count_z
      - .offset:         156
        .size:           2
        .value_kind:     hidden_group_size_x
      - .offset:         158
        .size:           2
        .value_kind:     hidden_group_size_y
      - .offset:         160
        .size:           2
        .value_kind:     hidden_group_size_z
      - .offset:         162
        .size:           2
        .value_kind:     hidden_remainder_x
      - .offset:         164
        .size:           2
        .value_kind:     hidden_remainder_y
      - .offset:         166
        .size:           2
        .value_kind:     hidden_remainder_z
      - .offset:         184
        .size:           8
        .value_kind:     hidden_global_offset_x
      - .offset:         192
        .size:           8
        .value_kind:     hidden_global_offset_y
      - .offset:         200
        .size:           8
        .value_kind:     hidden_global_offset_z
      - .offset:         208
        .size:           2
        .value_kind:     hidden_grid_dims
      - .offset:         224
        .size:           8
        .value_kind:     hidden_hostcall_buffer
    .group_segment_fixed_size: 0
    .kernarg_segment_align: 8
    .kernarg_segment_size: 400
    .language:       OpenCL C
    .language_version:
      - 2
      - 0
    .max_flat_workgroup_size: 256
    .name:           _Z39paged_attention_ll4mi_QKV_mfma16_kernelIDF16_hLN4vllm18Fp8KVCacheDataTypeE1EDF16_Li16ELi128ELi256ELb1ELi5EEvPKT_PKT0_S7_ifPKiS9_S9_iPKfiiiPfSC_PS2_PT2_iSB_SB_
    .private_segment_fixed_size: 64
    .sgpr_count:     36
    .sgpr_spill_count: 0
    .symbol:         _Z39paged_attention_ll4mi_QKV_mfma16_kernelIDF16_hLN4vllm18Fp8KVCacheDataTypeE1EDF16_Li16ELi128ELi256ELb1ELi5EEvPKT_PKT0_S7_ifPKiS9_S9_iPKfiiiPfSC_PS2_PT2_iSB_SB_.kd
    .uniform_work_group_size: 1
    .uses_dynamic_stack: false
    .vgpr_count:     51
    .vgpr_spill_count: 0
    .wavefront_size: 32
  - .args:
      - .actual_access:  read_only
        .address_space:  global
        .offset:         0
        .size:           8
        .value_kind:     global_buffer
      - .actual_access:  read_only
        .address_space:  global
        .offset:         8
        .size:           8
        .value_kind:     global_buffer
      - .actual_access:  read_only
        .address_space:  global
        .offset:         16
        .size:           8
        .value_kind:     global_buffer
      - .offset:         24
        .size:           4
        .value_kind:     by_value
      - .offset:         28
        .size:           4
        .value_kind:     by_value
      - .actual_access:  read_only
        .address_space:  global
        .offset:         32
        .size:           8
        .value_kind:     global_buffer
      - .actual_access:  read_only
        .address_space:  global
        .offset:         40
        .size:           8
        .value_kind:     global_buffer
      - .actual_access:  read_only
        .address_space:  global
        .offset:         48
        .size:           8
        .value_kind:     global_buffer
      - .offset:         56
        .size:           4
        .value_kind:     by_value
      - .actual_access:  read_only
        .address_space:  global
        .offset:         64
        .size:           8
        .value_kind:     global_buffer
      - .offset:         72
        .size:           4
        .value_kind:     by_value
      - .offset:         76
        .size:           4
        .value_kind:     by_value
      - .offset:         80
        .size:           4
        .value_kind:     by_value
      - .actual_access:  read_only
        .address_space:  global
        .offset:         88
        .size:           8
        .value_kind:     global_buffer
      - .actual_access:  read_only
        .address_space:  global
        .offset:         96
        .size:           8
        .value_kind:     global_buffer
      - .actual_access:  read_only
        .address_space:  global
        .offset:         104
        .size:           8
        .value_kind:     global_buffer
      - .actual_access:  read_only
        .address_space:  global
        .offset:         112
        .size:           8
        .value_kind:     global_buffer
      - .offset:         120
        .size:           4
        .value_kind:     by_value
      - .address_space:  global
        .offset:         128
        .size:           8
        .value_kind:     global_buffer
      - .address_space:  global
        .offset:         136
        .size:           8
        .value_kind:     global_buffer
      - .offset:         144
        .size:           4
        .value_kind:     hidden_block_count_x
      - .offset:         148
        .size:           4
        .value_kind:     hidden_block_count_y
      - .offset:         152
        .size:           4
        .value_kind:     hidden_block_count_z
      - .offset:         156
        .size:           2
        .value_kind:     hidden_group_size_x
      - .offset:         158
        .size:           2
        .value_kind:     hidden_group_size_y
      - .offset:         160
        .size:           2
        .value_kind:     hidden_group_size_z
      - .offset:         162
        .size:           2
        .value_kind:     hidden_remainder_x
      - .offset:         164
        .size:           2
        .value_kind:     hidden_remainder_y
      - .offset:         166
        .size:           2
        .value_kind:     hidden_remainder_z
      - .offset:         184
        .size:           8
        .value_kind:     hidden_global_offset_x
      - .offset:         192
        .size:           8
        .value_kind:     hidden_global_offset_y
      - .offset:         200
        .size:           8
        .value_kind:     hidden_global_offset_z
      - .offset:         208
        .size:           2
        .value_kind:     hidden_grid_dims
      - .offset:         224
        .size:           8
        .value_kind:     hidden_hostcall_buffer
    .group_segment_fixed_size: 0
    .kernarg_segment_align: 8
    .kernarg_segment_size: 400
    .language:       OpenCL C
    .language_version:
      - 2
      - 0
    .max_flat_workgroup_size: 256
    .name:           _Z39paged_attention_ll4mi_QKV_mfma16_kernelIDF16_hLN4vllm18Fp8KVCacheDataTypeE1EDF16_Li16ELi128ELi256ELb1ELi6EEvPKT_PKT0_S7_ifPKiS9_S9_iPKfiiiPfSC_PS2_PT2_iSB_SB_
    .private_segment_fixed_size: 64
    .sgpr_count:     36
    .sgpr_spill_count: 0
    .symbol:         _Z39paged_attention_ll4mi_QKV_mfma16_kernelIDF16_hLN4vllm18Fp8KVCacheDataTypeE1EDF16_Li16ELi128ELi256ELb1ELi6EEvPKT_PKT0_S7_ifPKiS9_S9_iPKfiiiPfSC_PS2_PT2_iSB_SB_.kd
    .uniform_work_group_size: 1
    .uses_dynamic_stack: false
    .vgpr_count:     51
    .vgpr_spill_count: 0
    .wavefront_size: 32
  - .args:
      - .actual_access:  read_only
        .address_space:  global
        .offset:         0
        .size:           8
        .value_kind:     global_buffer
      - .actual_access:  read_only
        .address_space:  global
        .offset:         8
        .size:           8
        .value_kind:     global_buffer
      - .actual_access:  read_only
        .address_space:  global
        .offset:         16
        .size:           8
        .value_kind:     global_buffer
      - .offset:         24
        .size:           4
        .value_kind:     by_value
      - .offset:         28
        .size:           4
        .value_kind:     by_value
      - .actual_access:  read_only
        .address_space:  global
        .offset:         32
        .size:           8
        .value_kind:     global_buffer
      - .actual_access:  read_only
        .address_space:  global
        .offset:         40
        .size:           8
        .value_kind:     global_buffer
      - .actual_access:  read_only
        .address_space:  global
        .offset:         48
        .size:           8
        .value_kind:     global_buffer
      - .offset:         56
        .size:           4
        .value_kind:     by_value
      - .actual_access:  read_only
        .address_space:  global
        .offset:         64
        .size:           8
        .value_kind:     global_buffer
      - .offset:         72
        .size:           4
        .value_kind:     by_value
      - .offset:         76
        .size:           4
        .value_kind:     by_value
      - .offset:         80
        .size:           4
        .value_kind:     by_value
      - .actual_access:  read_only
        .address_space:  global
        .offset:         88
        .size:           8
        .value_kind:     global_buffer
      - .actual_access:  read_only
        .address_space:  global
        .offset:         96
        .size:           8
        .value_kind:     global_buffer
      - .actual_access:  read_only
        .address_space:  global
        .offset:         104
        .size:           8
        .value_kind:     global_buffer
      - .actual_access:  read_only
        .address_space:  global
        .offset:         112
        .size:           8
        .value_kind:     global_buffer
      - .offset:         120
        .size:           4
        .value_kind:     by_value
      - .address_space:  global
        .offset:         128
        .size:           8
        .value_kind:     global_buffer
      - .address_space:  global
        .offset:         136
        .size:           8
        .value_kind:     global_buffer
      - .offset:         144
        .size:           4
        .value_kind:     hidden_block_count_x
      - .offset:         148
        .size:           4
        .value_kind:     hidden_block_count_y
      - .offset:         152
        .size:           4
        .value_kind:     hidden_block_count_z
      - .offset:         156
        .size:           2
        .value_kind:     hidden_group_size_x
      - .offset:         158
        .size:           2
        .value_kind:     hidden_group_size_y
      - .offset:         160
        .size:           2
        .value_kind:     hidden_group_size_z
      - .offset:         162
        .size:           2
        .value_kind:     hidden_remainder_x
      - .offset:         164
        .size:           2
        .value_kind:     hidden_remainder_y
      - .offset:         166
        .size:           2
        .value_kind:     hidden_remainder_z
      - .offset:         184
        .size:           8
        .value_kind:     hidden_global_offset_x
      - .offset:         192
        .size:           8
        .value_kind:     hidden_global_offset_y
      - .offset:         200
        .size:           8
        .value_kind:     hidden_global_offset_z
      - .offset:         208
        .size:           2
        .value_kind:     hidden_grid_dims
      - .offset:         224
        .size:           8
        .value_kind:     hidden_hostcall_buffer
    .group_segment_fixed_size: 0
    .kernarg_segment_align: 8
    .kernarg_segment_size: 400
    .language:       OpenCL C
    .language_version:
      - 2
      - 0
    .max_flat_workgroup_size: 256
    .name:           _Z39paged_attention_ll4mi_QKV_mfma16_kernelIDF16_hLN4vllm18Fp8KVCacheDataTypeE1EDF16_Li16ELi128ELi256ELb1ELi7EEvPKT_PKT0_S7_ifPKiS9_S9_iPKfiiiPfSC_PS2_PT2_iSB_SB_
    .private_segment_fixed_size: 64
    .sgpr_count:     36
    .sgpr_spill_count: 0
    .symbol:         _Z39paged_attention_ll4mi_QKV_mfma16_kernelIDF16_hLN4vllm18Fp8KVCacheDataTypeE1EDF16_Li16ELi128ELi256ELb1ELi7EEvPKT_PKT0_S7_ifPKiS9_S9_iPKfiiiPfSC_PS2_PT2_iSB_SB_.kd
    .uniform_work_group_size: 1
    .uses_dynamic_stack: false
    .vgpr_count:     51
    .vgpr_spill_count: 0
    .wavefront_size: 32
  - .args:
      - .actual_access:  read_only
        .address_space:  global
        .offset:         0
        .size:           8
        .value_kind:     global_buffer
      - .actual_access:  read_only
        .address_space:  global
        .offset:         8
        .size:           8
        .value_kind:     global_buffer
      - .actual_access:  read_only
        .address_space:  global
        .offset:         16
        .size:           8
        .value_kind:     global_buffer
      - .offset:         24
        .size:           4
        .value_kind:     by_value
      - .offset:         28
        .size:           4
        .value_kind:     by_value
      - .actual_access:  read_only
        .address_space:  global
        .offset:         32
        .size:           8
        .value_kind:     global_buffer
      - .actual_access:  read_only
        .address_space:  global
        .offset:         40
        .size:           8
        .value_kind:     global_buffer
      - .actual_access:  read_only
        .address_space:  global
        .offset:         48
        .size:           8
        .value_kind:     global_buffer
      - .offset:         56
        .size:           4
        .value_kind:     by_value
      - .actual_access:  read_only
        .address_space:  global
        .offset:         64
        .size:           8
        .value_kind:     global_buffer
      - .offset:         72
        .size:           4
        .value_kind:     by_value
      - .offset:         76
        .size:           4
        .value_kind:     by_value
      - .offset:         80
        .size:           4
        .value_kind:     by_value
      - .actual_access:  read_only
        .address_space:  global
        .offset:         88
        .size:           8
        .value_kind:     global_buffer
      - .actual_access:  read_only
        .address_space:  global
        .offset:         96
        .size:           8
        .value_kind:     global_buffer
      - .actual_access:  read_only
        .address_space:  global
        .offset:         104
        .size:           8
        .value_kind:     global_buffer
      - .actual_access:  read_only
        .address_space:  global
        .offset:         112
        .size:           8
        .value_kind:     global_buffer
      - .offset:         120
        .size:           4
        .value_kind:     by_value
      - .address_space:  global
        .offset:         128
        .size:           8
        .value_kind:     global_buffer
      - .address_space:  global
        .offset:         136
        .size:           8
        .value_kind:     global_buffer
      - .offset:         144
        .size:           4
        .value_kind:     hidden_block_count_x
      - .offset:         148
        .size:           4
        .value_kind:     hidden_block_count_y
      - .offset:         152
        .size:           4
        .value_kind:     hidden_block_count_z
      - .offset:         156
        .size:           2
        .value_kind:     hidden_group_size_x
      - .offset:         158
        .size:           2
        .value_kind:     hidden_group_size_y
      - .offset:         160
        .size:           2
        .value_kind:     hidden_group_size_z
      - .offset:         162
        .size:           2
        .value_kind:     hidden_remainder_x
      - .offset:         164
        .size:           2
        .value_kind:     hidden_remainder_y
      - .offset:         166
        .size:           2
        .value_kind:     hidden_remainder_z
      - .offset:         184
        .size:           8
        .value_kind:     hidden_global_offset_x
      - .offset:         192
        .size:           8
        .value_kind:     hidden_global_offset_y
      - .offset:         200
        .size:           8
        .value_kind:     hidden_global_offset_z
      - .offset:         208
        .size:           2
        .value_kind:     hidden_grid_dims
      - .offset:         224
        .size:           8
        .value_kind:     hidden_hostcall_buffer
    .group_segment_fixed_size: 0
    .kernarg_segment_align: 8
    .kernarg_segment_size: 400
    .language:       OpenCL C
    .language_version:
      - 2
      - 0
    .max_flat_workgroup_size: 256
    .name:           _Z39paged_attention_ll4mi_QKV_mfma16_kernelIDF16_hLN4vllm18Fp8KVCacheDataTypeE1EDF16_Li16ELi128ELi256ELb1ELi8EEvPKT_PKT0_S7_ifPKiS9_S9_iPKfiiiPfSC_PS2_PT2_iSB_SB_
    .private_segment_fixed_size: 64
    .sgpr_count:     36
    .sgpr_spill_count: 0
    .symbol:         _Z39paged_attention_ll4mi_QKV_mfma16_kernelIDF16_hLN4vllm18Fp8KVCacheDataTypeE1EDF16_Li16ELi128ELi256ELb1ELi8EEvPKT_PKT0_S7_ifPKiS9_S9_iPKfiiiPfSC_PS2_PT2_iSB_SB_.kd
    .uniform_work_group_size: 1
    .uses_dynamic_stack: false
    .vgpr_count:     51
    .vgpr_spill_count: 0
    .wavefront_size: 32
  - .args:
      - .actual_access:  read_only
        .address_space:  global
        .offset:         0
        .size:           8
        .value_kind:     global_buffer
      - .actual_access:  read_only
        .address_space:  global
        .offset:         8
        .size:           8
        .value_kind:     global_buffer
      - .actual_access:  read_only
        .address_space:  global
        .offset:         16
        .size:           8
        .value_kind:     global_buffer
      - .offset:         24
        .size:           4
        .value_kind:     by_value
      - .offset:         28
        .size:           4
        .value_kind:     by_value
      - .actual_access:  read_only
        .address_space:  global
        .offset:         32
        .size:           8
        .value_kind:     global_buffer
      - .actual_access:  read_only
        .address_space:  global
        .offset:         40
        .size:           8
        .value_kind:     global_buffer
      - .actual_access:  read_only
        .address_space:  global
        .offset:         48
        .size:           8
        .value_kind:     global_buffer
      - .offset:         56
        .size:           4
        .value_kind:     by_value
      - .actual_access:  read_only
        .address_space:  global
        .offset:         64
        .size:           8
        .value_kind:     global_buffer
      - .offset:         72
        .size:           4
        .value_kind:     by_value
      - .offset:         76
        .size:           4
        .value_kind:     by_value
      - .offset:         80
        .size:           4
        .value_kind:     by_value
      - .actual_access:  read_only
        .address_space:  global
        .offset:         88
        .size:           8
        .value_kind:     global_buffer
      - .actual_access:  read_only
        .address_space:  global
        .offset:         96
        .size:           8
        .value_kind:     global_buffer
      - .actual_access:  read_only
        .address_space:  global
        .offset:         104
        .size:           8
        .value_kind:     global_buffer
      - .actual_access:  read_only
        .address_space:  global
        .offset:         112
        .size:           8
        .value_kind:     global_buffer
      - .offset:         120
        .size:           4
        .value_kind:     by_value
      - .address_space:  global
        .offset:         128
        .size:           8
        .value_kind:     global_buffer
      - .address_space:  global
        .offset:         136
        .size:           8
        .value_kind:     global_buffer
      - .offset:         144
        .size:           4
        .value_kind:     hidden_block_count_x
      - .offset:         148
        .size:           4
        .value_kind:     hidden_block_count_y
      - .offset:         152
        .size:           4
        .value_kind:     hidden_block_count_z
      - .offset:         156
        .size:           2
        .value_kind:     hidden_group_size_x
      - .offset:         158
        .size:           2
        .value_kind:     hidden_group_size_y
      - .offset:         160
        .size:           2
        .value_kind:     hidden_group_size_z
      - .offset:         162
        .size:           2
        .value_kind:     hidden_remainder_x
      - .offset:         164
        .size:           2
        .value_kind:     hidden_remainder_y
      - .offset:         166
        .size:           2
        .value_kind:     hidden_remainder_z
      - .offset:         184
        .size:           8
        .value_kind:     hidden_global_offset_x
      - .offset:         192
        .size:           8
        .value_kind:     hidden_global_offset_y
      - .offset:         200
        .size:           8
        .value_kind:     hidden_global_offset_z
      - .offset:         208
        .size:           2
        .value_kind:     hidden_grid_dims
      - .offset:         224
        .size:           8
        .value_kind:     hidden_hostcall_buffer
    .group_segment_fixed_size: 0
    .kernarg_segment_align: 8
    .kernarg_segment_size: 400
    .language:       OpenCL C
    .language_version:
      - 2
      - 0
    .max_flat_workgroup_size: 256
    .name:           _Z39paged_attention_ll4mi_QKV_mfma16_kernelIDF16_hLN4vllm18Fp8KVCacheDataTypeE1EDF16_Li16ELi128ELi256ELb1ELi9EEvPKT_PKT0_S7_ifPKiS9_S9_iPKfiiiPfSC_PS2_PT2_iSB_SB_
    .private_segment_fixed_size: 64
    .sgpr_count:     36
    .sgpr_spill_count: 0
    .symbol:         _Z39paged_attention_ll4mi_QKV_mfma16_kernelIDF16_hLN4vllm18Fp8KVCacheDataTypeE1EDF16_Li16ELi128ELi256ELb1ELi9EEvPKT_PKT0_S7_ifPKiS9_S9_iPKfiiiPfSC_PS2_PT2_iSB_SB_.kd
    .uniform_work_group_size: 1
    .uses_dynamic_stack: false
    .vgpr_count:     51
    .vgpr_spill_count: 0
    .wavefront_size: 32
  - .args:
      - .actual_access:  read_only
        .address_space:  global
        .offset:         0
        .size:           8
        .value_kind:     global_buffer
      - .actual_access:  read_only
        .address_space:  global
        .offset:         8
        .size:           8
        .value_kind:     global_buffer
      - .actual_access:  read_only
        .address_space:  global
        .offset:         16
        .size:           8
        .value_kind:     global_buffer
      - .offset:         24
        .size:           4
        .value_kind:     by_value
      - .offset:         28
        .size:           4
        .value_kind:     by_value
      - .actual_access:  read_only
        .address_space:  global
        .offset:         32
        .size:           8
        .value_kind:     global_buffer
      - .actual_access:  read_only
        .address_space:  global
        .offset:         40
        .size:           8
        .value_kind:     global_buffer
      - .actual_access:  read_only
        .address_space:  global
        .offset:         48
        .size:           8
        .value_kind:     global_buffer
      - .offset:         56
        .size:           4
        .value_kind:     by_value
      - .actual_access:  read_only
        .address_space:  global
        .offset:         64
        .size:           8
        .value_kind:     global_buffer
      - .offset:         72
        .size:           4
        .value_kind:     by_value
      - .offset:         76
        .size:           4
        .value_kind:     by_value
      - .offset:         80
        .size:           4
        .value_kind:     by_value
      - .actual_access:  read_only
        .address_space:  global
        .offset:         88
        .size:           8
        .value_kind:     global_buffer
      - .actual_access:  read_only
        .address_space:  global
        .offset:         96
        .size:           8
        .value_kind:     global_buffer
      - .actual_access:  read_only
        .address_space:  global
        .offset:         104
        .size:           8
        .value_kind:     global_buffer
      - .actual_access:  read_only
        .address_space:  global
        .offset:         112
        .size:           8
        .value_kind:     global_buffer
      - .offset:         120
        .size:           4
        .value_kind:     by_value
      - .address_space:  global
        .offset:         128
        .size:           8
        .value_kind:     global_buffer
      - .address_space:  global
        .offset:         136
        .size:           8
        .value_kind:     global_buffer
      - .offset:         144
        .size:           4
        .value_kind:     hidden_block_count_x
      - .offset:         148
        .size:           4
        .value_kind:     hidden_block_count_y
      - .offset:         152
        .size:           4
        .value_kind:     hidden_block_count_z
      - .offset:         156
        .size:           2
        .value_kind:     hidden_group_size_x
      - .offset:         158
        .size:           2
        .value_kind:     hidden_group_size_y
      - .offset:         160
        .size:           2
        .value_kind:     hidden_group_size_z
      - .offset:         162
        .size:           2
        .value_kind:     hidden_remainder_x
      - .offset:         164
        .size:           2
        .value_kind:     hidden_remainder_y
      - .offset:         166
        .size:           2
        .value_kind:     hidden_remainder_z
      - .offset:         184
        .size:           8
        .value_kind:     hidden_global_offset_x
      - .offset:         192
        .size:           8
        .value_kind:     hidden_global_offset_y
      - .offset:         200
        .size:           8
        .value_kind:     hidden_global_offset_z
      - .offset:         208
        .size:           2
        .value_kind:     hidden_grid_dims
      - .offset:         224
        .size:           8
        .value_kind:     hidden_hostcall_buffer
    .group_segment_fixed_size: 0
    .kernarg_segment_align: 8
    .kernarg_segment_size: 400
    .language:       OpenCL C
    .language_version:
      - 2
      - 0
    .max_flat_workgroup_size: 256
    .name:           _Z39paged_attention_ll4mi_QKV_mfma16_kernelIDF16_hLN4vllm18Fp8KVCacheDataTypeE1EDF16_Li16ELi128ELi256ELb1ELi10EEvPKT_PKT0_S7_ifPKiS9_S9_iPKfiiiPfSC_PS2_PT2_iSB_SB_
    .private_segment_fixed_size: 64
    .sgpr_count:     36
    .sgpr_spill_count: 0
    .symbol:         _Z39paged_attention_ll4mi_QKV_mfma16_kernelIDF16_hLN4vllm18Fp8KVCacheDataTypeE1EDF16_Li16ELi128ELi256ELb1ELi10EEvPKT_PKT0_S7_ifPKiS9_S9_iPKfiiiPfSC_PS2_PT2_iSB_SB_.kd
    .uniform_work_group_size: 1
    .uses_dynamic_stack: false
    .vgpr_count:     51
    .vgpr_spill_count: 0
    .wavefront_size: 32
  - .args:
      - .actual_access:  read_only
        .address_space:  global
        .offset:         0
        .size:           8
        .value_kind:     global_buffer
      - .actual_access:  read_only
        .address_space:  global
        .offset:         8
        .size:           8
        .value_kind:     global_buffer
      - .actual_access:  read_only
        .address_space:  global
        .offset:         16
        .size:           8
        .value_kind:     global_buffer
      - .offset:         24
        .size:           4
        .value_kind:     by_value
      - .offset:         28
        .size:           4
        .value_kind:     by_value
      - .actual_access:  read_only
        .address_space:  global
        .offset:         32
        .size:           8
        .value_kind:     global_buffer
      - .actual_access:  read_only
        .address_space:  global
        .offset:         40
        .size:           8
        .value_kind:     global_buffer
      - .actual_access:  read_only
        .address_space:  global
        .offset:         48
        .size:           8
        .value_kind:     global_buffer
      - .offset:         56
        .size:           4
        .value_kind:     by_value
      - .actual_access:  read_only
        .address_space:  global
        .offset:         64
        .size:           8
        .value_kind:     global_buffer
      - .offset:         72
        .size:           4
        .value_kind:     by_value
      - .offset:         76
        .size:           4
        .value_kind:     by_value
      - .offset:         80
        .size:           4
        .value_kind:     by_value
      - .actual_access:  read_only
        .address_space:  global
        .offset:         88
        .size:           8
        .value_kind:     global_buffer
      - .actual_access:  read_only
        .address_space:  global
        .offset:         96
        .size:           8
        .value_kind:     global_buffer
      - .actual_access:  read_only
        .address_space:  global
        .offset:         104
        .size:           8
        .value_kind:     global_buffer
      - .actual_access:  read_only
        .address_space:  global
        .offset:         112
        .size:           8
        .value_kind:     global_buffer
      - .offset:         120
        .size:           4
        .value_kind:     by_value
      - .address_space:  global
        .offset:         128
        .size:           8
        .value_kind:     global_buffer
      - .address_space:  global
        .offset:         136
        .size:           8
        .value_kind:     global_buffer
      - .offset:         144
        .size:           4
        .value_kind:     hidden_block_count_x
      - .offset:         148
        .size:           4
        .value_kind:     hidden_block_count_y
      - .offset:         152
        .size:           4
        .value_kind:     hidden_block_count_z
      - .offset:         156
        .size:           2
        .value_kind:     hidden_group_size_x
      - .offset:         158
        .size:           2
        .value_kind:     hidden_group_size_y
      - .offset:         160
        .size:           2
        .value_kind:     hidden_group_size_z
      - .offset:         162
        .size:           2
        .value_kind:     hidden_remainder_x
      - .offset:         164
        .size:           2
        .value_kind:     hidden_remainder_y
      - .offset:         166
        .size:           2
        .value_kind:     hidden_remainder_z
      - .offset:         184
        .size:           8
        .value_kind:     hidden_global_offset_x
      - .offset:         192
        .size:           8
        .value_kind:     hidden_global_offset_y
      - .offset:         200
        .size:           8
        .value_kind:     hidden_global_offset_z
      - .offset:         208
        .size:           2
        .value_kind:     hidden_grid_dims
      - .offset:         224
        .size:           8
        .value_kind:     hidden_hostcall_buffer
    .group_segment_fixed_size: 0
    .kernarg_segment_align: 8
    .kernarg_segment_size: 400
    .language:       OpenCL C
    .language_version:
      - 2
      - 0
    .max_flat_workgroup_size: 256
    .name:           _Z39paged_attention_ll4mi_QKV_mfma16_kernelIDF16_hLN4vllm18Fp8KVCacheDataTypeE1EDF16_Li16ELi128ELi256ELb1ELi11EEvPKT_PKT0_S7_ifPKiS9_S9_iPKfiiiPfSC_PS2_PT2_iSB_SB_
    .private_segment_fixed_size: 64
    .sgpr_count:     36
    .sgpr_spill_count: 0
    .symbol:         _Z39paged_attention_ll4mi_QKV_mfma16_kernelIDF16_hLN4vllm18Fp8KVCacheDataTypeE1EDF16_Li16ELi128ELi256ELb1ELi11EEvPKT_PKT0_S7_ifPKiS9_S9_iPKfiiiPfSC_PS2_PT2_iSB_SB_.kd
    .uniform_work_group_size: 1
    .uses_dynamic_stack: false
    .vgpr_count:     51
    .vgpr_spill_count: 0
    .wavefront_size: 32
  - .args:
      - .actual_access:  read_only
        .address_space:  global
        .offset:         0
        .size:           8
        .value_kind:     global_buffer
      - .actual_access:  read_only
        .address_space:  global
        .offset:         8
        .size:           8
        .value_kind:     global_buffer
      - .actual_access:  read_only
        .address_space:  global
        .offset:         16
        .size:           8
        .value_kind:     global_buffer
      - .offset:         24
        .size:           4
        .value_kind:     by_value
      - .offset:         28
        .size:           4
        .value_kind:     by_value
      - .actual_access:  read_only
        .address_space:  global
        .offset:         32
        .size:           8
        .value_kind:     global_buffer
      - .actual_access:  read_only
        .address_space:  global
        .offset:         40
        .size:           8
        .value_kind:     global_buffer
      - .actual_access:  read_only
        .address_space:  global
        .offset:         48
        .size:           8
        .value_kind:     global_buffer
      - .offset:         56
        .size:           4
        .value_kind:     by_value
      - .actual_access:  read_only
        .address_space:  global
        .offset:         64
        .size:           8
        .value_kind:     global_buffer
      - .offset:         72
        .size:           4
        .value_kind:     by_value
      - .offset:         76
        .size:           4
        .value_kind:     by_value
      - .offset:         80
        .size:           4
        .value_kind:     by_value
      - .actual_access:  read_only
        .address_space:  global
        .offset:         88
        .size:           8
        .value_kind:     global_buffer
      - .actual_access:  read_only
        .address_space:  global
        .offset:         96
        .size:           8
        .value_kind:     global_buffer
      - .actual_access:  read_only
        .address_space:  global
        .offset:         104
        .size:           8
        .value_kind:     global_buffer
      - .actual_access:  read_only
        .address_space:  global
        .offset:         112
        .size:           8
        .value_kind:     global_buffer
      - .offset:         120
        .size:           4
        .value_kind:     by_value
      - .address_space:  global
        .offset:         128
        .size:           8
        .value_kind:     global_buffer
      - .address_space:  global
        .offset:         136
        .size:           8
        .value_kind:     global_buffer
      - .offset:         144
        .size:           4
        .value_kind:     hidden_block_count_x
      - .offset:         148
        .size:           4
        .value_kind:     hidden_block_count_y
      - .offset:         152
        .size:           4
        .value_kind:     hidden_block_count_z
      - .offset:         156
        .size:           2
        .value_kind:     hidden_group_size_x
      - .offset:         158
        .size:           2
        .value_kind:     hidden_group_size_y
      - .offset:         160
        .size:           2
        .value_kind:     hidden_group_size_z
      - .offset:         162
        .size:           2
        .value_kind:     hidden_remainder_x
      - .offset:         164
        .size:           2
        .value_kind:     hidden_remainder_y
      - .offset:         166
        .size:           2
        .value_kind:     hidden_remainder_z
      - .offset:         184
        .size:           8
        .value_kind:     hidden_global_offset_x
      - .offset:         192
        .size:           8
        .value_kind:     hidden_global_offset_y
      - .offset:         200
        .size:           8
        .value_kind:     hidden_global_offset_z
      - .offset:         208
        .size:           2
        .value_kind:     hidden_grid_dims
      - .offset:         224
        .size:           8
        .value_kind:     hidden_hostcall_buffer
    .group_segment_fixed_size: 0
    .kernarg_segment_align: 8
    .kernarg_segment_size: 400
    .language:       OpenCL C
    .language_version:
      - 2
      - 0
    .max_flat_workgroup_size: 256
    .name:           _Z39paged_attention_ll4mi_QKV_mfma16_kernelIDF16_hLN4vllm18Fp8KVCacheDataTypeE1EDF16_Li16ELi128ELi256ELb1ELi12EEvPKT_PKT0_S7_ifPKiS9_S9_iPKfiiiPfSC_PS2_PT2_iSB_SB_
    .private_segment_fixed_size: 64
    .sgpr_count:     36
    .sgpr_spill_count: 0
    .symbol:         _Z39paged_attention_ll4mi_QKV_mfma16_kernelIDF16_hLN4vllm18Fp8KVCacheDataTypeE1EDF16_Li16ELi128ELi256ELb1ELi12EEvPKT_PKT0_S7_ifPKiS9_S9_iPKfiiiPfSC_PS2_PT2_iSB_SB_.kd
    .uniform_work_group_size: 1
    .uses_dynamic_stack: false
    .vgpr_count:     51
    .vgpr_spill_count: 0
    .wavefront_size: 32
  - .args:
      - .actual_access:  read_only
        .address_space:  global
        .offset:         0
        .size:           8
        .value_kind:     global_buffer
      - .actual_access:  read_only
        .address_space:  global
        .offset:         8
        .size:           8
        .value_kind:     global_buffer
      - .actual_access:  read_only
        .address_space:  global
        .offset:         16
        .size:           8
        .value_kind:     global_buffer
      - .offset:         24
        .size:           4
        .value_kind:     by_value
      - .offset:         28
        .size:           4
        .value_kind:     by_value
      - .actual_access:  read_only
        .address_space:  global
        .offset:         32
        .size:           8
        .value_kind:     global_buffer
      - .actual_access:  read_only
        .address_space:  global
        .offset:         40
        .size:           8
        .value_kind:     global_buffer
      - .actual_access:  read_only
        .address_space:  global
        .offset:         48
        .size:           8
        .value_kind:     global_buffer
      - .offset:         56
        .size:           4
        .value_kind:     by_value
      - .actual_access:  read_only
        .address_space:  global
        .offset:         64
        .size:           8
        .value_kind:     global_buffer
      - .offset:         72
        .size:           4
        .value_kind:     by_value
      - .offset:         76
        .size:           4
        .value_kind:     by_value
      - .offset:         80
        .size:           4
        .value_kind:     by_value
      - .actual_access:  read_only
        .address_space:  global
        .offset:         88
        .size:           8
        .value_kind:     global_buffer
      - .actual_access:  read_only
        .address_space:  global
        .offset:         96
        .size:           8
        .value_kind:     global_buffer
      - .actual_access:  read_only
        .address_space:  global
        .offset:         104
        .size:           8
        .value_kind:     global_buffer
      - .actual_access:  read_only
        .address_space:  global
        .offset:         112
        .size:           8
        .value_kind:     global_buffer
      - .offset:         120
        .size:           4
        .value_kind:     by_value
      - .address_space:  global
        .offset:         128
        .size:           8
        .value_kind:     global_buffer
      - .address_space:  global
        .offset:         136
        .size:           8
        .value_kind:     global_buffer
      - .offset:         144
        .size:           4
        .value_kind:     hidden_block_count_x
      - .offset:         148
        .size:           4
        .value_kind:     hidden_block_count_y
      - .offset:         152
        .size:           4
        .value_kind:     hidden_block_count_z
      - .offset:         156
        .size:           2
        .value_kind:     hidden_group_size_x
      - .offset:         158
        .size:           2
        .value_kind:     hidden_group_size_y
      - .offset:         160
        .size:           2
        .value_kind:     hidden_group_size_z
      - .offset:         162
        .size:           2
        .value_kind:     hidden_remainder_x
      - .offset:         164
        .size:           2
        .value_kind:     hidden_remainder_y
      - .offset:         166
        .size:           2
        .value_kind:     hidden_remainder_z
      - .offset:         184
        .size:           8
        .value_kind:     hidden_global_offset_x
      - .offset:         192
        .size:           8
        .value_kind:     hidden_global_offset_y
      - .offset:         200
        .size:           8
        .value_kind:     hidden_global_offset_z
      - .offset:         208
        .size:           2
        .value_kind:     hidden_grid_dims
      - .offset:         224
        .size:           8
        .value_kind:     hidden_hostcall_buffer
    .group_segment_fixed_size: 0
    .kernarg_segment_align: 8
    .kernarg_segment_size: 400
    .language:       OpenCL C
    .language_version:
      - 2
      - 0
    .max_flat_workgroup_size: 256
    .name:           _Z39paged_attention_ll4mi_QKV_mfma16_kernelIDF16_hLN4vllm18Fp8KVCacheDataTypeE1EDF16_Li16ELi128ELi256ELb1ELi13EEvPKT_PKT0_S7_ifPKiS9_S9_iPKfiiiPfSC_PS2_PT2_iSB_SB_
    .private_segment_fixed_size: 64
    .sgpr_count:     36
    .sgpr_spill_count: 0
    .symbol:         _Z39paged_attention_ll4mi_QKV_mfma16_kernelIDF16_hLN4vllm18Fp8KVCacheDataTypeE1EDF16_Li16ELi128ELi256ELb1ELi13EEvPKT_PKT0_S7_ifPKiS9_S9_iPKfiiiPfSC_PS2_PT2_iSB_SB_.kd
    .uniform_work_group_size: 1
    .uses_dynamic_stack: false
    .vgpr_count:     51
    .vgpr_spill_count: 0
    .wavefront_size: 32
  - .args:
      - .actual_access:  read_only
        .address_space:  global
        .offset:         0
        .size:           8
        .value_kind:     global_buffer
      - .actual_access:  read_only
        .address_space:  global
        .offset:         8
        .size:           8
        .value_kind:     global_buffer
      - .actual_access:  read_only
        .address_space:  global
        .offset:         16
        .size:           8
        .value_kind:     global_buffer
      - .offset:         24
        .size:           4
        .value_kind:     by_value
      - .offset:         28
        .size:           4
        .value_kind:     by_value
      - .actual_access:  read_only
        .address_space:  global
        .offset:         32
        .size:           8
        .value_kind:     global_buffer
      - .actual_access:  read_only
        .address_space:  global
        .offset:         40
        .size:           8
        .value_kind:     global_buffer
      - .actual_access:  read_only
        .address_space:  global
        .offset:         48
        .size:           8
        .value_kind:     global_buffer
      - .offset:         56
        .size:           4
        .value_kind:     by_value
      - .actual_access:  read_only
        .address_space:  global
        .offset:         64
        .size:           8
        .value_kind:     global_buffer
      - .offset:         72
        .size:           4
        .value_kind:     by_value
      - .offset:         76
        .size:           4
        .value_kind:     by_value
      - .offset:         80
        .size:           4
        .value_kind:     by_value
      - .actual_access:  read_only
        .address_space:  global
        .offset:         88
        .size:           8
        .value_kind:     global_buffer
      - .actual_access:  read_only
        .address_space:  global
        .offset:         96
        .size:           8
        .value_kind:     global_buffer
      - .actual_access:  read_only
        .address_space:  global
        .offset:         104
        .size:           8
        .value_kind:     global_buffer
      - .actual_access:  read_only
        .address_space:  global
        .offset:         112
        .size:           8
        .value_kind:     global_buffer
      - .offset:         120
        .size:           4
        .value_kind:     by_value
      - .address_space:  global
        .offset:         128
        .size:           8
        .value_kind:     global_buffer
      - .address_space:  global
        .offset:         136
        .size:           8
        .value_kind:     global_buffer
      - .offset:         144
        .size:           4
        .value_kind:     hidden_block_count_x
      - .offset:         148
        .size:           4
        .value_kind:     hidden_block_count_y
      - .offset:         152
        .size:           4
        .value_kind:     hidden_block_count_z
      - .offset:         156
        .size:           2
        .value_kind:     hidden_group_size_x
      - .offset:         158
        .size:           2
        .value_kind:     hidden_group_size_y
      - .offset:         160
        .size:           2
        .value_kind:     hidden_group_size_z
      - .offset:         162
        .size:           2
        .value_kind:     hidden_remainder_x
      - .offset:         164
        .size:           2
        .value_kind:     hidden_remainder_y
      - .offset:         166
        .size:           2
        .value_kind:     hidden_remainder_z
      - .offset:         184
        .size:           8
        .value_kind:     hidden_global_offset_x
      - .offset:         192
        .size:           8
        .value_kind:     hidden_global_offset_y
      - .offset:         200
        .size:           8
        .value_kind:     hidden_global_offset_z
      - .offset:         208
        .size:           2
        .value_kind:     hidden_grid_dims
      - .offset:         224
        .size:           8
        .value_kind:     hidden_hostcall_buffer
    .group_segment_fixed_size: 0
    .kernarg_segment_align: 8
    .kernarg_segment_size: 400
    .language:       OpenCL C
    .language_version:
      - 2
      - 0
    .max_flat_workgroup_size: 256
    .name:           _Z39paged_attention_ll4mi_QKV_mfma16_kernelIDF16_hLN4vllm18Fp8KVCacheDataTypeE1EDF16_Li16ELi128ELi256ELb1ELi14EEvPKT_PKT0_S7_ifPKiS9_S9_iPKfiiiPfSC_PS2_PT2_iSB_SB_
    .private_segment_fixed_size: 64
    .sgpr_count:     36
    .sgpr_spill_count: 0
    .symbol:         _Z39paged_attention_ll4mi_QKV_mfma16_kernelIDF16_hLN4vllm18Fp8KVCacheDataTypeE1EDF16_Li16ELi128ELi256ELb1ELi14EEvPKT_PKT0_S7_ifPKiS9_S9_iPKfiiiPfSC_PS2_PT2_iSB_SB_.kd
    .uniform_work_group_size: 1
    .uses_dynamic_stack: false
    .vgpr_count:     51
    .vgpr_spill_count: 0
    .wavefront_size: 32
  - .args:
      - .actual_access:  read_only
        .address_space:  global
        .offset:         0
        .size:           8
        .value_kind:     global_buffer
      - .actual_access:  read_only
        .address_space:  global
        .offset:         8
        .size:           8
        .value_kind:     global_buffer
      - .actual_access:  read_only
        .address_space:  global
        .offset:         16
        .size:           8
        .value_kind:     global_buffer
      - .offset:         24
        .size:           4
        .value_kind:     by_value
      - .offset:         28
        .size:           4
        .value_kind:     by_value
      - .actual_access:  read_only
        .address_space:  global
        .offset:         32
        .size:           8
        .value_kind:     global_buffer
      - .actual_access:  read_only
        .address_space:  global
        .offset:         40
        .size:           8
        .value_kind:     global_buffer
      - .actual_access:  read_only
        .address_space:  global
        .offset:         48
        .size:           8
        .value_kind:     global_buffer
      - .offset:         56
        .size:           4
        .value_kind:     by_value
      - .actual_access:  read_only
        .address_space:  global
        .offset:         64
        .size:           8
        .value_kind:     global_buffer
      - .offset:         72
        .size:           4
        .value_kind:     by_value
      - .offset:         76
        .size:           4
        .value_kind:     by_value
      - .offset:         80
        .size:           4
        .value_kind:     by_value
      - .actual_access:  read_only
        .address_space:  global
        .offset:         88
        .size:           8
        .value_kind:     global_buffer
      - .actual_access:  read_only
        .address_space:  global
        .offset:         96
        .size:           8
        .value_kind:     global_buffer
      - .actual_access:  read_only
        .address_space:  global
        .offset:         104
        .size:           8
        .value_kind:     global_buffer
      - .actual_access:  read_only
        .address_space:  global
        .offset:         112
        .size:           8
        .value_kind:     global_buffer
      - .offset:         120
        .size:           4
        .value_kind:     by_value
      - .address_space:  global
        .offset:         128
        .size:           8
        .value_kind:     global_buffer
      - .address_space:  global
        .offset:         136
        .size:           8
        .value_kind:     global_buffer
      - .offset:         144
        .size:           4
        .value_kind:     hidden_block_count_x
      - .offset:         148
        .size:           4
        .value_kind:     hidden_block_count_y
      - .offset:         152
        .size:           4
        .value_kind:     hidden_block_count_z
      - .offset:         156
        .size:           2
        .value_kind:     hidden_group_size_x
      - .offset:         158
        .size:           2
        .value_kind:     hidden_group_size_y
      - .offset:         160
        .size:           2
        .value_kind:     hidden_group_size_z
      - .offset:         162
        .size:           2
        .value_kind:     hidden_remainder_x
      - .offset:         164
        .size:           2
        .value_kind:     hidden_remainder_y
      - .offset:         166
        .size:           2
        .value_kind:     hidden_remainder_z
      - .offset:         184
        .size:           8
        .value_kind:     hidden_global_offset_x
      - .offset:         192
        .size:           8
        .value_kind:     hidden_global_offset_y
      - .offset:         200
        .size:           8
        .value_kind:     hidden_global_offset_z
      - .offset:         208
        .size:           2
        .value_kind:     hidden_grid_dims
      - .offset:         224
        .size:           8
        .value_kind:     hidden_hostcall_buffer
    .group_segment_fixed_size: 0
    .kernarg_segment_align: 8
    .kernarg_segment_size: 400
    .language:       OpenCL C
    .language_version:
      - 2
      - 0
    .max_flat_workgroup_size: 256
    .name:           _Z39paged_attention_ll4mi_QKV_mfma16_kernelIDF16_hLN4vllm18Fp8KVCacheDataTypeE1EDF16_Li16ELi128ELi256ELb1ELi15EEvPKT_PKT0_S7_ifPKiS9_S9_iPKfiiiPfSC_PS2_PT2_iSB_SB_
    .private_segment_fixed_size: 64
    .sgpr_count:     36
    .sgpr_spill_count: 0
    .symbol:         _Z39paged_attention_ll4mi_QKV_mfma16_kernelIDF16_hLN4vllm18Fp8KVCacheDataTypeE1EDF16_Li16ELi128ELi256ELb1ELi15EEvPKT_PKT0_S7_ifPKiS9_S9_iPKfiiiPfSC_PS2_PT2_iSB_SB_.kd
    .uniform_work_group_size: 1
    .uses_dynamic_stack: false
    .vgpr_count:     51
    .vgpr_spill_count: 0
    .wavefront_size: 32
  - .args:
      - .actual_access:  read_only
        .address_space:  global
        .offset:         0
        .size:           8
        .value_kind:     global_buffer
      - .actual_access:  read_only
        .address_space:  global
        .offset:         8
        .size:           8
        .value_kind:     global_buffer
      - .actual_access:  read_only
        .address_space:  global
        .offset:         16
        .size:           8
        .value_kind:     global_buffer
      - .offset:         24
        .size:           4
        .value_kind:     by_value
      - .offset:         28
        .size:           4
        .value_kind:     by_value
      - .actual_access:  read_only
        .address_space:  global
        .offset:         32
        .size:           8
        .value_kind:     global_buffer
      - .actual_access:  read_only
        .address_space:  global
        .offset:         40
        .size:           8
        .value_kind:     global_buffer
      - .actual_access:  read_only
        .address_space:  global
        .offset:         48
        .size:           8
        .value_kind:     global_buffer
      - .offset:         56
        .size:           4
        .value_kind:     by_value
      - .actual_access:  read_only
        .address_space:  global
        .offset:         64
        .size:           8
        .value_kind:     global_buffer
      - .offset:         72
        .size:           4
        .value_kind:     by_value
      - .offset:         76
        .size:           4
        .value_kind:     by_value
      - .offset:         80
        .size:           4
        .value_kind:     by_value
      - .actual_access:  read_only
        .address_space:  global
        .offset:         88
        .size:           8
        .value_kind:     global_buffer
      - .actual_access:  read_only
        .address_space:  global
        .offset:         96
        .size:           8
        .value_kind:     global_buffer
      - .actual_access:  read_only
        .address_space:  global
        .offset:         104
        .size:           8
        .value_kind:     global_buffer
      - .actual_access:  read_only
        .address_space:  global
        .offset:         112
        .size:           8
        .value_kind:     global_buffer
      - .offset:         120
        .size:           4
        .value_kind:     by_value
      - .address_space:  global
        .offset:         128
        .size:           8
        .value_kind:     global_buffer
      - .address_space:  global
        .offset:         136
        .size:           8
        .value_kind:     global_buffer
      - .offset:         144
        .size:           4
        .value_kind:     hidden_block_count_x
      - .offset:         148
        .size:           4
        .value_kind:     hidden_block_count_y
      - .offset:         152
        .size:           4
        .value_kind:     hidden_block_count_z
      - .offset:         156
        .size:           2
        .value_kind:     hidden_group_size_x
      - .offset:         158
        .size:           2
        .value_kind:     hidden_group_size_y
      - .offset:         160
        .size:           2
        .value_kind:     hidden_group_size_z
      - .offset:         162
        .size:           2
        .value_kind:     hidden_remainder_x
      - .offset:         164
        .size:           2
        .value_kind:     hidden_remainder_y
      - .offset:         166
        .size:           2
        .value_kind:     hidden_remainder_z
      - .offset:         184
        .size:           8
        .value_kind:     hidden_global_offset_x
      - .offset:         192
        .size:           8
        .value_kind:     hidden_global_offset_y
      - .offset:         200
        .size:           8
        .value_kind:     hidden_global_offset_z
      - .offset:         208
        .size:           2
        .value_kind:     hidden_grid_dims
      - .offset:         224
        .size:           8
        .value_kind:     hidden_hostcall_buffer
    .group_segment_fixed_size: 0
    .kernarg_segment_align: 8
    .kernarg_segment_size: 400
    .language:       OpenCL C
    .language_version:
      - 2
      - 0
    .max_flat_workgroup_size: 256
    .name:           _Z39paged_attention_ll4mi_QKV_mfma16_kernelIDF16_hLN4vllm18Fp8KVCacheDataTypeE1EDF16_Li16ELi128ELi256ELb1ELi16EEvPKT_PKT0_S7_ifPKiS9_S9_iPKfiiiPfSC_PS2_PT2_iSB_SB_
    .private_segment_fixed_size: 64
    .sgpr_count:     36
    .sgpr_spill_count: 0
    .symbol:         _Z39paged_attention_ll4mi_QKV_mfma16_kernelIDF16_hLN4vllm18Fp8KVCacheDataTypeE1EDF16_Li16ELi128ELi256ELb1ELi16EEvPKT_PKT0_S7_ifPKiS9_S9_iPKfiiiPfSC_PS2_PT2_iSB_SB_.kd
    .uniform_work_group_size: 1
    .uses_dynamic_stack: false
    .vgpr_count:     51
    .vgpr_spill_count: 0
    .wavefront_size: 32
  - .args:
      - .actual_access:  read_only
        .address_space:  global
        .offset:         0
        .size:           8
        .value_kind:     global_buffer
      - .actual_access:  read_only
        .address_space:  global
        .offset:         8
        .size:           8
        .value_kind:     global_buffer
      - .actual_access:  read_only
        .address_space:  global
        .offset:         16
        .size:           8
        .value_kind:     global_buffer
      - .offset:         24
        .size:           4
        .value_kind:     by_value
      - .offset:         28
        .size:           4
        .value_kind:     by_value
      - .actual_access:  read_only
        .address_space:  global
        .offset:         32
        .size:           8
        .value_kind:     global_buffer
      - .actual_access:  read_only
        .address_space:  global
        .offset:         40
        .size:           8
        .value_kind:     global_buffer
      - .actual_access:  read_only
        .address_space:  global
        .offset:         48
        .size:           8
        .value_kind:     global_buffer
      - .offset:         56
        .size:           4
        .value_kind:     by_value
      - .actual_access:  read_only
        .address_space:  global
        .offset:         64
        .size:           8
        .value_kind:     global_buffer
      - .offset:         72
        .size:           4
        .value_kind:     by_value
      - .offset:         76
        .size:           4
        .value_kind:     by_value
      - .offset:         80
        .size:           4
        .value_kind:     by_value
      - .actual_access:  read_only
        .address_space:  global
        .offset:         88
        .size:           8
        .value_kind:     global_buffer
      - .actual_access:  read_only
        .address_space:  global
        .offset:         96
        .size:           8
        .value_kind:     global_buffer
      - .actual_access:  read_only
        .address_space:  global
        .offset:         104
        .size:           8
        .value_kind:     global_buffer
      - .actual_access:  read_only
        .address_space:  global
        .offset:         112
        .size:           8
        .value_kind:     global_buffer
      - .offset:         120
        .size:           4
        .value_kind:     by_value
      - .address_space:  global
        .offset:         128
        .size:           8
        .value_kind:     global_buffer
      - .address_space:  global
        .offset:         136
        .size:           8
        .value_kind:     global_buffer
      - .offset:         144
        .size:           4
        .value_kind:     hidden_block_count_x
      - .offset:         148
        .size:           4
        .value_kind:     hidden_block_count_y
      - .offset:         152
        .size:           4
        .value_kind:     hidden_block_count_z
      - .offset:         156
        .size:           2
        .value_kind:     hidden_group_size_x
      - .offset:         158
        .size:           2
        .value_kind:     hidden_group_size_y
      - .offset:         160
        .size:           2
        .value_kind:     hidden_group_size_z
      - .offset:         162
        .size:           2
        .value_kind:     hidden_remainder_x
      - .offset:         164
        .size:           2
        .value_kind:     hidden_remainder_y
      - .offset:         166
        .size:           2
        .value_kind:     hidden_remainder_z
      - .offset:         184
        .size:           8
        .value_kind:     hidden_global_offset_x
      - .offset:         192
        .size:           8
        .value_kind:     hidden_global_offset_y
      - .offset:         200
        .size:           8
        .value_kind:     hidden_global_offset_z
      - .offset:         208
        .size:           2
        .value_kind:     hidden_grid_dims
      - .offset:         224
        .size:           8
        .value_kind:     hidden_hostcall_buffer
    .group_segment_fixed_size: 0
    .kernarg_segment_align: 8
    .kernarg_segment_size: 400
    .language:       OpenCL C
    .language_version:
      - 2
      - 0
    .max_flat_workgroup_size: 256
    .name:           _Z39paged_attention_ll4mi_QKV_mfma16_kernelIDF16_hLN4vllm18Fp8KVCacheDataTypeE1EDF16_Li16ELi128ELi256ELb1ELi1EEvPKT_PKT0_S7_ifPKiS9_S9_iPKfiiiPfSC_PS2_PT2_iSB_SB_
    .private_segment_fixed_size: 64
    .sgpr_count:     36
    .sgpr_spill_count: 0
    .symbol:         _Z39paged_attention_ll4mi_QKV_mfma16_kernelIDF16_hLN4vllm18Fp8KVCacheDataTypeE1EDF16_Li16ELi128ELi256ELb1ELi1EEvPKT_PKT0_S7_ifPKiS9_S9_iPKfiiiPfSC_PS2_PT2_iSB_SB_.kd
    .uniform_work_group_size: 1
    .uses_dynamic_stack: false
    .vgpr_count:     51
    .vgpr_spill_count: 0
    .wavefront_size: 32
  - .args:
      - .actual_access:  read_only
        .address_space:  global
        .offset:         0
        .size:           8
        .value_kind:     global_buffer
      - .actual_access:  read_only
        .address_space:  global
        .offset:         8
        .size:           8
        .value_kind:     global_buffer
      - .actual_access:  read_only
        .address_space:  global
        .offset:         16
        .size:           8
        .value_kind:     global_buffer
      - .offset:         24
        .size:           4
        .value_kind:     by_value
      - .offset:         28
        .size:           4
        .value_kind:     by_value
      - .actual_access:  read_only
        .address_space:  global
        .offset:         32
        .size:           8
        .value_kind:     global_buffer
      - .actual_access:  read_only
        .address_space:  global
        .offset:         40
        .size:           8
        .value_kind:     global_buffer
      - .actual_access:  read_only
        .address_space:  global
        .offset:         48
        .size:           8
        .value_kind:     global_buffer
      - .offset:         56
        .size:           4
        .value_kind:     by_value
      - .actual_access:  read_only
        .address_space:  global
        .offset:         64
        .size:           8
        .value_kind:     global_buffer
      - .offset:         72
        .size:           4
        .value_kind:     by_value
      - .offset:         76
        .size:           4
        .value_kind:     by_value
      - .offset:         80
        .size:           4
        .value_kind:     by_value
      - .actual_access:  read_only
        .address_space:  global
        .offset:         88
        .size:           8
        .value_kind:     global_buffer
      - .actual_access:  read_only
        .address_space:  global
        .offset:         96
        .size:           8
        .value_kind:     global_buffer
      - .actual_access:  read_only
        .address_space:  global
        .offset:         104
        .size:           8
        .value_kind:     global_buffer
      - .actual_access:  read_only
        .address_space:  global
        .offset:         112
        .size:           8
        .value_kind:     global_buffer
      - .offset:         120
        .size:           4
        .value_kind:     by_value
      - .address_space:  global
        .offset:         128
        .size:           8
        .value_kind:     global_buffer
      - .address_space:  global
        .offset:         136
        .size:           8
        .value_kind:     global_buffer
      - .offset:         144
        .size:           4
        .value_kind:     hidden_block_count_x
      - .offset:         148
        .size:           4
        .value_kind:     hidden_block_count_y
      - .offset:         152
        .size:           4
        .value_kind:     hidden_block_count_z
      - .offset:         156
        .size:           2
        .value_kind:     hidden_group_size_x
      - .offset:         158
        .size:           2
        .value_kind:     hidden_group_size_y
      - .offset:         160
        .size:           2
        .value_kind:     hidden_group_size_z
      - .offset:         162
        .size:           2
        .value_kind:     hidden_remainder_x
      - .offset:         164
        .size:           2
        .value_kind:     hidden_remainder_y
      - .offset:         166
        .size:           2
        .value_kind:     hidden_remainder_z
      - .offset:         184
        .size:           8
        .value_kind:     hidden_global_offset_x
      - .offset:         192
        .size:           8
        .value_kind:     hidden_global_offset_y
      - .offset:         200
        .size:           8
        .value_kind:     hidden_global_offset_z
      - .offset:         208
        .size:           2
        .value_kind:     hidden_grid_dims
      - .offset:         224
        .size:           8
        .value_kind:     hidden_hostcall_buffer
    .group_segment_fixed_size: 0
    .kernarg_segment_align: 8
    .kernarg_segment_size: 400
    .language:       OpenCL C
    .language_version:
      - 2
      - 0
    .max_flat_workgroup_size: 256
    .name:           _Z39paged_attention_ll4mi_QKV_mfma16_kernelIDF16_hLN4vllm18Fp8KVCacheDataTypeE1EDF16_Li16ELi128ELi256ELb1ELi2EEvPKT_PKT0_S7_ifPKiS9_S9_iPKfiiiPfSC_PS2_PT2_iSB_SB_
    .private_segment_fixed_size: 64
    .sgpr_count:     36
    .sgpr_spill_count: 0
    .symbol:         _Z39paged_attention_ll4mi_QKV_mfma16_kernelIDF16_hLN4vllm18Fp8KVCacheDataTypeE1EDF16_Li16ELi128ELi256ELb1ELi2EEvPKT_PKT0_S7_ifPKiS9_S9_iPKfiiiPfSC_PS2_PT2_iSB_SB_.kd
    .uniform_work_group_size: 1
    .uses_dynamic_stack: false
    .vgpr_count:     51
    .vgpr_spill_count: 0
    .wavefront_size: 32
  - .args:
      - .actual_access:  read_only
        .address_space:  global
        .offset:         0
        .size:           8
        .value_kind:     global_buffer
      - .actual_access:  read_only
        .address_space:  global
        .offset:         8
        .size:           8
        .value_kind:     global_buffer
      - .actual_access:  read_only
        .address_space:  global
        .offset:         16
        .size:           8
        .value_kind:     global_buffer
      - .offset:         24
        .size:           4
        .value_kind:     by_value
      - .offset:         28
        .size:           4
        .value_kind:     by_value
      - .actual_access:  read_only
        .address_space:  global
        .offset:         32
        .size:           8
        .value_kind:     global_buffer
      - .actual_access:  read_only
        .address_space:  global
        .offset:         40
        .size:           8
        .value_kind:     global_buffer
      - .actual_access:  read_only
        .address_space:  global
        .offset:         48
        .size:           8
        .value_kind:     global_buffer
      - .offset:         56
        .size:           4
        .value_kind:     by_value
      - .actual_access:  read_only
        .address_space:  global
        .offset:         64
        .size:           8
        .value_kind:     global_buffer
      - .offset:         72
        .size:           4
        .value_kind:     by_value
      - .offset:         76
        .size:           4
        .value_kind:     by_value
      - .offset:         80
        .size:           4
        .value_kind:     by_value
      - .actual_access:  read_only
        .address_space:  global
        .offset:         88
        .size:           8
        .value_kind:     global_buffer
      - .actual_access:  read_only
        .address_space:  global
        .offset:         96
        .size:           8
        .value_kind:     global_buffer
      - .actual_access:  read_only
        .address_space:  global
        .offset:         104
        .size:           8
        .value_kind:     global_buffer
      - .actual_access:  read_only
        .address_space:  global
        .offset:         112
        .size:           8
        .value_kind:     global_buffer
      - .offset:         120
        .size:           4
        .value_kind:     by_value
      - .address_space:  global
        .offset:         128
        .size:           8
        .value_kind:     global_buffer
      - .address_space:  global
        .offset:         136
        .size:           8
        .value_kind:     global_buffer
      - .offset:         144
        .size:           4
        .value_kind:     hidden_block_count_x
      - .offset:         148
        .size:           4
        .value_kind:     hidden_block_count_y
      - .offset:         152
        .size:           4
        .value_kind:     hidden_block_count_z
      - .offset:         156
        .size:           2
        .value_kind:     hidden_group_size_x
      - .offset:         158
        .size:           2
        .value_kind:     hidden_group_size_y
      - .offset:         160
        .size:           2
        .value_kind:     hidden_group_size_z
      - .offset:         162
        .size:           2
        .value_kind:     hidden_remainder_x
      - .offset:         164
        .size:           2
        .value_kind:     hidden_remainder_y
      - .offset:         166
        .size:           2
        .value_kind:     hidden_remainder_z
      - .offset:         184
        .size:           8
        .value_kind:     hidden_global_offset_x
      - .offset:         192
        .size:           8
        .value_kind:     hidden_global_offset_y
      - .offset:         200
        .size:           8
        .value_kind:     hidden_global_offset_z
      - .offset:         208
        .size:           2
        .value_kind:     hidden_grid_dims
      - .offset:         224
        .size:           8
        .value_kind:     hidden_hostcall_buffer
    .group_segment_fixed_size: 0
    .kernarg_segment_align: 8
    .kernarg_segment_size: 400
    .language:       OpenCL C
    .language_version:
      - 2
      - 0
    .max_flat_workgroup_size: 256
    .name:           _Z39paged_attention_ll4mi_QKV_mfma16_kernelIDF16_hLN4vllm18Fp8KVCacheDataTypeE1EDF16_Li16ELi128ELi256ELb1ELi3EEvPKT_PKT0_S7_ifPKiS9_S9_iPKfiiiPfSC_PS2_PT2_iSB_SB_
    .private_segment_fixed_size: 64
    .sgpr_count:     36
    .sgpr_spill_count: 0
    .symbol:         _Z39paged_attention_ll4mi_QKV_mfma16_kernelIDF16_hLN4vllm18Fp8KVCacheDataTypeE1EDF16_Li16ELi128ELi256ELb1ELi3EEvPKT_PKT0_S7_ifPKiS9_S9_iPKfiiiPfSC_PS2_PT2_iSB_SB_.kd
    .uniform_work_group_size: 1
    .uses_dynamic_stack: false
    .vgpr_count:     51
    .vgpr_spill_count: 0
    .wavefront_size: 32
  - .args:
      - .actual_access:  read_only
        .address_space:  global
        .offset:         0
        .size:           8
        .value_kind:     global_buffer
      - .actual_access:  read_only
        .address_space:  global
        .offset:         8
        .size:           8
        .value_kind:     global_buffer
      - .actual_access:  read_only
        .address_space:  global
        .offset:         16
        .size:           8
        .value_kind:     global_buffer
      - .offset:         24
        .size:           4
        .value_kind:     by_value
      - .offset:         28
        .size:           4
        .value_kind:     by_value
      - .actual_access:  read_only
        .address_space:  global
        .offset:         32
        .size:           8
        .value_kind:     global_buffer
      - .actual_access:  read_only
        .address_space:  global
        .offset:         40
        .size:           8
        .value_kind:     global_buffer
      - .actual_access:  read_only
        .address_space:  global
        .offset:         48
        .size:           8
        .value_kind:     global_buffer
      - .offset:         56
        .size:           4
        .value_kind:     by_value
      - .actual_access:  read_only
        .address_space:  global
        .offset:         64
        .size:           8
        .value_kind:     global_buffer
      - .offset:         72
        .size:           4
        .value_kind:     by_value
      - .offset:         76
        .size:           4
        .value_kind:     by_value
      - .offset:         80
        .size:           4
        .value_kind:     by_value
      - .actual_access:  read_only
        .address_space:  global
        .offset:         88
        .size:           8
        .value_kind:     global_buffer
      - .actual_access:  read_only
        .address_space:  global
        .offset:         96
        .size:           8
        .value_kind:     global_buffer
      - .actual_access:  read_only
        .address_space:  global
        .offset:         104
        .size:           8
        .value_kind:     global_buffer
      - .actual_access:  read_only
        .address_space:  global
        .offset:         112
        .size:           8
        .value_kind:     global_buffer
      - .offset:         120
        .size:           4
        .value_kind:     by_value
      - .address_space:  global
        .offset:         128
        .size:           8
        .value_kind:     global_buffer
      - .address_space:  global
        .offset:         136
        .size:           8
        .value_kind:     global_buffer
      - .offset:         144
        .size:           4
        .value_kind:     hidden_block_count_x
      - .offset:         148
        .size:           4
        .value_kind:     hidden_block_count_y
      - .offset:         152
        .size:           4
        .value_kind:     hidden_block_count_z
      - .offset:         156
        .size:           2
        .value_kind:     hidden_group_size_x
      - .offset:         158
        .size:           2
        .value_kind:     hidden_group_size_y
      - .offset:         160
        .size:           2
        .value_kind:     hidden_group_size_z
      - .offset:         162
        .size:           2
        .value_kind:     hidden_remainder_x
      - .offset:         164
        .size:           2
        .value_kind:     hidden_remainder_y
      - .offset:         166
        .size:           2
        .value_kind:     hidden_remainder_z
      - .offset:         184
        .size:           8
        .value_kind:     hidden_global_offset_x
      - .offset:         192
        .size:           8
        .value_kind:     hidden_global_offset_y
      - .offset:         200
        .size:           8
        .value_kind:     hidden_global_offset_z
      - .offset:         208
        .size:           2
        .value_kind:     hidden_grid_dims
      - .offset:         224
        .size:           8
        .value_kind:     hidden_hostcall_buffer
    .group_segment_fixed_size: 0
    .kernarg_segment_align: 8
    .kernarg_segment_size: 400
    .language:       OpenCL C
    .language_version:
      - 2
      - 0
    .max_flat_workgroup_size: 256
    .name:           _Z39paged_attention_ll4mi_QKV_mfma16_kernelIDF16_hLN4vllm18Fp8KVCacheDataTypeE1EDF16_Li16ELi128ELi256ELb1ELi4EEvPKT_PKT0_S7_ifPKiS9_S9_iPKfiiiPfSC_PS2_PT2_iSB_SB_
    .private_segment_fixed_size: 64
    .sgpr_count:     36
    .sgpr_spill_count: 0
    .symbol:         _Z39paged_attention_ll4mi_QKV_mfma16_kernelIDF16_hLN4vllm18Fp8KVCacheDataTypeE1EDF16_Li16ELi128ELi256ELb1ELi4EEvPKT_PKT0_S7_ifPKiS9_S9_iPKfiiiPfSC_PS2_PT2_iSB_SB_.kd
    .uniform_work_group_size: 1
    .uses_dynamic_stack: false
    .vgpr_count:     51
    .vgpr_spill_count: 0
    .wavefront_size: 32
  - .args:
      - .actual_access:  read_only
        .address_space:  global
        .offset:         0
        .size:           8
        .value_kind:     global_buffer
      - .actual_access:  read_only
        .address_space:  global
        .offset:         8
        .size:           8
        .value_kind:     global_buffer
      - .actual_access:  read_only
        .address_space:  global
        .offset:         16
        .size:           8
        .value_kind:     global_buffer
      - .offset:         24
        .size:           4
        .value_kind:     by_value
      - .offset:         28
        .size:           4
        .value_kind:     by_value
      - .actual_access:  read_only
        .address_space:  global
        .offset:         32
        .size:           8
        .value_kind:     global_buffer
      - .actual_access:  read_only
        .address_space:  global
        .offset:         40
        .size:           8
        .value_kind:     global_buffer
      - .actual_access:  read_only
        .address_space:  global
        .offset:         48
        .size:           8
        .value_kind:     global_buffer
      - .offset:         56
        .size:           4
        .value_kind:     by_value
      - .actual_access:  read_only
        .address_space:  global
        .offset:         64
        .size:           8
        .value_kind:     global_buffer
      - .offset:         72
        .size:           4
        .value_kind:     by_value
      - .offset:         76
        .size:           4
        .value_kind:     by_value
      - .offset:         80
        .size:           4
        .value_kind:     by_value
      - .actual_access:  read_only
        .address_space:  global
        .offset:         88
        .size:           8
        .value_kind:     global_buffer
      - .actual_access:  read_only
        .address_space:  global
        .offset:         96
        .size:           8
        .value_kind:     global_buffer
      - .actual_access:  read_only
        .address_space:  global
        .offset:         104
        .size:           8
        .value_kind:     global_buffer
      - .actual_access:  read_only
        .address_space:  global
        .offset:         112
        .size:           8
        .value_kind:     global_buffer
      - .offset:         120
        .size:           4
        .value_kind:     by_value
      - .address_space:  global
        .offset:         128
        .size:           8
        .value_kind:     global_buffer
      - .address_space:  global
        .offset:         136
        .size:           8
        .value_kind:     global_buffer
      - .offset:         144
        .size:           4
        .value_kind:     hidden_block_count_x
      - .offset:         148
        .size:           4
        .value_kind:     hidden_block_count_y
      - .offset:         152
        .size:           4
        .value_kind:     hidden_block_count_z
      - .offset:         156
        .size:           2
        .value_kind:     hidden_group_size_x
      - .offset:         158
        .size:           2
        .value_kind:     hidden_group_size_y
      - .offset:         160
        .size:           2
        .value_kind:     hidden_group_size_z
      - .offset:         162
        .size:           2
        .value_kind:     hidden_remainder_x
      - .offset:         164
        .size:           2
        .value_kind:     hidden_remainder_y
      - .offset:         166
        .size:           2
        .value_kind:     hidden_remainder_z
      - .offset:         184
        .size:           8
        .value_kind:     hidden_global_offset_x
      - .offset:         192
        .size:           8
        .value_kind:     hidden_global_offset_y
      - .offset:         200
        .size:           8
        .value_kind:     hidden_global_offset_z
      - .offset:         208
        .size:           2
        .value_kind:     hidden_grid_dims
      - .offset:         224
        .size:           8
        .value_kind:     hidden_hostcall_buffer
    .group_segment_fixed_size: 0
    .kernarg_segment_align: 8
    .kernarg_segment_size: 400
    .language:       OpenCL C
    .language_version:
      - 2
      - 0
    .max_flat_workgroup_size: 256
    .name:           _Z38paged_attention_ll4mi_QKV_mfma4_kernelIDF16_hLN4vllm18Fp8KVCacheDataTypeE1EDF16_Li16ELi128ELi256ELb0ELi1EEvPKT_PKT0_S7_ifPKiS9_S9_iPKfiiiPfSC_PS2_PT2_iSB_SB_
    .private_segment_fixed_size: 64
    .sgpr_count:     36
    .sgpr_spill_count: 0
    .symbol:         _Z38paged_attention_ll4mi_QKV_mfma4_kernelIDF16_hLN4vllm18Fp8KVCacheDataTypeE1EDF16_Li16ELi128ELi256ELb0ELi1EEvPKT_PKT0_S7_ifPKiS9_S9_iPKfiiiPfSC_PS2_PT2_iSB_SB_.kd
    .uniform_work_group_size: 1
    .uses_dynamic_stack: false
    .vgpr_count:     51
    .vgpr_spill_count: 0
    .wavefront_size: 32
  - .args:
      - .actual_access:  read_only
        .address_space:  global
        .offset:         0
        .size:           8
        .value_kind:     global_buffer
      - .actual_access:  read_only
        .address_space:  global
        .offset:         8
        .size:           8
        .value_kind:     global_buffer
      - .actual_access:  read_only
        .address_space:  global
        .offset:         16
        .size:           8
        .value_kind:     global_buffer
      - .offset:         24
        .size:           4
        .value_kind:     by_value
      - .offset:         28
        .size:           4
        .value_kind:     by_value
      - .actual_access:  read_only
        .address_space:  global
        .offset:         32
        .size:           8
        .value_kind:     global_buffer
      - .actual_access:  read_only
        .address_space:  global
        .offset:         40
        .size:           8
        .value_kind:     global_buffer
      - .actual_access:  read_only
        .address_space:  global
        .offset:         48
        .size:           8
        .value_kind:     global_buffer
      - .offset:         56
        .size:           4
        .value_kind:     by_value
      - .actual_access:  read_only
        .address_space:  global
        .offset:         64
        .size:           8
        .value_kind:     global_buffer
      - .offset:         72
        .size:           4
        .value_kind:     by_value
      - .offset:         76
        .size:           4
        .value_kind:     by_value
      - .offset:         80
        .size:           4
        .value_kind:     by_value
      - .actual_access:  read_only
        .address_space:  global
        .offset:         88
        .size:           8
        .value_kind:     global_buffer
      - .actual_access:  read_only
        .address_space:  global
        .offset:         96
        .size:           8
        .value_kind:     global_buffer
      - .actual_access:  read_only
        .address_space:  global
        .offset:         104
        .size:           8
        .value_kind:     global_buffer
      - .actual_access:  read_only
        .address_space:  global
        .offset:         112
        .size:           8
        .value_kind:     global_buffer
      - .offset:         120
        .size:           4
        .value_kind:     by_value
      - .address_space:  global
        .offset:         128
        .size:           8
        .value_kind:     global_buffer
      - .address_space:  global
        .offset:         136
        .size:           8
        .value_kind:     global_buffer
      - .offset:         144
        .size:           4
        .value_kind:     hidden_block_count_x
      - .offset:         148
        .size:           4
        .value_kind:     hidden_block_count_y
      - .offset:         152
        .size:           4
        .value_kind:     hidden_block_count_z
      - .offset:         156
        .size:           2
        .value_kind:     hidden_group_size_x
      - .offset:         158
        .size:           2
        .value_kind:     hidden_group_size_y
      - .offset:         160
        .size:           2
        .value_kind:     hidden_group_size_z
      - .offset:         162
        .size:           2
        .value_kind:     hidden_remainder_x
      - .offset:         164
        .size:           2
        .value_kind:     hidden_remainder_y
      - .offset:         166
        .size:           2
        .value_kind:     hidden_remainder_z
      - .offset:         184
        .size:           8
        .value_kind:     hidden_global_offset_x
      - .offset:         192
        .size:           8
        .value_kind:     hidden_global_offset_y
      - .offset:         200
        .size:           8
        .value_kind:     hidden_global_offset_z
      - .offset:         208
        .size:           2
        .value_kind:     hidden_grid_dims
      - .offset:         224
        .size:           8
        .value_kind:     hidden_hostcall_buffer
    .group_segment_fixed_size: 0
    .kernarg_segment_align: 8
    .kernarg_segment_size: 400
    .language:       OpenCL C
    .language_version:
      - 2
      - 0
    .max_flat_workgroup_size: 256
    .name:           _Z38paged_attention_ll4mi_QKV_mfma4_kernelIDF16_hLN4vllm18Fp8KVCacheDataTypeE1EDF16_Li16ELi128ELi256ELb0ELi2EEvPKT_PKT0_S7_ifPKiS9_S9_iPKfiiiPfSC_PS2_PT2_iSB_SB_
    .private_segment_fixed_size: 64
    .sgpr_count:     36
    .sgpr_spill_count: 0
    .symbol:         _Z38paged_attention_ll4mi_QKV_mfma4_kernelIDF16_hLN4vllm18Fp8KVCacheDataTypeE1EDF16_Li16ELi128ELi256ELb0ELi2EEvPKT_PKT0_S7_ifPKiS9_S9_iPKfiiiPfSC_PS2_PT2_iSB_SB_.kd
    .uniform_work_group_size: 1
    .uses_dynamic_stack: false
    .vgpr_count:     51
    .vgpr_spill_count: 0
    .wavefront_size: 32
  - .args:
      - .actual_access:  read_only
        .address_space:  global
        .offset:         0
        .size:           8
        .value_kind:     global_buffer
      - .actual_access:  read_only
        .address_space:  global
        .offset:         8
        .size:           8
        .value_kind:     global_buffer
      - .actual_access:  read_only
        .address_space:  global
        .offset:         16
        .size:           8
        .value_kind:     global_buffer
      - .offset:         24
        .size:           4
        .value_kind:     by_value
      - .offset:         28
        .size:           4
        .value_kind:     by_value
      - .actual_access:  read_only
        .address_space:  global
        .offset:         32
        .size:           8
        .value_kind:     global_buffer
      - .actual_access:  read_only
        .address_space:  global
        .offset:         40
        .size:           8
        .value_kind:     global_buffer
      - .actual_access:  read_only
        .address_space:  global
        .offset:         48
        .size:           8
        .value_kind:     global_buffer
      - .offset:         56
        .size:           4
        .value_kind:     by_value
      - .actual_access:  read_only
        .address_space:  global
        .offset:         64
        .size:           8
        .value_kind:     global_buffer
      - .offset:         72
        .size:           4
        .value_kind:     by_value
      - .offset:         76
        .size:           4
        .value_kind:     by_value
      - .offset:         80
        .size:           4
        .value_kind:     by_value
      - .actual_access:  read_only
        .address_space:  global
        .offset:         88
        .size:           8
        .value_kind:     global_buffer
      - .actual_access:  read_only
        .address_space:  global
        .offset:         96
        .size:           8
        .value_kind:     global_buffer
      - .actual_access:  read_only
        .address_space:  global
        .offset:         104
        .size:           8
        .value_kind:     global_buffer
      - .actual_access:  read_only
        .address_space:  global
        .offset:         112
        .size:           8
        .value_kind:     global_buffer
      - .offset:         120
        .size:           4
        .value_kind:     by_value
      - .address_space:  global
        .offset:         128
        .size:           8
        .value_kind:     global_buffer
      - .address_space:  global
        .offset:         136
        .size:           8
        .value_kind:     global_buffer
      - .offset:         144
        .size:           4
        .value_kind:     hidden_block_count_x
      - .offset:         148
        .size:           4
        .value_kind:     hidden_block_count_y
      - .offset:         152
        .size:           4
        .value_kind:     hidden_block_count_z
      - .offset:         156
        .size:           2
        .value_kind:     hidden_group_size_x
      - .offset:         158
        .size:           2
        .value_kind:     hidden_group_size_y
      - .offset:         160
        .size:           2
        .value_kind:     hidden_group_size_z
      - .offset:         162
        .size:           2
        .value_kind:     hidden_remainder_x
      - .offset:         164
        .size:           2
        .value_kind:     hidden_remainder_y
      - .offset:         166
        .size:           2
        .value_kind:     hidden_remainder_z
      - .offset:         184
        .size:           8
        .value_kind:     hidden_global_offset_x
      - .offset:         192
        .size:           8
        .value_kind:     hidden_global_offset_y
      - .offset:         200
        .size:           8
        .value_kind:     hidden_global_offset_z
      - .offset:         208
        .size:           2
        .value_kind:     hidden_grid_dims
      - .offset:         224
        .size:           8
        .value_kind:     hidden_hostcall_buffer
    .group_segment_fixed_size: 0
    .kernarg_segment_align: 8
    .kernarg_segment_size: 400
    .language:       OpenCL C
    .language_version:
      - 2
      - 0
    .max_flat_workgroup_size: 256
    .name:           _Z38paged_attention_ll4mi_QKV_mfma4_kernelIDF16_hLN4vllm18Fp8KVCacheDataTypeE1EDF16_Li16ELi128ELi256ELb0ELi3EEvPKT_PKT0_S7_ifPKiS9_S9_iPKfiiiPfSC_PS2_PT2_iSB_SB_
    .private_segment_fixed_size: 64
    .sgpr_count:     36
    .sgpr_spill_count: 0
    .symbol:         _Z38paged_attention_ll4mi_QKV_mfma4_kernelIDF16_hLN4vllm18Fp8KVCacheDataTypeE1EDF16_Li16ELi128ELi256ELb0ELi3EEvPKT_PKT0_S7_ifPKiS9_S9_iPKfiiiPfSC_PS2_PT2_iSB_SB_.kd
    .uniform_work_group_size: 1
    .uses_dynamic_stack: false
    .vgpr_count:     51
    .vgpr_spill_count: 0
    .wavefront_size: 32
  - .args:
      - .actual_access:  read_only
        .address_space:  global
        .offset:         0
        .size:           8
        .value_kind:     global_buffer
      - .actual_access:  read_only
        .address_space:  global
        .offset:         8
        .size:           8
        .value_kind:     global_buffer
      - .actual_access:  read_only
        .address_space:  global
        .offset:         16
        .size:           8
        .value_kind:     global_buffer
      - .offset:         24
        .size:           4
        .value_kind:     by_value
      - .offset:         28
        .size:           4
        .value_kind:     by_value
      - .actual_access:  read_only
        .address_space:  global
        .offset:         32
        .size:           8
        .value_kind:     global_buffer
      - .actual_access:  read_only
        .address_space:  global
        .offset:         40
        .size:           8
        .value_kind:     global_buffer
      - .actual_access:  read_only
        .address_space:  global
        .offset:         48
        .size:           8
        .value_kind:     global_buffer
      - .offset:         56
        .size:           4
        .value_kind:     by_value
      - .actual_access:  read_only
        .address_space:  global
        .offset:         64
        .size:           8
        .value_kind:     global_buffer
      - .offset:         72
        .size:           4
        .value_kind:     by_value
      - .offset:         76
        .size:           4
        .value_kind:     by_value
      - .offset:         80
        .size:           4
        .value_kind:     by_value
      - .actual_access:  read_only
        .address_space:  global
        .offset:         88
        .size:           8
        .value_kind:     global_buffer
      - .actual_access:  read_only
        .address_space:  global
        .offset:         96
        .size:           8
        .value_kind:     global_buffer
      - .actual_access:  read_only
        .address_space:  global
        .offset:         104
        .size:           8
        .value_kind:     global_buffer
      - .actual_access:  read_only
        .address_space:  global
        .offset:         112
        .size:           8
        .value_kind:     global_buffer
      - .offset:         120
        .size:           4
        .value_kind:     by_value
      - .address_space:  global
        .offset:         128
        .size:           8
        .value_kind:     global_buffer
      - .address_space:  global
        .offset:         136
        .size:           8
        .value_kind:     global_buffer
      - .offset:         144
        .size:           4
        .value_kind:     hidden_block_count_x
      - .offset:         148
        .size:           4
        .value_kind:     hidden_block_count_y
      - .offset:         152
        .size:           4
        .value_kind:     hidden_block_count_z
      - .offset:         156
        .size:           2
        .value_kind:     hidden_group_size_x
      - .offset:         158
        .size:           2
        .value_kind:     hidden_group_size_y
      - .offset:         160
        .size:           2
        .value_kind:     hidden_group_size_z
      - .offset:         162
        .size:           2
        .value_kind:     hidden_remainder_x
      - .offset:         164
        .size:           2
        .value_kind:     hidden_remainder_y
      - .offset:         166
        .size:           2
        .value_kind:     hidden_remainder_z
      - .offset:         184
        .size:           8
        .value_kind:     hidden_global_offset_x
      - .offset:         192
        .size:           8
        .value_kind:     hidden_global_offset_y
      - .offset:         200
        .size:           8
        .value_kind:     hidden_global_offset_z
      - .offset:         208
        .size:           2
        .value_kind:     hidden_grid_dims
      - .offset:         224
        .size:           8
        .value_kind:     hidden_hostcall_buffer
    .group_segment_fixed_size: 0
    .kernarg_segment_align: 8
    .kernarg_segment_size: 400
    .language:       OpenCL C
    .language_version:
      - 2
      - 0
    .max_flat_workgroup_size: 256
    .name:           _Z38paged_attention_ll4mi_QKV_mfma4_kernelIDF16_hLN4vllm18Fp8KVCacheDataTypeE1EDF16_Li16ELi128ELi256ELb0ELi4EEvPKT_PKT0_S7_ifPKiS9_S9_iPKfiiiPfSC_PS2_PT2_iSB_SB_
    .private_segment_fixed_size: 64
    .sgpr_count:     36
    .sgpr_spill_count: 0
    .symbol:         _Z38paged_attention_ll4mi_QKV_mfma4_kernelIDF16_hLN4vllm18Fp8KVCacheDataTypeE1EDF16_Li16ELi128ELi256ELb0ELi4EEvPKT_PKT0_S7_ifPKiS9_S9_iPKfiiiPfSC_PS2_PT2_iSB_SB_.kd
    .uniform_work_group_size: 1
    .uses_dynamic_stack: false
    .vgpr_count:     51
    .vgpr_spill_count: 0
    .wavefront_size: 32
  - .args:
      - .actual_access:  read_only
        .address_space:  global
        .offset:         0
        .size:           8
        .value_kind:     global_buffer
      - .actual_access:  read_only
        .address_space:  global
        .offset:         8
        .size:           8
        .value_kind:     global_buffer
      - .actual_access:  read_only
        .address_space:  global
        .offset:         16
        .size:           8
        .value_kind:     global_buffer
      - .offset:         24
        .size:           4
        .value_kind:     by_value
      - .offset:         28
        .size:           4
        .value_kind:     by_value
      - .actual_access:  read_only
        .address_space:  global
        .offset:         32
        .size:           8
        .value_kind:     global_buffer
      - .actual_access:  read_only
        .address_space:  global
        .offset:         40
        .size:           8
        .value_kind:     global_buffer
      - .actual_access:  read_only
        .address_space:  global
        .offset:         48
        .size:           8
        .value_kind:     global_buffer
      - .offset:         56
        .size:           4
        .value_kind:     by_value
      - .actual_access:  read_only
        .address_space:  global
        .offset:         64
        .size:           8
        .value_kind:     global_buffer
      - .offset:         72
        .size:           4
        .value_kind:     by_value
      - .offset:         76
        .size:           4
        .value_kind:     by_value
      - .offset:         80
        .size:           4
        .value_kind:     by_value
      - .actual_access:  read_only
        .address_space:  global
        .offset:         88
        .size:           8
        .value_kind:     global_buffer
      - .actual_access:  read_only
        .address_space:  global
        .offset:         96
        .size:           8
        .value_kind:     global_buffer
      - .actual_access:  read_only
        .address_space:  global
        .offset:         104
        .size:           8
        .value_kind:     global_buffer
      - .actual_access:  read_only
        .address_space:  global
        .offset:         112
        .size:           8
        .value_kind:     global_buffer
      - .offset:         120
        .size:           4
        .value_kind:     by_value
      - .address_space:  global
        .offset:         128
        .size:           8
        .value_kind:     global_buffer
      - .address_space:  global
        .offset:         136
        .size:           8
        .value_kind:     global_buffer
      - .offset:         144
        .size:           4
        .value_kind:     hidden_block_count_x
      - .offset:         148
        .size:           4
        .value_kind:     hidden_block_count_y
      - .offset:         152
        .size:           4
        .value_kind:     hidden_block_count_z
      - .offset:         156
        .size:           2
        .value_kind:     hidden_group_size_x
      - .offset:         158
        .size:           2
        .value_kind:     hidden_group_size_y
      - .offset:         160
        .size:           2
        .value_kind:     hidden_group_size_z
      - .offset:         162
        .size:           2
        .value_kind:     hidden_remainder_x
      - .offset:         164
        .size:           2
        .value_kind:     hidden_remainder_y
      - .offset:         166
        .size:           2
        .value_kind:     hidden_remainder_z
      - .offset:         184
        .size:           8
        .value_kind:     hidden_global_offset_x
      - .offset:         192
        .size:           8
        .value_kind:     hidden_global_offset_y
      - .offset:         200
        .size:           8
        .value_kind:     hidden_global_offset_z
      - .offset:         208
        .size:           2
        .value_kind:     hidden_grid_dims
      - .offset:         224
        .size:           8
        .value_kind:     hidden_hostcall_buffer
    .group_segment_fixed_size: 0
    .kernarg_segment_align: 8
    .kernarg_segment_size: 400
    .language:       OpenCL C
    .language_version:
      - 2
      - 0
    .max_flat_workgroup_size: 256
    .name:           _Z39paged_attention_ll4mi_QKV_mfma16_kernelIDF16_hLN4vllm18Fp8KVCacheDataTypeE1EDF16_Li16ELi128ELi256ELb0ELi5EEvPKT_PKT0_S7_ifPKiS9_S9_iPKfiiiPfSC_PS2_PT2_iSB_SB_
    .private_segment_fixed_size: 64
    .sgpr_count:     36
    .sgpr_spill_count: 0
    .symbol:         _Z39paged_attention_ll4mi_QKV_mfma16_kernelIDF16_hLN4vllm18Fp8KVCacheDataTypeE1EDF16_Li16ELi128ELi256ELb0ELi5EEvPKT_PKT0_S7_ifPKiS9_S9_iPKfiiiPfSC_PS2_PT2_iSB_SB_.kd
    .uniform_work_group_size: 1
    .uses_dynamic_stack: false
    .vgpr_count:     51
    .vgpr_spill_count: 0
    .wavefront_size: 32
  - .args:
      - .actual_access:  read_only
        .address_space:  global
        .offset:         0
        .size:           8
        .value_kind:     global_buffer
      - .actual_access:  read_only
        .address_space:  global
        .offset:         8
        .size:           8
        .value_kind:     global_buffer
      - .actual_access:  read_only
        .address_space:  global
        .offset:         16
        .size:           8
        .value_kind:     global_buffer
      - .offset:         24
        .size:           4
        .value_kind:     by_value
      - .offset:         28
        .size:           4
        .value_kind:     by_value
      - .actual_access:  read_only
        .address_space:  global
        .offset:         32
        .size:           8
        .value_kind:     global_buffer
      - .actual_access:  read_only
        .address_space:  global
        .offset:         40
        .size:           8
        .value_kind:     global_buffer
      - .actual_access:  read_only
        .address_space:  global
        .offset:         48
        .size:           8
        .value_kind:     global_buffer
      - .offset:         56
        .size:           4
        .value_kind:     by_value
      - .actual_access:  read_only
        .address_space:  global
        .offset:         64
        .size:           8
        .value_kind:     global_buffer
      - .offset:         72
        .size:           4
        .value_kind:     by_value
      - .offset:         76
        .size:           4
        .value_kind:     by_value
      - .offset:         80
        .size:           4
        .value_kind:     by_value
      - .actual_access:  read_only
        .address_space:  global
        .offset:         88
        .size:           8
        .value_kind:     global_buffer
      - .actual_access:  read_only
        .address_space:  global
        .offset:         96
        .size:           8
        .value_kind:     global_buffer
      - .actual_access:  read_only
        .address_space:  global
        .offset:         104
        .size:           8
        .value_kind:     global_buffer
      - .actual_access:  read_only
        .address_space:  global
        .offset:         112
        .size:           8
        .value_kind:     global_buffer
      - .offset:         120
        .size:           4
        .value_kind:     by_value
      - .address_space:  global
        .offset:         128
        .size:           8
        .value_kind:     global_buffer
      - .address_space:  global
        .offset:         136
        .size:           8
        .value_kind:     global_buffer
      - .offset:         144
        .size:           4
        .value_kind:     hidden_block_count_x
      - .offset:         148
        .size:           4
        .value_kind:     hidden_block_count_y
      - .offset:         152
        .size:           4
        .value_kind:     hidden_block_count_z
      - .offset:         156
        .size:           2
        .value_kind:     hidden_group_size_x
      - .offset:         158
        .size:           2
        .value_kind:     hidden_group_size_y
      - .offset:         160
        .size:           2
        .value_kind:     hidden_group_size_z
      - .offset:         162
        .size:           2
        .value_kind:     hidden_remainder_x
      - .offset:         164
        .size:           2
        .value_kind:     hidden_remainder_y
      - .offset:         166
        .size:           2
        .value_kind:     hidden_remainder_z
      - .offset:         184
        .size:           8
        .value_kind:     hidden_global_offset_x
      - .offset:         192
        .size:           8
        .value_kind:     hidden_global_offset_y
      - .offset:         200
        .size:           8
        .value_kind:     hidden_global_offset_z
      - .offset:         208
        .size:           2
        .value_kind:     hidden_grid_dims
      - .offset:         224
        .size:           8
        .value_kind:     hidden_hostcall_buffer
    .group_segment_fixed_size: 0
    .kernarg_segment_align: 8
    .kernarg_segment_size: 400
    .language:       OpenCL C
    .language_version:
      - 2
      - 0
    .max_flat_workgroup_size: 256
    .name:           _Z39paged_attention_ll4mi_QKV_mfma16_kernelIDF16_hLN4vllm18Fp8KVCacheDataTypeE1EDF16_Li16ELi128ELi256ELb0ELi6EEvPKT_PKT0_S7_ifPKiS9_S9_iPKfiiiPfSC_PS2_PT2_iSB_SB_
    .private_segment_fixed_size: 64
    .sgpr_count:     36
    .sgpr_spill_count: 0
    .symbol:         _Z39paged_attention_ll4mi_QKV_mfma16_kernelIDF16_hLN4vllm18Fp8KVCacheDataTypeE1EDF16_Li16ELi128ELi256ELb0ELi6EEvPKT_PKT0_S7_ifPKiS9_S9_iPKfiiiPfSC_PS2_PT2_iSB_SB_.kd
    .uniform_work_group_size: 1
    .uses_dynamic_stack: false
    .vgpr_count:     51
    .vgpr_spill_count: 0
    .wavefront_size: 32
  - .args:
      - .actual_access:  read_only
        .address_space:  global
        .offset:         0
        .size:           8
        .value_kind:     global_buffer
      - .actual_access:  read_only
        .address_space:  global
        .offset:         8
        .size:           8
        .value_kind:     global_buffer
      - .actual_access:  read_only
        .address_space:  global
        .offset:         16
        .size:           8
        .value_kind:     global_buffer
      - .offset:         24
        .size:           4
        .value_kind:     by_value
      - .offset:         28
        .size:           4
        .value_kind:     by_value
      - .actual_access:  read_only
        .address_space:  global
        .offset:         32
        .size:           8
        .value_kind:     global_buffer
      - .actual_access:  read_only
        .address_space:  global
        .offset:         40
        .size:           8
        .value_kind:     global_buffer
      - .actual_access:  read_only
        .address_space:  global
        .offset:         48
        .size:           8
        .value_kind:     global_buffer
      - .offset:         56
        .size:           4
        .value_kind:     by_value
      - .actual_access:  read_only
        .address_space:  global
        .offset:         64
        .size:           8
        .value_kind:     global_buffer
      - .offset:         72
        .size:           4
        .value_kind:     by_value
      - .offset:         76
        .size:           4
        .value_kind:     by_value
      - .offset:         80
        .size:           4
        .value_kind:     by_value
      - .actual_access:  read_only
        .address_space:  global
        .offset:         88
        .size:           8
        .value_kind:     global_buffer
      - .actual_access:  read_only
        .address_space:  global
        .offset:         96
        .size:           8
        .value_kind:     global_buffer
      - .actual_access:  read_only
        .address_space:  global
        .offset:         104
        .size:           8
        .value_kind:     global_buffer
      - .actual_access:  read_only
        .address_space:  global
        .offset:         112
        .size:           8
        .value_kind:     global_buffer
      - .offset:         120
        .size:           4
        .value_kind:     by_value
      - .address_space:  global
        .offset:         128
        .size:           8
        .value_kind:     global_buffer
      - .address_space:  global
        .offset:         136
        .size:           8
        .value_kind:     global_buffer
      - .offset:         144
        .size:           4
        .value_kind:     hidden_block_count_x
      - .offset:         148
        .size:           4
        .value_kind:     hidden_block_count_y
      - .offset:         152
        .size:           4
        .value_kind:     hidden_block_count_z
      - .offset:         156
        .size:           2
        .value_kind:     hidden_group_size_x
      - .offset:         158
        .size:           2
        .value_kind:     hidden_group_size_y
      - .offset:         160
        .size:           2
        .value_kind:     hidden_group_size_z
      - .offset:         162
        .size:           2
        .value_kind:     hidden_remainder_x
      - .offset:         164
        .size:           2
        .value_kind:     hidden_remainder_y
      - .offset:         166
        .size:           2
        .value_kind:     hidden_remainder_z
      - .offset:         184
        .size:           8
        .value_kind:     hidden_global_offset_x
      - .offset:         192
        .size:           8
        .value_kind:     hidden_global_offset_y
      - .offset:         200
        .size:           8
        .value_kind:     hidden_global_offset_z
      - .offset:         208
        .size:           2
        .value_kind:     hidden_grid_dims
      - .offset:         224
        .size:           8
        .value_kind:     hidden_hostcall_buffer
    .group_segment_fixed_size: 0
    .kernarg_segment_align: 8
    .kernarg_segment_size: 400
    .language:       OpenCL C
    .language_version:
      - 2
      - 0
    .max_flat_workgroup_size: 256
    .name:           _Z39paged_attention_ll4mi_QKV_mfma16_kernelIDF16_hLN4vllm18Fp8KVCacheDataTypeE1EDF16_Li16ELi128ELi256ELb0ELi7EEvPKT_PKT0_S7_ifPKiS9_S9_iPKfiiiPfSC_PS2_PT2_iSB_SB_
    .private_segment_fixed_size: 64
    .sgpr_count:     36
    .sgpr_spill_count: 0
    .symbol:         _Z39paged_attention_ll4mi_QKV_mfma16_kernelIDF16_hLN4vllm18Fp8KVCacheDataTypeE1EDF16_Li16ELi128ELi256ELb0ELi7EEvPKT_PKT0_S7_ifPKiS9_S9_iPKfiiiPfSC_PS2_PT2_iSB_SB_.kd
    .uniform_work_group_size: 1
    .uses_dynamic_stack: false
    .vgpr_count:     51
    .vgpr_spill_count: 0
    .wavefront_size: 32
  - .args:
      - .actual_access:  read_only
        .address_space:  global
        .offset:         0
        .size:           8
        .value_kind:     global_buffer
      - .actual_access:  read_only
        .address_space:  global
        .offset:         8
        .size:           8
        .value_kind:     global_buffer
      - .actual_access:  read_only
        .address_space:  global
        .offset:         16
        .size:           8
        .value_kind:     global_buffer
      - .offset:         24
        .size:           4
        .value_kind:     by_value
      - .offset:         28
        .size:           4
        .value_kind:     by_value
      - .actual_access:  read_only
        .address_space:  global
        .offset:         32
        .size:           8
        .value_kind:     global_buffer
      - .actual_access:  read_only
        .address_space:  global
        .offset:         40
        .size:           8
        .value_kind:     global_buffer
      - .actual_access:  read_only
        .address_space:  global
        .offset:         48
        .size:           8
        .value_kind:     global_buffer
      - .offset:         56
        .size:           4
        .value_kind:     by_value
      - .actual_access:  read_only
        .address_space:  global
        .offset:         64
        .size:           8
        .value_kind:     global_buffer
      - .offset:         72
        .size:           4
        .value_kind:     by_value
      - .offset:         76
        .size:           4
        .value_kind:     by_value
      - .offset:         80
        .size:           4
        .value_kind:     by_value
      - .actual_access:  read_only
        .address_space:  global
        .offset:         88
        .size:           8
        .value_kind:     global_buffer
      - .actual_access:  read_only
        .address_space:  global
        .offset:         96
        .size:           8
        .value_kind:     global_buffer
      - .actual_access:  read_only
        .address_space:  global
        .offset:         104
        .size:           8
        .value_kind:     global_buffer
      - .actual_access:  read_only
        .address_space:  global
        .offset:         112
        .size:           8
        .value_kind:     global_buffer
      - .offset:         120
        .size:           4
        .value_kind:     by_value
      - .address_space:  global
        .offset:         128
        .size:           8
        .value_kind:     global_buffer
      - .address_space:  global
        .offset:         136
        .size:           8
        .value_kind:     global_buffer
      - .offset:         144
        .size:           4
        .value_kind:     hidden_block_count_x
      - .offset:         148
        .size:           4
        .value_kind:     hidden_block_count_y
      - .offset:         152
        .size:           4
        .value_kind:     hidden_block_count_z
      - .offset:         156
        .size:           2
        .value_kind:     hidden_group_size_x
      - .offset:         158
        .size:           2
        .value_kind:     hidden_group_size_y
      - .offset:         160
        .size:           2
        .value_kind:     hidden_group_size_z
      - .offset:         162
        .size:           2
        .value_kind:     hidden_remainder_x
      - .offset:         164
        .size:           2
        .value_kind:     hidden_remainder_y
      - .offset:         166
        .size:           2
        .value_kind:     hidden_remainder_z
      - .offset:         184
        .size:           8
        .value_kind:     hidden_global_offset_x
      - .offset:         192
        .size:           8
        .value_kind:     hidden_global_offset_y
      - .offset:         200
        .size:           8
        .value_kind:     hidden_global_offset_z
      - .offset:         208
        .size:           2
        .value_kind:     hidden_grid_dims
      - .offset:         224
        .size:           8
        .value_kind:     hidden_hostcall_buffer
    .group_segment_fixed_size: 0
    .kernarg_segment_align: 8
    .kernarg_segment_size: 400
    .language:       OpenCL C
    .language_version:
      - 2
      - 0
    .max_flat_workgroup_size: 256
    .name:           _Z39paged_attention_ll4mi_QKV_mfma16_kernelIDF16_hLN4vllm18Fp8KVCacheDataTypeE1EDF16_Li16ELi128ELi256ELb0ELi8EEvPKT_PKT0_S7_ifPKiS9_S9_iPKfiiiPfSC_PS2_PT2_iSB_SB_
    .private_segment_fixed_size: 64
    .sgpr_count:     36
    .sgpr_spill_count: 0
    .symbol:         _Z39paged_attention_ll4mi_QKV_mfma16_kernelIDF16_hLN4vllm18Fp8KVCacheDataTypeE1EDF16_Li16ELi128ELi256ELb0ELi8EEvPKT_PKT0_S7_ifPKiS9_S9_iPKfiiiPfSC_PS2_PT2_iSB_SB_.kd
    .uniform_work_group_size: 1
    .uses_dynamic_stack: false
    .vgpr_count:     51
    .vgpr_spill_count: 0
    .wavefront_size: 32
  - .args:
      - .actual_access:  read_only
        .address_space:  global
        .offset:         0
        .size:           8
        .value_kind:     global_buffer
      - .actual_access:  read_only
        .address_space:  global
        .offset:         8
        .size:           8
        .value_kind:     global_buffer
      - .actual_access:  read_only
        .address_space:  global
        .offset:         16
        .size:           8
        .value_kind:     global_buffer
      - .offset:         24
        .size:           4
        .value_kind:     by_value
      - .offset:         28
        .size:           4
        .value_kind:     by_value
      - .actual_access:  read_only
        .address_space:  global
        .offset:         32
        .size:           8
        .value_kind:     global_buffer
      - .actual_access:  read_only
        .address_space:  global
        .offset:         40
        .size:           8
        .value_kind:     global_buffer
      - .actual_access:  read_only
        .address_space:  global
        .offset:         48
        .size:           8
        .value_kind:     global_buffer
      - .offset:         56
        .size:           4
        .value_kind:     by_value
      - .actual_access:  read_only
        .address_space:  global
        .offset:         64
        .size:           8
        .value_kind:     global_buffer
      - .offset:         72
        .size:           4
        .value_kind:     by_value
      - .offset:         76
        .size:           4
        .value_kind:     by_value
      - .offset:         80
        .size:           4
        .value_kind:     by_value
      - .actual_access:  read_only
        .address_space:  global
        .offset:         88
        .size:           8
        .value_kind:     global_buffer
      - .actual_access:  read_only
        .address_space:  global
        .offset:         96
        .size:           8
        .value_kind:     global_buffer
      - .actual_access:  read_only
        .address_space:  global
        .offset:         104
        .size:           8
        .value_kind:     global_buffer
      - .actual_access:  read_only
        .address_space:  global
        .offset:         112
        .size:           8
        .value_kind:     global_buffer
      - .offset:         120
        .size:           4
        .value_kind:     by_value
      - .address_space:  global
        .offset:         128
        .size:           8
        .value_kind:     global_buffer
      - .address_space:  global
        .offset:         136
        .size:           8
        .value_kind:     global_buffer
      - .offset:         144
        .size:           4
        .value_kind:     hidden_block_count_x
      - .offset:         148
        .size:           4
        .value_kind:     hidden_block_count_y
      - .offset:         152
        .size:           4
        .value_kind:     hidden_block_count_z
      - .offset:         156
        .size:           2
        .value_kind:     hidden_group_size_x
      - .offset:         158
        .size:           2
        .value_kind:     hidden_group_size_y
      - .offset:         160
        .size:           2
        .value_kind:     hidden_group_size_z
      - .offset:         162
        .size:           2
        .value_kind:     hidden_remainder_x
      - .offset:         164
        .size:           2
        .value_kind:     hidden_remainder_y
      - .offset:         166
        .size:           2
        .value_kind:     hidden_remainder_z
      - .offset:         184
        .size:           8
        .value_kind:     hidden_global_offset_x
      - .offset:         192
        .size:           8
        .value_kind:     hidden_global_offset_y
      - .offset:         200
        .size:           8
        .value_kind:     hidden_global_offset_z
      - .offset:         208
        .size:           2
        .value_kind:     hidden_grid_dims
      - .offset:         224
        .size:           8
        .value_kind:     hidden_hostcall_buffer
    .group_segment_fixed_size: 0
    .kernarg_segment_align: 8
    .kernarg_segment_size: 400
    .language:       OpenCL C
    .language_version:
      - 2
      - 0
    .max_flat_workgroup_size: 256
    .name:           _Z39paged_attention_ll4mi_QKV_mfma16_kernelIDF16_hLN4vllm18Fp8KVCacheDataTypeE1EDF16_Li16ELi128ELi256ELb0ELi9EEvPKT_PKT0_S7_ifPKiS9_S9_iPKfiiiPfSC_PS2_PT2_iSB_SB_
    .private_segment_fixed_size: 64
    .sgpr_count:     36
    .sgpr_spill_count: 0
    .symbol:         _Z39paged_attention_ll4mi_QKV_mfma16_kernelIDF16_hLN4vllm18Fp8KVCacheDataTypeE1EDF16_Li16ELi128ELi256ELb0ELi9EEvPKT_PKT0_S7_ifPKiS9_S9_iPKfiiiPfSC_PS2_PT2_iSB_SB_.kd
    .uniform_work_group_size: 1
    .uses_dynamic_stack: false
    .vgpr_count:     51
    .vgpr_spill_count: 0
    .wavefront_size: 32
  - .args:
      - .actual_access:  read_only
        .address_space:  global
        .offset:         0
        .size:           8
        .value_kind:     global_buffer
      - .actual_access:  read_only
        .address_space:  global
        .offset:         8
        .size:           8
        .value_kind:     global_buffer
      - .actual_access:  read_only
        .address_space:  global
        .offset:         16
        .size:           8
        .value_kind:     global_buffer
      - .offset:         24
        .size:           4
        .value_kind:     by_value
      - .offset:         28
        .size:           4
        .value_kind:     by_value
      - .actual_access:  read_only
        .address_space:  global
        .offset:         32
        .size:           8
        .value_kind:     global_buffer
      - .actual_access:  read_only
        .address_space:  global
        .offset:         40
        .size:           8
        .value_kind:     global_buffer
      - .actual_access:  read_only
        .address_space:  global
        .offset:         48
        .size:           8
        .value_kind:     global_buffer
      - .offset:         56
        .size:           4
        .value_kind:     by_value
      - .actual_access:  read_only
        .address_space:  global
        .offset:         64
        .size:           8
        .value_kind:     global_buffer
      - .offset:         72
        .size:           4
        .value_kind:     by_value
      - .offset:         76
        .size:           4
        .value_kind:     by_value
      - .offset:         80
        .size:           4
        .value_kind:     by_value
      - .actual_access:  read_only
        .address_space:  global
        .offset:         88
        .size:           8
        .value_kind:     global_buffer
      - .actual_access:  read_only
        .address_space:  global
        .offset:         96
        .size:           8
        .value_kind:     global_buffer
      - .actual_access:  read_only
        .address_space:  global
        .offset:         104
        .size:           8
        .value_kind:     global_buffer
      - .actual_access:  read_only
        .address_space:  global
        .offset:         112
        .size:           8
        .value_kind:     global_buffer
      - .offset:         120
        .size:           4
        .value_kind:     by_value
      - .address_space:  global
        .offset:         128
        .size:           8
        .value_kind:     global_buffer
      - .address_space:  global
        .offset:         136
        .size:           8
        .value_kind:     global_buffer
      - .offset:         144
        .size:           4
        .value_kind:     hidden_block_count_x
      - .offset:         148
        .size:           4
        .value_kind:     hidden_block_count_y
      - .offset:         152
        .size:           4
        .value_kind:     hidden_block_count_z
      - .offset:         156
        .size:           2
        .value_kind:     hidden_group_size_x
      - .offset:         158
        .size:           2
        .value_kind:     hidden_group_size_y
      - .offset:         160
        .size:           2
        .value_kind:     hidden_group_size_z
      - .offset:         162
        .size:           2
        .value_kind:     hidden_remainder_x
      - .offset:         164
        .size:           2
        .value_kind:     hidden_remainder_y
      - .offset:         166
        .size:           2
        .value_kind:     hidden_remainder_z
      - .offset:         184
        .size:           8
        .value_kind:     hidden_global_offset_x
      - .offset:         192
        .size:           8
        .value_kind:     hidden_global_offset_y
      - .offset:         200
        .size:           8
        .value_kind:     hidden_global_offset_z
      - .offset:         208
        .size:           2
        .value_kind:     hidden_grid_dims
      - .offset:         224
        .size:           8
        .value_kind:     hidden_hostcall_buffer
    .group_segment_fixed_size: 0
    .kernarg_segment_align: 8
    .kernarg_segment_size: 400
    .language:       OpenCL C
    .language_version:
      - 2
      - 0
    .max_flat_workgroup_size: 256
    .name:           _Z39paged_attention_ll4mi_QKV_mfma16_kernelIDF16_hLN4vllm18Fp8KVCacheDataTypeE1EDF16_Li16ELi128ELi256ELb0ELi10EEvPKT_PKT0_S7_ifPKiS9_S9_iPKfiiiPfSC_PS2_PT2_iSB_SB_
    .private_segment_fixed_size: 64
    .sgpr_count:     36
    .sgpr_spill_count: 0
    .symbol:         _Z39paged_attention_ll4mi_QKV_mfma16_kernelIDF16_hLN4vllm18Fp8KVCacheDataTypeE1EDF16_Li16ELi128ELi256ELb0ELi10EEvPKT_PKT0_S7_ifPKiS9_S9_iPKfiiiPfSC_PS2_PT2_iSB_SB_.kd
    .uniform_work_group_size: 1
    .uses_dynamic_stack: false
    .vgpr_count:     51
    .vgpr_spill_count: 0
    .wavefront_size: 32
  - .args:
      - .actual_access:  read_only
        .address_space:  global
        .offset:         0
        .size:           8
        .value_kind:     global_buffer
      - .actual_access:  read_only
        .address_space:  global
        .offset:         8
        .size:           8
        .value_kind:     global_buffer
      - .actual_access:  read_only
        .address_space:  global
        .offset:         16
        .size:           8
        .value_kind:     global_buffer
      - .offset:         24
        .size:           4
        .value_kind:     by_value
      - .offset:         28
        .size:           4
        .value_kind:     by_value
      - .actual_access:  read_only
        .address_space:  global
        .offset:         32
        .size:           8
        .value_kind:     global_buffer
      - .actual_access:  read_only
        .address_space:  global
        .offset:         40
        .size:           8
        .value_kind:     global_buffer
      - .actual_access:  read_only
        .address_space:  global
        .offset:         48
        .size:           8
        .value_kind:     global_buffer
      - .offset:         56
        .size:           4
        .value_kind:     by_value
      - .actual_access:  read_only
        .address_space:  global
        .offset:         64
        .size:           8
        .value_kind:     global_buffer
      - .offset:         72
        .size:           4
        .value_kind:     by_value
      - .offset:         76
        .size:           4
        .value_kind:     by_value
      - .offset:         80
        .size:           4
        .value_kind:     by_value
      - .actual_access:  read_only
        .address_space:  global
        .offset:         88
        .size:           8
        .value_kind:     global_buffer
      - .actual_access:  read_only
        .address_space:  global
        .offset:         96
        .size:           8
        .value_kind:     global_buffer
      - .actual_access:  read_only
        .address_space:  global
        .offset:         104
        .size:           8
        .value_kind:     global_buffer
      - .actual_access:  read_only
        .address_space:  global
        .offset:         112
        .size:           8
        .value_kind:     global_buffer
      - .offset:         120
        .size:           4
        .value_kind:     by_value
      - .address_space:  global
        .offset:         128
        .size:           8
        .value_kind:     global_buffer
      - .address_space:  global
        .offset:         136
        .size:           8
        .value_kind:     global_buffer
      - .offset:         144
        .size:           4
        .value_kind:     hidden_block_count_x
      - .offset:         148
        .size:           4
        .value_kind:     hidden_block_count_y
      - .offset:         152
        .size:           4
        .value_kind:     hidden_block_count_z
      - .offset:         156
        .size:           2
        .value_kind:     hidden_group_size_x
      - .offset:         158
        .size:           2
        .value_kind:     hidden_group_size_y
      - .offset:         160
        .size:           2
        .value_kind:     hidden_group_size_z
      - .offset:         162
        .size:           2
        .value_kind:     hidden_remainder_x
      - .offset:         164
        .size:           2
        .value_kind:     hidden_remainder_y
      - .offset:         166
        .size:           2
        .value_kind:     hidden_remainder_z
      - .offset:         184
        .size:           8
        .value_kind:     hidden_global_offset_x
      - .offset:         192
        .size:           8
        .value_kind:     hidden_global_offset_y
      - .offset:         200
        .size:           8
        .value_kind:     hidden_global_offset_z
      - .offset:         208
        .size:           2
        .value_kind:     hidden_grid_dims
      - .offset:         224
        .size:           8
        .value_kind:     hidden_hostcall_buffer
    .group_segment_fixed_size: 0
    .kernarg_segment_align: 8
    .kernarg_segment_size: 400
    .language:       OpenCL C
    .language_version:
      - 2
      - 0
    .max_flat_workgroup_size: 256
    .name:           _Z39paged_attention_ll4mi_QKV_mfma16_kernelIDF16_hLN4vllm18Fp8KVCacheDataTypeE1EDF16_Li16ELi128ELi256ELb0ELi11EEvPKT_PKT0_S7_ifPKiS9_S9_iPKfiiiPfSC_PS2_PT2_iSB_SB_
    .private_segment_fixed_size: 64
    .sgpr_count:     36
    .sgpr_spill_count: 0
    .symbol:         _Z39paged_attention_ll4mi_QKV_mfma16_kernelIDF16_hLN4vllm18Fp8KVCacheDataTypeE1EDF16_Li16ELi128ELi256ELb0ELi11EEvPKT_PKT0_S7_ifPKiS9_S9_iPKfiiiPfSC_PS2_PT2_iSB_SB_.kd
    .uniform_work_group_size: 1
    .uses_dynamic_stack: false
    .vgpr_count:     51
    .vgpr_spill_count: 0
    .wavefront_size: 32
  - .args:
      - .actual_access:  read_only
        .address_space:  global
        .offset:         0
        .size:           8
        .value_kind:     global_buffer
      - .actual_access:  read_only
        .address_space:  global
        .offset:         8
        .size:           8
        .value_kind:     global_buffer
      - .actual_access:  read_only
        .address_space:  global
        .offset:         16
        .size:           8
        .value_kind:     global_buffer
      - .offset:         24
        .size:           4
        .value_kind:     by_value
      - .offset:         28
        .size:           4
        .value_kind:     by_value
      - .actual_access:  read_only
        .address_space:  global
        .offset:         32
        .size:           8
        .value_kind:     global_buffer
      - .actual_access:  read_only
        .address_space:  global
        .offset:         40
        .size:           8
        .value_kind:     global_buffer
      - .actual_access:  read_only
        .address_space:  global
        .offset:         48
        .size:           8
        .value_kind:     global_buffer
      - .offset:         56
        .size:           4
        .value_kind:     by_value
      - .actual_access:  read_only
        .address_space:  global
        .offset:         64
        .size:           8
        .value_kind:     global_buffer
      - .offset:         72
        .size:           4
        .value_kind:     by_value
      - .offset:         76
        .size:           4
        .value_kind:     by_value
      - .offset:         80
        .size:           4
        .value_kind:     by_value
      - .actual_access:  read_only
        .address_space:  global
        .offset:         88
        .size:           8
        .value_kind:     global_buffer
      - .actual_access:  read_only
        .address_space:  global
        .offset:         96
        .size:           8
        .value_kind:     global_buffer
      - .actual_access:  read_only
        .address_space:  global
        .offset:         104
        .size:           8
        .value_kind:     global_buffer
      - .actual_access:  read_only
        .address_space:  global
        .offset:         112
        .size:           8
        .value_kind:     global_buffer
      - .offset:         120
        .size:           4
        .value_kind:     by_value
      - .address_space:  global
        .offset:         128
        .size:           8
        .value_kind:     global_buffer
      - .address_space:  global
        .offset:         136
        .size:           8
        .value_kind:     global_buffer
      - .offset:         144
        .size:           4
        .value_kind:     hidden_block_count_x
      - .offset:         148
        .size:           4
        .value_kind:     hidden_block_count_y
      - .offset:         152
        .size:           4
        .value_kind:     hidden_block_count_z
      - .offset:         156
        .size:           2
        .value_kind:     hidden_group_size_x
      - .offset:         158
        .size:           2
        .value_kind:     hidden_group_size_y
      - .offset:         160
        .size:           2
        .value_kind:     hidden_group_size_z
      - .offset:         162
        .size:           2
        .value_kind:     hidden_remainder_x
      - .offset:         164
        .size:           2
        .value_kind:     hidden_remainder_y
      - .offset:         166
        .size:           2
        .value_kind:     hidden_remainder_z
      - .offset:         184
        .size:           8
        .value_kind:     hidden_global_offset_x
      - .offset:         192
        .size:           8
        .value_kind:     hidden_global_offset_y
      - .offset:         200
        .size:           8
        .value_kind:     hidden_global_offset_z
      - .offset:         208
        .size:           2
        .value_kind:     hidden_grid_dims
      - .offset:         224
        .size:           8
        .value_kind:     hidden_hostcall_buffer
    .group_segment_fixed_size: 0
    .kernarg_segment_align: 8
    .kernarg_segment_size: 400
    .language:       OpenCL C
    .language_version:
      - 2
      - 0
    .max_flat_workgroup_size: 256
    .name:           _Z39paged_attention_ll4mi_QKV_mfma16_kernelIDF16_hLN4vllm18Fp8KVCacheDataTypeE1EDF16_Li16ELi128ELi256ELb0ELi12EEvPKT_PKT0_S7_ifPKiS9_S9_iPKfiiiPfSC_PS2_PT2_iSB_SB_
    .private_segment_fixed_size: 64
    .sgpr_count:     36
    .sgpr_spill_count: 0
    .symbol:         _Z39paged_attention_ll4mi_QKV_mfma16_kernelIDF16_hLN4vllm18Fp8KVCacheDataTypeE1EDF16_Li16ELi128ELi256ELb0ELi12EEvPKT_PKT0_S7_ifPKiS9_S9_iPKfiiiPfSC_PS2_PT2_iSB_SB_.kd
    .uniform_work_group_size: 1
    .uses_dynamic_stack: false
    .vgpr_count:     51
    .vgpr_spill_count: 0
    .wavefront_size: 32
  - .args:
      - .actual_access:  read_only
        .address_space:  global
        .offset:         0
        .size:           8
        .value_kind:     global_buffer
      - .actual_access:  read_only
        .address_space:  global
        .offset:         8
        .size:           8
        .value_kind:     global_buffer
      - .actual_access:  read_only
        .address_space:  global
        .offset:         16
        .size:           8
        .value_kind:     global_buffer
      - .offset:         24
        .size:           4
        .value_kind:     by_value
      - .offset:         28
        .size:           4
        .value_kind:     by_value
      - .actual_access:  read_only
        .address_space:  global
        .offset:         32
        .size:           8
        .value_kind:     global_buffer
      - .actual_access:  read_only
        .address_space:  global
        .offset:         40
        .size:           8
        .value_kind:     global_buffer
      - .actual_access:  read_only
        .address_space:  global
        .offset:         48
        .size:           8
        .value_kind:     global_buffer
      - .offset:         56
        .size:           4
        .value_kind:     by_value
      - .actual_access:  read_only
        .address_space:  global
        .offset:         64
        .size:           8
        .value_kind:     global_buffer
      - .offset:         72
        .size:           4
        .value_kind:     by_value
      - .offset:         76
        .size:           4
        .value_kind:     by_value
      - .offset:         80
        .size:           4
        .value_kind:     by_value
      - .actual_access:  read_only
        .address_space:  global
        .offset:         88
        .size:           8
        .value_kind:     global_buffer
      - .actual_access:  read_only
        .address_space:  global
        .offset:         96
        .size:           8
        .value_kind:     global_buffer
      - .actual_access:  read_only
        .address_space:  global
        .offset:         104
        .size:           8
        .value_kind:     global_buffer
      - .actual_access:  read_only
        .address_space:  global
        .offset:         112
        .size:           8
        .value_kind:     global_buffer
      - .offset:         120
        .size:           4
        .value_kind:     by_value
      - .address_space:  global
        .offset:         128
        .size:           8
        .value_kind:     global_buffer
      - .address_space:  global
        .offset:         136
        .size:           8
        .value_kind:     global_buffer
      - .offset:         144
        .size:           4
        .value_kind:     hidden_block_count_x
      - .offset:         148
        .size:           4
        .value_kind:     hidden_block_count_y
      - .offset:         152
        .size:           4
        .value_kind:     hidden_block_count_z
      - .offset:         156
        .size:           2
        .value_kind:     hidden_group_size_x
      - .offset:         158
        .size:           2
        .value_kind:     hidden_group_size_y
      - .offset:         160
        .size:           2
        .value_kind:     hidden_group_size_z
      - .offset:         162
        .size:           2
        .value_kind:     hidden_remainder_x
      - .offset:         164
        .size:           2
        .value_kind:     hidden_remainder_y
      - .offset:         166
        .size:           2
        .value_kind:     hidden_remainder_z
      - .offset:         184
        .size:           8
        .value_kind:     hidden_global_offset_x
      - .offset:         192
        .size:           8
        .value_kind:     hidden_global_offset_y
      - .offset:         200
        .size:           8
        .value_kind:     hidden_global_offset_z
      - .offset:         208
        .size:           2
        .value_kind:     hidden_grid_dims
      - .offset:         224
        .size:           8
        .value_kind:     hidden_hostcall_buffer
    .group_segment_fixed_size: 0
    .kernarg_segment_align: 8
    .kernarg_segment_size: 400
    .language:       OpenCL C
    .language_version:
      - 2
      - 0
    .max_flat_workgroup_size: 256
    .name:           _Z39paged_attention_ll4mi_QKV_mfma16_kernelIDF16_hLN4vllm18Fp8KVCacheDataTypeE1EDF16_Li16ELi128ELi256ELb0ELi13EEvPKT_PKT0_S7_ifPKiS9_S9_iPKfiiiPfSC_PS2_PT2_iSB_SB_
    .private_segment_fixed_size: 64
    .sgpr_count:     36
    .sgpr_spill_count: 0
    .symbol:         _Z39paged_attention_ll4mi_QKV_mfma16_kernelIDF16_hLN4vllm18Fp8KVCacheDataTypeE1EDF16_Li16ELi128ELi256ELb0ELi13EEvPKT_PKT0_S7_ifPKiS9_S9_iPKfiiiPfSC_PS2_PT2_iSB_SB_.kd
    .uniform_work_group_size: 1
    .uses_dynamic_stack: false
    .vgpr_count:     51
    .vgpr_spill_count: 0
    .wavefront_size: 32
  - .args:
      - .actual_access:  read_only
        .address_space:  global
        .offset:         0
        .size:           8
        .value_kind:     global_buffer
      - .actual_access:  read_only
        .address_space:  global
        .offset:         8
        .size:           8
        .value_kind:     global_buffer
      - .actual_access:  read_only
        .address_space:  global
        .offset:         16
        .size:           8
        .value_kind:     global_buffer
      - .offset:         24
        .size:           4
        .value_kind:     by_value
      - .offset:         28
        .size:           4
        .value_kind:     by_value
      - .actual_access:  read_only
        .address_space:  global
        .offset:         32
        .size:           8
        .value_kind:     global_buffer
      - .actual_access:  read_only
        .address_space:  global
        .offset:         40
        .size:           8
        .value_kind:     global_buffer
      - .actual_access:  read_only
        .address_space:  global
        .offset:         48
        .size:           8
        .value_kind:     global_buffer
      - .offset:         56
        .size:           4
        .value_kind:     by_value
      - .actual_access:  read_only
        .address_space:  global
        .offset:         64
        .size:           8
        .value_kind:     global_buffer
      - .offset:         72
        .size:           4
        .value_kind:     by_value
      - .offset:         76
        .size:           4
        .value_kind:     by_value
      - .offset:         80
        .size:           4
        .value_kind:     by_value
      - .actual_access:  read_only
        .address_space:  global
        .offset:         88
        .size:           8
        .value_kind:     global_buffer
      - .actual_access:  read_only
        .address_space:  global
        .offset:         96
        .size:           8
        .value_kind:     global_buffer
      - .actual_access:  read_only
        .address_space:  global
        .offset:         104
        .size:           8
        .value_kind:     global_buffer
      - .actual_access:  read_only
        .address_space:  global
        .offset:         112
        .size:           8
        .value_kind:     global_buffer
      - .offset:         120
        .size:           4
        .value_kind:     by_value
      - .address_space:  global
        .offset:         128
        .size:           8
        .value_kind:     global_buffer
      - .address_space:  global
        .offset:         136
        .size:           8
        .value_kind:     global_buffer
      - .offset:         144
        .size:           4
        .value_kind:     hidden_block_count_x
      - .offset:         148
        .size:           4
        .value_kind:     hidden_block_count_y
      - .offset:         152
        .size:           4
        .value_kind:     hidden_block_count_z
      - .offset:         156
        .size:           2
        .value_kind:     hidden_group_size_x
      - .offset:         158
        .size:           2
        .value_kind:     hidden_group_size_y
      - .offset:         160
        .size:           2
        .value_kind:     hidden_group_size_z
      - .offset:         162
        .size:           2
        .value_kind:     hidden_remainder_x
      - .offset:         164
        .size:           2
        .value_kind:     hidden_remainder_y
      - .offset:         166
        .size:           2
        .value_kind:     hidden_remainder_z
      - .offset:         184
        .size:           8
        .value_kind:     hidden_global_offset_x
      - .offset:         192
        .size:           8
        .value_kind:     hidden_global_offset_y
      - .offset:         200
        .size:           8
        .value_kind:     hidden_global_offset_z
      - .offset:         208
        .size:           2
        .value_kind:     hidden_grid_dims
      - .offset:         224
        .size:           8
        .value_kind:     hidden_hostcall_buffer
    .group_segment_fixed_size: 0
    .kernarg_segment_align: 8
    .kernarg_segment_size: 400
    .language:       OpenCL C
    .language_version:
      - 2
      - 0
    .max_flat_workgroup_size: 256
    .name:           _Z39paged_attention_ll4mi_QKV_mfma16_kernelIDF16_hLN4vllm18Fp8KVCacheDataTypeE1EDF16_Li16ELi128ELi256ELb0ELi14EEvPKT_PKT0_S7_ifPKiS9_S9_iPKfiiiPfSC_PS2_PT2_iSB_SB_
    .private_segment_fixed_size: 64
    .sgpr_count:     36
    .sgpr_spill_count: 0
    .symbol:         _Z39paged_attention_ll4mi_QKV_mfma16_kernelIDF16_hLN4vllm18Fp8KVCacheDataTypeE1EDF16_Li16ELi128ELi256ELb0ELi14EEvPKT_PKT0_S7_ifPKiS9_S9_iPKfiiiPfSC_PS2_PT2_iSB_SB_.kd
    .uniform_work_group_size: 1
    .uses_dynamic_stack: false
    .vgpr_count:     51
    .vgpr_spill_count: 0
    .wavefront_size: 32
  - .args:
      - .actual_access:  read_only
        .address_space:  global
        .offset:         0
        .size:           8
        .value_kind:     global_buffer
      - .actual_access:  read_only
        .address_space:  global
        .offset:         8
        .size:           8
        .value_kind:     global_buffer
      - .actual_access:  read_only
        .address_space:  global
        .offset:         16
        .size:           8
        .value_kind:     global_buffer
      - .offset:         24
        .size:           4
        .value_kind:     by_value
      - .offset:         28
        .size:           4
        .value_kind:     by_value
      - .actual_access:  read_only
        .address_space:  global
        .offset:         32
        .size:           8
        .value_kind:     global_buffer
      - .actual_access:  read_only
        .address_space:  global
        .offset:         40
        .size:           8
        .value_kind:     global_buffer
      - .actual_access:  read_only
        .address_space:  global
        .offset:         48
        .size:           8
        .value_kind:     global_buffer
      - .offset:         56
        .size:           4
        .value_kind:     by_value
      - .actual_access:  read_only
        .address_space:  global
        .offset:         64
        .size:           8
        .value_kind:     global_buffer
      - .offset:         72
        .size:           4
        .value_kind:     by_value
      - .offset:         76
        .size:           4
        .value_kind:     by_value
      - .offset:         80
        .size:           4
        .value_kind:     by_value
      - .actual_access:  read_only
        .address_space:  global
        .offset:         88
        .size:           8
        .value_kind:     global_buffer
      - .actual_access:  read_only
        .address_space:  global
        .offset:         96
        .size:           8
        .value_kind:     global_buffer
      - .actual_access:  read_only
        .address_space:  global
        .offset:         104
        .size:           8
        .value_kind:     global_buffer
      - .actual_access:  read_only
        .address_space:  global
        .offset:         112
        .size:           8
        .value_kind:     global_buffer
      - .offset:         120
        .size:           4
        .value_kind:     by_value
      - .address_space:  global
        .offset:         128
        .size:           8
        .value_kind:     global_buffer
      - .address_space:  global
        .offset:         136
        .size:           8
        .value_kind:     global_buffer
      - .offset:         144
        .size:           4
        .value_kind:     hidden_block_count_x
      - .offset:         148
        .size:           4
        .value_kind:     hidden_block_count_y
      - .offset:         152
        .size:           4
        .value_kind:     hidden_block_count_z
      - .offset:         156
        .size:           2
        .value_kind:     hidden_group_size_x
      - .offset:         158
        .size:           2
        .value_kind:     hidden_group_size_y
      - .offset:         160
        .size:           2
        .value_kind:     hidden_group_size_z
      - .offset:         162
        .size:           2
        .value_kind:     hidden_remainder_x
      - .offset:         164
        .size:           2
        .value_kind:     hidden_remainder_y
      - .offset:         166
        .size:           2
        .value_kind:     hidden_remainder_z
      - .offset:         184
        .size:           8
        .value_kind:     hidden_global_offset_x
      - .offset:         192
        .size:           8
        .value_kind:     hidden_global_offset_y
      - .offset:         200
        .size:           8
        .value_kind:     hidden_global_offset_z
      - .offset:         208
        .size:           2
        .value_kind:     hidden_grid_dims
      - .offset:         224
        .size:           8
        .value_kind:     hidden_hostcall_buffer
    .group_segment_fixed_size: 0
    .kernarg_segment_align: 8
    .kernarg_segment_size: 400
    .language:       OpenCL C
    .language_version:
      - 2
      - 0
    .max_flat_workgroup_size: 256
    .name:           _Z39paged_attention_ll4mi_QKV_mfma16_kernelIDF16_hLN4vllm18Fp8KVCacheDataTypeE1EDF16_Li16ELi128ELi256ELb0ELi15EEvPKT_PKT0_S7_ifPKiS9_S9_iPKfiiiPfSC_PS2_PT2_iSB_SB_
    .private_segment_fixed_size: 64
    .sgpr_count:     36
    .sgpr_spill_count: 0
    .symbol:         _Z39paged_attention_ll4mi_QKV_mfma16_kernelIDF16_hLN4vllm18Fp8KVCacheDataTypeE1EDF16_Li16ELi128ELi256ELb0ELi15EEvPKT_PKT0_S7_ifPKiS9_S9_iPKfiiiPfSC_PS2_PT2_iSB_SB_.kd
    .uniform_work_group_size: 1
    .uses_dynamic_stack: false
    .vgpr_count:     51
    .vgpr_spill_count: 0
    .wavefront_size: 32
  - .args:
      - .actual_access:  read_only
        .address_space:  global
        .offset:         0
        .size:           8
        .value_kind:     global_buffer
      - .actual_access:  read_only
        .address_space:  global
        .offset:         8
        .size:           8
        .value_kind:     global_buffer
      - .actual_access:  read_only
        .address_space:  global
        .offset:         16
        .size:           8
        .value_kind:     global_buffer
      - .offset:         24
        .size:           4
        .value_kind:     by_value
      - .offset:         28
        .size:           4
        .value_kind:     by_value
      - .actual_access:  read_only
        .address_space:  global
        .offset:         32
        .size:           8
        .value_kind:     global_buffer
      - .actual_access:  read_only
        .address_space:  global
        .offset:         40
        .size:           8
        .value_kind:     global_buffer
      - .actual_access:  read_only
        .address_space:  global
        .offset:         48
        .size:           8
        .value_kind:     global_buffer
      - .offset:         56
        .size:           4
        .value_kind:     by_value
      - .actual_access:  read_only
        .address_space:  global
        .offset:         64
        .size:           8
        .value_kind:     global_buffer
      - .offset:         72
        .size:           4
        .value_kind:     by_value
      - .offset:         76
        .size:           4
        .value_kind:     by_value
      - .offset:         80
        .size:           4
        .value_kind:     by_value
      - .actual_access:  read_only
        .address_space:  global
        .offset:         88
        .size:           8
        .value_kind:     global_buffer
      - .actual_access:  read_only
        .address_space:  global
        .offset:         96
        .size:           8
        .value_kind:     global_buffer
      - .actual_access:  read_only
        .address_space:  global
        .offset:         104
        .size:           8
        .value_kind:     global_buffer
      - .actual_access:  read_only
        .address_space:  global
        .offset:         112
        .size:           8
        .value_kind:     global_buffer
      - .offset:         120
        .size:           4
        .value_kind:     by_value
      - .address_space:  global
        .offset:         128
        .size:           8
        .value_kind:     global_buffer
      - .address_space:  global
        .offset:         136
        .size:           8
        .value_kind:     global_buffer
      - .offset:         144
        .size:           4
        .value_kind:     hidden_block_count_x
      - .offset:         148
        .size:           4
        .value_kind:     hidden_block_count_y
      - .offset:         152
        .size:           4
        .value_kind:     hidden_block_count_z
      - .offset:         156
        .size:           2
        .value_kind:     hidden_group_size_x
      - .offset:         158
        .size:           2
        .value_kind:     hidden_group_size_y
      - .offset:         160
        .size:           2
        .value_kind:     hidden_group_size_z
      - .offset:         162
        .size:           2
        .value_kind:     hidden_remainder_x
      - .offset:         164
        .size:           2
        .value_kind:     hidden_remainder_y
      - .offset:         166
        .size:           2
        .value_kind:     hidden_remainder_z
      - .offset:         184
        .size:           8
        .value_kind:     hidden_global_offset_x
      - .offset:         192
        .size:           8
        .value_kind:     hidden_global_offset_y
      - .offset:         200
        .size:           8
        .value_kind:     hidden_global_offset_z
      - .offset:         208
        .size:           2
        .value_kind:     hidden_grid_dims
      - .offset:         224
        .size:           8
        .value_kind:     hidden_hostcall_buffer
    .group_segment_fixed_size: 0
    .kernarg_segment_align: 8
    .kernarg_segment_size: 400
    .language:       OpenCL C
    .language_version:
      - 2
      - 0
    .max_flat_workgroup_size: 256
    .name:           _Z39paged_attention_ll4mi_QKV_mfma16_kernelIDF16_hLN4vllm18Fp8KVCacheDataTypeE1EDF16_Li16ELi128ELi256ELb0ELi16EEvPKT_PKT0_S7_ifPKiS9_S9_iPKfiiiPfSC_PS2_PT2_iSB_SB_
    .private_segment_fixed_size: 64
    .sgpr_count:     36
    .sgpr_spill_count: 0
    .symbol:         _Z39paged_attention_ll4mi_QKV_mfma16_kernelIDF16_hLN4vllm18Fp8KVCacheDataTypeE1EDF16_Li16ELi128ELi256ELb0ELi16EEvPKT_PKT0_S7_ifPKiS9_S9_iPKfiiiPfSC_PS2_PT2_iSB_SB_.kd
    .uniform_work_group_size: 1
    .uses_dynamic_stack: false
    .vgpr_count:     51
    .vgpr_spill_count: 0
    .wavefront_size: 32
  - .args:
      - .actual_access:  read_only
        .address_space:  global
        .offset:         0
        .size:           8
        .value_kind:     global_buffer
      - .actual_access:  read_only
        .address_space:  global
        .offset:         8
        .size:           8
        .value_kind:     global_buffer
      - .actual_access:  read_only
        .address_space:  global
        .offset:         16
        .size:           8
        .value_kind:     global_buffer
      - .offset:         24
        .size:           4
        .value_kind:     by_value
      - .offset:         28
        .size:           4
        .value_kind:     by_value
      - .actual_access:  read_only
        .address_space:  global
        .offset:         32
        .size:           8
        .value_kind:     global_buffer
      - .actual_access:  read_only
        .address_space:  global
        .offset:         40
        .size:           8
        .value_kind:     global_buffer
      - .actual_access:  read_only
        .address_space:  global
        .offset:         48
        .size:           8
        .value_kind:     global_buffer
      - .offset:         56
        .size:           4
        .value_kind:     by_value
      - .actual_access:  read_only
        .address_space:  global
        .offset:         64
        .size:           8
        .value_kind:     global_buffer
      - .offset:         72
        .size:           4
        .value_kind:     by_value
      - .offset:         76
        .size:           4
        .value_kind:     by_value
      - .offset:         80
        .size:           4
        .value_kind:     by_value
      - .actual_access:  read_only
        .address_space:  global
        .offset:         88
        .size:           8
        .value_kind:     global_buffer
      - .actual_access:  read_only
        .address_space:  global
        .offset:         96
        .size:           8
        .value_kind:     global_buffer
      - .actual_access:  read_only
        .address_space:  global
        .offset:         104
        .size:           8
        .value_kind:     global_buffer
      - .actual_access:  read_only
        .address_space:  global
        .offset:         112
        .size:           8
        .value_kind:     global_buffer
      - .offset:         120
        .size:           4
        .value_kind:     by_value
      - .address_space:  global
        .offset:         128
        .size:           8
        .value_kind:     global_buffer
      - .address_space:  global
        .offset:         136
        .size:           8
        .value_kind:     global_buffer
      - .offset:         144
        .size:           4
        .value_kind:     hidden_block_count_x
      - .offset:         148
        .size:           4
        .value_kind:     hidden_block_count_y
      - .offset:         152
        .size:           4
        .value_kind:     hidden_block_count_z
      - .offset:         156
        .size:           2
        .value_kind:     hidden_group_size_x
      - .offset:         158
        .size:           2
        .value_kind:     hidden_group_size_y
      - .offset:         160
        .size:           2
        .value_kind:     hidden_group_size_z
      - .offset:         162
        .size:           2
        .value_kind:     hidden_remainder_x
      - .offset:         164
        .size:           2
        .value_kind:     hidden_remainder_y
      - .offset:         166
        .size:           2
        .value_kind:     hidden_remainder_z
      - .offset:         184
        .size:           8
        .value_kind:     hidden_global_offset_x
      - .offset:         192
        .size:           8
        .value_kind:     hidden_global_offset_y
      - .offset:         200
        .size:           8
        .value_kind:     hidden_global_offset_z
      - .offset:         208
        .size:           2
        .value_kind:     hidden_grid_dims
      - .offset:         224
        .size:           8
        .value_kind:     hidden_hostcall_buffer
    .group_segment_fixed_size: 0
    .kernarg_segment_align: 8
    .kernarg_segment_size: 400
    .language:       OpenCL C
    .language_version:
      - 2
      - 0
    .max_flat_workgroup_size: 256
    .name:           _Z39paged_attention_ll4mi_QKV_mfma16_kernelIDF16_hLN4vllm18Fp8KVCacheDataTypeE1EDF16_Li16ELi128ELi256ELb0ELi1EEvPKT_PKT0_S7_ifPKiS9_S9_iPKfiiiPfSC_PS2_PT2_iSB_SB_
    .private_segment_fixed_size: 64
    .sgpr_count:     36
    .sgpr_spill_count: 0
    .symbol:         _Z39paged_attention_ll4mi_QKV_mfma16_kernelIDF16_hLN4vllm18Fp8KVCacheDataTypeE1EDF16_Li16ELi128ELi256ELb0ELi1EEvPKT_PKT0_S7_ifPKiS9_S9_iPKfiiiPfSC_PS2_PT2_iSB_SB_.kd
    .uniform_work_group_size: 1
    .uses_dynamic_stack: false
    .vgpr_count:     51
    .vgpr_spill_count: 0
    .wavefront_size: 32
  - .args:
      - .actual_access:  read_only
        .address_space:  global
        .offset:         0
        .size:           8
        .value_kind:     global_buffer
      - .actual_access:  read_only
        .address_space:  global
        .offset:         8
        .size:           8
        .value_kind:     global_buffer
      - .actual_access:  read_only
        .address_space:  global
        .offset:         16
        .size:           8
        .value_kind:     global_buffer
      - .offset:         24
        .size:           4
        .value_kind:     by_value
      - .offset:         28
        .size:           4
        .value_kind:     by_value
      - .actual_access:  read_only
        .address_space:  global
        .offset:         32
        .size:           8
        .value_kind:     global_buffer
      - .actual_access:  read_only
        .address_space:  global
        .offset:         40
        .size:           8
        .value_kind:     global_buffer
      - .actual_access:  read_only
        .address_space:  global
        .offset:         48
        .size:           8
        .value_kind:     global_buffer
      - .offset:         56
        .size:           4
        .value_kind:     by_value
      - .actual_access:  read_only
        .address_space:  global
        .offset:         64
        .size:           8
        .value_kind:     global_buffer
      - .offset:         72
        .size:           4
        .value_kind:     by_value
      - .offset:         76
        .size:           4
        .value_kind:     by_value
      - .offset:         80
        .size:           4
        .value_kind:     by_value
      - .actual_access:  read_only
        .address_space:  global
        .offset:         88
        .size:           8
        .value_kind:     global_buffer
      - .actual_access:  read_only
        .address_space:  global
        .offset:         96
        .size:           8
        .value_kind:     global_buffer
      - .actual_access:  read_only
        .address_space:  global
        .offset:         104
        .size:           8
        .value_kind:     global_buffer
      - .actual_access:  read_only
        .address_space:  global
        .offset:         112
        .size:           8
        .value_kind:     global_buffer
      - .offset:         120
        .size:           4
        .value_kind:     by_value
      - .address_space:  global
        .offset:         128
        .size:           8
        .value_kind:     global_buffer
      - .address_space:  global
        .offset:         136
        .size:           8
        .value_kind:     global_buffer
      - .offset:         144
        .size:           4
        .value_kind:     hidden_block_count_x
      - .offset:         148
        .size:           4
        .value_kind:     hidden_block_count_y
      - .offset:         152
        .size:           4
        .value_kind:     hidden_block_count_z
      - .offset:         156
        .size:           2
        .value_kind:     hidden_group_size_x
      - .offset:         158
        .size:           2
        .value_kind:     hidden_group_size_y
      - .offset:         160
        .size:           2
        .value_kind:     hidden_group_size_z
      - .offset:         162
        .size:           2
        .value_kind:     hidden_remainder_x
      - .offset:         164
        .size:           2
        .value_kind:     hidden_remainder_y
      - .offset:         166
        .size:           2
        .value_kind:     hidden_remainder_z
      - .offset:         184
        .size:           8
        .value_kind:     hidden_global_offset_x
      - .offset:         192
        .size:           8
        .value_kind:     hidden_global_offset_y
      - .offset:         200
        .size:           8
        .value_kind:     hidden_global_offset_z
      - .offset:         208
        .size:           2
        .value_kind:     hidden_grid_dims
      - .offset:         224
        .size:           8
        .value_kind:     hidden_hostcall_buffer
    .group_segment_fixed_size: 0
    .kernarg_segment_align: 8
    .kernarg_segment_size: 400
    .language:       OpenCL C
    .language_version:
      - 2
      - 0
    .max_flat_workgroup_size: 256
    .name:           _Z39paged_attention_ll4mi_QKV_mfma16_kernelIDF16_hLN4vllm18Fp8KVCacheDataTypeE1EDF16_Li16ELi128ELi256ELb0ELi2EEvPKT_PKT0_S7_ifPKiS9_S9_iPKfiiiPfSC_PS2_PT2_iSB_SB_
    .private_segment_fixed_size: 64
    .sgpr_count:     36
    .sgpr_spill_count: 0
    .symbol:         _Z39paged_attention_ll4mi_QKV_mfma16_kernelIDF16_hLN4vllm18Fp8KVCacheDataTypeE1EDF16_Li16ELi128ELi256ELb0ELi2EEvPKT_PKT0_S7_ifPKiS9_S9_iPKfiiiPfSC_PS2_PT2_iSB_SB_.kd
    .uniform_work_group_size: 1
    .uses_dynamic_stack: false
    .vgpr_count:     51
    .vgpr_spill_count: 0
    .wavefront_size: 32
  - .args:
      - .actual_access:  read_only
        .address_space:  global
        .offset:         0
        .size:           8
        .value_kind:     global_buffer
      - .actual_access:  read_only
        .address_space:  global
        .offset:         8
        .size:           8
        .value_kind:     global_buffer
      - .actual_access:  read_only
        .address_space:  global
        .offset:         16
        .size:           8
        .value_kind:     global_buffer
      - .offset:         24
        .size:           4
        .value_kind:     by_value
      - .offset:         28
        .size:           4
        .value_kind:     by_value
      - .actual_access:  read_only
        .address_space:  global
        .offset:         32
        .size:           8
        .value_kind:     global_buffer
      - .actual_access:  read_only
        .address_space:  global
        .offset:         40
        .size:           8
        .value_kind:     global_buffer
      - .actual_access:  read_only
        .address_space:  global
        .offset:         48
        .size:           8
        .value_kind:     global_buffer
      - .offset:         56
        .size:           4
        .value_kind:     by_value
      - .actual_access:  read_only
        .address_space:  global
        .offset:         64
        .size:           8
        .value_kind:     global_buffer
      - .offset:         72
        .size:           4
        .value_kind:     by_value
      - .offset:         76
        .size:           4
        .value_kind:     by_value
      - .offset:         80
        .size:           4
        .value_kind:     by_value
      - .actual_access:  read_only
        .address_space:  global
        .offset:         88
        .size:           8
        .value_kind:     global_buffer
      - .actual_access:  read_only
        .address_space:  global
        .offset:         96
        .size:           8
        .value_kind:     global_buffer
      - .actual_access:  read_only
        .address_space:  global
        .offset:         104
        .size:           8
        .value_kind:     global_buffer
      - .actual_access:  read_only
        .address_space:  global
        .offset:         112
        .size:           8
        .value_kind:     global_buffer
      - .offset:         120
        .size:           4
        .value_kind:     by_value
      - .address_space:  global
        .offset:         128
        .size:           8
        .value_kind:     global_buffer
      - .address_space:  global
        .offset:         136
        .size:           8
        .value_kind:     global_buffer
      - .offset:         144
        .size:           4
        .value_kind:     hidden_block_count_x
      - .offset:         148
        .size:           4
        .value_kind:     hidden_block_count_y
      - .offset:         152
        .size:           4
        .value_kind:     hidden_block_count_z
      - .offset:         156
        .size:           2
        .value_kind:     hidden_group_size_x
      - .offset:         158
        .size:           2
        .value_kind:     hidden_group_size_y
      - .offset:         160
        .size:           2
        .value_kind:     hidden_group_size_z
      - .offset:         162
        .size:           2
        .value_kind:     hidden_remainder_x
      - .offset:         164
        .size:           2
        .value_kind:     hidden_remainder_y
      - .offset:         166
        .size:           2
        .value_kind:     hidden_remainder_z
      - .offset:         184
        .size:           8
        .value_kind:     hidden_global_offset_x
      - .offset:         192
        .size:           8
        .value_kind:     hidden_global_offset_y
      - .offset:         200
        .size:           8
        .value_kind:     hidden_global_offset_z
      - .offset:         208
        .size:           2
        .value_kind:     hidden_grid_dims
      - .offset:         224
        .size:           8
        .value_kind:     hidden_hostcall_buffer
    .group_segment_fixed_size: 0
    .kernarg_segment_align: 8
    .kernarg_segment_size: 400
    .language:       OpenCL C
    .language_version:
      - 2
      - 0
    .max_flat_workgroup_size: 256
    .name:           _Z39paged_attention_ll4mi_QKV_mfma16_kernelIDF16_hLN4vllm18Fp8KVCacheDataTypeE1EDF16_Li16ELi128ELi256ELb0ELi3EEvPKT_PKT0_S7_ifPKiS9_S9_iPKfiiiPfSC_PS2_PT2_iSB_SB_
    .private_segment_fixed_size: 64
    .sgpr_count:     36
    .sgpr_spill_count: 0
    .symbol:         _Z39paged_attention_ll4mi_QKV_mfma16_kernelIDF16_hLN4vllm18Fp8KVCacheDataTypeE1EDF16_Li16ELi128ELi256ELb0ELi3EEvPKT_PKT0_S7_ifPKiS9_S9_iPKfiiiPfSC_PS2_PT2_iSB_SB_.kd
    .uniform_work_group_size: 1
    .uses_dynamic_stack: false
    .vgpr_count:     51
    .vgpr_spill_count: 0
    .wavefront_size: 32
  - .args:
      - .actual_access:  read_only
        .address_space:  global
        .offset:         0
        .size:           8
        .value_kind:     global_buffer
      - .actual_access:  read_only
        .address_space:  global
        .offset:         8
        .size:           8
        .value_kind:     global_buffer
      - .actual_access:  read_only
        .address_space:  global
        .offset:         16
        .size:           8
        .value_kind:     global_buffer
      - .offset:         24
        .size:           4
        .value_kind:     by_value
      - .offset:         28
        .size:           4
        .value_kind:     by_value
      - .actual_access:  read_only
        .address_space:  global
        .offset:         32
        .size:           8
        .value_kind:     global_buffer
      - .actual_access:  read_only
        .address_space:  global
        .offset:         40
        .size:           8
        .value_kind:     global_buffer
      - .actual_access:  read_only
        .address_space:  global
        .offset:         48
        .size:           8
        .value_kind:     global_buffer
      - .offset:         56
        .size:           4
        .value_kind:     by_value
      - .actual_access:  read_only
        .address_space:  global
        .offset:         64
        .size:           8
        .value_kind:     global_buffer
      - .offset:         72
        .size:           4
        .value_kind:     by_value
      - .offset:         76
        .size:           4
        .value_kind:     by_value
      - .offset:         80
        .size:           4
        .value_kind:     by_value
      - .actual_access:  read_only
        .address_space:  global
        .offset:         88
        .size:           8
        .value_kind:     global_buffer
      - .actual_access:  read_only
        .address_space:  global
        .offset:         96
        .size:           8
        .value_kind:     global_buffer
      - .actual_access:  read_only
        .address_space:  global
        .offset:         104
        .size:           8
        .value_kind:     global_buffer
      - .actual_access:  read_only
        .address_space:  global
        .offset:         112
        .size:           8
        .value_kind:     global_buffer
      - .offset:         120
        .size:           4
        .value_kind:     by_value
      - .address_space:  global
        .offset:         128
        .size:           8
        .value_kind:     global_buffer
      - .address_space:  global
        .offset:         136
        .size:           8
        .value_kind:     global_buffer
      - .offset:         144
        .size:           4
        .value_kind:     hidden_block_count_x
      - .offset:         148
        .size:           4
        .value_kind:     hidden_block_count_y
      - .offset:         152
        .size:           4
        .value_kind:     hidden_block_count_z
      - .offset:         156
        .size:           2
        .value_kind:     hidden_group_size_x
      - .offset:         158
        .size:           2
        .value_kind:     hidden_group_size_y
      - .offset:         160
        .size:           2
        .value_kind:     hidden_group_size_z
      - .offset:         162
        .size:           2
        .value_kind:     hidden_remainder_x
      - .offset:         164
        .size:           2
        .value_kind:     hidden_remainder_y
      - .offset:         166
        .size:           2
        .value_kind:     hidden_remainder_z
      - .offset:         184
        .size:           8
        .value_kind:     hidden_global_offset_x
      - .offset:         192
        .size:           8
        .value_kind:     hidden_global_offset_y
      - .offset:         200
        .size:           8
        .value_kind:     hidden_global_offset_z
      - .offset:         208
        .size:           2
        .value_kind:     hidden_grid_dims
      - .offset:         224
        .size:           8
        .value_kind:     hidden_hostcall_buffer
    .group_segment_fixed_size: 0
    .kernarg_segment_align: 8
    .kernarg_segment_size: 400
    .language:       OpenCL C
    .language_version:
      - 2
      - 0
    .max_flat_workgroup_size: 256
    .name:           _Z39paged_attention_ll4mi_QKV_mfma16_kernelIDF16_hLN4vllm18Fp8KVCacheDataTypeE1EDF16_Li16ELi128ELi256ELb0ELi4EEvPKT_PKT0_S7_ifPKiS9_S9_iPKfiiiPfSC_PS2_PT2_iSB_SB_
    .private_segment_fixed_size: 64
    .sgpr_count:     36
    .sgpr_spill_count: 0
    .symbol:         _Z39paged_attention_ll4mi_QKV_mfma16_kernelIDF16_hLN4vllm18Fp8KVCacheDataTypeE1EDF16_Li16ELi128ELi256ELb0ELi4EEvPKT_PKT0_S7_ifPKiS9_S9_iPKfiiiPfSC_PS2_PT2_iSB_SB_.kd
    .uniform_work_group_size: 1
    .uses_dynamic_stack: false
    .vgpr_count:     51
    .vgpr_spill_count: 0
    .wavefront_size: 32
  - .args:
      - .actual_access:  read_only
        .address_space:  global
        .offset:         0
        .size:           8
        .value_kind:     global_buffer
      - .actual_access:  read_only
        .address_space:  global
        .offset:         8
        .size:           8
        .value_kind:     global_buffer
      - .actual_access:  read_only
        .address_space:  global
        .offset:         16
        .size:           8
        .value_kind:     global_buffer
      - .offset:         24
        .size:           4
        .value_kind:     by_value
      - .offset:         28
        .size:           4
        .value_kind:     by_value
      - .actual_access:  read_only
        .address_space:  global
        .offset:         32
        .size:           8
        .value_kind:     global_buffer
      - .actual_access:  read_only
        .address_space:  global
        .offset:         40
        .size:           8
        .value_kind:     global_buffer
      - .actual_access:  read_only
        .address_space:  global
        .offset:         48
        .size:           8
        .value_kind:     global_buffer
      - .offset:         56
        .size:           4
        .value_kind:     by_value
      - .actual_access:  read_only
        .address_space:  global
        .offset:         64
        .size:           8
        .value_kind:     global_buffer
      - .offset:         72
        .size:           4
        .value_kind:     by_value
      - .offset:         76
        .size:           4
        .value_kind:     by_value
      - .offset:         80
        .size:           4
        .value_kind:     by_value
      - .actual_access:  read_only
        .address_space:  global
        .offset:         88
        .size:           8
        .value_kind:     global_buffer
      - .actual_access:  read_only
        .address_space:  global
        .offset:         96
        .size:           8
        .value_kind:     global_buffer
      - .actual_access:  read_only
        .address_space:  global
        .offset:         104
        .size:           8
        .value_kind:     global_buffer
      - .actual_access:  read_only
        .address_space:  global
        .offset:         112
        .size:           8
        .value_kind:     global_buffer
      - .offset:         120
        .size:           4
        .value_kind:     by_value
      - .address_space:  global
        .offset:         128
        .size:           8
        .value_kind:     global_buffer
      - .address_space:  global
        .offset:         136
        .size:           8
        .value_kind:     global_buffer
      - .offset:         144
        .size:           4
        .value_kind:     hidden_block_count_x
      - .offset:         148
        .size:           4
        .value_kind:     hidden_block_count_y
      - .offset:         152
        .size:           4
        .value_kind:     hidden_block_count_z
      - .offset:         156
        .size:           2
        .value_kind:     hidden_group_size_x
      - .offset:         158
        .size:           2
        .value_kind:     hidden_group_size_y
      - .offset:         160
        .size:           2
        .value_kind:     hidden_group_size_z
      - .offset:         162
        .size:           2
        .value_kind:     hidden_remainder_x
      - .offset:         164
        .size:           2
        .value_kind:     hidden_remainder_y
      - .offset:         166
        .size:           2
        .value_kind:     hidden_remainder_z
      - .offset:         184
        .size:           8
        .value_kind:     hidden_global_offset_x
      - .offset:         192
        .size:           8
        .value_kind:     hidden_global_offset_y
      - .offset:         200
        .size:           8
        .value_kind:     hidden_global_offset_z
      - .offset:         208
        .size:           2
        .value_kind:     hidden_grid_dims
      - .offset:         224
        .size:           8
        .value_kind:     hidden_hostcall_buffer
    .group_segment_fixed_size: 0
    .kernarg_segment_align: 8
    .kernarg_segment_size: 400
    .language:       OpenCL C
    .language_version:
      - 2
      - 0
    .max_flat_workgroup_size: 256
    .name:           _Z38paged_attention_ll4mi_QKV_mfma4_kernelIDF16_hLN4vllm18Fp8KVCacheDataTypeE1EhLi32ELi128ELi256ELb1ELi1EEvPKT_PKT0_S7_ifPKiS9_S9_iPKfiiiPfSC_PS2_PT2_iSB_SB_
    .private_segment_fixed_size: 64
    .sgpr_count:     36
    .sgpr_spill_count: 0
    .symbol:         _Z38paged_attention_ll4mi_QKV_mfma4_kernelIDF16_hLN4vllm18Fp8KVCacheDataTypeE1EhLi32ELi128ELi256ELb1ELi1EEvPKT_PKT0_S7_ifPKiS9_S9_iPKfiiiPfSC_PS2_PT2_iSB_SB_.kd
    .uniform_work_group_size: 1
    .uses_dynamic_stack: false
    .vgpr_count:     51
    .vgpr_spill_count: 0
    .wavefront_size: 32
  - .args:
      - .actual_access:  read_only
        .address_space:  global
        .offset:         0
        .size:           8
        .value_kind:     global_buffer
      - .actual_access:  read_only
        .address_space:  global
        .offset:         8
        .size:           8
        .value_kind:     global_buffer
      - .actual_access:  read_only
        .address_space:  global
        .offset:         16
        .size:           8
        .value_kind:     global_buffer
      - .offset:         24
        .size:           4
        .value_kind:     by_value
      - .offset:         28
        .size:           4
        .value_kind:     by_value
      - .actual_access:  read_only
        .address_space:  global
        .offset:         32
        .size:           8
        .value_kind:     global_buffer
      - .actual_access:  read_only
        .address_space:  global
        .offset:         40
        .size:           8
        .value_kind:     global_buffer
      - .actual_access:  read_only
        .address_space:  global
        .offset:         48
        .size:           8
        .value_kind:     global_buffer
      - .offset:         56
        .size:           4
        .value_kind:     by_value
      - .actual_access:  read_only
        .address_space:  global
        .offset:         64
        .size:           8
        .value_kind:     global_buffer
      - .offset:         72
        .size:           4
        .value_kind:     by_value
      - .offset:         76
        .size:           4
        .value_kind:     by_value
      - .offset:         80
        .size:           4
        .value_kind:     by_value
      - .actual_access:  read_only
        .address_space:  global
        .offset:         88
        .size:           8
        .value_kind:     global_buffer
      - .actual_access:  read_only
        .address_space:  global
        .offset:         96
        .size:           8
        .value_kind:     global_buffer
      - .actual_access:  read_only
        .address_space:  global
        .offset:         104
        .size:           8
        .value_kind:     global_buffer
      - .actual_access:  read_only
        .address_space:  global
        .offset:         112
        .size:           8
        .value_kind:     global_buffer
      - .offset:         120
        .size:           4
        .value_kind:     by_value
      - .address_space:  global
        .offset:         128
        .size:           8
        .value_kind:     global_buffer
      - .address_space:  global
        .offset:         136
        .size:           8
        .value_kind:     global_buffer
      - .offset:         144
        .size:           4
        .value_kind:     hidden_block_count_x
      - .offset:         148
        .size:           4
        .value_kind:     hidden_block_count_y
      - .offset:         152
        .size:           4
        .value_kind:     hidden_block_count_z
      - .offset:         156
        .size:           2
        .value_kind:     hidden_group_size_x
      - .offset:         158
        .size:           2
        .value_kind:     hidden_group_size_y
      - .offset:         160
        .size:           2
        .value_kind:     hidden_group_size_z
      - .offset:         162
        .size:           2
        .value_kind:     hidden_remainder_x
      - .offset:         164
        .size:           2
        .value_kind:     hidden_remainder_y
      - .offset:         166
        .size:           2
        .value_kind:     hidden_remainder_z
      - .offset:         184
        .size:           8
        .value_kind:     hidden_global_offset_x
      - .offset:         192
        .size:           8
        .value_kind:     hidden_global_offset_y
      - .offset:         200
        .size:           8
        .value_kind:     hidden_global_offset_z
      - .offset:         208
        .size:           2
        .value_kind:     hidden_grid_dims
      - .offset:         224
        .size:           8
        .value_kind:     hidden_hostcall_buffer
    .group_segment_fixed_size: 0
    .kernarg_segment_align: 8
    .kernarg_segment_size: 400
    .language:       OpenCL C
    .language_version:
      - 2
      - 0
    .max_flat_workgroup_size: 256
    .name:           _Z38paged_attention_ll4mi_QKV_mfma4_kernelIDF16_hLN4vllm18Fp8KVCacheDataTypeE1EhLi32ELi128ELi256ELb1ELi2EEvPKT_PKT0_S7_ifPKiS9_S9_iPKfiiiPfSC_PS2_PT2_iSB_SB_
    .private_segment_fixed_size: 64
    .sgpr_count:     36
    .sgpr_spill_count: 0
    .symbol:         _Z38paged_attention_ll4mi_QKV_mfma4_kernelIDF16_hLN4vllm18Fp8KVCacheDataTypeE1EhLi32ELi128ELi256ELb1ELi2EEvPKT_PKT0_S7_ifPKiS9_S9_iPKfiiiPfSC_PS2_PT2_iSB_SB_.kd
    .uniform_work_group_size: 1
    .uses_dynamic_stack: false
    .vgpr_count:     51
    .vgpr_spill_count: 0
    .wavefront_size: 32
  - .args:
      - .actual_access:  read_only
        .address_space:  global
        .offset:         0
        .size:           8
        .value_kind:     global_buffer
      - .actual_access:  read_only
        .address_space:  global
        .offset:         8
        .size:           8
        .value_kind:     global_buffer
      - .actual_access:  read_only
        .address_space:  global
        .offset:         16
        .size:           8
        .value_kind:     global_buffer
      - .offset:         24
        .size:           4
        .value_kind:     by_value
      - .offset:         28
        .size:           4
        .value_kind:     by_value
      - .actual_access:  read_only
        .address_space:  global
        .offset:         32
        .size:           8
        .value_kind:     global_buffer
      - .actual_access:  read_only
        .address_space:  global
        .offset:         40
        .size:           8
        .value_kind:     global_buffer
      - .actual_access:  read_only
        .address_space:  global
        .offset:         48
        .size:           8
        .value_kind:     global_buffer
      - .offset:         56
        .size:           4
        .value_kind:     by_value
      - .actual_access:  read_only
        .address_space:  global
        .offset:         64
        .size:           8
        .value_kind:     global_buffer
      - .offset:         72
        .size:           4
        .value_kind:     by_value
      - .offset:         76
        .size:           4
        .value_kind:     by_value
      - .offset:         80
        .size:           4
        .value_kind:     by_value
      - .actual_access:  read_only
        .address_space:  global
        .offset:         88
        .size:           8
        .value_kind:     global_buffer
      - .actual_access:  read_only
        .address_space:  global
        .offset:         96
        .size:           8
        .value_kind:     global_buffer
      - .actual_access:  read_only
        .address_space:  global
        .offset:         104
        .size:           8
        .value_kind:     global_buffer
      - .actual_access:  read_only
        .address_space:  global
        .offset:         112
        .size:           8
        .value_kind:     global_buffer
      - .offset:         120
        .size:           4
        .value_kind:     by_value
      - .address_space:  global
        .offset:         128
        .size:           8
        .value_kind:     global_buffer
      - .address_space:  global
        .offset:         136
        .size:           8
        .value_kind:     global_buffer
      - .offset:         144
        .size:           4
        .value_kind:     hidden_block_count_x
      - .offset:         148
        .size:           4
        .value_kind:     hidden_block_count_y
      - .offset:         152
        .size:           4
        .value_kind:     hidden_block_count_z
      - .offset:         156
        .size:           2
        .value_kind:     hidden_group_size_x
      - .offset:         158
        .size:           2
        .value_kind:     hidden_group_size_y
      - .offset:         160
        .size:           2
        .value_kind:     hidden_group_size_z
      - .offset:         162
        .size:           2
        .value_kind:     hidden_remainder_x
      - .offset:         164
        .size:           2
        .value_kind:     hidden_remainder_y
      - .offset:         166
        .size:           2
        .value_kind:     hidden_remainder_z
      - .offset:         184
        .size:           8
        .value_kind:     hidden_global_offset_x
      - .offset:         192
        .size:           8
        .value_kind:     hidden_global_offset_y
      - .offset:         200
        .size:           8
        .value_kind:     hidden_global_offset_z
      - .offset:         208
        .size:           2
        .value_kind:     hidden_grid_dims
      - .offset:         224
        .size:           8
        .value_kind:     hidden_hostcall_buffer
    .group_segment_fixed_size: 0
    .kernarg_segment_align: 8
    .kernarg_segment_size: 400
    .language:       OpenCL C
    .language_version:
      - 2
      - 0
    .max_flat_workgroup_size: 256
    .name:           _Z38paged_attention_ll4mi_QKV_mfma4_kernelIDF16_hLN4vllm18Fp8KVCacheDataTypeE1EhLi32ELi128ELi256ELb1ELi3EEvPKT_PKT0_S7_ifPKiS9_S9_iPKfiiiPfSC_PS2_PT2_iSB_SB_
    .private_segment_fixed_size: 64
    .sgpr_count:     36
    .sgpr_spill_count: 0
    .symbol:         _Z38paged_attention_ll4mi_QKV_mfma4_kernelIDF16_hLN4vllm18Fp8KVCacheDataTypeE1EhLi32ELi128ELi256ELb1ELi3EEvPKT_PKT0_S7_ifPKiS9_S9_iPKfiiiPfSC_PS2_PT2_iSB_SB_.kd
    .uniform_work_group_size: 1
    .uses_dynamic_stack: false
    .vgpr_count:     51
    .vgpr_spill_count: 0
    .wavefront_size: 32
  - .args:
      - .actual_access:  read_only
        .address_space:  global
        .offset:         0
        .size:           8
        .value_kind:     global_buffer
      - .actual_access:  read_only
        .address_space:  global
        .offset:         8
        .size:           8
        .value_kind:     global_buffer
      - .actual_access:  read_only
        .address_space:  global
        .offset:         16
        .size:           8
        .value_kind:     global_buffer
      - .offset:         24
        .size:           4
        .value_kind:     by_value
      - .offset:         28
        .size:           4
        .value_kind:     by_value
      - .actual_access:  read_only
        .address_space:  global
        .offset:         32
        .size:           8
        .value_kind:     global_buffer
      - .actual_access:  read_only
        .address_space:  global
        .offset:         40
        .size:           8
        .value_kind:     global_buffer
      - .actual_access:  read_only
        .address_space:  global
        .offset:         48
        .size:           8
        .value_kind:     global_buffer
      - .offset:         56
        .size:           4
        .value_kind:     by_value
      - .actual_access:  read_only
        .address_space:  global
        .offset:         64
        .size:           8
        .value_kind:     global_buffer
      - .offset:         72
        .size:           4
        .value_kind:     by_value
      - .offset:         76
        .size:           4
        .value_kind:     by_value
      - .offset:         80
        .size:           4
        .value_kind:     by_value
      - .actual_access:  read_only
        .address_space:  global
        .offset:         88
        .size:           8
        .value_kind:     global_buffer
      - .actual_access:  read_only
        .address_space:  global
        .offset:         96
        .size:           8
        .value_kind:     global_buffer
      - .actual_access:  read_only
        .address_space:  global
        .offset:         104
        .size:           8
        .value_kind:     global_buffer
      - .actual_access:  read_only
        .address_space:  global
        .offset:         112
        .size:           8
        .value_kind:     global_buffer
      - .offset:         120
        .size:           4
        .value_kind:     by_value
      - .address_space:  global
        .offset:         128
        .size:           8
        .value_kind:     global_buffer
      - .address_space:  global
        .offset:         136
        .size:           8
        .value_kind:     global_buffer
      - .offset:         144
        .size:           4
        .value_kind:     hidden_block_count_x
      - .offset:         148
        .size:           4
        .value_kind:     hidden_block_count_y
      - .offset:         152
        .size:           4
        .value_kind:     hidden_block_count_z
      - .offset:         156
        .size:           2
        .value_kind:     hidden_group_size_x
      - .offset:         158
        .size:           2
        .value_kind:     hidden_group_size_y
      - .offset:         160
        .size:           2
        .value_kind:     hidden_group_size_z
      - .offset:         162
        .size:           2
        .value_kind:     hidden_remainder_x
      - .offset:         164
        .size:           2
        .value_kind:     hidden_remainder_y
      - .offset:         166
        .size:           2
        .value_kind:     hidden_remainder_z
      - .offset:         184
        .size:           8
        .value_kind:     hidden_global_offset_x
      - .offset:         192
        .size:           8
        .value_kind:     hidden_global_offset_y
      - .offset:         200
        .size:           8
        .value_kind:     hidden_global_offset_z
      - .offset:         208
        .size:           2
        .value_kind:     hidden_grid_dims
      - .offset:         224
        .size:           8
        .value_kind:     hidden_hostcall_buffer
    .group_segment_fixed_size: 0
    .kernarg_segment_align: 8
    .kernarg_segment_size: 400
    .language:       OpenCL C
    .language_version:
      - 2
      - 0
    .max_flat_workgroup_size: 256
    .name:           _Z38paged_attention_ll4mi_QKV_mfma4_kernelIDF16_hLN4vllm18Fp8KVCacheDataTypeE1EhLi32ELi128ELi256ELb1ELi4EEvPKT_PKT0_S7_ifPKiS9_S9_iPKfiiiPfSC_PS2_PT2_iSB_SB_
    .private_segment_fixed_size: 64
    .sgpr_count:     36
    .sgpr_spill_count: 0
    .symbol:         _Z38paged_attention_ll4mi_QKV_mfma4_kernelIDF16_hLN4vllm18Fp8KVCacheDataTypeE1EhLi32ELi128ELi256ELb1ELi4EEvPKT_PKT0_S7_ifPKiS9_S9_iPKfiiiPfSC_PS2_PT2_iSB_SB_.kd
    .uniform_work_group_size: 1
    .uses_dynamic_stack: false
    .vgpr_count:     51
    .vgpr_spill_count: 0
    .wavefront_size: 32
  - .args:
      - .actual_access:  read_only
        .address_space:  global
        .offset:         0
        .size:           8
        .value_kind:     global_buffer
      - .actual_access:  read_only
        .address_space:  global
        .offset:         8
        .size:           8
        .value_kind:     global_buffer
      - .actual_access:  read_only
        .address_space:  global
        .offset:         16
        .size:           8
        .value_kind:     global_buffer
      - .offset:         24
        .size:           4
        .value_kind:     by_value
      - .offset:         28
        .size:           4
        .value_kind:     by_value
      - .actual_access:  read_only
        .address_space:  global
        .offset:         32
        .size:           8
        .value_kind:     global_buffer
      - .actual_access:  read_only
        .address_space:  global
        .offset:         40
        .size:           8
        .value_kind:     global_buffer
      - .actual_access:  read_only
        .address_space:  global
        .offset:         48
        .size:           8
        .value_kind:     global_buffer
      - .offset:         56
        .size:           4
        .value_kind:     by_value
      - .actual_access:  read_only
        .address_space:  global
        .offset:         64
        .size:           8
        .value_kind:     global_buffer
      - .offset:         72
        .size:           4
        .value_kind:     by_value
      - .offset:         76
        .size:           4
        .value_kind:     by_value
      - .offset:         80
        .size:           4
        .value_kind:     by_value
      - .actual_access:  read_only
        .address_space:  global
        .offset:         88
        .size:           8
        .value_kind:     global_buffer
      - .actual_access:  read_only
        .address_space:  global
        .offset:         96
        .size:           8
        .value_kind:     global_buffer
      - .actual_access:  read_only
        .address_space:  global
        .offset:         104
        .size:           8
        .value_kind:     global_buffer
      - .actual_access:  read_only
        .address_space:  global
        .offset:         112
        .size:           8
        .value_kind:     global_buffer
      - .offset:         120
        .size:           4
        .value_kind:     by_value
      - .address_space:  global
        .offset:         128
        .size:           8
        .value_kind:     global_buffer
      - .address_space:  global
        .offset:         136
        .size:           8
        .value_kind:     global_buffer
      - .offset:         144
        .size:           4
        .value_kind:     hidden_block_count_x
      - .offset:         148
        .size:           4
        .value_kind:     hidden_block_count_y
      - .offset:         152
        .size:           4
        .value_kind:     hidden_block_count_z
      - .offset:         156
        .size:           2
        .value_kind:     hidden_group_size_x
      - .offset:         158
        .size:           2
        .value_kind:     hidden_group_size_y
      - .offset:         160
        .size:           2
        .value_kind:     hidden_group_size_z
      - .offset:         162
        .size:           2
        .value_kind:     hidden_remainder_x
      - .offset:         164
        .size:           2
        .value_kind:     hidden_remainder_y
      - .offset:         166
        .size:           2
        .value_kind:     hidden_remainder_z
      - .offset:         184
        .size:           8
        .value_kind:     hidden_global_offset_x
      - .offset:         192
        .size:           8
        .value_kind:     hidden_global_offset_y
      - .offset:         200
        .size:           8
        .value_kind:     hidden_global_offset_z
      - .offset:         208
        .size:           2
        .value_kind:     hidden_grid_dims
      - .offset:         224
        .size:           8
        .value_kind:     hidden_hostcall_buffer
    .group_segment_fixed_size: 0
    .kernarg_segment_align: 8
    .kernarg_segment_size: 400
    .language:       OpenCL C
    .language_version:
      - 2
      - 0
    .max_flat_workgroup_size: 256
    .name:           _Z39paged_attention_ll4mi_QKV_mfma16_kernelIDF16_hLN4vllm18Fp8KVCacheDataTypeE1EhLi32ELi128ELi256ELb1ELi5EEvPKT_PKT0_S7_ifPKiS9_S9_iPKfiiiPfSC_PS2_PT2_iSB_SB_
    .private_segment_fixed_size: 64
    .sgpr_count:     36
    .sgpr_spill_count: 0
    .symbol:         _Z39paged_attention_ll4mi_QKV_mfma16_kernelIDF16_hLN4vllm18Fp8KVCacheDataTypeE1EhLi32ELi128ELi256ELb1ELi5EEvPKT_PKT0_S7_ifPKiS9_S9_iPKfiiiPfSC_PS2_PT2_iSB_SB_.kd
    .uniform_work_group_size: 1
    .uses_dynamic_stack: false
    .vgpr_count:     51
    .vgpr_spill_count: 0
    .wavefront_size: 32
  - .args:
      - .actual_access:  read_only
        .address_space:  global
        .offset:         0
        .size:           8
        .value_kind:     global_buffer
      - .actual_access:  read_only
        .address_space:  global
        .offset:         8
        .size:           8
        .value_kind:     global_buffer
      - .actual_access:  read_only
        .address_space:  global
        .offset:         16
        .size:           8
        .value_kind:     global_buffer
      - .offset:         24
        .size:           4
        .value_kind:     by_value
      - .offset:         28
        .size:           4
        .value_kind:     by_value
      - .actual_access:  read_only
        .address_space:  global
        .offset:         32
        .size:           8
        .value_kind:     global_buffer
      - .actual_access:  read_only
        .address_space:  global
        .offset:         40
        .size:           8
        .value_kind:     global_buffer
      - .actual_access:  read_only
        .address_space:  global
        .offset:         48
        .size:           8
        .value_kind:     global_buffer
      - .offset:         56
        .size:           4
        .value_kind:     by_value
      - .actual_access:  read_only
        .address_space:  global
        .offset:         64
        .size:           8
        .value_kind:     global_buffer
      - .offset:         72
        .size:           4
        .value_kind:     by_value
      - .offset:         76
        .size:           4
        .value_kind:     by_value
      - .offset:         80
        .size:           4
        .value_kind:     by_value
      - .actual_access:  read_only
        .address_space:  global
        .offset:         88
        .size:           8
        .value_kind:     global_buffer
      - .actual_access:  read_only
        .address_space:  global
        .offset:         96
        .size:           8
        .value_kind:     global_buffer
      - .actual_access:  read_only
        .address_space:  global
        .offset:         104
        .size:           8
        .value_kind:     global_buffer
      - .actual_access:  read_only
        .address_space:  global
        .offset:         112
        .size:           8
        .value_kind:     global_buffer
      - .offset:         120
        .size:           4
        .value_kind:     by_value
      - .address_space:  global
        .offset:         128
        .size:           8
        .value_kind:     global_buffer
      - .address_space:  global
        .offset:         136
        .size:           8
        .value_kind:     global_buffer
      - .offset:         144
        .size:           4
        .value_kind:     hidden_block_count_x
      - .offset:         148
        .size:           4
        .value_kind:     hidden_block_count_y
      - .offset:         152
        .size:           4
        .value_kind:     hidden_block_count_z
      - .offset:         156
        .size:           2
        .value_kind:     hidden_group_size_x
      - .offset:         158
        .size:           2
        .value_kind:     hidden_group_size_y
      - .offset:         160
        .size:           2
        .value_kind:     hidden_group_size_z
      - .offset:         162
        .size:           2
        .value_kind:     hidden_remainder_x
      - .offset:         164
        .size:           2
        .value_kind:     hidden_remainder_y
      - .offset:         166
        .size:           2
        .value_kind:     hidden_remainder_z
      - .offset:         184
        .size:           8
        .value_kind:     hidden_global_offset_x
      - .offset:         192
        .size:           8
        .value_kind:     hidden_global_offset_y
      - .offset:         200
        .size:           8
        .value_kind:     hidden_global_offset_z
      - .offset:         208
        .size:           2
        .value_kind:     hidden_grid_dims
      - .offset:         224
        .size:           8
        .value_kind:     hidden_hostcall_buffer
    .group_segment_fixed_size: 0
    .kernarg_segment_align: 8
    .kernarg_segment_size: 400
    .language:       OpenCL C
    .language_version:
      - 2
      - 0
    .max_flat_workgroup_size: 256
    .name:           _Z39paged_attention_ll4mi_QKV_mfma16_kernelIDF16_hLN4vllm18Fp8KVCacheDataTypeE1EhLi32ELi128ELi256ELb1ELi6EEvPKT_PKT0_S7_ifPKiS9_S9_iPKfiiiPfSC_PS2_PT2_iSB_SB_
    .private_segment_fixed_size: 64
    .sgpr_count:     36
    .sgpr_spill_count: 0
    .symbol:         _Z39paged_attention_ll4mi_QKV_mfma16_kernelIDF16_hLN4vllm18Fp8KVCacheDataTypeE1EhLi32ELi128ELi256ELb1ELi6EEvPKT_PKT0_S7_ifPKiS9_S9_iPKfiiiPfSC_PS2_PT2_iSB_SB_.kd
    .uniform_work_group_size: 1
    .uses_dynamic_stack: false
    .vgpr_count:     51
    .vgpr_spill_count: 0
    .wavefront_size: 32
  - .args:
      - .actual_access:  read_only
        .address_space:  global
        .offset:         0
        .size:           8
        .value_kind:     global_buffer
      - .actual_access:  read_only
        .address_space:  global
        .offset:         8
        .size:           8
        .value_kind:     global_buffer
      - .actual_access:  read_only
        .address_space:  global
        .offset:         16
        .size:           8
        .value_kind:     global_buffer
      - .offset:         24
        .size:           4
        .value_kind:     by_value
      - .offset:         28
        .size:           4
        .value_kind:     by_value
      - .actual_access:  read_only
        .address_space:  global
        .offset:         32
        .size:           8
        .value_kind:     global_buffer
      - .actual_access:  read_only
        .address_space:  global
        .offset:         40
        .size:           8
        .value_kind:     global_buffer
      - .actual_access:  read_only
        .address_space:  global
        .offset:         48
        .size:           8
        .value_kind:     global_buffer
      - .offset:         56
        .size:           4
        .value_kind:     by_value
      - .actual_access:  read_only
        .address_space:  global
        .offset:         64
        .size:           8
        .value_kind:     global_buffer
      - .offset:         72
        .size:           4
        .value_kind:     by_value
      - .offset:         76
        .size:           4
        .value_kind:     by_value
      - .offset:         80
        .size:           4
        .value_kind:     by_value
      - .actual_access:  read_only
        .address_space:  global
        .offset:         88
        .size:           8
        .value_kind:     global_buffer
      - .actual_access:  read_only
        .address_space:  global
        .offset:         96
        .size:           8
        .value_kind:     global_buffer
      - .actual_access:  read_only
        .address_space:  global
        .offset:         104
        .size:           8
        .value_kind:     global_buffer
      - .actual_access:  read_only
        .address_space:  global
        .offset:         112
        .size:           8
        .value_kind:     global_buffer
      - .offset:         120
        .size:           4
        .value_kind:     by_value
      - .address_space:  global
        .offset:         128
        .size:           8
        .value_kind:     global_buffer
      - .address_space:  global
        .offset:         136
        .size:           8
        .value_kind:     global_buffer
      - .offset:         144
        .size:           4
        .value_kind:     hidden_block_count_x
      - .offset:         148
        .size:           4
        .value_kind:     hidden_block_count_y
      - .offset:         152
        .size:           4
        .value_kind:     hidden_block_count_z
      - .offset:         156
        .size:           2
        .value_kind:     hidden_group_size_x
      - .offset:         158
        .size:           2
        .value_kind:     hidden_group_size_y
      - .offset:         160
        .size:           2
        .value_kind:     hidden_group_size_z
      - .offset:         162
        .size:           2
        .value_kind:     hidden_remainder_x
      - .offset:         164
        .size:           2
        .value_kind:     hidden_remainder_y
      - .offset:         166
        .size:           2
        .value_kind:     hidden_remainder_z
      - .offset:         184
        .size:           8
        .value_kind:     hidden_global_offset_x
      - .offset:         192
        .size:           8
        .value_kind:     hidden_global_offset_y
      - .offset:         200
        .size:           8
        .value_kind:     hidden_global_offset_z
      - .offset:         208
        .size:           2
        .value_kind:     hidden_grid_dims
      - .offset:         224
        .size:           8
        .value_kind:     hidden_hostcall_buffer
    .group_segment_fixed_size: 0
    .kernarg_segment_align: 8
    .kernarg_segment_size: 400
    .language:       OpenCL C
    .language_version:
      - 2
      - 0
    .max_flat_workgroup_size: 256
    .name:           _Z39paged_attention_ll4mi_QKV_mfma16_kernelIDF16_hLN4vllm18Fp8KVCacheDataTypeE1EhLi32ELi128ELi256ELb1ELi7EEvPKT_PKT0_S7_ifPKiS9_S9_iPKfiiiPfSC_PS2_PT2_iSB_SB_
    .private_segment_fixed_size: 64
    .sgpr_count:     36
    .sgpr_spill_count: 0
    .symbol:         _Z39paged_attention_ll4mi_QKV_mfma16_kernelIDF16_hLN4vllm18Fp8KVCacheDataTypeE1EhLi32ELi128ELi256ELb1ELi7EEvPKT_PKT0_S7_ifPKiS9_S9_iPKfiiiPfSC_PS2_PT2_iSB_SB_.kd
    .uniform_work_group_size: 1
    .uses_dynamic_stack: false
    .vgpr_count:     51
    .vgpr_spill_count: 0
    .wavefront_size: 32
  - .args:
      - .actual_access:  read_only
        .address_space:  global
        .offset:         0
        .size:           8
        .value_kind:     global_buffer
      - .actual_access:  read_only
        .address_space:  global
        .offset:         8
        .size:           8
        .value_kind:     global_buffer
      - .actual_access:  read_only
        .address_space:  global
        .offset:         16
        .size:           8
        .value_kind:     global_buffer
      - .offset:         24
        .size:           4
        .value_kind:     by_value
      - .offset:         28
        .size:           4
        .value_kind:     by_value
      - .actual_access:  read_only
        .address_space:  global
        .offset:         32
        .size:           8
        .value_kind:     global_buffer
      - .actual_access:  read_only
        .address_space:  global
        .offset:         40
        .size:           8
        .value_kind:     global_buffer
      - .actual_access:  read_only
        .address_space:  global
        .offset:         48
        .size:           8
        .value_kind:     global_buffer
      - .offset:         56
        .size:           4
        .value_kind:     by_value
      - .actual_access:  read_only
        .address_space:  global
        .offset:         64
        .size:           8
        .value_kind:     global_buffer
      - .offset:         72
        .size:           4
        .value_kind:     by_value
      - .offset:         76
        .size:           4
        .value_kind:     by_value
      - .offset:         80
        .size:           4
        .value_kind:     by_value
      - .actual_access:  read_only
        .address_space:  global
        .offset:         88
        .size:           8
        .value_kind:     global_buffer
      - .actual_access:  read_only
        .address_space:  global
        .offset:         96
        .size:           8
        .value_kind:     global_buffer
      - .actual_access:  read_only
        .address_space:  global
        .offset:         104
        .size:           8
        .value_kind:     global_buffer
      - .actual_access:  read_only
        .address_space:  global
        .offset:         112
        .size:           8
        .value_kind:     global_buffer
      - .offset:         120
        .size:           4
        .value_kind:     by_value
      - .address_space:  global
        .offset:         128
        .size:           8
        .value_kind:     global_buffer
      - .address_space:  global
        .offset:         136
        .size:           8
        .value_kind:     global_buffer
      - .offset:         144
        .size:           4
        .value_kind:     hidden_block_count_x
      - .offset:         148
        .size:           4
        .value_kind:     hidden_block_count_y
      - .offset:         152
        .size:           4
        .value_kind:     hidden_block_count_z
      - .offset:         156
        .size:           2
        .value_kind:     hidden_group_size_x
      - .offset:         158
        .size:           2
        .value_kind:     hidden_group_size_y
      - .offset:         160
        .size:           2
        .value_kind:     hidden_group_size_z
      - .offset:         162
        .size:           2
        .value_kind:     hidden_remainder_x
      - .offset:         164
        .size:           2
        .value_kind:     hidden_remainder_y
      - .offset:         166
        .size:           2
        .value_kind:     hidden_remainder_z
      - .offset:         184
        .size:           8
        .value_kind:     hidden_global_offset_x
      - .offset:         192
        .size:           8
        .value_kind:     hidden_global_offset_y
      - .offset:         200
        .size:           8
        .value_kind:     hidden_global_offset_z
      - .offset:         208
        .size:           2
        .value_kind:     hidden_grid_dims
      - .offset:         224
        .size:           8
        .value_kind:     hidden_hostcall_buffer
    .group_segment_fixed_size: 0
    .kernarg_segment_align: 8
    .kernarg_segment_size: 400
    .language:       OpenCL C
    .language_version:
      - 2
      - 0
    .max_flat_workgroup_size: 256
    .name:           _Z39paged_attention_ll4mi_QKV_mfma16_kernelIDF16_hLN4vllm18Fp8KVCacheDataTypeE1EhLi32ELi128ELi256ELb1ELi8EEvPKT_PKT0_S7_ifPKiS9_S9_iPKfiiiPfSC_PS2_PT2_iSB_SB_
    .private_segment_fixed_size: 64
    .sgpr_count:     36
    .sgpr_spill_count: 0
    .symbol:         _Z39paged_attention_ll4mi_QKV_mfma16_kernelIDF16_hLN4vllm18Fp8KVCacheDataTypeE1EhLi32ELi128ELi256ELb1ELi8EEvPKT_PKT0_S7_ifPKiS9_S9_iPKfiiiPfSC_PS2_PT2_iSB_SB_.kd
    .uniform_work_group_size: 1
    .uses_dynamic_stack: false
    .vgpr_count:     51
    .vgpr_spill_count: 0
    .wavefront_size: 32
  - .args:
      - .actual_access:  read_only
        .address_space:  global
        .offset:         0
        .size:           8
        .value_kind:     global_buffer
      - .actual_access:  read_only
        .address_space:  global
        .offset:         8
        .size:           8
        .value_kind:     global_buffer
      - .actual_access:  read_only
        .address_space:  global
        .offset:         16
        .size:           8
        .value_kind:     global_buffer
      - .offset:         24
        .size:           4
        .value_kind:     by_value
      - .offset:         28
        .size:           4
        .value_kind:     by_value
      - .actual_access:  read_only
        .address_space:  global
        .offset:         32
        .size:           8
        .value_kind:     global_buffer
      - .actual_access:  read_only
        .address_space:  global
        .offset:         40
        .size:           8
        .value_kind:     global_buffer
      - .actual_access:  read_only
        .address_space:  global
        .offset:         48
        .size:           8
        .value_kind:     global_buffer
      - .offset:         56
        .size:           4
        .value_kind:     by_value
      - .actual_access:  read_only
        .address_space:  global
        .offset:         64
        .size:           8
        .value_kind:     global_buffer
      - .offset:         72
        .size:           4
        .value_kind:     by_value
      - .offset:         76
        .size:           4
        .value_kind:     by_value
      - .offset:         80
        .size:           4
        .value_kind:     by_value
      - .actual_access:  read_only
        .address_space:  global
        .offset:         88
        .size:           8
        .value_kind:     global_buffer
      - .actual_access:  read_only
        .address_space:  global
        .offset:         96
        .size:           8
        .value_kind:     global_buffer
      - .actual_access:  read_only
        .address_space:  global
        .offset:         104
        .size:           8
        .value_kind:     global_buffer
      - .actual_access:  read_only
        .address_space:  global
        .offset:         112
        .size:           8
        .value_kind:     global_buffer
      - .offset:         120
        .size:           4
        .value_kind:     by_value
      - .address_space:  global
        .offset:         128
        .size:           8
        .value_kind:     global_buffer
      - .address_space:  global
        .offset:         136
        .size:           8
        .value_kind:     global_buffer
      - .offset:         144
        .size:           4
        .value_kind:     hidden_block_count_x
      - .offset:         148
        .size:           4
        .value_kind:     hidden_block_count_y
      - .offset:         152
        .size:           4
        .value_kind:     hidden_block_count_z
      - .offset:         156
        .size:           2
        .value_kind:     hidden_group_size_x
      - .offset:         158
        .size:           2
        .value_kind:     hidden_group_size_y
      - .offset:         160
        .size:           2
        .value_kind:     hidden_group_size_z
      - .offset:         162
        .size:           2
        .value_kind:     hidden_remainder_x
      - .offset:         164
        .size:           2
        .value_kind:     hidden_remainder_y
      - .offset:         166
        .size:           2
        .value_kind:     hidden_remainder_z
      - .offset:         184
        .size:           8
        .value_kind:     hidden_global_offset_x
      - .offset:         192
        .size:           8
        .value_kind:     hidden_global_offset_y
      - .offset:         200
        .size:           8
        .value_kind:     hidden_global_offset_z
      - .offset:         208
        .size:           2
        .value_kind:     hidden_grid_dims
      - .offset:         224
        .size:           8
        .value_kind:     hidden_hostcall_buffer
    .group_segment_fixed_size: 0
    .kernarg_segment_align: 8
    .kernarg_segment_size: 400
    .language:       OpenCL C
    .language_version:
      - 2
      - 0
    .max_flat_workgroup_size: 256
    .name:           _Z39paged_attention_ll4mi_QKV_mfma16_kernelIDF16_hLN4vllm18Fp8KVCacheDataTypeE1EhLi32ELi128ELi256ELb1ELi9EEvPKT_PKT0_S7_ifPKiS9_S9_iPKfiiiPfSC_PS2_PT2_iSB_SB_
    .private_segment_fixed_size: 64
    .sgpr_count:     36
    .sgpr_spill_count: 0
    .symbol:         _Z39paged_attention_ll4mi_QKV_mfma16_kernelIDF16_hLN4vllm18Fp8KVCacheDataTypeE1EhLi32ELi128ELi256ELb1ELi9EEvPKT_PKT0_S7_ifPKiS9_S9_iPKfiiiPfSC_PS2_PT2_iSB_SB_.kd
    .uniform_work_group_size: 1
    .uses_dynamic_stack: false
    .vgpr_count:     51
    .vgpr_spill_count: 0
    .wavefront_size: 32
  - .args:
      - .actual_access:  read_only
        .address_space:  global
        .offset:         0
        .size:           8
        .value_kind:     global_buffer
      - .actual_access:  read_only
        .address_space:  global
        .offset:         8
        .size:           8
        .value_kind:     global_buffer
      - .actual_access:  read_only
        .address_space:  global
        .offset:         16
        .size:           8
        .value_kind:     global_buffer
      - .offset:         24
        .size:           4
        .value_kind:     by_value
      - .offset:         28
        .size:           4
        .value_kind:     by_value
      - .actual_access:  read_only
        .address_space:  global
        .offset:         32
        .size:           8
        .value_kind:     global_buffer
      - .actual_access:  read_only
        .address_space:  global
        .offset:         40
        .size:           8
        .value_kind:     global_buffer
      - .actual_access:  read_only
        .address_space:  global
        .offset:         48
        .size:           8
        .value_kind:     global_buffer
      - .offset:         56
        .size:           4
        .value_kind:     by_value
      - .actual_access:  read_only
        .address_space:  global
        .offset:         64
        .size:           8
        .value_kind:     global_buffer
      - .offset:         72
        .size:           4
        .value_kind:     by_value
      - .offset:         76
        .size:           4
        .value_kind:     by_value
      - .offset:         80
        .size:           4
        .value_kind:     by_value
      - .actual_access:  read_only
        .address_space:  global
        .offset:         88
        .size:           8
        .value_kind:     global_buffer
      - .actual_access:  read_only
        .address_space:  global
        .offset:         96
        .size:           8
        .value_kind:     global_buffer
      - .actual_access:  read_only
        .address_space:  global
        .offset:         104
        .size:           8
        .value_kind:     global_buffer
      - .actual_access:  read_only
        .address_space:  global
        .offset:         112
        .size:           8
        .value_kind:     global_buffer
      - .offset:         120
        .size:           4
        .value_kind:     by_value
      - .address_space:  global
        .offset:         128
        .size:           8
        .value_kind:     global_buffer
      - .address_space:  global
        .offset:         136
        .size:           8
        .value_kind:     global_buffer
      - .offset:         144
        .size:           4
        .value_kind:     hidden_block_count_x
      - .offset:         148
        .size:           4
        .value_kind:     hidden_block_count_y
      - .offset:         152
        .size:           4
        .value_kind:     hidden_block_count_z
      - .offset:         156
        .size:           2
        .value_kind:     hidden_group_size_x
      - .offset:         158
        .size:           2
        .value_kind:     hidden_group_size_y
      - .offset:         160
        .size:           2
        .value_kind:     hidden_group_size_z
      - .offset:         162
        .size:           2
        .value_kind:     hidden_remainder_x
      - .offset:         164
        .size:           2
        .value_kind:     hidden_remainder_y
      - .offset:         166
        .size:           2
        .value_kind:     hidden_remainder_z
      - .offset:         184
        .size:           8
        .value_kind:     hidden_global_offset_x
      - .offset:         192
        .size:           8
        .value_kind:     hidden_global_offset_y
      - .offset:         200
        .size:           8
        .value_kind:     hidden_global_offset_z
      - .offset:         208
        .size:           2
        .value_kind:     hidden_grid_dims
      - .offset:         224
        .size:           8
        .value_kind:     hidden_hostcall_buffer
    .group_segment_fixed_size: 0
    .kernarg_segment_align: 8
    .kernarg_segment_size: 400
    .language:       OpenCL C
    .language_version:
      - 2
      - 0
    .max_flat_workgroup_size: 256
    .name:           _Z39paged_attention_ll4mi_QKV_mfma16_kernelIDF16_hLN4vllm18Fp8KVCacheDataTypeE1EhLi32ELi128ELi256ELb1ELi10EEvPKT_PKT0_S7_ifPKiS9_S9_iPKfiiiPfSC_PS2_PT2_iSB_SB_
    .private_segment_fixed_size: 64
    .sgpr_count:     36
    .sgpr_spill_count: 0
    .symbol:         _Z39paged_attention_ll4mi_QKV_mfma16_kernelIDF16_hLN4vllm18Fp8KVCacheDataTypeE1EhLi32ELi128ELi256ELb1ELi10EEvPKT_PKT0_S7_ifPKiS9_S9_iPKfiiiPfSC_PS2_PT2_iSB_SB_.kd
    .uniform_work_group_size: 1
    .uses_dynamic_stack: false
    .vgpr_count:     51
    .vgpr_spill_count: 0
    .wavefront_size: 32
  - .args:
      - .actual_access:  read_only
        .address_space:  global
        .offset:         0
        .size:           8
        .value_kind:     global_buffer
      - .actual_access:  read_only
        .address_space:  global
        .offset:         8
        .size:           8
        .value_kind:     global_buffer
      - .actual_access:  read_only
        .address_space:  global
        .offset:         16
        .size:           8
        .value_kind:     global_buffer
      - .offset:         24
        .size:           4
        .value_kind:     by_value
      - .offset:         28
        .size:           4
        .value_kind:     by_value
      - .actual_access:  read_only
        .address_space:  global
        .offset:         32
        .size:           8
        .value_kind:     global_buffer
      - .actual_access:  read_only
        .address_space:  global
        .offset:         40
        .size:           8
        .value_kind:     global_buffer
      - .actual_access:  read_only
        .address_space:  global
        .offset:         48
        .size:           8
        .value_kind:     global_buffer
      - .offset:         56
        .size:           4
        .value_kind:     by_value
      - .actual_access:  read_only
        .address_space:  global
        .offset:         64
        .size:           8
        .value_kind:     global_buffer
      - .offset:         72
        .size:           4
        .value_kind:     by_value
      - .offset:         76
        .size:           4
        .value_kind:     by_value
      - .offset:         80
        .size:           4
        .value_kind:     by_value
      - .actual_access:  read_only
        .address_space:  global
        .offset:         88
        .size:           8
        .value_kind:     global_buffer
      - .actual_access:  read_only
        .address_space:  global
        .offset:         96
        .size:           8
        .value_kind:     global_buffer
      - .actual_access:  read_only
        .address_space:  global
        .offset:         104
        .size:           8
        .value_kind:     global_buffer
      - .actual_access:  read_only
        .address_space:  global
        .offset:         112
        .size:           8
        .value_kind:     global_buffer
      - .offset:         120
        .size:           4
        .value_kind:     by_value
      - .address_space:  global
        .offset:         128
        .size:           8
        .value_kind:     global_buffer
      - .address_space:  global
        .offset:         136
        .size:           8
        .value_kind:     global_buffer
      - .offset:         144
        .size:           4
        .value_kind:     hidden_block_count_x
      - .offset:         148
        .size:           4
        .value_kind:     hidden_block_count_y
      - .offset:         152
        .size:           4
        .value_kind:     hidden_block_count_z
      - .offset:         156
        .size:           2
        .value_kind:     hidden_group_size_x
      - .offset:         158
        .size:           2
        .value_kind:     hidden_group_size_y
      - .offset:         160
        .size:           2
        .value_kind:     hidden_group_size_z
      - .offset:         162
        .size:           2
        .value_kind:     hidden_remainder_x
      - .offset:         164
        .size:           2
        .value_kind:     hidden_remainder_y
      - .offset:         166
        .size:           2
        .value_kind:     hidden_remainder_z
      - .offset:         184
        .size:           8
        .value_kind:     hidden_global_offset_x
      - .offset:         192
        .size:           8
        .value_kind:     hidden_global_offset_y
      - .offset:         200
        .size:           8
        .value_kind:     hidden_global_offset_z
      - .offset:         208
        .size:           2
        .value_kind:     hidden_grid_dims
      - .offset:         224
        .size:           8
        .value_kind:     hidden_hostcall_buffer
    .group_segment_fixed_size: 0
    .kernarg_segment_align: 8
    .kernarg_segment_size: 400
    .language:       OpenCL C
    .language_version:
      - 2
      - 0
    .max_flat_workgroup_size: 256
    .name:           _Z39paged_attention_ll4mi_QKV_mfma16_kernelIDF16_hLN4vllm18Fp8KVCacheDataTypeE1EhLi32ELi128ELi256ELb1ELi11EEvPKT_PKT0_S7_ifPKiS9_S9_iPKfiiiPfSC_PS2_PT2_iSB_SB_
    .private_segment_fixed_size: 64
    .sgpr_count:     36
    .sgpr_spill_count: 0
    .symbol:         _Z39paged_attention_ll4mi_QKV_mfma16_kernelIDF16_hLN4vllm18Fp8KVCacheDataTypeE1EhLi32ELi128ELi256ELb1ELi11EEvPKT_PKT0_S7_ifPKiS9_S9_iPKfiiiPfSC_PS2_PT2_iSB_SB_.kd
    .uniform_work_group_size: 1
    .uses_dynamic_stack: false
    .vgpr_count:     51
    .vgpr_spill_count: 0
    .wavefront_size: 32
  - .args:
      - .actual_access:  read_only
        .address_space:  global
        .offset:         0
        .size:           8
        .value_kind:     global_buffer
      - .actual_access:  read_only
        .address_space:  global
        .offset:         8
        .size:           8
        .value_kind:     global_buffer
      - .actual_access:  read_only
        .address_space:  global
        .offset:         16
        .size:           8
        .value_kind:     global_buffer
      - .offset:         24
        .size:           4
        .value_kind:     by_value
      - .offset:         28
        .size:           4
        .value_kind:     by_value
      - .actual_access:  read_only
        .address_space:  global
        .offset:         32
        .size:           8
        .value_kind:     global_buffer
      - .actual_access:  read_only
        .address_space:  global
        .offset:         40
        .size:           8
        .value_kind:     global_buffer
      - .actual_access:  read_only
        .address_space:  global
        .offset:         48
        .size:           8
        .value_kind:     global_buffer
      - .offset:         56
        .size:           4
        .value_kind:     by_value
      - .actual_access:  read_only
        .address_space:  global
        .offset:         64
        .size:           8
        .value_kind:     global_buffer
      - .offset:         72
        .size:           4
        .value_kind:     by_value
      - .offset:         76
        .size:           4
        .value_kind:     by_value
      - .offset:         80
        .size:           4
        .value_kind:     by_value
      - .actual_access:  read_only
        .address_space:  global
        .offset:         88
        .size:           8
        .value_kind:     global_buffer
      - .actual_access:  read_only
        .address_space:  global
        .offset:         96
        .size:           8
        .value_kind:     global_buffer
      - .actual_access:  read_only
        .address_space:  global
        .offset:         104
        .size:           8
        .value_kind:     global_buffer
      - .actual_access:  read_only
        .address_space:  global
        .offset:         112
        .size:           8
        .value_kind:     global_buffer
      - .offset:         120
        .size:           4
        .value_kind:     by_value
      - .address_space:  global
        .offset:         128
        .size:           8
        .value_kind:     global_buffer
      - .address_space:  global
        .offset:         136
        .size:           8
        .value_kind:     global_buffer
      - .offset:         144
        .size:           4
        .value_kind:     hidden_block_count_x
      - .offset:         148
        .size:           4
        .value_kind:     hidden_block_count_y
      - .offset:         152
        .size:           4
        .value_kind:     hidden_block_count_z
      - .offset:         156
        .size:           2
        .value_kind:     hidden_group_size_x
      - .offset:         158
        .size:           2
        .value_kind:     hidden_group_size_y
      - .offset:         160
        .size:           2
        .value_kind:     hidden_group_size_z
      - .offset:         162
        .size:           2
        .value_kind:     hidden_remainder_x
      - .offset:         164
        .size:           2
        .value_kind:     hidden_remainder_y
      - .offset:         166
        .size:           2
        .value_kind:     hidden_remainder_z
      - .offset:         184
        .size:           8
        .value_kind:     hidden_global_offset_x
      - .offset:         192
        .size:           8
        .value_kind:     hidden_global_offset_y
      - .offset:         200
        .size:           8
        .value_kind:     hidden_global_offset_z
      - .offset:         208
        .size:           2
        .value_kind:     hidden_grid_dims
      - .offset:         224
        .size:           8
        .value_kind:     hidden_hostcall_buffer
    .group_segment_fixed_size: 0
    .kernarg_segment_align: 8
    .kernarg_segment_size: 400
    .language:       OpenCL C
    .language_version:
      - 2
      - 0
    .max_flat_workgroup_size: 256
    .name:           _Z39paged_attention_ll4mi_QKV_mfma16_kernelIDF16_hLN4vllm18Fp8KVCacheDataTypeE1EhLi32ELi128ELi256ELb1ELi12EEvPKT_PKT0_S7_ifPKiS9_S9_iPKfiiiPfSC_PS2_PT2_iSB_SB_
    .private_segment_fixed_size: 64
    .sgpr_count:     36
    .sgpr_spill_count: 0
    .symbol:         _Z39paged_attention_ll4mi_QKV_mfma16_kernelIDF16_hLN4vllm18Fp8KVCacheDataTypeE1EhLi32ELi128ELi256ELb1ELi12EEvPKT_PKT0_S7_ifPKiS9_S9_iPKfiiiPfSC_PS2_PT2_iSB_SB_.kd
    .uniform_work_group_size: 1
    .uses_dynamic_stack: false
    .vgpr_count:     51
    .vgpr_spill_count: 0
    .wavefront_size: 32
  - .args:
      - .actual_access:  read_only
        .address_space:  global
        .offset:         0
        .size:           8
        .value_kind:     global_buffer
      - .actual_access:  read_only
        .address_space:  global
        .offset:         8
        .size:           8
        .value_kind:     global_buffer
      - .actual_access:  read_only
        .address_space:  global
        .offset:         16
        .size:           8
        .value_kind:     global_buffer
      - .offset:         24
        .size:           4
        .value_kind:     by_value
      - .offset:         28
        .size:           4
        .value_kind:     by_value
      - .actual_access:  read_only
        .address_space:  global
        .offset:         32
        .size:           8
        .value_kind:     global_buffer
      - .actual_access:  read_only
        .address_space:  global
        .offset:         40
        .size:           8
        .value_kind:     global_buffer
      - .actual_access:  read_only
        .address_space:  global
        .offset:         48
        .size:           8
        .value_kind:     global_buffer
      - .offset:         56
        .size:           4
        .value_kind:     by_value
      - .actual_access:  read_only
        .address_space:  global
        .offset:         64
        .size:           8
        .value_kind:     global_buffer
      - .offset:         72
        .size:           4
        .value_kind:     by_value
      - .offset:         76
        .size:           4
        .value_kind:     by_value
      - .offset:         80
        .size:           4
        .value_kind:     by_value
      - .actual_access:  read_only
        .address_space:  global
        .offset:         88
        .size:           8
        .value_kind:     global_buffer
      - .actual_access:  read_only
        .address_space:  global
        .offset:         96
        .size:           8
        .value_kind:     global_buffer
      - .actual_access:  read_only
        .address_space:  global
        .offset:         104
        .size:           8
        .value_kind:     global_buffer
      - .actual_access:  read_only
        .address_space:  global
        .offset:         112
        .size:           8
        .value_kind:     global_buffer
      - .offset:         120
        .size:           4
        .value_kind:     by_value
      - .address_space:  global
        .offset:         128
        .size:           8
        .value_kind:     global_buffer
      - .address_space:  global
        .offset:         136
        .size:           8
        .value_kind:     global_buffer
      - .offset:         144
        .size:           4
        .value_kind:     hidden_block_count_x
      - .offset:         148
        .size:           4
        .value_kind:     hidden_block_count_y
      - .offset:         152
        .size:           4
        .value_kind:     hidden_block_count_z
      - .offset:         156
        .size:           2
        .value_kind:     hidden_group_size_x
      - .offset:         158
        .size:           2
        .value_kind:     hidden_group_size_y
      - .offset:         160
        .size:           2
        .value_kind:     hidden_group_size_z
      - .offset:         162
        .size:           2
        .value_kind:     hidden_remainder_x
      - .offset:         164
        .size:           2
        .value_kind:     hidden_remainder_y
      - .offset:         166
        .size:           2
        .value_kind:     hidden_remainder_z
      - .offset:         184
        .size:           8
        .value_kind:     hidden_global_offset_x
      - .offset:         192
        .size:           8
        .value_kind:     hidden_global_offset_y
      - .offset:         200
        .size:           8
        .value_kind:     hidden_global_offset_z
      - .offset:         208
        .size:           2
        .value_kind:     hidden_grid_dims
      - .offset:         224
        .size:           8
        .value_kind:     hidden_hostcall_buffer
    .group_segment_fixed_size: 0
    .kernarg_segment_align: 8
    .kernarg_segment_size: 400
    .language:       OpenCL C
    .language_version:
      - 2
      - 0
    .max_flat_workgroup_size: 256
    .name:           _Z39paged_attention_ll4mi_QKV_mfma16_kernelIDF16_hLN4vllm18Fp8KVCacheDataTypeE1EhLi32ELi128ELi256ELb1ELi13EEvPKT_PKT0_S7_ifPKiS9_S9_iPKfiiiPfSC_PS2_PT2_iSB_SB_
    .private_segment_fixed_size: 64
    .sgpr_count:     36
    .sgpr_spill_count: 0
    .symbol:         _Z39paged_attention_ll4mi_QKV_mfma16_kernelIDF16_hLN4vllm18Fp8KVCacheDataTypeE1EhLi32ELi128ELi256ELb1ELi13EEvPKT_PKT0_S7_ifPKiS9_S9_iPKfiiiPfSC_PS2_PT2_iSB_SB_.kd
    .uniform_work_group_size: 1
    .uses_dynamic_stack: false
    .vgpr_count:     51
    .vgpr_spill_count: 0
    .wavefront_size: 32
  - .args:
      - .actual_access:  read_only
        .address_space:  global
        .offset:         0
        .size:           8
        .value_kind:     global_buffer
      - .actual_access:  read_only
        .address_space:  global
        .offset:         8
        .size:           8
        .value_kind:     global_buffer
      - .actual_access:  read_only
        .address_space:  global
        .offset:         16
        .size:           8
        .value_kind:     global_buffer
      - .offset:         24
        .size:           4
        .value_kind:     by_value
      - .offset:         28
        .size:           4
        .value_kind:     by_value
      - .actual_access:  read_only
        .address_space:  global
        .offset:         32
        .size:           8
        .value_kind:     global_buffer
      - .actual_access:  read_only
        .address_space:  global
        .offset:         40
        .size:           8
        .value_kind:     global_buffer
      - .actual_access:  read_only
        .address_space:  global
        .offset:         48
        .size:           8
        .value_kind:     global_buffer
      - .offset:         56
        .size:           4
        .value_kind:     by_value
      - .actual_access:  read_only
        .address_space:  global
        .offset:         64
        .size:           8
        .value_kind:     global_buffer
      - .offset:         72
        .size:           4
        .value_kind:     by_value
      - .offset:         76
        .size:           4
        .value_kind:     by_value
      - .offset:         80
        .size:           4
        .value_kind:     by_value
      - .actual_access:  read_only
        .address_space:  global
        .offset:         88
        .size:           8
        .value_kind:     global_buffer
      - .actual_access:  read_only
        .address_space:  global
        .offset:         96
        .size:           8
        .value_kind:     global_buffer
      - .actual_access:  read_only
        .address_space:  global
        .offset:         104
        .size:           8
        .value_kind:     global_buffer
      - .actual_access:  read_only
        .address_space:  global
        .offset:         112
        .size:           8
        .value_kind:     global_buffer
      - .offset:         120
        .size:           4
        .value_kind:     by_value
      - .address_space:  global
        .offset:         128
        .size:           8
        .value_kind:     global_buffer
      - .address_space:  global
        .offset:         136
        .size:           8
        .value_kind:     global_buffer
      - .offset:         144
        .size:           4
        .value_kind:     hidden_block_count_x
      - .offset:         148
        .size:           4
        .value_kind:     hidden_block_count_y
      - .offset:         152
        .size:           4
        .value_kind:     hidden_block_count_z
      - .offset:         156
        .size:           2
        .value_kind:     hidden_group_size_x
      - .offset:         158
        .size:           2
        .value_kind:     hidden_group_size_y
      - .offset:         160
        .size:           2
        .value_kind:     hidden_group_size_z
      - .offset:         162
        .size:           2
        .value_kind:     hidden_remainder_x
      - .offset:         164
        .size:           2
        .value_kind:     hidden_remainder_y
      - .offset:         166
        .size:           2
        .value_kind:     hidden_remainder_z
      - .offset:         184
        .size:           8
        .value_kind:     hidden_global_offset_x
      - .offset:         192
        .size:           8
        .value_kind:     hidden_global_offset_y
      - .offset:         200
        .size:           8
        .value_kind:     hidden_global_offset_z
      - .offset:         208
        .size:           2
        .value_kind:     hidden_grid_dims
      - .offset:         224
        .size:           8
        .value_kind:     hidden_hostcall_buffer
    .group_segment_fixed_size: 0
    .kernarg_segment_align: 8
    .kernarg_segment_size: 400
    .language:       OpenCL C
    .language_version:
      - 2
      - 0
    .max_flat_workgroup_size: 256
    .name:           _Z39paged_attention_ll4mi_QKV_mfma16_kernelIDF16_hLN4vllm18Fp8KVCacheDataTypeE1EhLi32ELi128ELi256ELb1ELi14EEvPKT_PKT0_S7_ifPKiS9_S9_iPKfiiiPfSC_PS2_PT2_iSB_SB_
    .private_segment_fixed_size: 64
    .sgpr_count:     36
    .sgpr_spill_count: 0
    .symbol:         _Z39paged_attention_ll4mi_QKV_mfma16_kernelIDF16_hLN4vllm18Fp8KVCacheDataTypeE1EhLi32ELi128ELi256ELb1ELi14EEvPKT_PKT0_S7_ifPKiS9_S9_iPKfiiiPfSC_PS2_PT2_iSB_SB_.kd
    .uniform_work_group_size: 1
    .uses_dynamic_stack: false
    .vgpr_count:     51
    .vgpr_spill_count: 0
    .wavefront_size: 32
  - .args:
      - .actual_access:  read_only
        .address_space:  global
        .offset:         0
        .size:           8
        .value_kind:     global_buffer
      - .actual_access:  read_only
        .address_space:  global
        .offset:         8
        .size:           8
        .value_kind:     global_buffer
      - .actual_access:  read_only
        .address_space:  global
        .offset:         16
        .size:           8
        .value_kind:     global_buffer
      - .offset:         24
        .size:           4
        .value_kind:     by_value
      - .offset:         28
        .size:           4
        .value_kind:     by_value
      - .actual_access:  read_only
        .address_space:  global
        .offset:         32
        .size:           8
        .value_kind:     global_buffer
      - .actual_access:  read_only
        .address_space:  global
        .offset:         40
        .size:           8
        .value_kind:     global_buffer
      - .actual_access:  read_only
        .address_space:  global
        .offset:         48
        .size:           8
        .value_kind:     global_buffer
      - .offset:         56
        .size:           4
        .value_kind:     by_value
      - .actual_access:  read_only
        .address_space:  global
        .offset:         64
        .size:           8
        .value_kind:     global_buffer
      - .offset:         72
        .size:           4
        .value_kind:     by_value
      - .offset:         76
        .size:           4
        .value_kind:     by_value
      - .offset:         80
        .size:           4
        .value_kind:     by_value
      - .actual_access:  read_only
        .address_space:  global
        .offset:         88
        .size:           8
        .value_kind:     global_buffer
      - .actual_access:  read_only
        .address_space:  global
        .offset:         96
        .size:           8
        .value_kind:     global_buffer
      - .actual_access:  read_only
        .address_space:  global
        .offset:         104
        .size:           8
        .value_kind:     global_buffer
      - .actual_access:  read_only
        .address_space:  global
        .offset:         112
        .size:           8
        .value_kind:     global_buffer
      - .offset:         120
        .size:           4
        .value_kind:     by_value
      - .address_space:  global
        .offset:         128
        .size:           8
        .value_kind:     global_buffer
      - .address_space:  global
        .offset:         136
        .size:           8
        .value_kind:     global_buffer
      - .offset:         144
        .size:           4
        .value_kind:     hidden_block_count_x
      - .offset:         148
        .size:           4
        .value_kind:     hidden_block_count_y
      - .offset:         152
        .size:           4
        .value_kind:     hidden_block_count_z
      - .offset:         156
        .size:           2
        .value_kind:     hidden_group_size_x
      - .offset:         158
        .size:           2
        .value_kind:     hidden_group_size_y
      - .offset:         160
        .size:           2
        .value_kind:     hidden_group_size_z
      - .offset:         162
        .size:           2
        .value_kind:     hidden_remainder_x
      - .offset:         164
        .size:           2
        .value_kind:     hidden_remainder_y
      - .offset:         166
        .size:           2
        .value_kind:     hidden_remainder_z
      - .offset:         184
        .size:           8
        .value_kind:     hidden_global_offset_x
      - .offset:         192
        .size:           8
        .value_kind:     hidden_global_offset_y
      - .offset:         200
        .size:           8
        .value_kind:     hidden_global_offset_z
      - .offset:         208
        .size:           2
        .value_kind:     hidden_grid_dims
      - .offset:         224
        .size:           8
        .value_kind:     hidden_hostcall_buffer
    .group_segment_fixed_size: 0
    .kernarg_segment_align: 8
    .kernarg_segment_size: 400
    .language:       OpenCL C
    .language_version:
      - 2
      - 0
    .max_flat_workgroup_size: 256
    .name:           _Z39paged_attention_ll4mi_QKV_mfma16_kernelIDF16_hLN4vllm18Fp8KVCacheDataTypeE1EhLi32ELi128ELi256ELb1ELi15EEvPKT_PKT0_S7_ifPKiS9_S9_iPKfiiiPfSC_PS2_PT2_iSB_SB_
    .private_segment_fixed_size: 64
    .sgpr_count:     36
    .sgpr_spill_count: 0
    .symbol:         _Z39paged_attention_ll4mi_QKV_mfma16_kernelIDF16_hLN4vllm18Fp8KVCacheDataTypeE1EhLi32ELi128ELi256ELb1ELi15EEvPKT_PKT0_S7_ifPKiS9_S9_iPKfiiiPfSC_PS2_PT2_iSB_SB_.kd
    .uniform_work_group_size: 1
    .uses_dynamic_stack: false
    .vgpr_count:     51
    .vgpr_spill_count: 0
    .wavefront_size: 32
  - .args:
      - .actual_access:  read_only
        .address_space:  global
        .offset:         0
        .size:           8
        .value_kind:     global_buffer
      - .actual_access:  read_only
        .address_space:  global
        .offset:         8
        .size:           8
        .value_kind:     global_buffer
      - .actual_access:  read_only
        .address_space:  global
        .offset:         16
        .size:           8
        .value_kind:     global_buffer
      - .offset:         24
        .size:           4
        .value_kind:     by_value
      - .offset:         28
        .size:           4
        .value_kind:     by_value
      - .actual_access:  read_only
        .address_space:  global
        .offset:         32
        .size:           8
        .value_kind:     global_buffer
      - .actual_access:  read_only
        .address_space:  global
        .offset:         40
        .size:           8
        .value_kind:     global_buffer
      - .actual_access:  read_only
        .address_space:  global
        .offset:         48
        .size:           8
        .value_kind:     global_buffer
      - .offset:         56
        .size:           4
        .value_kind:     by_value
      - .actual_access:  read_only
        .address_space:  global
        .offset:         64
        .size:           8
        .value_kind:     global_buffer
      - .offset:         72
        .size:           4
        .value_kind:     by_value
      - .offset:         76
        .size:           4
        .value_kind:     by_value
      - .offset:         80
        .size:           4
        .value_kind:     by_value
      - .actual_access:  read_only
        .address_space:  global
        .offset:         88
        .size:           8
        .value_kind:     global_buffer
      - .actual_access:  read_only
        .address_space:  global
        .offset:         96
        .size:           8
        .value_kind:     global_buffer
      - .actual_access:  read_only
        .address_space:  global
        .offset:         104
        .size:           8
        .value_kind:     global_buffer
      - .actual_access:  read_only
        .address_space:  global
        .offset:         112
        .size:           8
        .value_kind:     global_buffer
      - .offset:         120
        .size:           4
        .value_kind:     by_value
      - .address_space:  global
        .offset:         128
        .size:           8
        .value_kind:     global_buffer
      - .address_space:  global
        .offset:         136
        .size:           8
        .value_kind:     global_buffer
      - .offset:         144
        .size:           4
        .value_kind:     hidden_block_count_x
      - .offset:         148
        .size:           4
        .value_kind:     hidden_block_count_y
      - .offset:         152
        .size:           4
        .value_kind:     hidden_block_count_z
      - .offset:         156
        .size:           2
        .value_kind:     hidden_group_size_x
      - .offset:         158
        .size:           2
        .value_kind:     hidden_group_size_y
      - .offset:         160
        .size:           2
        .value_kind:     hidden_group_size_z
      - .offset:         162
        .size:           2
        .value_kind:     hidden_remainder_x
      - .offset:         164
        .size:           2
        .value_kind:     hidden_remainder_y
      - .offset:         166
        .size:           2
        .value_kind:     hidden_remainder_z
      - .offset:         184
        .size:           8
        .value_kind:     hidden_global_offset_x
      - .offset:         192
        .size:           8
        .value_kind:     hidden_global_offset_y
      - .offset:         200
        .size:           8
        .value_kind:     hidden_global_offset_z
      - .offset:         208
        .size:           2
        .value_kind:     hidden_grid_dims
      - .offset:         224
        .size:           8
        .value_kind:     hidden_hostcall_buffer
    .group_segment_fixed_size: 0
    .kernarg_segment_align: 8
    .kernarg_segment_size: 400
    .language:       OpenCL C
    .language_version:
      - 2
      - 0
    .max_flat_workgroup_size: 256
    .name:           _Z39paged_attention_ll4mi_QKV_mfma16_kernelIDF16_hLN4vllm18Fp8KVCacheDataTypeE1EhLi32ELi128ELi256ELb1ELi16EEvPKT_PKT0_S7_ifPKiS9_S9_iPKfiiiPfSC_PS2_PT2_iSB_SB_
    .private_segment_fixed_size: 64
    .sgpr_count:     36
    .sgpr_spill_count: 0
    .symbol:         _Z39paged_attention_ll4mi_QKV_mfma16_kernelIDF16_hLN4vllm18Fp8KVCacheDataTypeE1EhLi32ELi128ELi256ELb1ELi16EEvPKT_PKT0_S7_ifPKiS9_S9_iPKfiiiPfSC_PS2_PT2_iSB_SB_.kd
    .uniform_work_group_size: 1
    .uses_dynamic_stack: false
    .vgpr_count:     51
    .vgpr_spill_count: 0
    .wavefront_size: 32
  - .args:
      - .actual_access:  read_only
        .address_space:  global
        .offset:         0
        .size:           8
        .value_kind:     global_buffer
      - .actual_access:  read_only
        .address_space:  global
        .offset:         8
        .size:           8
        .value_kind:     global_buffer
      - .actual_access:  read_only
        .address_space:  global
        .offset:         16
        .size:           8
        .value_kind:     global_buffer
      - .offset:         24
        .size:           4
        .value_kind:     by_value
      - .offset:         28
        .size:           4
        .value_kind:     by_value
      - .actual_access:  read_only
        .address_space:  global
        .offset:         32
        .size:           8
        .value_kind:     global_buffer
      - .actual_access:  read_only
        .address_space:  global
        .offset:         40
        .size:           8
        .value_kind:     global_buffer
      - .actual_access:  read_only
        .address_space:  global
        .offset:         48
        .size:           8
        .value_kind:     global_buffer
      - .offset:         56
        .size:           4
        .value_kind:     by_value
      - .actual_access:  read_only
        .address_space:  global
        .offset:         64
        .size:           8
        .value_kind:     global_buffer
      - .offset:         72
        .size:           4
        .value_kind:     by_value
      - .offset:         76
        .size:           4
        .value_kind:     by_value
      - .offset:         80
        .size:           4
        .value_kind:     by_value
      - .actual_access:  read_only
        .address_space:  global
        .offset:         88
        .size:           8
        .value_kind:     global_buffer
      - .actual_access:  read_only
        .address_space:  global
        .offset:         96
        .size:           8
        .value_kind:     global_buffer
      - .actual_access:  read_only
        .address_space:  global
        .offset:         104
        .size:           8
        .value_kind:     global_buffer
      - .actual_access:  read_only
        .address_space:  global
        .offset:         112
        .size:           8
        .value_kind:     global_buffer
      - .offset:         120
        .size:           4
        .value_kind:     by_value
      - .address_space:  global
        .offset:         128
        .size:           8
        .value_kind:     global_buffer
      - .address_space:  global
        .offset:         136
        .size:           8
        .value_kind:     global_buffer
      - .offset:         144
        .size:           4
        .value_kind:     hidden_block_count_x
      - .offset:         148
        .size:           4
        .value_kind:     hidden_block_count_y
      - .offset:         152
        .size:           4
        .value_kind:     hidden_block_count_z
      - .offset:         156
        .size:           2
        .value_kind:     hidden_group_size_x
      - .offset:         158
        .size:           2
        .value_kind:     hidden_group_size_y
      - .offset:         160
        .size:           2
        .value_kind:     hidden_group_size_z
      - .offset:         162
        .size:           2
        .value_kind:     hidden_remainder_x
      - .offset:         164
        .size:           2
        .value_kind:     hidden_remainder_y
      - .offset:         166
        .size:           2
        .value_kind:     hidden_remainder_z
      - .offset:         184
        .size:           8
        .value_kind:     hidden_global_offset_x
      - .offset:         192
        .size:           8
        .value_kind:     hidden_global_offset_y
      - .offset:         200
        .size:           8
        .value_kind:     hidden_global_offset_z
      - .offset:         208
        .size:           2
        .value_kind:     hidden_grid_dims
      - .offset:         224
        .size:           8
        .value_kind:     hidden_hostcall_buffer
    .group_segment_fixed_size: 0
    .kernarg_segment_align: 8
    .kernarg_segment_size: 400
    .language:       OpenCL C
    .language_version:
      - 2
      - 0
    .max_flat_workgroup_size: 256
    .name:           _Z39paged_attention_ll4mi_QKV_mfma16_kernelIDF16_hLN4vllm18Fp8KVCacheDataTypeE1EhLi32ELi128ELi256ELb1ELi1EEvPKT_PKT0_S7_ifPKiS9_S9_iPKfiiiPfSC_PS2_PT2_iSB_SB_
    .private_segment_fixed_size: 64
    .sgpr_count:     36
    .sgpr_spill_count: 0
    .symbol:         _Z39paged_attention_ll4mi_QKV_mfma16_kernelIDF16_hLN4vllm18Fp8KVCacheDataTypeE1EhLi32ELi128ELi256ELb1ELi1EEvPKT_PKT0_S7_ifPKiS9_S9_iPKfiiiPfSC_PS2_PT2_iSB_SB_.kd
    .uniform_work_group_size: 1
    .uses_dynamic_stack: false
    .vgpr_count:     51
    .vgpr_spill_count: 0
    .wavefront_size: 32
  - .args:
      - .actual_access:  read_only
        .address_space:  global
        .offset:         0
        .size:           8
        .value_kind:     global_buffer
      - .actual_access:  read_only
        .address_space:  global
        .offset:         8
        .size:           8
        .value_kind:     global_buffer
      - .actual_access:  read_only
        .address_space:  global
        .offset:         16
        .size:           8
        .value_kind:     global_buffer
      - .offset:         24
        .size:           4
        .value_kind:     by_value
      - .offset:         28
        .size:           4
        .value_kind:     by_value
      - .actual_access:  read_only
        .address_space:  global
        .offset:         32
        .size:           8
        .value_kind:     global_buffer
      - .actual_access:  read_only
        .address_space:  global
        .offset:         40
        .size:           8
        .value_kind:     global_buffer
      - .actual_access:  read_only
        .address_space:  global
        .offset:         48
        .size:           8
        .value_kind:     global_buffer
      - .offset:         56
        .size:           4
        .value_kind:     by_value
      - .actual_access:  read_only
        .address_space:  global
        .offset:         64
        .size:           8
        .value_kind:     global_buffer
      - .offset:         72
        .size:           4
        .value_kind:     by_value
      - .offset:         76
        .size:           4
        .value_kind:     by_value
      - .offset:         80
        .size:           4
        .value_kind:     by_value
      - .actual_access:  read_only
        .address_space:  global
        .offset:         88
        .size:           8
        .value_kind:     global_buffer
      - .actual_access:  read_only
        .address_space:  global
        .offset:         96
        .size:           8
        .value_kind:     global_buffer
      - .actual_access:  read_only
        .address_space:  global
        .offset:         104
        .size:           8
        .value_kind:     global_buffer
      - .actual_access:  read_only
        .address_space:  global
        .offset:         112
        .size:           8
        .value_kind:     global_buffer
      - .offset:         120
        .size:           4
        .value_kind:     by_value
      - .address_space:  global
        .offset:         128
        .size:           8
        .value_kind:     global_buffer
      - .address_space:  global
        .offset:         136
        .size:           8
        .value_kind:     global_buffer
      - .offset:         144
        .size:           4
        .value_kind:     hidden_block_count_x
      - .offset:         148
        .size:           4
        .value_kind:     hidden_block_count_y
      - .offset:         152
        .size:           4
        .value_kind:     hidden_block_count_z
      - .offset:         156
        .size:           2
        .value_kind:     hidden_group_size_x
      - .offset:         158
        .size:           2
        .value_kind:     hidden_group_size_y
      - .offset:         160
        .size:           2
        .value_kind:     hidden_group_size_z
      - .offset:         162
        .size:           2
        .value_kind:     hidden_remainder_x
      - .offset:         164
        .size:           2
        .value_kind:     hidden_remainder_y
      - .offset:         166
        .size:           2
        .value_kind:     hidden_remainder_z
      - .offset:         184
        .size:           8
        .value_kind:     hidden_global_offset_x
      - .offset:         192
        .size:           8
        .value_kind:     hidden_global_offset_y
      - .offset:         200
        .size:           8
        .value_kind:     hidden_global_offset_z
      - .offset:         208
        .size:           2
        .value_kind:     hidden_grid_dims
      - .offset:         224
        .size:           8
        .value_kind:     hidden_hostcall_buffer
    .group_segment_fixed_size: 0
    .kernarg_segment_align: 8
    .kernarg_segment_size: 400
    .language:       OpenCL C
    .language_version:
      - 2
      - 0
    .max_flat_workgroup_size: 256
    .name:           _Z39paged_attention_ll4mi_QKV_mfma16_kernelIDF16_hLN4vllm18Fp8KVCacheDataTypeE1EhLi32ELi128ELi256ELb1ELi2EEvPKT_PKT0_S7_ifPKiS9_S9_iPKfiiiPfSC_PS2_PT2_iSB_SB_
    .private_segment_fixed_size: 64
    .sgpr_count:     36
    .sgpr_spill_count: 0
    .symbol:         _Z39paged_attention_ll4mi_QKV_mfma16_kernelIDF16_hLN4vllm18Fp8KVCacheDataTypeE1EhLi32ELi128ELi256ELb1ELi2EEvPKT_PKT0_S7_ifPKiS9_S9_iPKfiiiPfSC_PS2_PT2_iSB_SB_.kd
    .uniform_work_group_size: 1
    .uses_dynamic_stack: false
    .vgpr_count:     51
    .vgpr_spill_count: 0
    .wavefront_size: 32
  - .args:
      - .actual_access:  read_only
        .address_space:  global
        .offset:         0
        .size:           8
        .value_kind:     global_buffer
      - .actual_access:  read_only
        .address_space:  global
        .offset:         8
        .size:           8
        .value_kind:     global_buffer
      - .actual_access:  read_only
        .address_space:  global
        .offset:         16
        .size:           8
        .value_kind:     global_buffer
      - .offset:         24
        .size:           4
        .value_kind:     by_value
      - .offset:         28
        .size:           4
        .value_kind:     by_value
      - .actual_access:  read_only
        .address_space:  global
        .offset:         32
        .size:           8
        .value_kind:     global_buffer
      - .actual_access:  read_only
        .address_space:  global
        .offset:         40
        .size:           8
        .value_kind:     global_buffer
      - .actual_access:  read_only
        .address_space:  global
        .offset:         48
        .size:           8
        .value_kind:     global_buffer
      - .offset:         56
        .size:           4
        .value_kind:     by_value
      - .actual_access:  read_only
        .address_space:  global
        .offset:         64
        .size:           8
        .value_kind:     global_buffer
      - .offset:         72
        .size:           4
        .value_kind:     by_value
      - .offset:         76
        .size:           4
        .value_kind:     by_value
      - .offset:         80
        .size:           4
        .value_kind:     by_value
      - .actual_access:  read_only
        .address_space:  global
        .offset:         88
        .size:           8
        .value_kind:     global_buffer
      - .actual_access:  read_only
        .address_space:  global
        .offset:         96
        .size:           8
        .value_kind:     global_buffer
      - .actual_access:  read_only
        .address_space:  global
        .offset:         104
        .size:           8
        .value_kind:     global_buffer
      - .actual_access:  read_only
        .address_space:  global
        .offset:         112
        .size:           8
        .value_kind:     global_buffer
      - .offset:         120
        .size:           4
        .value_kind:     by_value
      - .address_space:  global
        .offset:         128
        .size:           8
        .value_kind:     global_buffer
      - .address_space:  global
        .offset:         136
        .size:           8
        .value_kind:     global_buffer
      - .offset:         144
        .size:           4
        .value_kind:     hidden_block_count_x
      - .offset:         148
        .size:           4
        .value_kind:     hidden_block_count_y
      - .offset:         152
        .size:           4
        .value_kind:     hidden_block_count_z
      - .offset:         156
        .size:           2
        .value_kind:     hidden_group_size_x
      - .offset:         158
        .size:           2
        .value_kind:     hidden_group_size_y
      - .offset:         160
        .size:           2
        .value_kind:     hidden_group_size_z
      - .offset:         162
        .size:           2
        .value_kind:     hidden_remainder_x
      - .offset:         164
        .size:           2
        .value_kind:     hidden_remainder_y
      - .offset:         166
        .size:           2
        .value_kind:     hidden_remainder_z
      - .offset:         184
        .size:           8
        .value_kind:     hidden_global_offset_x
      - .offset:         192
        .size:           8
        .value_kind:     hidden_global_offset_y
      - .offset:         200
        .size:           8
        .value_kind:     hidden_global_offset_z
      - .offset:         208
        .size:           2
        .value_kind:     hidden_grid_dims
      - .offset:         224
        .size:           8
        .value_kind:     hidden_hostcall_buffer
    .group_segment_fixed_size: 0
    .kernarg_segment_align: 8
    .kernarg_segment_size: 400
    .language:       OpenCL C
    .language_version:
      - 2
      - 0
    .max_flat_workgroup_size: 256
    .name:           _Z39paged_attention_ll4mi_QKV_mfma16_kernelIDF16_hLN4vllm18Fp8KVCacheDataTypeE1EhLi32ELi128ELi256ELb1ELi3EEvPKT_PKT0_S7_ifPKiS9_S9_iPKfiiiPfSC_PS2_PT2_iSB_SB_
    .private_segment_fixed_size: 64
    .sgpr_count:     36
    .sgpr_spill_count: 0
    .symbol:         _Z39paged_attention_ll4mi_QKV_mfma16_kernelIDF16_hLN4vllm18Fp8KVCacheDataTypeE1EhLi32ELi128ELi256ELb1ELi3EEvPKT_PKT0_S7_ifPKiS9_S9_iPKfiiiPfSC_PS2_PT2_iSB_SB_.kd
    .uniform_work_group_size: 1
    .uses_dynamic_stack: false
    .vgpr_count:     51
    .vgpr_spill_count: 0
    .wavefront_size: 32
  - .args:
      - .actual_access:  read_only
        .address_space:  global
        .offset:         0
        .size:           8
        .value_kind:     global_buffer
      - .actual_access:  read_only
        .address_space:  global
        .offset:         8
        .size:           8
        .value_kind:     global_buffer
      - .actual_access:  read_only
        .address_space:  global
        .offset:         16
        .size:           8
        .value_kind:     global_buffer
      - .offset:         24
        .size:           4
        .value_kind:     by_value
      - .offset:         28
        .size:           4
        .value_kind:     by_value
      - .actual_access:  read_only
        .address_space:  global
        .offset:         32
        .size:           8
        .value_kind:     global_buffer
      - .actual_access:  read_only
        .address_space:  global
        .offset:         40
        .size:           8
        .value_kind:     global_buffer
      - .actual_access:  read_only
        .address_space:  global
        .offset:         48
        .size:           8
        .value_kind:     global_buffer
      - .offset:         56
        .size:           4
        .value_kind:     by_value
      - .actual_access:  read_only
        .address_space:  global
        .offset:         64
        .size:           8
        .value_kind:     global_buffer
      - .offset:         72
        .size:           4
        .value_kind:     by_value
      - .offset:         76
        .size:           4
        .value_kind:     by_value
      - .offset:         80
        .size:           4
        .value_kind:     by_value
      - .actual_access:  read_only
        .address_space:  global
        .offset:         88
        .size:           8
        .value_kind:     global_buffer
      - .actual_access:  read_only
        .address_space:  global
        .offset:         96
        .size:           8
        .value_kind:     global_buffer
      - .actual_access:  read_only
        .address_space:  global
        .offset:         104
        .size:           8
        .value_kind:     global_buffer
      - .actual_access:  read_only
        .address_space:  global
        .offset:         112
        .size:           8
        .value_kind:     global_buffer
      - .offset:         120
        .size:           4
        .value_kind:     by_value
      - .address_space:  global
        .offset:         128
        .size:           8
        .value_kind:     global_buffer
      - .address_space:  global
        .offset:         136
        .size:           8
        .value_kind:     global_buffer
      - .offset:         144
        .size:           4
        .value_kind:     hidden_block_count_x
      - .offset:         148
        .size:           4
        .value_kind:     hidden_block_count_y
      - .offset:         152
        .size:           4
        .value_kind:     hidden_block_count_z
      - .offset:         156
        .size:           2
        .value_kind:     hidden_group_size_x
      - .offset:         158
        .size:           2
        .value_kind:     hidden_group_size_y
      - .offset:         160
        .size:           2
        .value_kind:     hidden_group_size_z
      - .offset:         162
        .size:           2
        .value_kind:     hidden_remainder_x
      - .offset:         164
        .size:           2
        .value_kind:     hidden_remainder_y
      - .offset:         166
        .size:           2
        .value_kind:     hidden_remainder_z
      - .offset:         184
        .size:           8
        .value_kind:     hidden_global_offset_x
      - .offset:         192
        .size:           8
        .value_kind:     hidden_global_offset_y
      - .offset:         200
        .size:           8
        .value_kind:     hidden_global_offset_z
      - .offset:         208
        .size:           2
        .value_kind:     hidden_grid_dims
      - .offset:         224
        .size:           8
        .value_kind:     hidden_hostcall_buffer
    .group_segment_fixed_size: 0
    .kernarg_segment_align: 8
    .kernarg_segment_size: 400
    .language:       OpenCL C
    .language_version:
      - 2
      - 0
    .max_flat_workgroup_size: 256
    .name:           _Z39paged_attention_ll4mi_QKV_mfma16_kernelIDF16_hLN4vllm18Fp8KVCacheDataTypeE1EhLi32ELi128ELi256ELb1ELi4EEvPKT_PKT0_S7_ifPKiS9_S9_iPKfiiiPfSC_PS2_PT2_iSB_SB_
    .private_segment_fixed_size: 64
    .sgpr_count:     36
    .sgpr_spill_count: 0
    .symbol:         _Z39paged_attention_ll4mi_QKV_mfma16_kernelIDF16_hLN4vllm18Fp8KVCacheDataTypeE1EhLi32ELi128ELi256ELb1ELi4EEvPKT_PKT0_S7_ifPKiS9_S9_iPKfiiiPfSC_PS2_PT2_iSB_SB_.kd
    .uniform_work_group_size: 1
    .uses_dynamic_stack: false
    .vgpr_count:     51
    .vgpr_spill_count: 0
    .wavefront_size: 32
  - .args:
      - .actual_access:  read_only
        .address_space:  global
        .offset:         0
        .size:           8
        .value_kind:     global_buffer
      - .actual_access:  read_only
        .address_space:  global
        .offset:         8
        .size:           8
        .value_kind:     global_buffer
      - .actual_access:  read_only
        .address_space:  global
        .offset:         16
        .size:           8
        .value_kind:     global_buffer
      - .offset:         24
        .size:           4
        .value_kind:     by_value
      - .offset:         28
        .size:           4
        .value_kind:     by_value
      - .actual_access:  read_only
        .address_space:  global
        .offset:         32
        .size:           8
        .value_kind:     global_buffer
      - .actual_access:  read_only
        .address_space:  global
        .offset:         40
        .size:           8
        .value_kind:     global_buffer
      - .actual_access:  read_only
        .address_space:  global
        .offset:         48
        .size:           8
        .value_kind:     global_buffer
      - .offset:         56
        .size:           4
        .value_kind:     by_value
      - .actual_access:  read_only
        .address_space:  global
        .offset:         64
        .size:           8
        .value_kind:     global_buffer
      - .offset:         72
        .size:           4
        .value_kind:     by_value
      - .offset:         76
        .size:           4
        .value_kind:     by_value
      - .offset:         80
        .size:           4
        .value_kind:     by_value
      - .actual_access:  read_only
        .address_space:  global
        .offset:         88
        .size:           8
        .value_kind:     global_buffer
      - .actual_access:  read_only
        .address_space:  global
        .offset:         96
        .size:           8
        .value_kind:     global_buffer
      - .actual_access:  read_only
        .address_space:  global
        .offset:         104
        .size:           8
        .value_kind:     global_buffer
      - .actual_access:  read_only
        .address_space:  global
        .offset:         112
        .size:           8
        .value_kind:     global_buffer
      - .offset:         120
        .size:           4
        .value_kind:     by_value
      - .address_space:  global
        .offset:         128
        .size:           8
        .value_kind:     global_buffer
      - .address_space:  global
        .offset:         136
        .size:           8
        .value_kind:     global_buffer
      - .offset:         144
        .size:           4
        .value_kind:     hidden_block_count_x
      - .offset:         148
        .size:           4
        .value_kind:     hidden_block_count_y
      - .offset:         152
        .size:           4
        .value_kind:     hidden_block_count_z
      - .offset:         156
        .size:           2
        .value_kind:     hidden_group_size_x
      - .offset:         158
        .size:           2
        .value_kind:     hidden_group_size_y
      - .offset:         160
        .size:           2
        .value_kind:     hidden_group_size_z
      - .offset:         162
        .size:           2
        .value_kind:     hidden_remainder_x
      - .offset:         164
        .size:           2
        .value_kind:     hidden_remainder_y
      - .offset:         166
        .size:           2
        .value_kind:     hidden_remainder_z
      - .offset:         184
        .size:           8
        .value_kind:     hidden_global_offset_x
      - .offset:         192
        .size:           8
        .value_kind:     hidden_global_offset_y
      - .offset:         200
        .size:           8
        .value_kind:     hidden_global_offset_z
      - .offset:         208
        .size:           2
        .value_kind:     hidden_grid_dims
      - .offset:         224
        .size:           8
        .value_kind:     hidden_hostcall_buffer
    .group_segment_fixed_size: 0
    .kernarg_segment_align: 8
    .kernarg_segment_size: 400
    .language:       OpenCL C
    .language_version:
      - 2
      - 0
    .max_flat_workgroup_size: 256
    .name:           _Z38paged_attention_ll4mi_QKV_mfma4_kernelIDF16_hLN4vllm18Fp8KVCacheDataTypeE1EhLi32ELi128ELi256ELb0ELi1EEvPKT_PKT0_S7_ifPKiS9_S9_iPKfiiiPfSC_PS2_PT2_iSB_SB_
    .private_segment_fixed_size: 64
    .sgpr_count:     36
    .sgpr_spill_count: 0
    .symbol:         _Z38paged_attention_ll4mi_QKV_mfma4_kernelIDF16_hLN4vllm18Fp8KVCacheDataTypeE1EhLi32ELi128ELi256ELb0ELi1EEvPKT_PKT0_S7_ifPKiS9_S9_iPKfiiiPfSC_PS2_PT2_iSB_SB_.kd
    .uniform_work_group_size: 1
    .uses_dynamic_stack: false
    .vgpr_count:     51
    .vgpr_spill_count: 0
    .wavefront_size: 32
  - .args:
      - .actual_access:  read_only
        .address_space:  global
        .offset:         0
        .size:           8
        .value_kind:     global_buffer
      - .actual_access:  read_only
        .address_space:  global
        .offset:         8
        .size:           8
        .value_kind:     global_buffer
      - .actual_access:  read_only
        .address_space:  global
        .offset:         16
        .size:           8
        .value_kind:     global_buffer
      - .offset:         24
        .size:           4
        .value_kind:     by_value
      - .offset:         28
        .size:           4
        .value_kind:     by_value
      - .actual_access:  read_only
        .address_space:  global
        .offset:         32
        .size:           8
        .value_kind:     global_buffer
      - .actual_access:  read_only
        .address_space:  global
        .offset:         40
        .size:           8
        .value_kind:     global_buffer
      - .actual_access:  read_only
        .address_space:  global
        .offset:         48
        .size:           8
        .value_kind:     global_buffer
      - .offset:         56
        .size:           4
        .value_kind:     by_value
      - .actual_access:  read_only
        .address_space:  global
        .offset:         64
        .size:           8
        .value_kind:     global_buffer
      - .offset:         72
        .size:           4
        .value_kind:     by_value
      - .offset:         76
        .size:           4
        .value_kind:     by_value
      - .offset:         80
        .size:           4
        .value_kind:     by_value
      - .actual_access:  read_only
        .address_space:  global
        .offset:         88
        .size:           8
        .value_kind:     global_buffer
      - .actual_access:  read_only
        .address_space:  global
        .offset:         96
        .size:           8
        .value_kind:     global_buffer
      - .actual_access:  read_only
        .address_space:  global
        .offset:         104
        .size:           8
        .value_kind:     global_buffer
      - .actual_access:  read_only
        .address_space:  global
        .offset:         112
        .size:           8
        .value_kind:     global_buffer
      - .offset:         120
        .size:           4
        .value_kind:     by_value
      - .address_space:  global
        .offset:         128
        .size:           8
        .value_kind:     global_buffer
      - .address_space:  global
        .offset:         136
        .size:           8
        .value_kind:     global_buffer
      - .offset:         144
        .size:           4
        .value_kind:     hidden_block_count_x
      - .offset:         148
        .size:           4
        .value_kind:     hidden_block_count_y
      - .offset:         152
        .size:           4
        .value_kind:     hidden_block_count_z
      - .offset:         156
        .size:           2
        .value_kind:     hidden_group_size_x
      - .offset:         158
        .size:           2
        .value_kind:     hidden_group_size_y
      - .offset:         160
        .size:           2
        .value_kind:     hidden_group_size_z
      - .offset:         162
        .size:           2
        .value_kind:     hidden_remainder_x
      - .offset:         164
        .size:           2
        .value_kind:     hidden_remainder_y
      - .offset:         166
        .size:           2
        .value_kind:     hidden_remainder_z
      - .offset:         184
        .size:           8
        .value_kind:     hidden_global_offset_x
      - .offset:         192
        .size:           8
        .value_kind:     hidden_global_offset_y
      - .offset:         200
        .size:           8
        .value_kind:     hidden_global_offset_z
      - .offset:         208
        .size:           2
        .value_kind:     hidden_grid_dims
      - .offset:         224
        .size:           8
        .value_kind:     hidden_hostcall_buffer
    .group_segment_fixed_size: 0
    .kernarg_segment_align: 8
    .kernarg_segment_size: 400
    .language:       OpenCL C
    .language_version:
      - 2
      - 0
    .max_flat_workgroup_size: 256
    .name:           _Z38paged_attention_ll4mi_QKV_mfma4_kernelIDF16_hLN4vllm18Fp8KVCacheDataTypeE1EhLi32ELi128ELi256ELb0ELi2EEvPKT_PKT0_S7_ifPKiS9_S9_iPKfiiiPfSC_PS2_PT2_iSB_SB_
    .private_segment_fixed_size: 64
    .sgpr_count:     36
    .sgpr_spill_count: 0
    .symbol:         _Z38paged_attention_ll4mi_QKV_mfma4_kernelIDF16_hLN4vllm18Fp8KVCacheDataTypeE1EhLi32ELi128ELi256ELb0ELi2EEvPKT_PKT0_S7_ifPKiS9_S9_iPKfiiiPfSC_PS2_PT2_iSB_SB_.kd
    .uniform_work_group_size: 1
    .uses_dynamic_stack: false
    .vgpr_count:     51
    .vgpr_spill_count: 0
    .wavefront_size: 32
  - .args:
      - .actual_access:  read_only
        .address_space:  global
        .offset:         0
        .size:           8
        .value_kind:     global_buffer
      - .actual_access:  read_only
        .address_space:  global
        .offset:         8
        .size:           8
        .value_kind:     global_buffer
      - .actual_access:  read_only
        .address_space:  global
        .offset:         16
        .size:           8
        .value_kind:     global_buffer
      - .offset:         24
        .size:           4
        .value_kind:     by_value
      - .offset:         28
        .size:           4
        .value_kind:     by_value
      - .actual_access:  read_only
        .address_space:  global
        .offset:         32
        .size:           8
        .value_kind:     global_buffer
      - .actual_access:  read_only
        .address_space:  global
        .offset:         40
        .size:           8
        .value_kind:     global_buffer
      - .actual_access:  read_only
        .address_space:  global
        .offset:         48
        .size:           8
        .value_kind:     global_buffer
      - .offset:         56
        .size:           4
        .value_kind:     by_value
      - .actual_access:  read_only
        .address_space:  global
        .offset:         64
        .size:           8
        .value_kind:     global_buffer
      - .offset:         72
        .size:           4
        .value_kind:     by_value
      - .offset:         76
        .size:           4
        .value_kind:     by_value
      - .offset:         80
        .size:           4
        .value_kind:     by_value
      - .actual_access:  read_only
        .address_space:  global
        .offset:         88
        .size:           8
        .value_kind:     global_buffer
      - .actual_access:  read_only
        .address_space:  global
        .offset:         96
        .size:           8
        .value_kind:     global_buffer
      - .actual_access:  read_only
        .address_space:  global
        .offset:         104
        .size:           8
        .value_kind:     global_buffer
      - .actual_access:  read_only
        .address_space:  global
        .offset:         112
        .size:           8
        .value_kind:     global_buffer
      - .offset:         120
        .size:           4
        .value_kind:     by_value
      - .address_space:  global
        .offset:         128
        .size:           8
        .value_kind:     global_buffer
      - .address_space:  global
        .offset:         136
        .size:           8
        .value_kind:     global_buffer
      - .offset:         144
        .size:           4
        .value_kind:     hidden_block_count_x
      - .offset:         148
        .size:           4
        .value_kind:     hidden_block_count_y
      - .offset:         152
        .size:           4
        .value_kind:     hidden_block_count_z
      - .offset:         156
        .size:           2
        .value_kind:     hidden_group_size_x
      - .offset:         158
        .size:           2
        .value_kind:     hidden_group_size_y
      - .offset:         160
        .size:           2
        .value_kind:     hidden_group_size_z
      - .offset:         162
        .size:           2
        .value_kind:     hidden_remainder_x
      - .offset:         164
        .size:           2
        .value_kind:     hidden_remainder_y
      - .offset:         166
        .size:           2
        .value_kind:     hidden_remainder_z
      - .offset:         184
        .size:           8
        .value_kind:     hidden_global_offset_x
      - .offset:         192
        .size:           8
        .value_kind:     hidden_global_offset_y
      - .offset:         200
        .size:           8
        .value_kind:     hidden_global_offset_z
      - .offset:         208
        .size:           2
        .value_kind:     hidden_grid_dims
      - .offset:         224
        .size:           8
        .value_kind:     hidden_hostcall_buffer
    .group_segment_fixed_size: 0
    .kernarg_segment_align: 8
    .kernarg_segment_size: 400
    .language:       OpenCL C
    .language_version:
      - 2
      - 0
    .max_flat_workgroup_size: 256
    .name:           _Z38paged_attention_ll4mi_QKV_mfma4_kernelIDF16_hLN4vllm18Fp8KVCacheDataTypeE1EhLi32ELi128ELi256ELb0ELi3EEvPKT_PKT0_S7_ifPKiS9_S9_iPKfiiiPfSC_PS2_PT2_iSB_SB_
    .private_segment_fixed_size: 64
    .sgpr_count:     36
    .sgpr_spill_count: 0
    .symbol:         _Z38paged_attention_ll4mi_QKV_mfma4_kernelIDF16_hLN4vllm18Fp8KVCacheDataTypeE1EhLi32ELi128ELi256ELb0ELi3EEvPKT_PKT0_S7_ifPKiS9_S9_iPKfiiiPfSC_PS2_PT2_iSB_SB_.kd
    .uniform_work_group_size: 1
    .uses_dynamic_stack: false
    .vgpr_count:     51
    .vgpr_spill_count: 0
    .wavefront_size: 32
  - .args:
      - .actual_access:  read_only
        .address_space:  global
        .offset:         0
        .size:           8
        .value_kind:     global_buffer
      - .actual_access:  read_only
        .address_space:  global
        .offset:         8
        .size:           8
        .value_kind:     global_buffer
      - .actual_access:  read_only
        .address_space:  global
        .offset:         16
        .size:           8
        .value_kind:     global_buffer
      - .offset:         24
        .size:           4
        .value_kind:     by_value
      - .offset:         28
        .size:           4
        .value_kind:     by_value
      - .actual_access:  read_only
        .address_space:  global
        .offset:         32
        .size:           8
        .value_kind:     global_buffer
      - .actual_access:  read_only
        .address_space:  global
        .offset:         40
        .size:           8
        .value_kind:     global_buffer
      - .actual_access:  read_only
        .address_space:  global
        .offset:         48
        .size:           8
        .value_kind:     global_buffer
      - .offset:         56
        .size:           4
        .value_kind:     by_value
      - .actual_access:  read_only
        .address_space:  global
        .offset:         64
        .size:           8
        .value_kind:     global_buffer
      - .offset:         72
        .size:           4
        .value_kind:     by_value
      - .offset:         76
        .size:           4
        .value_kind:     by_value
      - .offset:         80
        .size:           4
        .value_kind:     by_value
      - .actual_access:  read_only
        .address_space:  global
        .offset:         88
        .size:           8
        .value_kind:     global_buffer
      - .actual_access:  read_only
        .address_space:  global
        .offset:         96
        .size:           8
        .value_kind:     global_buffer
      - .actual_access:  read_only
        .address_space:  global
        .offset:         104
        .size:           8
        .value_kind:     global_buffer
      - .actual_access:  read_only
        .address_space:  global
        .offset:         112
        .size:           8
        .value_kind:     global_buffer
      - .offset:         120
        .size:           4
        .value_kind:     by_value
      - .address_space:  global
        .offset:         128
        .size:           8
        .value_kind:     global_buffer
      - .address_space:  global
        .offset:         136
        .size:           8
        .value_kind:     global_buffer
      - .offset:         144
        .size:           4
        .value_kind:     hidden_block_count_x
      - .offset:         148
        .size:           4
        .value_kind:     hidden_block_count_y
      - .offset:         152
        .size:           4
        .value_kind:     hidden_block_count_z
      - .offset:         156
        .size:           2
        .value_kind:     hidden_group_size_x
      - .offset:         158
        .size:           2
        .value_kind:     hidden_group_size_y
      - .offset:         160
        .size:           2
        .value_kind:     hidden_group_size_z
      - .offset:         162
        .size:           2
        .value_kind:     hidden_remainder_x
      - .offset:         164
        .size:           2
        .value_kind:     hidden_remainder_y
      - .offset:         166
        .size:           2
        .value_kind:     hidden_remainder_z
      - .offset:         184
        .size:           8
        .value_kind:     hidden_global_offset_x
      - .offset:         192
        .size:           8
        .value_kind:     hidden_global_offset_y
      - .offset:         200
        .size:           8
        .value_kind:     hidden_global_offset_z
      - .offset:         208
        .size:           2
        .value_kind:     hidden_grid_dims
      - .offset:         224
        .size:           8
        .value_kind:     hidden_hostcall_buffer
    .group_segment_fixed_size: 0
    .kernarg_segment_align: 8
    .kernarg_segment_size: 400
    .language:       OpenCL C
    .language_version:
      - 2
      - 0
    .max_flat_workgroup_size: 256
    .name:           _Z38paged_attention_ll4mi_QKV_mfma4_kernelIDF16_hLN4vllm18Fp8KVCacheDataTypeE1EhLi32ELi128ELi256ELb0ELi4EEvPKT_PKT0_S7_ifPKiS9_S9_iPKfiiiPfSC_PS2_PT2_iSB_SB_
    .private_segment_fixed_size: 64
    .sgpr_count:     36
    .sgpr_spill_count: 0
    .symbol:         _Z38paged_attention_ll4mi_QKV_mfma4_kernelIDF16_hLN4vllm18Fp8KVCacheDataTypeE1EhLi32ELi128ELi256ELb0ELi4EEvPKT_PKT0_S7_ifPKiS9_S9_iPKfiiiPfSC_PS2_PT2_iSB_SB_.kd
    .uniform_work_group_size: 1
    .uses_dynamic_stack: false
    .vgpr_count:     51
    .vgpr_spill_count: 0
    .wavefront_size: 32
  - .args:
      - .actual_access:  read_only
        .address_space:  global
        .offset:         0
        .size:           8
        .value_kind:     global_buffer
      - .actual_access:  read_only
        .address_space:  global
        .offset:         8
        .size:           8
        .value_kind:     global_buffer
      - .actual_access:  read_only
        .address_space:  global
        .offset:         16
        .size:           8
        .value_kind:     global_buffer
      - .offset:         24
        .size:           4
        .value_kind:     by_value
      - .offset:         28
        .size:           4
        .value_kind:     by_value
      - .actual_access:  read_only
        .address_space:  global
        .offset:         32
        .size:           8
        .value_kind:     global_buffer
      - .actual_access:  read_only
        .address_space:  global
        .offset:         40
        .size:           8
        .value_kind:     global_buffer
      - .actual_access:  read_only
        .address_space:  global
        .offset:         48
        .size:           8
        .value_kind:     global_buffer
      - .offset:         56
        .size:           4
        .value_kind:     by_value
      - .actual_access:  read_only
        .address_space:  global
        .offset:         64
        .size:           8
        .value_kind:     global_buffer
      - .offset:         72
        .size:           4
        .value_kind:     by_value
      - .offset:         76
        .size:           4
        .value_kind:     by_value
      - .offset:         80
        .size:           4
        .value_kind:     by_value
      - .actual_access:  read_only
        .address_space:  global
        .offset:         88
        .size:           8
        .value_kind:     global_buffer
      - .actual_access:  read_only
        .address_space:  global
        .offset:         96
        .size:           8
        .value_kind:     global_buffer
      - .actual_access:  read_only
        .address_space:  global
        .offset:         104
        .size:           8
        .value_kind:     global_buffer
      - .actual_access:  read_only
        .address_space:  global
        .offset:         112
        .size:           8
        .value_kind:     global_buffer
      - .offset:         120
        .size:           4
        .value_kind:     by_value
      - .address_space:  global
        .offset:         128
        .size:           8
        .value_kind:     global_buffer
      - .address_space:  global
        .offset:         136
        .size:           8
        .value_kind:     global_buffer
      - .offset:         144
        .size:           4
        .value_kind:     hidden_block_count_x
      - .offset:         148
        .size:           4
        .value_kind:     hidden_block_count_y
      - .offset:         152
        .size:           4
        .value_kind:     hidden_block_count_z
      - .offset:         156
        .size:           2
        .value_kind:     hidden_group_size_x
      - .offset:         158
        .size:           2
        .value_kind:     hidden_group_size_y
      - .offset:         160
        .size:           2
        .value_kind:     hidden_group_size_z
      - .offset:         162
        .size:           2
        .value_kind:     hidden_remainder_x
      - .offset:         164
        .size:           2
        .value_kind:     hidden_remainder_y
      - .offset:         166
        .size:           2
        .value_kind:     hidden_remainder_z
      - .offset:         184
        .size:           8
        .value_kind:     hidden_global_offset_x
      - .offset:         192
        .size:           8
        .value_kind:     hidden_global_offset_y
      - .offset:         200
        .size:           8
        .value_kind:     hidden_global_offset_z
      - .offset:         208
        .size:           2
        .value_kind:     hidden_grid_dims
      - .offset:         224
        .size:           8
        .value_kind:     hidden_hostcall_buffer
    .group_segment_fixed_size: 0
    .kernarg_segment_align: 8
    .kernarg_segment_size: 400
    .language:       OpenCL C
    .language_version:
      - 2
      - 0
    .max_flat_workgroup_size: 256
    .name:           _Z39paged_attention_ll4mi_QKV_mfma16_kernelIDF16_hLN4vllm18Fp8KVCacheDataTypeE1EhLi32ELi128ELi256ELb0ELi5EEvPKT_PKT0_S7_ifPKiS9_S9_iPKfiiiPfSC_PS2_PT2_iSB_SB_
    .private_segment_fixed_size: 64
    .sgpr_count:     36
    .sgpr_spill_count: 0
    .symbol:         _Z39paged_attention_ll4mi_QKV_mfma16_kernelIDF16_hLN4vllm18Fp8KVCacheDataTypeE1EhLi32ELi128ELi256ELb0ELi5EEvPKT_PKT0_S7_ifPKiS9_S9_iPKfiiiPfSC_PS2_PT2_iSB_SB_.kd
    .uniform_work_group_size: 1
    .uses_dynamic_stack: false
    .vgpr_count:     51
    .vgpr_spill_count: 0
    .wavefront_size: 32
  - .args:
      - .actual_access:  read_only
        .address_space:  global
        .offset:         0
        .size:           8
        .value_kind:     global_buffer
      - .actual_access:  read_only
        .address_space:  global
        .offset:         8
        .size:           8
        .value_kind:     global_buffer
      - .actual_access:  read_only
        .address_space:  global
        .offset:         16
        .size:           8
        .value_kind:     global_buffer
      - .offset:         24
        .size:           4
        .value_kind:     by_value
      - .offset:         28
        .size:           4
        .value_kind:     by_value
      - .actual_access:  read_only
        .address_space:  global
        .offset:         32
        .size:           8
        .value_kind:     global_buffer
      - .actual_access:  read_only
        .address_space:  global
        .offset:         40
        .size:           8
        .value_kind:     global_buffer
      - .actual_access:  read_only
        .address_space:  global
        .offset:         48
        .size:           8
        .value_kind:     global_buffer
      - .offset:         56
        .size:           4
        .value_kind:     by_value
      - .actual_access:  read_only
        .address_space:  global
        .offset:         64
        .size:           8
        .value_kind:     global_buffer
      - .offset:         72
        .size:           4
        .value_kind:     by_value
      - .offset:         76
        .size:           4
        .value_kind:     by_value
      - .offset:         80
        .size:           4
        .value_kind:     by_value
      - .actual_access:  read_only
        .address_space:  global
        .offset:         88
        .size:           8
        .value_kind:     global_buffer
      - .actual_access:  read_only
        .address_space:  global
        .offset:         96
        .size:           8
        .value_kind:     global_buffer
      - .actual_access:  read_only
        .address_space:  global
        .offset:         104
        .size:           8
        .value_kind:     global_buffer
      - .actual_access:  read_only
        .address_space:  global
        .offset:         112
        .size:           8
        .value_kind:     global_buffer
      - .offset:         120
        .size:           4
        .value_kind:     by_value
      - .address_space:  global
        .offset:         128
        .size:           8
        .value_kind:     global_buffer
      - .address_space:  global
        .offset:         136
        .size:           8
        .value_kind:     global_buffer
      - .offset:         144
        .size:           4
        .value_kind:     hidden_block_count_x
      - .offset:         148
        .size:           4
        .value_kind:     hidden_block_count_y
      - .offset:         152
        .size:           4
        .value_kind:     hidden_block_count_z
      - .offset:         156
        .size:           2
        .value_kind:     hidden_group_size_x
      - .offset:         158
        .size:           2
        .value_kind:     hidden_group_size_y
      - .offset:         160
        .size:           2
        .value_kind:     hidden_group_size_z
      - .offset:         162
        .size:           2
        .value_kind:     hidden_remainder_x
      - .offset:         164
        .size:           2
        .value_kind:     hidden_remainder_y
      - .offset:         166
        .size:           2
        .value_kind:     hidden_remainder_z
      - .offset:         184
        .size:           8
        .value_kind:     hidden_global_offset_x
      - .offset:         192
        .size:           8
        .value_kind:     hidden_global_offset_y
      - .offset:         200
        .size:           8
        .value_kind:     hidden_global_offset_z
      - .offset:         208
        .size:           2
        .value_kind:     hidden_grid_dims
      - .offset:         224
        .size:           8
        .value_kind:     hidden_hostcall_buffer
    .group_segment_fixed_size: 0
    .kernarg_segment_align: 8
    .kernarg_segment_size: 400
    .language:       OpenCL C
    .language_version:
      - 2
      - 0
    .max_flat_workgroup_size: 256
    .name:           _Z39paged_attention_ll4mi_QKV_mfma16_kernelIDF16_hLN4vllm18Fp8KVCacheDataTypeE1EhLi32ELi128ELi256ELb0ELi6EEvPKT_PKT0_S7_ifPKiS9_S9_iPKfiiiPfSC_PS2_PT2_iSB_SB_
    .private_segment_fixed_size: 64
    .sgpr_count:     36
    .sgpr_spill_count: 0
    .symbol:         _Z39paged_attention_ll4mi_QKV_mfma16_kernelIDF16_hLN4vllm18Fp8KVCacheDataTypeE1EhLi32ELi128ELi256ELb0ELi6EEvPKT_PKT0_S7_ifPKiS9_S9_iPKfiiiPfSC_PS2_PT2_iSB_SB_.kd
    .uniform_work_group_size: 1
    .uses_dynamic_stack: false
    .vgpr_count:     51
    .vgpr_spill_count: 0
    .wavefront_size: 32
  - .args:
      - .actual_access:  read_only
        .address_space:  global
        .offset:         0
        .size:           8
        .value_kind:     global_buffer
      - .actual_access:  read_only
        .address_space:  global
        .offset:         8
        .size:           8
        .value_kind:     global_buffer
      - .actual_access:  read_only
        .address_space:  global
        .offset:         16
        .size:           8
        .value_kind:     global_buffer
      - .offset:         24
        .size:           4
        .value_kind:     by_value
      - .offset:         28
        .size:           4
        .value_kind:     by_value
      - .actual_access:  read_only
        .address_space:  global
        .offset:         32
        .size:           8
        .value_kind:     global_buffer
      - .actual_access:  read_only
        .address_space:  global
        .offset:         40
        .size:           8
        .value_kind:     global_buffer
      - .actual_access:  read_only
        .address_space:  global
        .offset:         48
        .size:           8
        .value_kind:     global_buffer
      - .offset:         56
        .size:           4
        .value_kind:     by_value
      - .actual_access:  read_only
        .address_space:  global
        .offset:         64
        .size:           8
        .value_kind:     global_buffer
      - .offset:         72
        .size:           4
        .value_kind:     by_value
      - .offset:         76
        .size:           4
        .value_kind:     by_value
      - .offset:         80
        .size:           4
        .value_kind:     by_value
      - .actual_access:  read_only
        .address_space:  global
        .offset:         88
        .size:           8
        .value_kind:     global_buffer
      - .actual_access:  read_only
        .address_space:  global
        .offset:         96
        .size:           8
        .value_kind:     global_buffer
      - .actual_access:  read_only
        .address_space:  global
        .offset:         104
        .size:           8
        .value_kind:     global_buffer
      - .actual_access:  read_only
        .address_space:  global
        .offset:         112
        .size:           8
        .value_kind:     global_buffer
      - .offset:         120
        .size:           4
        .value_kind:     by_value
      - .address_space:  global
        .offset:         128
        .size:           8
        .value_kind:     global_buffer
      - .address_space:  global
        .offset:         136
        .size:           8
        .value_kind:     global_buffer
      - .offset:         144
        .size:           4
        .value_kind:     hidden_block_count_x
      - .offset:         148
        .size:           4
        .value_kind:     hidden_block_count_y
      - .offset:         152
        .size:           4
        .value_kind:     hidden_block_count_z
      - .offset:         156
        .size:           2
        .value_kind:     hidden_group_size_x
      - .offset:         158
        .size:           2
        .value_kind:     hidden_group_size_y
      - .offset:         160
        .size:           2
        .value_kind:     hidden_group_size_z
      - .offset:         162
        .size:           2
        .value_kind:     hidden_remainder_x
      - .offset:         164
        .size:           2
        .value_kind:     hidden_remainder_y
      - .offset:         166
        .size:           2
        .value_kind:     hidden_remainder_z
      - .offset:         184
        .size:           8
        .value_kind:     hidden_global_offset_x
      - .offset:         192
        .size:           8
        .value_kind:     hidden_global_offset_y
      - .offset:         200
        .size:           8
        .value_kind:     hidden_global_offset_z
      - .offset:         208
        .size:           2
        .value_kind:     hidden_grid_dims
      - .offset:         224
        .size:           8
        .value_kind:     hidden_hostcall_buffer
    .group_segment_fixed_size: 0
    .kernarg_segment_align: 8
    .kernarg_segment_size: 400
    .language:       OpenCL C
    .language_version:
      - 2
      - 0
    .max_flat_workgroup_size: 256
    .name:           _Z39paged_attention_ll4mi_QKV_mfma16_kernelIDF16_hLN4vllm18Fp8KVCacheDataTypeE1EhLi32ELi128ELi256ELb0ELi7EEvPKT_PKT0_S7_ifPKiS9_S9_iPKfiiiPfSC_PS2_PT2_iSB_SB_
    .private_segment_fixed_size: 64
    .sgpr_count:     36
    .sgpr_spill_count: 0
    .symbol:         _Z39paged_attention_ll4mi_QKV_mfma16_kernelIDF16_hLN4vllm18Fp8KVCacheDataTypeE1EhLi32ELi128ELi256ELb0ELi7EEvPKT_PKT0_S7_ifPKiS9_S9_iPKfiiiPfSC_PS2_PT2_iSB_SB_.kd
    .uniform_work_group_size: 1
    .uses_dynamic_stack: false
    .vgpr_count:     51
    .vgpr_spill_count: 0
    .wavefront_size: 32
  - .args:
      - .actual_access:  read_only
        .address_space:  global
        .offset:         0
        .size:           8
        .value_kind:     global_buffer
      - .actual_access:  read_only
        .address_space:  global
        .offset:         8
        .size:           8
        .value_kind:     global_buffer
      - .actual_access:  read_only
        .address_space:  global
        .offset:         16
        .size:           8
        .value_kind:     global_buffer
      - .offset:         24
        .size:           4
        .value_kind:     by_value
      - .offset:         28
        .size:           4
        .value_kind:     by_value
      - .actual_access:  read_only
        .address_space:  global
        .offset:         32
        .size:           8
        .value_kind:     global_buffer
      - .actual_access:  read_only
        .address_space:  global
        .offset:         40
        .size:           8
        .value_kind:     global_buffer
      - .actual_access:  read_only
        .address_space:  global
        .offset:         48
        .size:           8
        .value_kind:     global_buffer
      - .offset:         56
        .size:           4
        .value_kind:     by_value
      - .actual_access:  read_only
        .address_space:  global
        .offset:         64
        .size:           8
        .value_kind:     global_buffer
      - .offset:         72
        .size:           4
        .value_kind:     by_value
      - .offset:         76
        .size:           4
        .value_kind:     by_value
      - .offset:         80
        .size:           4
        .value_kind:     by_value
      - .actual_access:  read_only
        .address_space:  global
        .offset:         88
        .size:           8
        .value_kind:     global_buffer
      - .actual_access:  read_only
        .address_space:  global
        .offset:         96
        .size:           8
        .value_kind:     global_buffer
      - .actual_access:  read_only
        .address_space:  global
        .offset:         104
        .size:           8
        .value_kind:     global_buffer
      - .actual_access:  read_only
        .address_space:  global
        .offset:         112
        .size:           8
        .value_kind:     global_buffer
      - .offset:         120
        .size:           4
        .value_kind:     by_value
      - .address_space:  global
        .offset:         128
        .size:           8
        .value_kind:     global_buffer
      - .address_space:  global
        .offset:         136
        .size:           8
        .value_kind:     global_buffer
      - .offset:         144
        .size:           4
        .value_kind:     hidden_block_count_x
      - .offset:         148
        .size:           4
        .value_kind:     hidden_block_count_y
      - .offset:         152
        .size:           4
        .value_kind:     hidden_block_count_z
      - .offset:         156
        .size:           2
        .value_kind:     hidden_group_size_x
      - .offset:         158
        .size:           2
        .value_kind:     hidden_group_size_y
      - .offset:         160
        .size:           2
        .value_kind:     hidden_group_size_z
      - .offset:         162
        .size:           2
        .value_kind:     hidden_remainder_x
      - .offset:         164
        .size:           2
        .value_kind:     hidden_remainder_y
      - .offset:         166
        .size:           2
        .value_kind:     hidden_remainder_z
      - .offset:         184
        .size:           8
        .value_kind:     hidden_global_offset_x
      - .offset:         192
        .size:           8
        .value_kind:     hidden_global_offset_y
      - .offset:         200
        .size:           8
        .value_kind:     hidden_global_offset_z
      - .offset:         208
        .size:           2
        .value_kind:     hidden_grid_dims
      - .offset:         224
        .size:           8
        .value_kind:     hidden_hostcall_buffer
    .group_segment_fixed_size: 0
    .kernarg_segment_align: 8
    .kernarg_segment_size: 400
    .language:       OpenCL C
    .language_version:
      - 2
      - 0
    .max_flat_workgroup_size: 256
    .name:           _Z39paged_attention_ll4mi_QKV_mfma16_kernelIDF16_hLN4vllm18Fp8KVCacheDataTypeE1EhLi32ELi128ELi256ELb0ELi8EEvPKT_PKT0_S7_ifPKiS9_S9_iPKfiiiPfSC_PS2_PT2_iSB_SB_
    .private_segment_fixed_size: 64
    .sgpr_count:     36
    .sgpr_spill_count: 0
    .symbol:         _Z39paged_attention_ll4mi_QKV_mfma16_kernelIDF16_hLN4vllm18Fp8KVCacheDataTypeE1EhLi32ELi128ELi256ELb0ELi8EEvPKT_PKT0_S7_ifPKiS9_S9_iPKfiiiPfSC_PS2_PT2_iSB_SB_.kd
    .uniform_work_group_size: 1
    .uses_dynamic_stack: false
    .vgpr_count:     51
    .vgpr_spill_count: 0
    .wavefront_size: 32
  - .args:
      - .actual_access:  read_only
        .address_space:  global
        .offset:         0
        .size:           8
        .value_kind:     global_buffer
      - .actual_access:  read_only
        .address_space:  global
        .offset:         8
        .size:           8
        .value_kind:     global_buffer
      - .actual_access:  read_only
        .address_space:  global
        .offset:         16
        .size:           8
        .value_kind:     global_buffer
      - .offset:         24
        .size:           4
        .value_kind:     by_value
      - .offset:         28
        .size:           4
        .value_kind:     by_value
      - .actual_access:  read_only
        .address_space:  global
        .offset:         32
        .size:           8
        .value_kind:     global_buffer
      - .actual_access:  read_only
        .address_space:  global
        .offset:         40
        .size:           8
        .value_kind:     global_buffer
      - .actual_access:  read_only
        .address_space:  global
        .offset:         48
        .size:           8
        .value_kind:     global_buffer
      - .offset:         56
        .size:           4
        .value_kind:     by_value
      - .actual_access:  read_only
        .address_space:  global
        .offset:         64
        .size:           8
        .value_kind:     global_buffer
      - .offset:         72
        .size:           4
        .value_kind:     by_value
      - .offset:         76
        .size:           4
        .value_kind:     by_value
      - .offset:         80
        .size:           4
        .value_kind:     by_value
      - .actual_access:  read_only
        .address_space:  global
        .offset:         88
        .size:           8
        .value_kind:     global_buffer
      - .actual_access:  read_only
        .address_space:  global
        .offset:         96
        .size:           8
        .value_kind:     global_buffer
      - .actual_access:  read_only
        .address_space:  global
        .offset:         104
        .size:           8
        .value_kind:     global_buffer
      - .actual_access:  read_only
        .address_space:  global
        .offset:         112
        .size:           8
        .value_kind:     global_buffer
      - .offset:         120
        .size:           4
        .value_kind:     by_value
      - .address_space:  global
        .offset:         128
        .size:           8
        .value_kind:     global_buffer
      - .address_space:  global
        .offset:         136
        .size:           8
        .value_kind:     global_buffer
      - .offset:         144
        .size:           4
        .value_kind:     hidden_block_count_x
      - .offset:         148
        .size:           4
        .value_kind:     hidden_block_count_y
      - .offset:         152
        .size:           4
        .value_kind:     hidden_block_count_z
      - .offset:         156
        .size:           2
        .value_kind:     hidden_group_size_x
      - .offset:         158
        .size:           2
        .value_kind:     hidden_group_size_y
      - .offset:         160
        .size:           2
        .value_kind:     hidden_group_size_z
      - .offset:         162
        .size:           2
        .value_kind:     hidden_remainder_x
      - .offset:         164
        .size:           2
        .value_kind:     hidden_remainder_y
      - .offset:         166
        .size:           2
        .value_kind:     hidden_remainder_z
      - .offset:         184
        .size:           8
        .value_kind:     hidden_global_offset_x
      - .offset:         192
        .size:           8
        .value_kind:     hidden_global_offset_y
      - .offset:         200
        .size:           8
        .value_kind:     hidden_global_offset_z
      - .offset:         208
        .size:           2
        .value_kind:     hidden_grid_dims
      - .offset:         224
        .size:           8
        .value_kind:     hidden_hostcall_buffer
    .group_segment_fixed_size: 0
    .kernarg_segment_align: 8
    .kernarg_segment_size: 400
    .language:       OpenCL C
    .language_version:
      - 2
      - 0
    .max_flat_workgroup_size: 256
    .name:           _Z39paged_attention_ll4mi_QKV_mfma16_kernelIDF16_hLN4vllm18Fp8KVCacheDataTypeE1EhLi32ELi128ELi256ELb0ELi9EEvPKT_PKT0_S7_ifPKiS9_S9_iPKfiiiPfSC_PS2_PT2_iSB_SB_
    .private_segment_fixed_size: 64
    .sgpr_count:     36
    .sgpr_spill_count: 0
    .symbol:         _Z39paged_attention_ll4mi_QKV_mfma16_kernelIDF16_hLN4vllm18Fp8KVCacheDataTypeE1EhLi32ELi128ELi256ELb0ELi9EEvPKT_PKT0_S7_ifPKiS9_S9_iPKfiiiPfSC_PS2_PT2_iSB_SB_.kd
    .uniform_work_group_size: 1
    .uses_dynamic_stack: false
    .vgpr_count:     51
    .vgpr_spill_count: 0
    .wavefront_size: 32
  - .args:
      - .actual_access:  read_only
        .address_space:  global
        .offset:         0
        .size:           8
        .value_kind:     global_buffer
      - .actual_access:  read_only
        .address_space:  global
        .offset:         8
        .size:           8
        .value_kind:     global_buffer
      - .actual_access:  read_only
        .address_space:  global
        .offset:         16
        .size:           8
        .value_kind:     global_buffer
      - .offset:         24
        .size:           4
        .value_kind:     by_value
      - .offset:         28
        .size:           4
        .value_kind:     by_value
      - .actual_access:  read_only
        .address_space:  global
        .offset:         32
        .size:           8
        .value_kind:     global_buffer
      - .actual_access:  read_only
        .address_space:  global
        .offset:         40
        .size:           8
        .value_kind:     global_buffer
      - .actual_access:  read_only
        .address_space:  global
        .offset:         48
        .size:           8
        .value_kind:     global_buffer
      - .offset:         56
        .size:           4
        .value_kind:     by_value
      - .actual_access:  read_only
        .address_space:  global
        .offset:         64
        .size:           8
        .value_kind:     global_buffer
      - .offset:         72
        .size:           4
        .value_kind:     by_value
      - .offset:         76
        .size:           4
        .value_kind:     by_value
      - .offset:         80
        .size:           4
        .value_kind:     by_value
      - .actual_access:  read_only
        .address_space:  global
        .offset:         88
        .size:           8
        .value_kind:     global_buffer
      - .actual_access:  read_only
        .address_space:  global
        .offset:         96
        .size:           8
        .value_kind:     global_buffer
      - .actual_access:  read_only
        .address_space:  global
        .offset:         104
        .size:           8
        .value_kind:     global_buffer
      - .actual_access:  read_only
        .address_space:  global
        .offset:         112
        .size:           8
        .value_kind:     global_buffer
      - .offset:         120
        .size:           4
        .value_kind:     by_value
      - .address_space:  global
        .offset:         128
        .size:           8
        .value_kind:     global_buffer
      - .address_space:  global
        .offset:         136
        .size:           8
        .value_kind:     global_buffer
      - .offset:         144
        .size:           4
        .value_kind:     hidden_block_count_x
      - .offset:         148
        .size:           4
        .value_kind:     hidden_block_count_y
      - .offset:         152
        .size:           4
        .value_kind:     hidden_block_count_z
      - .offset:         156
        .size:           2
        .value_kind:     hidden_group_size_x
      - .offset:         158
        .size:           2
        .value_kind:     hidden_group_size_y
      - .offset:         160
        .size:           2
        .value_kind:     hidden_group_size_z
      - .offset:         162
        .size:           2
        .value_kind:     hidden_remainder_x
      - .offset:         164
        .size:           2
        .value_kind:     hidden_remainder_y
      - .offset:         166
        .size:           2
        .value_kind:     hidden_remainder_z
      - .offset:         184
        .size:           8
        .value_kind:     hidden_global_offset_x
      - .offset:         192
        .size:           8
        .value_kind:     hidden_global_offset_y
      - .offset:         200
        .size:           8
        .value_kind:     hidden_global_offset_z
      - .offset:         208
        .size:           2
        .value_kind:     hidden_grid_dims
      - .offset:         224
        .size:           8
        .value_kind:     hidden_hostcall_buffer
    .group_segment_fixed_size: 0
    .kernarg_segment_align: 8
    .kernarg_segment_size: 400
    .language:       OpenCL C
    .language_version:
      - 2
      - 0
    .max_flat_workgroup_size: 256
    .name:           _Z39paged_attention_ll4mi_QKV_mfma16_kernelIDF16_hLN4vllm18Fp8KVCacheDataTypeE1EhLi32ELi128ELi256ELb0ELi10EEvPKT_PKT0_S7_ifPKiS9_S9_iPKfiiiPfSC_PS2_PT2_iSB_SB_
    .private_segment_fixed_size: 64
    .sgpr_count:     36
    .sgpr_spill_count: 0
    .symbol:         _Z39paged_attention_ll4mi_QKV_mfma16_kernelIDF16_hLN4vllm18Fp8KVCacheDataTypeE1EhLi32ELi128ELi256ELb0ELi10EEvPKT_PKT0_S7_ifPKiS9_S9_iPKfiiiPfSC_PS2_PT2_iSB_SB_.kd
    .uniform_work_group_size: 1
    .uses_dynamic_stack: false
    .vgpr_count:     51
    .vgpr_spill_count: 0
    .wavefront_size: 32
  - .args:
      - .actual_access:  read_only
        .address_space:  global
        .offset:         0
        .size:           8
        .value_kind:     global_buffer
      - .actual_access:  read_only
        .address_space:  global
        .offset:         8
        .size:           8
        .value_kind:     global_buffer
      - .actual_access:  read_only
        .address_space:  global
        .offset:         16
        .size:           8
        .value_kind:     global_buffer
      - .offset:         24
        .size:           4
        .value_kind:     by_value
      - .offset:         28
        .size:           4
        .value_kind:     by_value
      - .actual_access:  read_only
        .address_space:  global
        .offset:         32
        .size:           8
        .value_kind:     global_buffer
      - .actual_access:  read_only
        .address_space:  global
        .offset:         40
        .size:           8
        .value_kind:     global_buffer
      - .actual_access:  read_only
        .address_space:  global
        .offset:         48
        .size:           8
        .value_kind:     global_buffer
      - .offset:         56
        .size:           4
        .value_kind:     by_value
      - .actual_access:  read_only
        .address_space:  global
        .offset:         64
        .size:           8
        .value_kind:     global_buffer
      - .offset:         72
        .size:           4
        .value_kind:     by_value
      - .offset:         76
        .size:           4
        .value_kind:     by_value
      - .offset:         80
        .size:           4
        .value_kind:     by_value
      - .actual_access:  read_only
        .address_space:  global
        .offset:         88
        .size:           8
        .value_kind:     global_buffer
      - .actual_access:  read_only
        .address_space:  global
        .offset:         96
        .size:           8
        .value_kind:     global_buffer
      - .actual_access:  read_only
        .address_space:  global
        .offset:         104
        .size:           8
        .value_kind:     global_buffer
      - .actual_access:  read_only
        .address_space:  global
        .offset:         112
        .size:           8
        .value_kind:     global_buffer
      - .offset:         120
        .size:           4
        .value_kind:     by_value
      - .address_space:  global
        .offset:         128
        .size:           8
        .value_kind:     global_buffer
      - .address_space:  global
        .offset:         136
        .size:           8
        .value_kind:     global_buffer
      - .offset:         144
        .size:           4
        .value_kind:     hidden_block_count_x
      - .offset:         148
        .size:           4
        .value_kind:     hidden_block_count_y
      - .offset:         152
        .size:           4
        .value_kind:     hidden_block_count_z
      - .offset:         156
        .size:           2
        .value_kind:     hidden_group_size_x
      - .offset:         158
        .size:           2
        .value_kind:     hidden_group_size_y
      - .offset:         160
        .size:           2
        .value_kind:     hidden_group_size_z
      - .offset:         162
        .size:           2
        .value_kind:     hidden_remainder_x
      - .offset:         164
        .size:           2
        .value_kind:     hidden_remainder_y
      - .offset:         166
        .size:           2
        .value_kind:     hidden_remainder_z
      - .offset:         184
        .size:           8
        .value_kind:     hidden_global_offset_x
      - .offset:         192
        .size:           8
        .value_kind:     hidden_global_offset_y
      - .offset:         200
        .size:           8
        .value_kind:     hidden_global_offset_z
      - .offset:         208
        .size:           2
        .value_kind:     hidden_grid_dims
      - .offset:         224
        .size:           8
        .value_kind:     hidden_hostcall_buffer
    .group_segment_fixed_size: 0
    .kernarg_segment_align: 8
    .kernarg_segment_size: 400
    .language:       OpenCL C
    .language_version:
      - 2
      - 0
    .max_flat_workgroup_size: 256
    .name:           _Z39paged_attention_ll4mi_QKV_mfma16_kernelIDF16_hLN4vllm18Fp8KVCacheDataTypeE1EhLi32ELi128ELi256ELb0ELi11EEvPKT_PKT0_S7_ifPKiS9_S9_iPKfiiiPfSC_PS2_PT2_iSB_SB_
    .private_segment_fixed_size: 64
    .sgpr_count:     36
    .sgpr_spill_count: 0
    .symbol:         _Z39paged_attention_ll4mi_QKV_mfma16_kernelIDF16_hLN4vllm18Fp8KVCacheDataTypeE1EhLi32ELi128ELi256ELb0ELi11EEvPKT_PKT0_S7_ifPKiS9_S9_iPKfiiiPfSC_PS2_PT2_iSB_SB_.kd
    .uniform_work_group_size: 1
    .uses_dynamic_stack: false
    .vgpr_count:     51
    .vgpr_spill_count: 0
    .wavefront_size: 32
  - .args:
      - .actual_access:  read_only
        .address_space:  global
        .offset:         0
        .size:           8
        .value_kind:     global_buffer
      - .actual_access:  read_only
        .address_space:  global
        .offset:         8
        .size:           8
        .value_kind:     global_buffer
      - .actual_access:  read_only
        .address_space:  global
        .offset:         16
        .size:           8
        .value_kind:     global_buffer
      - .offset:         24
        .size:           4
        .value_kind:     by_value
      - .offset:         28
        .size:           4
        .value_kind:     by_value
      - .actual_access:  read_only
        .address_space:  global
        .offset:         32
        .size:           8
        .value_kind:     global_buffer
      - .actual_access:  read_only
        .address_space:  global
        .offset:         40
        .size:           8
        .value_kind:     global_buffer
      - .actual_access:  read_only
        .address_space:  global
        .offset:         48
        .size:           8
        .value_kind:     global_buffer
      - .offset:         56
        .size:           4
        .value_kind:     by_value
      - .actual_access:  read_only
        .address_space:  global
        .offset:         64
        .size:           8
        .value_kind:     global_buffer
      - .offset:         72
        .size:           4
        .value_kind:     by_value
      - .offset:         76
        .size:           4
        .value_kind:     by_value
      - .offset:         80
        .size:           4
        .value_kind:     by_value
      - .actual_access:  read_only
        .address_space:  global
        .offset:         88
        .size:           8
        .value_kind:     global_buffer
      - .actual_access:  read_only
        .address_space:  global
        .offset:         96
        .size:           8
        .value_kind:     global_buffer
      - .actual_access:  read_only
        .address_space:  global
        .offset:         104
        .size:           8
        .value_kind:     global_buffer
      - .actual_access:  read_only
        .address_space:  global
        .offset:         112
        .size:           8
        .value_kind:     global_buffer
      - .offset:         120
        .size:           4
        .value_kind:     by_value
      - .address_space:  global
        .offset:         128
        .size:           8
        .value_kind:     global_buffer
      - .address_space:  global
        .offset:         136
        .size:           8
        .value_kind:     global_buffer
      - .offset:         144
        .size:           4
        .value_kind:     hidden_block_count_x
      - .offset:         148
        .size:           4
        .value_kind:     hidden_block_count_y
      - .offset:         152
        .size:           4
        .value_kind:     hidden_block_count_z
      - .offset:         156
        .size:           2
        .value_kind:     hidden_group_size_x
      - .offset:         158
        .size:           2
        .value_kind:     hidden_group_size_y
      - .offset:         160
        .size:           2
        .value_kind:     hidden_group_size_z
      - .offset:         162
        .size:           2
        .value_kind:     hidden_remainder_x
      - .offset:         164
        .size:           2
        .value_kind:     hidden_remainder_y
      - .offset:         166
        .size:           2
        .value_kind:     hidden_remainder_z
      - .offset:         184
        .size:           8
        .value_kind:     hidden_global_offset_x
      - .offset:         192
        .size:           8
        .value_kind:     hidden_global_offset_y
      - .offset:         200
        .size:           8
        .value_kind:     hidden_global_offset_z
      - .offset:         208
        .size:           2
        .value_kind:     hidden_grid_dims
      - .offset:         224
        .size:           8
        .value_kind:     hidden_hostcall_buffer
    .group_segment_fixed_size: 0
    .kernarg_segment_align: 8
    .kernarg_segment_size: 400
    .language:       OpenCL C
    .language_version:
      - 2
      - 0
    .max_flat_workgroup_size: 256
    .name:           _Z39paged_attention_ll4mi_QKV_mfma16_kernelIDF16_hLN4vllm18Fp8KVCacheDataTypeE1EhLi32ELi128ELi256ELb0ELi12EEvPKT_PKT0_S7_ifPKiS9_S9_iPKfiiiPfSC_PS2_PT2_iSB_SB_
    .private_segment_fixed_size: 64
    .sgpr_count:     36
    .sgpr_spill_count: 0
    .symbol:         _Z39paged_attention_ll4mi_QKV_mfma16_kernelIDF16_hLN4vllm18Fp8KVCacheDataTypeE1EhLi32ELi128ELi256ELb0ELi12EEvPKT_PKT0_S7_ifPKiS9_S9_iPKfiiiPfSC_PS2_PT2_iSB_SB_.kd
    .uniform_work_group_size: 1
    .uses_dynamic_stack: false
    .vgpr_count:     51
    .vgpr_spill_count: 0
    .wavefront_size: 32
  - .args:
      - .actual_access:  read_only
        .address_space:  global
        .offset:         0
        .size:           8
        .value_kind:     global_buffer
      - .actual_access:  read_only
        .address_space:  global
        .offset:         8
        .size:           8
        .value_kind:     global_buffer
      - .actual_access:  read_only
        .address_space:  global
        .offset:         16
        .size:           8
        .value_kind:     global_buffer
      - .offset:         24
        .size:           4
        .value_kind:     by_value
      - .offset:         28
        .size:           4
        .value_kind:     by_value
      - .actual_access:  read_only
        .address_space:  global
        .offset:         32
        .size:           8
        .value_kind:     global_buffer
      - .actual_access:  read_only
        .address_space:  global
        .offset:         40
        .size:           8
        .value_kind:     global_buffer
      - .actual_access:  read_only
        .address_space:  global
        .offset:         48
        .size:           8
        .value_kind:     global_buffer
      - .offset:         56
        .size:           4
        .value_kind:     by_value
      - .actual_access:  read_only
        .address_space:  global
        .offset:         64
        .size:           8
        .value_kind:     global_buffer
      - .offset:         72
        .size:           4
        .value_kind:     by_value
      - .offset:         76
        .size:           4
        .value_kind:     by_value
      - .offset:         80
        .size:           4
        .value_kind:     by_value
      - .actual_access:  read_only
        .address_space:  global
        .offset:         88
        .size:           8
        .value_kind:     global_buffer
      - .actual_access:  read_only
        .address_space:  global
        .offset:         96
        .size:           8
        .value_kind:     global_buffer
      - .actual_access:  read_only
        .address_space:  global
        .offset:         104
        .size:           8
        .value_kind:     global_buffer
      - .actual_access:  read_only
        .address_space:  global
        .offset:         112
        .size:           8
        .value_kind:     global_buffer
      - .offset:         120
        .size:           4
        .value_kind:     by_value
      - .address_space:  global
        .offset:         128
        .size:           8
        .value_kind:     global_buffer
      - .address_space:  global
        .offset:         136
        .size:           8
        .value_kind:     global_buffer
      - .offset:         144
        .size:           4
        .value_kind:     hidden_block_count_x
      - .offset:         148
        .size:           4
        .value_kind:     hidden_block_count_y
      - .offset:         152
        .size:           4
        .value_kind:     hidden_block_count_z
      - .offset:         156
        .size:           2
        .value_kind:     hidden_group_size_x
      - .offset:         158
        .size:           2
        .value_kind:     hidden_group_size_y
      - .offset:         160
        .size:           2
        .value_kind:     hidden_group_size_z
      - .offset:         162
        .size:           2
        .value_kind:     hidden_remainder_x
      - .offset:         164
        .size:           2
        .value_kind:     hidden_remainder_y
      - .offset:         166
        .size:           2
        .value_kind:     hidden_remainder_z
      - .offset:         184
        .size:           8
        .value_kind:     hidden_global_offset_x
      - .offset:         192
        .size:           8
        .value_kind:     hidden_global_offset_y
      - .offset:         200
        .size:           8
        .value_kind:     hidden_global_offset_z
      - .offset:         208
        .size:           2
        .value_kind:     hidden_grid_dims
      - .offset:         224
        .size:           8
        .value_kind:     hidden_hostcall_buffer
    .group_segment_fixed_size: 0
    .kernarg_segment_align: 8
    .kernarg_segment_size: 400
    .language:       OpenCL C
    .language_version:
      - 2
      - 0
    .max_flat_workgroup_size: 256
    .name:           _Z39paged_attention_ll4mi_QKV_mfma16_kernelIDF16_hLN4vllm18Fp8KVCacheDataTypeE1EhLi32ELi128ELi256ELb0ELi13EEvPKT_PKT0_S7_ifPKiS9_S9_iPKfiiiPfSC_PS2_PT2_iSB_SB_
    .private_segment_fixed_size: 64
    .sgpr_count:     36
    .sgpr_spill_count: 0
    .symbol:         _Z39paged_attention_ll4mi_QKV_mfma16_kernelIDF16_hLN4vllm18Fp8KVCacheDataTypeE1EhLi32ELi128ELi256ELb0ELi13EEvPKT_PKT0_S7_ifPKiS9_S9_iPKfiiiPfSC_PS2_PT2_iSB_SB_.kd
    .uniform_work_group_size: 1
    .uses_dynamic_stack: false
    .vgpr_count:     51
    .vgpr_spill_count: 0
    .wavefront_size: 32
  - .args:
      - .actual_access:  read_only
        .address_space:  global
        .offset:         0
        .size:           8
        .value_kind:     global_buffer
      - .actual_access:  read_only
        .address_space:  global
        .offset:         8
        .size:           8
        .value_kind:     global_buffer
      - .actual_access:  read_only
        .address_space:  global
        .offset:         16
        .size:           8
        .value_kind:     global_buffer
      - .offset:         24
        .size:           4
        .value_kind:     by_value
      - .offset:         28
        .size:           4
        .value_kind:     by_value
      - .actual_access:  read_only
        .address_space:  global
        .offset:         32
        .size:           8
        .value_kind:     global_buffer
      - .actual_access:  read_only
        .address_space:  global
        .offset:         40
        .size:           8
        .value_kind:     global_buffer
      - .actual_access:  read_only
        .address_space:  global
        .offset:         48
        .size:           8
        .value_kind:     global_buffer
      - .offset:         56
        .size:           4
        .value_kind:     by_value
      - .actual_access:  read_only
        .address_space:  global
        .offset:         64
        .size:           8
        .value_kind:     global_buffer
      - .offset:         72
        .size:           4
        .value_kind:     by_value
      - .offset:         76
        .size:           4
        .value_kind:     by_value
      - .offset:         80
        .size:           4
        .value_kind:     by_value
      - .actual_access:  read_only
        .address_space:  global
        .offset:         88
        .size:           8
        .value_kind:     global_buffer
      - .actual_access:  read_only
        .address_space:  global
        .offset:         96
        .size:           8
        .value_kind:     global_buffer
      - .actual_access:  read_only
        .address_space:  global
        .offset:         104
        .size:           8
        .value_kind:     global_buffer
      - .actual_access:  read_only
        .address_space:  global
        .offset:         112
        .size:           8
        .value_kind:     global_buffer
      - .offset:         120
        .size:           4
        .value_kind:     by_value
      - .address_space:  global
        .offset:         128
        .size:           8
        .value_kind:     global_buffer
      - .address_space:  global
        .offset:         136
        .size:           8
        .value_kind:     global_buffer
      - .offset:         144
        .size:           4
        .value_kind:     hidden_block_count_x
      - .offset:         148
        .size:           4
        .value_kind:     hidden_block_count_y
      - .offset:         152
        .size:           4
        .value_kind:     hidden_block_count_z
      - .offset:         156
        .size:           2
        .value_kind:     hidden_group_size_x
      - .offset:         158
        .size:           2
        .value_kind:     hidden_group_size_y
      - .offset:         160
        .size:           2
        .value_kind:     hidden_group_size_z
      - .offset:         162
        .size:           2
        .value_kind:     hidden_remainder_x
      - .offset:         164
        .size:           2
        .value_kind:     hidden_remainder_y
      - .offset:         166
        .size:           2
        .value_kind:     hidden_remainder_z
      - .offset:         184
        .size:           8
        .value_kind:     hidden_global_offset_x
      - .offset:         192
        .size:           8
        .value_kind:     hidden_global_offset_y
      - .offset:         200
        .size:           8
        .value_kind:     hidden_global_offset_z
      - .offset:         208
        .size:           2
        .value_kind:     hidden_grid_dims
      - .offset:         224
        .size:           8
        .value_kind:     hidden_hostcall_buffer
    .group_segment_fixed_size: 0
    .kernarg_segment_align: 8
    .kernarg_segment_size: 400
    .language:       OpenCL C
    .language_version:
      - 2
      - 0
    .max_flat_workgroup_size: 256
    .name:           _Z39paged_attention_ll4mi_QKV_mfma16_kernelIDF16_hLN4vllm18Fp8KVCacheDataTypeE1EhLi32ELi128ELi256ELb0ELi14EEvPKT_PKT0_S7_ifPKiS9_S9_iPKfiiiPfSC_PS2_PT2_iSB_SB_
    .private_segment_fixed_size: 64
    .sgpr_count:     36
    .sgpr_spill_count: 0
    .symbol:         _Z39paged_attention_ll4mi_QKV_mfma16_kernelIDF16_hLN4vllm18Fp8KVCacheDataTypeE1EhLi32ELi128ELi256ELb0ELi14EEvPKT_PKT0_S7_ifPKiS9_S9_iPKfiiiPfSC_PS2_PT2_iSB_SB_.kd
    .uniform_work_group_size: 1
    .uses_dynamic_stack: false
    .vgpr_count:     51
    .vgpr_spill_count: 0
    .wavefront_size: 32
  - .args:
      - .actual_access:  read_only
        .address_space:  global
        .offset:         0
        .size:           8
        .value_kind:     global_buffer
      - .actual_access:  read_only
        .address_space:  global
        .offset:         8
        .size:           8
        .value_kind:     global_buffer
      - .actual_access:  read_only
        .address_space:  global
        .offset:         16
        .size:           8
        .value_kind:     global_buffer
      - .offset:         24
        .size:           4
        .value_kind:     by_value
      - .offset:         28
        .size:           4
        .value_kind:     by_value
      - .actual_access:  read_only
        .address_space:  global
        .offset:         32
        .size:           8
        .value_kind:     global_buffer
      - .actual_access:  read_only
        .address_space:  global
        .offset:         40
        .size:           8
        .value_kind:     global_buffer
      - .actual_access:  read_only
        .address_space:  global
        .offset:         48
        .size:           8
        .value_kind:     global_buffer
      - .offset:         56
        .size:           4
        .value_kind:     by_value
      - .actual_access:  read_only
        .address_space:  global
        .offset:         64
        .size:           8
        .value_kind:     global_buffer
      - .offset:         72
        .size:           4
        .value_kind:     by_value
      - .offset:         76
        .size:           4
        .value_kind:     by_value
      - .offset:         80
        .size:           4
        .value_kind:     by_value
      - .actual_access:  read_only
        .address_space:  global
        .offset:         88
        .size:           8
        .value_kind:     global_buffer
      - .actual_access:  read_only
        .address_space:  global
        .offset:         96
        .size:           8
        .value_kind:     global_buffer
      - .actual_access:  read_only
        .address_space:  global
        .offset:         104
        .size:           8
        .value_kind:     global_buffer
      - .actual_access:  read_only
        .address_space:  global
        .offset:         112
        .size:           8
        .value_kind:     global_buffer
      - .offset:         120
        .size:           4
        .value_kind:     by_value
      - .address_space:  global
        .offset:         128
        .size:           8
        .value_kind:     global_buffer
      - .address_space:  global
        .offset:         136
        .size:           8
        .value_kind:     global_buffer
      - .offset:         144
        .size:           4
        .value_kind:     hidden_block_count_x
      - .offset:         148
        .size:           4
        .value_kind:     hidden_block_count_y
      - .offset:         152
        .size:           4
        .value_kind:     hidden_block_count_z
      - .offset:         156
        .size:           2
        .value_kind:     hidden_group_size_x
      - .offset:         158
        .size:           2
        .value_kind:     hidden_group_size_y
      - .offset:         160
        .size:           2
        .value_kind:     hidden_group_size_z
      - .offset:         162
        .size:           2
        .value_kind:     hidden_remainder_x
      - .offset:         164
        .size:           2
        .value_kind:     hidden_remainder_y
      - .offset:         166
        .size:           2
        .value_kind:     hidden_remainder_z
      - .offset:         184
        .size:           8
        .value_kind:     hidden_global_offset_x
      - .offset:         192
        .size:           8
        .value_kind:     hidden_global_offset_y
      - .offset:         200
        .size:           8
        .value_kind:     hidden_global_offset_z
      - .offset:         208
        .size:           2
        .value_kind:     hidden_grid_dims
      - .offset:         224
        .size:           8
        .value_kind:     hidden_hostcall_buffer
    .group_segment_fixed_size: 0
    .kernarg_segment_align: 8
    .kernarg_segment_size: 400
    .language:       OpenCL C
    .language_version:
      - 2
      - 0
    .max_flat_workgroup_size: 256
    .name:           _Z39paged_attention_ll4mi_QKV_mfma16_kernelIDF16_hLN4vllm18Fp8KVCacheDataTypeE1EhLi32ELi128ELi256ELb0ELi15EEvPKT_PKT0_S7_ifPKiS9_S9_iPKfiiiPfSC_PS2_PT2_iSB_SB_
    .private_segment_fixed_size: 64
    .sgpr_count:     36
    .sgpr_spill_count: 0
    .symbol:         _Z39paged_attention_ll4mi_QKV_mfma16_kernelIDF16_hLN4vllm18Fp8KVCacheDataTypeE1EhLi32ELi128ELi256ELb0ELi15EEvPKT_PKT0_S7_ifPKiS9_S9_iPKfiiiPfSC_PS2_PT2_iSB_SB_.kd
    .uniform_work_group_size: 1
    .uses_dynamic_stack: false
    .vgpr_count:     51
    .vgpr_spill_count: 0
    .wavefront_size: 32
  - .args:
      - .actual_access:  read_only
        .address_space:  global
        .offset:         0
        .size:           8
        .value_kind:     global_buffer
      - .actual_access:  read_only
        .address_space:  global
        .offset:         8
        .size:           8
        .value_kind:     global_buffer
      - .actual_access:  read_only
        .address_space:  global
        .offset:         16
        .size:           8
        .value_kind:     global_buffer
      - .offset:         24
        .size:           4
        .value_kind:     by_value
      - .offset:         28
        .size:           4
        .value_kind:     by_value
      - .actual_access:  read_only
        .address_space:  global
        .offset:         32
        .size:           8
        .value_kind:     global_buffer
      - .actual_access:  read_only
        .address_space:  global
        .offset:         40
        .size:           8
        .value_kind:     global_buffer
      - .actual_access:  read_only
        .address_space:  global
        .offset:         48
        .size:           8
        .value_kind:     global_buffer
      - .offset:         56
        .size:           4
        .value_kind:     by_value
      - .actual_access:  read_only
        .address_space:  global
        .offset:         64
        .size:           8
        .value_kind:     global_buffer
      - .offset:         72
        .size:           4
        .value_kind:     by_value
      - .offset:         76
        .size:           4
        .value_kind:     by_value
      - .offset:         80
        .size:           4
        .value_kind:     by_value
      - .actual_access:  read_only
        .address_space:  global
        .offset:         88
        .size:           8
        .value_kind:     global_buffer
      - .actual_access:  read_only
        .address_space:  global
        .offset:         96
        .size:           8
        .value_kind:     global_buffer
      - .actual_access:  read_only
        .address_space:  global
        .offset:         104
        .size:           8
        .value_kind:     global_buffer
      - .actual_access:  read_only
        .address_space:  global
        .offset:         112
        .size:           8
        .value_kind:     global_buffer
      - .offset:         120
        .size:           4
        .value_kind:     by_value
      - .address_space:  global
        .offset:         128
        .size:           8
        .value_kind:     global_buffer
      - .address_space:  global
        .offset:         136
        .size:           8
        .value_kind:     global_buffer
      - .offset:         144
        .size:           4
        .value_kind:     hidden_block_count_x
      - .offset:         148
        .size:           4
        .value_kind:     hidden_block_count_y
      - .offset:         152
        .size:           4
        .value_kind:     hidden_block_count_z
      - .offset:         156
        .size:           2
        .value_kind:     hidden_group_size_x
      - .offset:         158
        .size:           2
        .value_kind:     hidden_group_size_y
      - .offset:         160
        .size:           2
        .value_kind:     hidden_group_size_z
      - .offset:         162
        .size:           2
        .value_kind:     hidden_remainder_x
      - .offset:         164
        .size:           2
        .value_kind:     hidden_remainder_y
      - .offset:         166
        .size:           2
        .value_kind:     hidden_remainder_z
      - .offset:         184
        .size:           8
        .value_kind:     hidden_global_offset_x
      - .offset:         192
        .size:           8
        .value_kind:     hidden_global_offset_y
      - .offset:         200
        .size:           8
        .value_kind:     hidden_global_offset_z
      - .offset:         208
        .size:           2
        .value_kind:     hidden_grid_dims
      - .offset:         224
        .size:           8
        .value_kind:     hidden_hostcall_buffer
    .group_segment_fixed_size: 0
    .kernarg_segment_align: 8
    .kernarg_segment_size: 400
    .language:       OpenCL C
    .language_version:
      - 2
      - 0
    .max_flat_workgroup_size: 256
    .name:           _Z39paged_attention_ll4mi_QKV_mfma16_kernelIDF16_hLN4vllm18Fp8KVCacheDataTypeE1EhLi32ELi128ELi256ELb0ELi16EEvPKT_PKT0_S7_ifPKiS9_S9_iPKfiiiPfSC_PS2_PT2_iSB_SB_
    .private_segment_fixed_size: 64
    .sgpr_count:     36
    .sgpr_spill_count: 0
    .symbol:         _Z39paged_attention_ll4mi_QKV_mfma16_kernelIDF16_hLN4vllm18Fp8KVCacheDataTypeE1EhLi32ELi128ELi256ELb0ELi16EEvPKT_PKT0_S7_ifPKiS9_S9_iPKfiiiPfSC_PS2_PT2_iSB_SB_.kd
    .uniform_work_group_size: 1
    .uses_dynamic_stack: false
    .vgpr_count:     51
    .vgpr_spill_count: 0
    .wavefront_size: 32
  - .args:
      - .actual_access:  read_only
        .address_space:  global
        .offset:         0
        .size:           8
        .value_kind:     global_buffer
      - .actual_access:  read_only
        .address_space:  global
        .offset:         8
        .size:           8
        .value_kind:     global_buffer
      - .actual_access:  read_only
        .address_space:  global
        .offset:         16
        .size:           8
        .value_kind:     global_buffer
      - .offset:         24
        .size:           4
        .value_kind:     by_value
      - .offset:         28
        .size:           4
        .value_kind:     by_value
      - .actual_access:  read_only
        .address_space:  global
        .offset:         32
        .size:           8
        .value_kind:     global_buffer
      - .actual_access:  read_only
        .address_space:  global
        .offset:         40
        .size:           8
        .value_kind:     global_buffer
      - .actual_access:  read_only
        .address_space:  global
        .offset:         48
        .size:           8
        .value_kind:     global_buffer
      - .offset:         56
        .size:           4
        .value_kind:     by_value
      - .actual_access:  read_only
        .address_space:  global
        .offset:         64
        .size:           8
        .value_kind:     global_buffer
      - .offset:         72
        .size:           4
        .value_kind:     by_value
      - .offset:         76
        .size:           4
        .value_kind:     by_value
      - .offset:         80
        .size:           4
        .value_kind:     by_value
      - .actual_access:  read_only
        .address_space:  global
        .offset:         88
        .size:           8
        .value_kind:     global_buffer
      - .actual_access:  read_only
        .address_space:  global
        .offset:         96
        .size:           8
        .value_kind:     global_buffer
      - .actual_access:  read_only
        .address_space:  global
        .offset:         104
        .size:           8
        .value_kind:     global_buffer
      - .actual_access:  read_only
        .address_space:  global
        .offset:         112
        .size:           8
        .value_kind:     global_buffer
      - .offset:         120
        .size:           4
        .value_kind:     by_value
      - .address_space:  global
        .offset:         128
        .size:           8
        .value_kind:     global_buffer
      - .address_space:  global
        .offset:         136
        .size:           8
        .value_kind:     global_buffer
      - .offset:         144
        .size:           4
        .value_kind:     hidden_block_count_x
      - .offset:         148
        .size:           4
        .value_kind:     hidden_block_count_y
      - .offset:         152
        .size:           4
        .value_kind:     hidden_block_count_z
      - .offset:         156
        .size:           2
        .value_kind:     hidden_group_size_x
      - .offset:         158
        .size:           2
        .value_kind:     hidden_group_size_y
      - .offset:         160
        .size:           2
        .value_kind:     hidden_group_size_z
      - .offset:         162
        .size:           2
        .value_kind:     hidden_remainder_x
      - .offset:         164
        .size:           2
        .value_kind:     hidden_remainder_y
      - .offset:         166
        .size:           2
        .value_kind:     hidden_remainder_z
      - .offset:         184
        .size:           8
        .value_kind:     hidden_global_offset_x
      - .offset:         192
        .size:           8
        .value_kind:     hidden_global_offset_y
      - .offset:         200
        .size:           8
        .value_kind:     hidden_global_offset_z
      - .offset:         208
        .size:           2
        .value_kind:     hidden_grid_dims
      - .offset:         224
        .size:           8
        .value_kind:     hidden_hostcall_buffer
    .group_segment_fixed_size: 0
    .kernarg_segment_align: 8
    .kernarg_segment_size: 400
    .language:       OpenCL C
    .language_version:
      - 2
      - 0
    .max_flat_workgroup_size: 256
    .name:           _Z39paged_attention_ll4mi_QKV_mfma16_kernelIDF16_hLN4vllm18Fp8KVCacheDataTypeE1EhLi32ELi128ELi256ELb0ELi1EEvPKT_PKT0_S7_ifPKiS9_S9_iPKfiiiPfSC_PS2_PT2_iSB_SB_
    .private_segment_fixed_size: 64
    .sgpr_count:     36
    .sgpr_spill_count: 0
    .symbol:         _Z39paged_attention_ll4mi_QKV_mfma16_kernelIDF16_hLN4vllm18Fp8KVCacheDataTypeE1EhLi32ELi128ELi256ELb0ELi1EEvPKT_PKT0_S7_ifPKiS9_S9_iPKfiiiPfSC_PS2_PT2_iSB_SB_.kd
    .uniform_work_group_size: 1
    .uses_dynamic_stack: false
    .vgpr_count:     51
    .vgpr_spill_count: 0
    .wavefront_size: 32
  - .args:
      - .actual_access:  read_only
        .address_space:  global
        .offset:         0
        .size:           8
        .value_kind:     global_buffer
      - .actual_access:  read_only
        .address_space:  global
        .offset:         8
        .size:           8
        .value_kind:     global_buffer
      - .actual_access:  read_only
        .address_space:  global
        .offset:         16
        .size:           8
        .value_kind:     global_buffer
      - .offset:         24
        .size:           4
        .value_kind:     by_value
      - .offset:         28
        .size:           4
        .value_kind:     by_value
      - .actual_access:  read_only
        .address_space:  global
        .offset:         32
        .size:           8
        .value_kind:     global_buffer
      - .actual_access:  read_only
        .address_space:  global
        .offset:         40
        .size:           8
        .value_kind:     global_buffer
      - .actual_access:  read_only
        .address_space:  global
        .offset:         48
        .size:           8
        .value_kind:     global_buffer
      - .offset:         56
        .size:           4
        .value_kind:     by_value
      - .actual_access:  read_only
        .address_space:  global
        .offset:         64
        .size:           8
        .value_kind:     global_buffer
      - .offset:         72
        .size:           4
        .value_kind:     by_value
      - .offset:         76
        .size:           4
        .value_kind:     by_value
      - .offset:         80
        .size:           4
        .value_kind:     by_value
      - .actual_access:  read_only
        .address_space:  global
        .offset:         88
        .size:           8
        .value_kind:     global_buffer
      - .actual_access:  read_only
        .address_space:  global
        .offset:         96
        .size:           8
        .value_kind:     global_buffer
      - .actual_access:  read_only
        .address_space:  global
        .offset:         104
        .size:           8
        .value_kind:     global_buffer
      - .actual_access:  read_only
        .address_space:  global
        .offset:         112
        .size:           8
        .value_kind:     global_buffer
      - .offset:         120
        .size:           4
        .value_kind:     by_value
      - .address_space:  global
        .offset:         128
        .size:           8
        .value_kind:     global_buffer
      - .address_space:  global
        .offset:         136
        .size:           8
        .value_kind:     global_buffer
      - .offset:         144
        .size:           4
        .value_kind:     hidden_block_count_x
      - .offset:         148
        .size:           4
        .value_kind:     hidden_block_count_y
      - .offset:         152
        .size:           4
        .value_kind:     hidden_block_count_z
      - .offset:         156
        .size:           2
        .value_kind:     hidden_group_size_x
      - .offset:         158
        .size:           2
        .value_kind:     hidden_group_size_y
      - .offset:         160
        .size:           2
        .value_kind:     hidden_group_size_z
      - .offset:         162
        .size:           2
        .value_kind:     hidden_remainder_x
      - .offset:         164
        .size:           2
        .value_kind:     hidden_remainder_y
      - .offset:         166
        .size:           2
        .value_kind:     hidden_remainder_z
      - .offset:         184
        .size:           8
        .value_kind:     hidden_global_offset_x
      - .offset:         192
        .size:           8
        .value_kind:     hidden_global_offset_y
      - .offset:         200
        .size:           8
        .value_kind:     hidden_global_offset_z
      - .offset:         208
        .size:           2
        .value_kind:     hidden_grid_dims
      - .offset:         224
        .size:           8
        .value_kind:     hidden_hostcall_buffer
    .group_segment_fixed_size: 0
    .kernarg_segment_align: 8
    .kernarg_segment_size: 400
    .language:       OpenCL C
    .language_version:
      - 2
      - 0
    .max_flat_workgroup_size: 256
    .name:           _Z39paged_attention_ll4mi_QKV_mfma16_kernelIDF16_hLN4vllm18Fp8KVCacheDataTypeE1EhLi32ELi128ELi256ELb0ELi2EEvPKT_PKT0_S7_ifPKiS9_S9_iPKfiiiPfSC_PS2_PT2_iSB_SB_
    .private_segment_fixed_size: 64
    .sgpr_count:     36
    .sgpr_spill_count: 0
    .symbol:         _Z39paged_attention_ll4mi_QKV_mfma16_kernelIDF16_hLN4vllm18Fp8KVCacheDataTypeE1EhLi32ELi128ELi256ELb0ELi2EEvPKT_PKT0_S7_ifPKiS9_S9_iPKfiiiPfSC_PS2_PT2_iSB_SB_.kd
    .uniform_work_group_size: 1
    .uses_dynamic_stack: false
    .vgpr_count:     51
    .vgpr_spill_count: 0
    .wavefront_size: 32
  - .args:
      - .actual_access:  read_only
        .address_space:  global
        .offset:         0
        .size:           8
        .value_kind:     global_buffer
      - .actual_access:  read_only
        .address_space:  global
        .offset:         8
        .size:           8
        .value_kind:     global_buffer
      - .actual_access:  read_only
        .address_space:  global
        .offset:         16
        .size:           8
        .value_kind:     global_buffer
      - .offset:         24
        .size:           4
        .value_kind:     by_value
      - .offset:         28
        .size:           4
        .value_kind:     by_value
      - .actual_access:  read_only
        .address_space:  global
        .offset:         32
        .size:           8
        .value_kind:     global_buffer
      - .actual_access:  read_only
        .address_space:  global
        .offset:         40
        .size:           8
        .value_kind:     global_buffer
      - .actual_access:  read_only
        .address_space:  global
        .offset:         48
        .size:           8
        .value_kind:     global_buffer
      - .offset:         56
        .size:           4
        .value_kind:     by_value
      - .actual_access:  read_only
        .address_space:  global
        .offset:         64
        .size:           8
        .value_kind:     global_buffer
      - .offset:         72
        .size:           4
        .value_kind:     by_value
      - .offset:         76
        .size:           4
        .value_kind:     by_value
      - .offset:         80
        .size:           4
        .value_kind:     by_value
      - .actual_access:  read_only
        .address_space:  global
        .offset:         88
        .size:           8
        .value_kind:     global_buffer
      - .actual_access:  read_only
        .address_space:  global
        .offset:         96
        .size:           8
        .value_kind:     global_buffer
      - .actual_access:  read_only
        .address_space:  global
        .offset:         104
        .size:           8
        .value_kind:     global_buffer
      - .actual_access:  read_only
        .address_space:  global
        .offset:         112
        .size:           8
        .value_kind:     global_buffer
      - .offset:         120
        .size:           4
        .value_kind:     by_value
      - .address_space:  global
        .offset:         128
        .size:           8
        .value_kind:     global_buffer
      - .address_space:  global
        .offset:         136
        .size:           8
        .value_kind:     global_buffer
      - .offset:         144
        .size:           4
        .value_kind:     hidden_block_count_x
      - .offset:         148
        .size:           4
        .value_kind:     hidden_block_count_y
      - .offset:         152
        .size:           4
        .value_kind:     hidden_block_count_z
      - .offset:         156
        .size:           2
        .value_kind:     hidden_group_size_x
      - .offset:         158
        .size:           2
        .value_kind:     hidden_group_size_y
      - .offset:         160
        .size:           2
        .value_kind:     hidden_group_size_z
      - .offset:         162
        .size:           2
        .value_kind:     hidden_remainder_x
      - .offset:         164
        .size:           2
        .value_kind:     hidden_remainder_y
      - .offset:         166
        .size:           2
        .value_kind:     hidden_remainder_z
      - .offset:         184
        .size:           8
        .value_kind:     hidden_global_offset_x
      - .offset:         192
        .size:           8
        .value_kind:     hidden_global_offset_y
      - .offset:         200
        .size:           8
        .value_kind:     hidden_global_offset_z
      - .offset:         208
        .size:           2
        .value_kind:     hidden_grid_dims
      - .offset:         224
        .size:           8
        .value_kind:     hidden_hostcall_buffer
    .group_segment_fixed_size: 0
    .kernarg_segment_align: 8
    .kernarg_segment_size: 400
    .language:       OpenCL C
    .language_version:
      - 2
      - 0
    .max_flat_workgroup_size: 256
    .name:           _Z39paged_attention_ll4mi_QKV_mfma16_kernelIDF16_hLN4vllm18Fp8KVCacheDataTypeE1EhLi32ELi128ELi256ELb0ELi3EEvPKT_PKT0_S7_ifPKiS9_S9_iPKfiiiPfSC_PS2_PT2_iSB_SB_
    .private_segment_fixed_size: 64
    .sgpr_count:     36
    .sgpr_spill_count: 0
    .symbol:         _Z39paged_attention_ll4mi_QKV_mfma16_kernelIDF16_hLN4vllm18Fp8KVCacheDataTypeE1EhLi32ELi128ELi256ELb0ELi3EEvPKT_PKT0_S7_ifPKiS9_S9_iPKfiiiPfSC_PS2_PT2_iSB_SB_.kd
    .uniform_work_group_size: 1
    .uses_dynamic_stack: false
    .vgpr_count:     51
    .vgpr_spill_count: 0
    .wavefront_size: 32
  - .args:
      - .actual_access:  read_only
        .address_space:  global
        .offset:         0
        .size:           8
        .value_kind:     global_buffer
      - .actual_access:  read_only
        .address_space:  global
        .offset:         8
        .size:           8
        .value_kind:     global_buffer
      - .actual_access:  read_only
        .address_space:  global
        .offset:         16
        .size:           8
        .value_kind:     global_buffer
      - .offset:         24
        .size:           4
        .value_kind:     by_value
      - .offset:         28
        .size:           4
        .value_kind:     by_value
      - .actual_access:  read_only
        .address_space:  global
        .offset:         32
        .size:           8
        .value_kind:     global_buffer
      - .actual_access:  read_only
        .address_space:  global
        .offset:         40
        .size:           8
        .value_kind:     global_buffer
      - .actual_access:  read_only
        .address_space:  global
        .offset:         48
        .size:           8
        .value_kind:     global_buffer
      - .offset:         56
        .size:           4
        .value_kind:     by_value
      - .actual_access:  read_only
        .address_space:  global
        .offset:         64
        .size:           8
        .value_kind:     global_buffer
      - .offset:         72
        .size:           4
        .value_kind:     by_value
      - .offset:         76
        .size:           4
        .value_kind:     by_value
      - .offset:         80
        .size:           4
        .value_kind:     by_value
      - .actual_access:  read_only
        .address_space:  global
        .offset:         88
        .size:           8
        .value_kind:     global_buffer
      - .actual_access:  read_only
        .address_space:  global
        .offset:         96
        .size:           8
        .value_kind:     global_buffer
      - .actual_access:  read_only
        .address_space:  global
        .offset:         104
        .size:           8
        .value_kind:     global_buffer
      - .actual_access:  read_only
        .address_space:  global
        .offset:         112
        .size:           8
        .value_kind:     global_buffer
      - .offset:         120
        .size:           4
        .value_kind:     by_value
      - .address_space:  global
        .offset:         128
        .size:           8
        .value_kind:     global_buffer
      - .address_space:  global
        .offset:         136
        .size:           8
        .value_kind:     global_buffer
      - .offset:         144
        .size:           4
        .value_kind:     hidden_block_count_x
      - .offset:         148
        .size:           4
        .value_kind:     hidden_block_count_y
      - .offset:         152
        .size:           4
        .value_kind:     hidden_block_count_z
      - .offset:         156
        .size:           2
        .value_kind:     hidden_group_size_x
      - .offset:         158
        .size:           2
        .value_kind:     hidden_group_size_y
      - .offset:         160
        .size:           2
        .value_kind:     hidden_group_size_z
      - .offset:         162
        .size:           2
        .value_kind:     hidden_remainder_x
      - .offset:         164
        .size:           2
        .value_kind:     hidden_remainder_y
      - .offset:         166
        .size:           2
        .value_kind:     hidden_remainder_z
      - .offset:         184
        .size:           8
        .value_kind:     hidden_global_offset_x
      - .offset:         192
        .size:           8
        .value_kind:     hidden_global_offset_y
      - .offset:         200
        .size:           8
        .value_kind:     hidden_global_offset_z
      - .offset:         208
        .size:           2
        .value_kind:     hidden_grid_dims
      - .offset:         224
        .size:           8
        .value_kind:     hidden_hostcall_buffer
    .group_segment_fixed_size: 0
    .kernarg_segment_align: 8
    .kernarg_segment_size: 400
    .language:       OpenCL C
    .language_version:
      - 2
      - 0
    .max_flat_workgroup_size: 256
    .name:           _Z39paged_attention_ll4mi_QKV_mfma16_kernelIDF16_hLN4vllm18Fp8KVCacheDataTypeE1EhLi32ELi128ELi256ELb0ELi4EEvPKT_PKT0_S7_ifPKiS9_S9_iPKfiiiPfSC_PS2_PT2_iSB_SB_
    .private_segment_fixed_size: 64
    .sgpr_count:     36
    .sgpr_spill_count: 0
    .symbol:         _Z39paged_attention_ll4mi_QKV_mfma16_kernelIDF16_hLN4vllm18Fp8KVCacheDataTypeE1EhLi32ELi128ELi256ELb0ELi4EEvPKT_PKT0_S7_ifPKiS9_S9_iPKfiiiPfSC_PS2_PT2_iSB_SB_.kd
    .uniform_work_group_size: 1
    .uses_dynamic_stack: false
    .vgpr_count:     51
    .vgpr_spill_count: 0
    .wavefront_size: 32
  - .args:
      - .actual_access:  read_only
        .address_space:  global
        .offset:         0
        .size:           8
        .value_kind:     global_buffer
      - .actual_access:  read_only
        .address_space:  global
        .offset:         8
        .size:           8
        .value_kind:     global_buffer
      - .actual_access:  read_only
        .address_space:  global
        .offset:         16
        .size:           8
        .value_kind:     global_buffer
      - .offset:         24
        .size:           4
        .value_kind:     by_value
      - .offset:         28
        .size:           4
        .value_kind:     by_value
      - .actual_access:  read_only
        .address_space:  global
        .offset:         32
        .size:           8
        .value_kind:     global_buffer
      - .actual_access:  read_only
        .address_space:  global
        .offset:         40
        .size:           8
        .value_kind:     global_buffer
      - .actual_access:  read_only
        .address_space:  global
        .offset:         48
        .size:           8
        .value_kind:     global_buffer
      - .offset:         56
        .size:           4
        .value_kind:     by_value
      - .actual_access:  read_only
        .address_space:  global
        .offset:         64
        .size:           8
        .value_kind:     global_buffer
      - .offset:         72
        .size:           4
        .value_kind:     by_value
      - .offset:         76
        .size:           4
        .value_kind:     by_value
      - .offset:         80
        .size:           4
        .value_kind:     by_value
      - .actual_access:  read_only
        .address_space:  global
        .offset:         88
        .size:           8
        .value_kind:     global_buffer
      - .actual_access:  read_only
        .address_space:  global
        .offset:         96
        .size:           8
        .value_kind:     global_buffer
      - .actual_access:  read_only
        .address_space:  global
        .offset:         104
        .size:           8
        .value_kind:     global_buffer
      - .actual_access:  read_only
        .address_space:  global
        .offset:         112
        .size:           8
        .value_kind:     global_buffer
      - .offset:         120
        .size:           4
        .value_kind:     by_value
      - .address_space:  global
        .offset:         128
        .size:           8
        .value_kind:     global_buffer
      - .address_space:  global
        .offset:         136
        .size:           8
        .value_kind:     global_buffer
      - .offset:         144
        .size:           4
        .value_kind:     hidden_block_count_x
      - .offset:         148
        .size:           4
        .value_kind:     hidden_block_count_y
      - .offset:         152
        .size:           4
        .value_kind:     hidden_block_count_z
      - .offset:         156
        .size:           2
        .value_kind:     hidden_group_size_x
      - .offset:         158
        .size:           2
        .value_kind:     hidden_group_size_y
      - .offset:         160
        .size:           2
        .value_kind:     hidden_group_size_z
      - .offset:         162
        .size:           2
        .value_kind:     hidden_remainder_x
      - .offset:         164
        .size:           2
        .value_kind:     hidden_remainder_y
      - .offset:         166
        .size:           2
        .value_kind:     hidden_remainder_z
      - .offset:         184
        .size:           8
        .value_kind:     hidden_global_offset_x
      - .offset:         192
        .size:           8
        .value_kind:     hidden_global_offset_y
      - .offset:         200
        .size:           8
        .value_kind:     hidden_global_offset_z
      - .offset:         208
        .size:           2
        .value_kind:     hidden_grid_dims
      - .offset:         224
        .size:           8
        .value_kind:     hidden_hostcall_buffer
    .group_segment_fixed_size: 0
    .kernarg_segment_align: 8
    .kernarg_segment_size: 400
    .language:       OpenCL C
    .language_version:
      - 2
      - 0
    .max_flat_workgroup_size: 256
    .name:           _Z38paged_attention_ll4mi_QKV_mfma4_kernelIDF16_hLN4vllm18Fp8KVCacheDataTypeE1EDF16_Li32ELi128ELi256ELb1ELi1EEvPKT_PKT0_S7_ifPKiS9_S9_iPKfiiiPfSC_PS2_PT2_iSB_SB_
    .private_segment_fixed_size: 64
    .sgpr_count:     36
    .sgpr_spill_count: 0
    .symbol:         _Z38paged_attention_ll4mi_QKV_mfma4_kernelIDF16_hLN4vllm18Fp8KVCacheDataTypeE1EDF16_Li32ELi128ELi256ELb1ELi1EEvPKT_PKT0_S7_ifPKiS9_S9_iPKfiiiPfSC_PS2_PT2_iSB_SB_.kd
    .uniform_work_group_size: 1
    .uses_dynamic_stack: false
    .vgpr_count:     51
    .vgpr_spill_count: 0
    .wavefront_size: 32
  - .args:
      - .actual_access:  read_only
        .address_space:  global
        .offset:         0
        .size:           8
        .value_kind:     global_buffer
      - .actual_access:  read_only
        .address_space:  global
        .offset:         8
        .size:           8
        .value_kind:     global_buffer
      - .actual_access:  read_only
        .address_space:  global
        .offset:         16
        .size:           8
        .value_kind:     global_buffer
      - .offset:         24
        .size:           4
        .value_kind:     by_value
      - .offset:         28
        .size:           4
        .value_kind:     by_value
      - .actual_access:  read_only
        .address_space:  global
        .offset:         32
        .size:           8
        .value_kind:     global_buffer
      - .actual_access:  read_only
        .address_space:  global
        .offset:         40
        .size:           8
        .value_kind:     global_buffer
      - .actual_access:  read_only
        .address_space:  global
        .offset:         48
        .size:           8
        .value_kind:     global_buffer
      - .offset:         56
        .size:           4
        .value_kind:     by_value
      - .actual_access:  read_only
        .address_space:  global
        .offset:         64
        .size:           8
        .value_kind:     global_buffer
      - .offset:         72
        .size:           4
        .value_kind:     by_value
      - .offset:         76
        .size:           4
        .value_kind:     by_value
      - .offset:         80
        .size:           4
        .value_kind:     by_value
      - .actual_access:  read_only
        .address_space:  global
        .offset:         88
        .size:           8
        .value_kind:     global_buffer
      - .actual_access:  read_only
        .address_space:  global
        .offset:         96
        .size:           8
        .value_kind:     global_buffer
      - .actual_access:  read_only
        .address_space:  global
        .offset:         104
        .size:           8
        .value_kind:     global_buffer
      - .actual_access:  read_only
        .address_space:  global
        .offset:         112
        .size:           8
        .value_kind:     global_buffer
      - .offset:         120
        .size:           4
        .value_kind:     by_value
      - .address_space:  global
        .offset:         128
        .size:           8
        .value_kind:     global_buffer
      - .address_space:  global
        .offset:         136
        .size:           8
        .value_kind:     global_buffer
      - .offset:         144
        .size:           4
        .value_kind:     hidden_block_count_x
      - .offset:         148
        .size:           4
        .value_kind:     hidden_block_count_y
      - .offset:         152
        .size:           4
        .value_kind:     hidden_block_count_z
      - .offset:         156
        .size:           2
        .value_kind:     hidden_group_size_x
      - .offset:         158
        .size:           2
        .value_kind:     hidden_group_size_y
      - .offset:         160
        .size:           2
        .value_kind:     hidden_group_size_z
      - .offset:         162
        .size:           2
        .value_kind:     hidden_remainder_x
      - .offset:         164
        .size:           2
        .value_kind:     hidden_remainder_y
      - .offset:         166
        .size:           2
        .value_kind:     hidden_remainder_z
      - .offset:         184
        .size:           8
        .value_kind:     hidden_global_offset_x
      - .offset:         192
        .size:           8
        .value_kind:     hidden_global_offset_y
      - .offset:         200
        .size:           8
        .value_kind:     hidden_global_offset_z
      - .offset:         208
        .size:           2
        .value_kind:     hidden_grid_dims
      - .offset:         224
        .size:           8
        .value_kind:     hidden_hostcall_buffer
    .group_segment_fixed_size: 0
    .kernarg_segment_align: 8
    .kernarg_segment_size: 400
    .language:       OpenCL C
    .language_version:
      - 2
      - 0
    .max_flat_workgroup_size: 256
    .name:           _Z38paged_attention_ll4mi_QKV_mfma4_kernelIDF16_hLN4vllm18Fp8KVCacheDataTypeE1EDF16_Li32ELi128ELi256ELb1ELi2EEvPKT_PKT0_S7_ifPKiS9_S9_iPKfiiiPfSC_PS2_PT2_iSB_SB_
    .private_segment_fixed_size: 64
    .sgpr_count:     36
    .sgpr_spill_count: 0
    .symbol:         _Z38paged_attention_ll4mi_QKV_mfma4_kernelIDF16_hLN4vllm18Fp8KVCacheDataTypeE1EDF16_Li32ELi128ELi256ELb1ELi2EEvPKT_PKT0_S7_ifPKiS9_S9_iPKfiiiPfSC_PS2_PT2_iSB_SB_.kd
    .uniform_work_group_size: 1
    .uses_dynamic_stack: false
    .vgpr_count:     51
    .vgpr_spill_count: 0
    .wavefront_size: 32
  - .args:
      - .actual_access:  read_only
        .address_space:  global
        .offset:         0
        .size:           8
        .value_kind:     global_buffer
      - .actual_access:  read_only
        .address_space:  global
        .offset:         8
        .size:           8
        .value_kind:     global_buffer
      - .actual_access:  read_only
        .address_space:  global
        .offset:         16
        .size:           8
        .value_kind:     global_buffer
      - .offset:         24
        .size:           4
        .value_kind:     by_value
      - .offset:         28
        .size:           4
        .value_kind:     by_value
      - .actual_access:  read_only
        .address_space:  global
        .offset:         32
        .size:           8
        .value_kind:     global_buffer
      - .actual_access:  read_only
        .address_space:  global
        .offset:         40
        .size:           8
        .value_kind:     global_buffer
      - .actual_access:  read_only
        .address_space:  global
        .offset:         48
        .size:           8
        .value_kind:     global_buffer
      - .offset:         56
        .size:           4
        .value_kind:     by_value
      - .actual_access:  read_only
        .address_space:  global
        .offset:         64
        .size:           8
        .value_kind:     global_buffer
      - .offset:         72
        .size:           4
        .value_kind:     by_value
      - .offset:         76
        .size:           4
        .value_kind:     by_value
      - .offset:         80
        .size:           4
        .value_kind:     by_value
      - .actual_access:  read_only
        .address_space:  global
        .offset:         88
        .size:           8
        .value_kind:     global_buffer
      - .actual_access:  read_only
        .address_space:  global
        .offset:         96
        .size:           8
        .value_kind:     global_buffer
      - .actual_access:  read_only
        .address_space:  global
        .offset:         104
        .size:           8
        .value_kind:     global_buffer
      - .actual_access:  read_only
        .address_space:  global
        .offset:         112
        .size:           8
        .value_kind:     global_buffer
      - .offset:         120
        .size:           4
        .value_kind:     by_value
      - .address_space:  global
        .offset:         128
        .size:           8
        .value_kind:     global_buffer
      - .address_space:  global
        .offset:         136
        .size:           8
        .value_kind:     global_buffer
      - .offset:         144
        .size:           4
        .value_kind:     hidden_block_count_x
      - .offset:         148
        .size:           4
        .value_kind:     hidden_block_count_y
      - .offset:         152
        .size:           4
        .value_kind:     hidden_block_count_z
      - .offset:         156
        .size:           2
        .value_kind:     hidden_group_size_x
      - .offset:         158
        .size:           2
        .value_kind:     hidden_group_size_y
      - .offset:         160
        .size:           2
        .value_kind:     hidden_group_size_z
      - .offset:         162
        .size:           2
        .value_kind:     hidden_remainder_x
      - .offset:         164
        .size:           2
        .value_kind:     hidden_remainder_y
      - .offset:         166
        .size:           2
        .value_kind:     hidden_remainder_z
      - .offset:         184
        .size:           8
        .value_kind:     hidden_global_offset_x
      - .offset:         192
        .size:           8
        .value_kind:     hidden_global_offset_y
      - .offset:         200
        .size:           8
        .value_kind:     hidden_global_offset_z
      - .offset:         208
        .size:           2
        .value_kind:     hidden_grid_dims
      - .offset:         224
        .size:           8
        .value_kind:     hidden_hostcall_buffer
    .group_segment_fixed_size: 0
    .kernarg_segment_align: 8
    .kernarg_segment_size: 400
    .language:       OpenCL C
    .language_version:
      - 2
      - 0
    .max_flat_workgroup_size: 256
    .name:           _Z38paged_attention_ll4mi_QKV_mfma4_kernelIDF16_hLN4vllm18Fp8KVCacheDataTypeE1EDF16_Li32ELi128ELi256ELb1ELi3EEvPKT_PKT0_S7_ifPKiS9_S9_iPKfiiiPfSC_PS2_PT2_iSB_SB_
    .private_segment_fixed_size: 64
    .sgpr_count:     36
    .sgpr_spill_count: 0
    .symbol:         _Z38paged_attention_ll4mi_QKV_mfma4_kernelIDF16_hLN4vllm18Fp8KVCacheDataTypeE1EDF16_Li32ELi128ELi256ELb1ELi3EEvPKT_PKT0_S7_ifPKiS9_S9_iPKfiiiPfSC_PS2_PT2_iSB_SB_.kd
    .uniform_work_group_size: 1
    .uses_dynamic_stack: false
    .vgpr_count:     51
    .vgpr_spill_count: 0
    .wavefront_size: 32
  - .args:
      - .actual_access:  read_only
        .address_space:  global
        .offset:         0
        .size:           8
        .value_kind:     global_buffer
      - .actual_access:  read_only
        .address_space:  global
        .offset:         8
        .size:           8
        .value_kind:     global_buffer
      - .actual_access:  read_only
        .address_space:  global
        .offset:         16
        .size:           8
        .value_kind:     global_buffer
      - .offset:         24
        .size:           4
        .value_kind:     by_value
      - .offset:         28
        .size:           4
        .value_kind:     by_value
      - .actual_access:  read_only
        .address_space:  global
        .offset:         32
        .size:           8
        .value_kind:     global_buffer
      - .actual_access:  read_only
        .address_space:  global
        .offset:         40
        .size:           8
        .value_kind:     global_buffer
      - .actual_access:  read_only
        .address_space:  global
        .offset:         48
        .size:           8
        .value_kind:     global_buffer
      - .offset:         56
        .size:           4
        .value_kind:     by_value
      - .actual_access:  read_only
        .address_space:  global
        .offset:         64
        .size:           8
        .value_kind:     global_buffer
      - .offset:         72
        .size:           4
        .value_kind:     by_value
      - .offset:         76
        .size:           4
        .value_kind:     by_value
      - .offset:         80
        .size:           4
        .value_kind:     by_value
      - .actual_access:  read_only
        .address_space:  global
        .offset:         88
        .size:           8
        .value_kind:     global_buffer
      - .actual_access:  read_only
        .address_space:  global
        .offset:         96
        .size:           8
        .value_kind:     global_buffer
      - .actual_access:  read_only
        .address_space:  global
        .offset:         104
        .size:           8
        .value_kind:     global_buffer
      - .actual_access:  read_only
        .address_space:  global
        .offset:         112
        .size:           8
        .value_kind:     global_buffer
      - .offset:         120
        .size:           4
        .value_kind:     by_value
      - .address_space:  global
        .offset:         128
        .size:           8
        .value_kind:     global_buffer
      - .address_space:  global
        .offset:         136
        .size:           8
        .value_kind:     global_buffer
      - .offset:         144
        .size:           4
        .value_kind:     hidden_block_count_x
      - .offset:         148
        .size:           4
        .value_kind:     hidden_block_count_y
      - .offset:         152
        .size:           4
        .value_kind:     hidden_block_count_z
      - .offset:         156
        .size:           2
        .value_kind:     hidden_group_size_x
      - .offset:         158
        .size:           2
        .value_kind:     hidden_group_size_y
      - .offset:         160
        .size:           2
        .value_kind:     hidden_group_size_z
      - .offset:         162
        .size:           2
        .value_kind:     hidden_remainder_x
      - .offset:         164
        .size:           2
        .value_kind:     hidden_remainder_y
      - .offset:         166
        .size:           2
        .value_kind:     hidden_remainder_z
      - .offset:         184
        .size:           8
        .value_kind:     hidden_global_offset_x
      - .offset:         192
        .size:           8
        .value_kind:     hidden_global_offset_y
      - .offset:         200
        .size:           8
        .value_kind:     hidden_global_offset_z
      - .offset:         208
        .size:           2
        .value_kind:     hidden_grid_dims
      - .offset:         224
        .size:           8
        .value_kind:     hidden_hostcall_buffer
    .group_segment_fixed_size: 0
    .kernarg_segment_align: 8
    .kernarg_segment_size: 400
    .language:       OpenCL C
    .language_version:
      - 2
      - 0
    .max_flat_workgroup_size: 256
    .name:           _Z38paged_attention_ll4mi_QKV_mfma4_kernelIDF16_hLN4vllm18Fp8KVCacheDataTypeE1EDF16_Li32ELi128ELi256ELb1ELi4EEvPKT_PKT0_S7_ifPKiS9_S9_iPKfiiiPfSC_PS2_PT2_iSB_SB_
    .private_segment_fixed_size: 64
    .sgpr_count:     36
    .sgpr_spill_count: 0
    .symbol:         _Z38paged_attention_ll4mi_QKV_mfma4_kernelIDF16_hLN4vllm18Fp8KVCacheDataTypeE1EDF16_Li32ELi128ELi256ELb1ELi4EEvPKT_PKT0_S7_ifPKiS9_S9_iPKfiiiPfSC_PS2_PT2_iSB_SB_.kd
    .uniform_work_group_size: 1
    .uses_dynamic_stack: false
    .vgpr_count:     51
    .vgpr_spill_count: 0
    .wavefront_size: 32
  - .args:
      - .actual_access:  read_only
        .address_space:  global
        .offset:         0
        .size:           8
        .value_kind:     global_buffer
      - .actual_access:  read_only
        .address_space:  global
        .offset:         8
        .size:           8
        .value_kind:     global_buffer
      - .actual_access:  read_only
        .address_space:  global
        .offset:         16
        .size:           8
        .value_kind:     global_buffer
      - .offset:         24
        .size:           4
        .value_kind:     by_value
      - .offset:         28
        .size:           4
        .value_kind:     by_value
      - .actual_access:  read_only
        .address_space:  global
        .offset:         32
        .size:           8
        .value_kind:     global_buffer
      - .actual_access:  read_only
        .address_space:  global
        .offset:         40
        .size:           8
        .value_kind:     global_buffer
      - .actual_access:  read_only
        .address_space:  global
        .offset:         48
        .size:           8
        .value_kind:     global_buffer
      - .offset:         56
        .size:           4
        .value_kind:     by_value
      - .actual_access:  read_only
        .address_space:  global
        .offset:         64
        .size:           8
        .value_kind:     global_buffer
      - .offset:         72
        .size:           4
        .value_kind:     by_value
      - .offset:         76
        .size:           4
        .value_kind:     by_value
      - .offset:         80
        .size:           4
        .value_kind:     by_value
      - .actual_access:  read_only
        .address_space:  global
        .offset:         88
        .size:           8
        .value_kind:     global_buffer
      - .actual_access:  read_only
        .address_space:  global
        .offset:         96
        .size:           8
        .value_kind:     global_buffer
      - .actual_access:  read_only
        .address_space:  global
        .offset:         104
        .size:           8
        .value_kind:     global_buffer
      - .actual_access:  read_only
        .address_space:  global
        .offset:         112
        .size:           8
        .value_kind:     global_buffer
      - .offset:         120
        .size:           4
        .value_kind:     by_value
      - .address_space:  global
        .offset:         128
        .size:           8
        .value_kind:     global_buffer
      - .address_space:  global
        .offset:         136
        .size:           8
        .value_kind:     global_buffer
      - .offset:         144
        .size:           4
        .value_kind:     hidden_block_count_x
      - .offset:         148
        .size:           4
        .value_kind:     hidden_block_count_y
      - .offset:         152
        .size:           4
        .value_kind:     hidden_block_count_z
      - .offset:         156
        .size:           2
        .value_kind:     hidden_group_size_x
      - .offset:         158
        .size:           2
        .value_kind:     hidden_group_size_y
      - .offset:         160
        .size:           2
        .value_kind:     hidden_group_size_z
      - .offset:         162
        .size:           2
        .value_kind:     hidden_remainder_x
      - .offset:         164
        .size:           2
        .value_kind:     hidden_remainder_y
      - .offset:         166
        .size:           2
        .value_kind:     hidden_remainder_z
      - .offset:         184
        .size:           8
        .value_kind:     hidden_global_offset_x
      - .offset:         192
        .size:           8
        .value_kind:     hidden_global_offset_y
      - .offset:         200
        .size:           8
        .value_kind:     hidden_global_offset_z
      - .offset:         208
        .size:           2
        .value_kind:     hidden_grid_dims
      - .offset:         224
        .size:           8
        .value_kind:     hidden_hostcall_buffer
    .group_segment_fixed_size: 0
    .kernarg_segment_align: 8
    .kernarg_segment_size: 400
    .language:       OpenCL C
    .language_version:
      - 2
      - 0
    .max_flat_workgroup_size: 256
    .name:           _Z39paged_attention_ll4mi_QKV_mfma16_kernelIDF16_hLN4vllm18Fp8KVCacheDataTypeE1EDF16_Li32ELi128ELi256ELb1ELi5EEvPKT_PKT0_S7_ifPKiS9_S9_iPKfiiiPfSC_PS2_PT2_iSB_SB_
    .private_segment_fixed_size: 64
    .sgpr_count:     36
    .sgpr_spill_count: 0
    .symbol:         _Z39paged_attention_ll4mi_QKV_mfma16_kernelIDF16_hLN4vllm18Fp8KVCacheDataTypeE1EDF16_Li32ELi128ELi256ELb1ELi5EEvPKT_PKT0_S7_ifPKiS9_S9_iPKfiiiPfSC_PS2_PT2_iSB_SB_.kd
    .uniform_work_group_size: 1
    .uses_dynamic_stack: false
    .vgpr_count:     51
    .vgpr_spill_count: 0
    .wavefront_size: 32
  - .args:
      - .actual_access:  read_only
        .address_space:  global
        .offset:         0
        .size:           8
        .value_kind:     global_buffer
      - .actual_access:  read_only
        .address_space:  global
        .offset:         8
        .size:           8
        .value_kind:     global_buffer
      - .actual_access:  read_only
        .address_space:  global
        .offset:         16
        .size:           8
        .value_kind:     global_buffer
      - .offset:         24
        .size:           4
        .value_kind:     by_value
      - .offset:         28
        .size:           4
        .value_kind:     by_value
      - .actual_access:  read_only
        .address_space:  global
        .offset:         32
        .size:           8
        .value_kind:     global_buffer
      - .actual_access:  read_only
        .address_space:  global
        .offset:         40
        .size:           8
        .value_kind:     global_buffer
      - .actual_access:  read_only
        .address_space:  global
        .offset:         48
        .size:           8
        .value_kind:     global_buffer
      - .offset:         56
        .size:           4
        .value_kind:     by_value
      - .actual_access:  read_only
        .address_space:  global
        .offset:         64
        .size:           8
        .value_kind:     global_buffer
      - .offset:         72
        .size:           4
        .value_kind:     by_value
      - .offset:         76
        .size:           4
        .value_kind:     by_value
      - .offset:         80
        .size:           4
        .value_kind:     by_value
      - .actual_access:  read_only
        .address_space:  global
        .offset:         88
        .size:           8
        .value_kind:     global_buffer
      - .actual_access:  read_only
        .address_space:  global
        .offset:         96
        .size:           8
        .value_kind:     global_buffer
      - .actual_access:  read_only
        .address_space:  global
        .offset:         104
        .size:           8
        .value_kind:     global_buffer
      - .actual_access:  read_only
        .address_space:  global
        .offset:         112
        .size:           8
        .value_kind:     global_buffer
      - .offset:         120
        .size:           4
        .value_kind:     by_value
      - .address_space:  global
        .offset:         128
        .size:           8
        .value_kind:     global_buffer
      - .address_space:  global
        .offset:         136
        .size:           8
        .value_kind:     global_buffer
      - .offset:         144
        .size:           4
        .value_kind:     hidden_block_count_x
      - .offset:         148
        .size:           4
        .value_kind:     hidden_block_count_y
      - .offset:         152
        .size:           4
        .value_kind:     hidden_block_count_z
      - .offset:         156
        .size:           2
        .value_kind:     hidden_group_size_x
      - .offset:         158
        .size:           2
        .value_kind:     hidden_group_size_y
      - .offset:         160
        .size:           2
        .value_kind:     hidden_group_size_z
      - .offset:         162
        .size:           2
        .value_kind:     hidden_remainder_x
      - .offset:         164
        .size:           2
        .value_kind:     hidden_remainder_y
      - .offset:         166
        .size:           2
        .value_kind:     hidden_remainder_z
      - .offset:         184
        .size:           8
        .value_kind:     hidden_global_offset_x
      - .offset:         192
        .size:           8
        .value_kind:     hidden_global_offset_y
      - .offset:         200
        .size:           8
        .value_kind:     hidden_global_offset_z
      - .offset:         208
        .size:           2
        .value_kind:     hidden_grid_dims
      - .offset:         224
        .size:           8
        .value_kind:     hidden_hostcall_buffer
    .group_segment_fixed_size: 0
    .kernarg_segment_align: 8
    .kernarg_segment_size: 400
    .language:       OpenCL C
    .language_version:
      - 2
      - 0
    .max_flat_workgroup_size: 256
    .name:           _Z39paged_attention_ll4mi_QKV_mfma16_kernelIDF16_hLN4vllm18Fp8KVCacheDataTypeE1EDF16_Li32ELi128ELi256ELb1ELi6EEvPKT_PKT0_S7_ifPKiS9_S9_iPKfiiiPfSC_PS2_PT2_iSB_SB_
    .private_segment_fixed_size: 64
    .sgpr_count:     36
    .sgpr_spill_count: 0
    .symbol:         _Z39paged_attention_ll4mi_QKV_mfma16_kernelIDF16_hLN4vllm18Fp8KVCacheDataTypeE1EDF16_Li32ELi128ELi256ELb1ELi6EEvPKT_PKT0_S7_ifPKiS9_S9_iPKfiiiPfSC_PS2_PT2_iSB_SB_.kd
    .uniform_work_group_size: 1
    .uses_dynamic_stack: false
    .vgpr_count:     51
    .vgpr_spill_count: 0
    .wavefront_size: 32
  - .args:
      - .actual_access:  read_only
        .address_space:  global
        .offset:         0
        .size:           8
        .value_kind:     global_buffer
      - .actual_access:  read_only
        .address_space:  global
        .offset:         8
        .size:           8
        .value_kind:     global_buffer
      - .actual_access:  read_only
        .address_space:  global
        .offset:         16
        .size:           8
        .value_kind:     global_buffer
      - .offset:         24
        .size:           4
        .value_kind:     by_value
      - .offset:         28
        .size:           4
        .value_kind:     by_value
      - .actual_access:  read_only
        .address_space:  global
        .offset:         32
        .size:           8
        .value_kind:     global_buffer
      - .actual_access:  read_only
        .address_space:  global
        .offset:         40
        .size:           8
        .value_kind:     global_buffer
      - .actual_access:  read_only
        .address_space:  global
        .offset:         48
        .size:           8
        .value_kind:     global_buffer
      - .offset:         56
        .size:           4
        .value_kind:     by_value
      - .actual_access:  read_only
        .address_space:  global
        .offset:         64
        .size:           8
        .value_kind:     global_buffer
      - .offset:         72
        .size:           4
        .value_kind:     by_value
      - .offset:         76
        .size:           4
        .value_kind:     by_value
      - .offset:         80
        .size:           4
        .value_kind:     by_value
      - .actual_access:  read_only
        .address_space:  global
        .offset:         88
        .size:           8
        .value_kind:     global_buffer
      - .actual_access:  read_only
        .address_space:  global
        .offset:         96
        .size:           8
        .value_kind:     global_buffer
      - .actual_access:  read_only
        .address_space:  global
        .offset:         104
        .size:           8
        .value_kind:     global_buffer
      - .actual_access:  read_only
        .address_space:  global
        .offset:         112
        .size:           8
        .value_kind:     global_buffer
      - .offset:         120
        .size:           4
        .value_kind:     by_value
      - .address_space:  global
        .offset:         128
        .size:           8
        .value_kind:     global_buffer
      - .address_space:  global
        .offset:         136
        .size:           8
        .value_kind:     global_buffer
      - .offset:         144
        .size:           4
        .value_kind:     hidden_block_count_x
      - .offset:         148
        .size:           4
        .value_kind:     hidden_block_count_y
      - .offset:         152
        .size:           4
        .value_kind:     hidden_block_count_z
      - .offset:         156
        .size:           2
        .value_kind:     hidden_group_size_x
      - .offset:         158
        .size:           2
        .value_kind:     hidden_group_size_y
      - .offset:         160
        .size:           2
        .value_kind:     hidden_group_size_z
      - .offset:         162
        .size:           2
        .value_kind:     hidden_remainder_x
      - .offset:         164
        .size:           2
        .value_kind:     hidden_remainder_y
      - .offset:         166
        .size:           2
        .value_kind:     hidden_remainder_z
      - .offset:         184
        .size:           8
        .value_kind:     hidden_global_offset_x
      - .offset:         192
        .size:           8
        .value_kind:     hidden_global_offset_y
      - .offset:         200
        .size:           8
        .value_kind:     hidden_global_offset_z
      - .offset:         208
        .size:           2
        .value_kind:     hidden_grid_dims
      - .offset:         224
        .size:           8
        .value_kind:     hidden_hostcall_buffer
    .group_segment_fixed_size: 0
    .kernarg_segment_align: 8
    .kernarg_segment_size: 400
    .language:       OpenCL C
    .language_version:
      - 2
      - 0
    .max_flat_workgroup_size: 256
    .name:           _Z39paged_attention_ll4mi_QKV_mfma16_kernelIDF16_hLN4vllm18Fp8KVCacheDataTypeE1EDF16_Li32ELi128ELi256ELb1ELi7EEvPKT_PKT0_S7_ifPKiS9_S9_iPKfiiiPfSC_PS2_PT2_iSB_SB_
    .private_segment_fixed_size: 64
    .sgpr_count:     36
    .sgpr_spill_count: 0
    .symbol:         _Z39paged_attention_ll4mi_QKV_mfma16_kernelIDF16_hLN4vllm18Fp8KVCacheDataTypeE1EDF16_Li32ELi128ELi256ELb1ELi7EEvPKT_PKT0_S7_ifPKiS9_S9_iPKfiiiPfSC_PS2_PT2_iSB_SB_.kd
    .uniform_work_group_size: 1
    .uses_dynamic_stack: false
    .vgpr_count:     51
    .vgpr_spill_count: 0
    .wavefront_size: 32
  - .args:
      - .actual_access:  read_only
        .address_space:  global
        .offset:         0
        .size:           8
        .value_kind:     global_buffer
      - .actual_access:  read_only
        .address_space:  global
        .offset:         8
        .size:           8
        .value_kind:     global_buffer
      - .actual_access:  read_only
        .address_space:  global
        .offset:         16
        .size:           8
        .value_kind:     global_buffer
      - .offset:         24
        .size:           4
        .value_kind:     by_value
      - .offset:         28
        .size:           4
        .value_kind:     by_value
      - .actual_access:  read_only
        .address_space:  global
        .offset:         32
        .size:           8
        .value_kind:     global_buffer
      - .actual_access:  read_only
        .address_space:  global
        .offset:         40
        .size:           8
        .value_kind:     global_buffer
      - .actual_access:  read_only
        .address_space:  global
        .offset:         48
        .size:           8
        .value_kind:     global_buffer
      - .offset:         56
        .size:           4
        .value_kind:     by_value
      - .actual_access:  read_only
        .address_space:  global
        .offset:         64
        .size:           8
        .value_kind:     global_buffer
      - .offset:         72
        .size:           4
        .value_kind:     by_value
      - .offset:         76
        .size:           4
        .value_kind:     by_value
      - .offset:         80
        .size:           4
        .value_kind:     by_value
      - .actual_access:  read_only
        .address_space:  global
        .offset:         88
        .size:           8
        .value_kind:     global_buffer
      - .actual_access:  read_only
        .address_space:  global
        .offset:         96
        .size:           8
        .value_kind:     global_buffer
      - .actual_access:  read_only
        .address_space:  global
        .offset:         104
        .size:           8
        .value_kind:     global_buffer
      - .actual_access:  read_only
        .address_space:  global
        .offset:         112
        .size:           8
        .value_kind:     global_buffer
      - .offset:         120
        .size:           4
        .value_kind:     by_value
      - .address_space:  global
        .offset:         128
        .size:           8
        .value_kind:     global_buffer
      - .address_space:  global
        .offset:         136
        .size:           8
        .value_kind:     global_buffer
      - .offset:         144
        .size:           4
        .value_kind:     hidden_block_count_x
      - .offset:         148
        .size:           4
        .value_kind:     hidden_block_count_y
      - .offset:         152
        .size:           4
        .value_kind:     hidden_block_count_z
      - .offset:         156
        .size:           2
        .value_kind:     hidden_group_size_x
      - .offset:         158
        .size:           2
        .value_kind:     hidden_group_size_y
      - .offset:         160
        .size:           2
        .value_kind:     hidden_group_size_z
      - .offset:         162
        .size:           2
        .value_kind:     hidden_remainder_x
      - .offset:         164
        .size:           2
        .value_kind:     hidden_remainder_y
      - .offset:         166
        .size:           2
        .value_kind:     hidden_remainder_z
      - .offset:         184
        .size:           8
        .value_kind:     hidden_global_offset_x
      - .offset:         192
        .size:           8
        .value_kind:     hidden_global_offset_y
      - .offset:         200
        .size:           8
        .value_kind:     hidden_global_offset_z
      - .offset:         208
        .size:           2
        .value_kind:     hidden_grid_dims
      - .offset:         224
        .size:           8
        .value_kind:     hidden_hostcall_buffer
    .group_segment_fixed_size: 0
    .kernarg_segment_align: 8
    .kernarg_segment_size: 400
    .language:       OpenCL C
    .language_version:
      - 2
      - 0
    .max_flat_workgroup_size: 256
    .name:           _Z39paged_attention_ll4mi_QKV_mfma16_kernelIDF16_hLN4vllm18Fp8KVCacheDataTypeE1EDF16_Li32ELi128ELi256ELb1ELi8EEvPKT_PKT0_S7_ifPKiS9_S9_iPKfiiiPfSC_PS2_PT2_iSB_SB_
    .private_segment_fixed_size: 64
    .sgpr_count:     36
    .sgpr_spill_count: 0
    .symbol:         _Z39paged_attention_ll4mi_QKV_mfma16_kernelIDF16_hLN4vllm18Fp8KVCacheDataTypeE1EDF16_Li32ELi128ELi256ELb1ELi8EEvPKT_PKT0_S7_ifPKiS9_S9_iPKfiiiPfSC_PS2_PT2_iSB_SB_.kd
    .uniform_work_group_size: 1
    .uses_dynamic_stack: false
    .vgpr_count:     51
    .vgpr_spill_count: 0
    .wavefront_size: 32
  - .args:
      - .actual_access:  read_only
        .address_space:  global
        .offset:         0
        .size:           8
        .value_kind:     global_buffer
      - .actual_access:  read_only
        .address_space:  global
        .offset:         8
        .size:           8
        .value_kind:     global_buffer
      - .actual_access:  read_only
        .address_space:  global
        .offset:         16
        .size:           8
        .value_kind:     global_buffer
      - .offset:         24
        .size:           4
        .value_kind:     by_value
      - .offset:         28
        .size:           4
        .value_kind:     by_value
      - .actual_access:  read_only
        .address_space:  global
        .offset:         32
        .size:           8
        .value_kind:     global_buffer
      - .actual_access:  read_only
        .address_space:  global
        .offset:         40
        .size:           8
        .value_kind:     global_buffer
      - .actual_access:  read_only
        .address_space:  global
        .offset:         48
        .size:           8
        .value_kind:     global_buffer
      - .offset:         56
        .size:           4
        .value_kind:     by_value
      - .actual_access:  read_only
        .address_space:  global
        .offset:         64
        .size:           8
        .value_kind:     global_buffer
      - .offset:         72
        .size:           4
        .value_kind:     by_value
      - .offset:         76
        .size:           4
        .value_kind:     by_value
      - .offset:         80
        .size:           4
        .value_kind:     by_value
      - .actual_access:  read_only
        .address_space:  global
        .offset:         88
        .size:           8
        .value_kind:     global_buffer
      - .actual_access:  read_only
        .address_space:  global
        .offset:         96
        .size:           8
        .value_kind:     global_buffer
      - .actual_access:  read_only
        .address_space:  global
        .offset:         104
        .size:           8
        .value_kind:     global_buffer
      - .actual_access:  read_only
        .address_space:  global
        .offset:         112
        .size:           8
        .value_kind:     global_buffer
      - .offset:         120
        .size:           4
        .value_kind:     by_value
      - .address_space:  global
        .offset:         128
        .size:           8
        .value_kind:     global_buffer
      - .address_space:  global
        .offset:         136
        .size:           8
        .value_kind:     global_buffer
      - .offset:         144
        .size:           4
        .value_kind:     hidden_block_count_x
      - .offset:         148
        .size:           4
        .value_kind:     hidden_block_count_y
      - .offset:         152
        .size:           4
        .value_kind:     hidden_block_count_z
      - .offset:         156
        .size:           2
        .value_kind:     hidden_group_size_x
      - .offset:         158
        .size:           2
        .value_kind:     hidden_group_size_y
      - .offset:         160
        .size:           2
        .value_kind:     hidden_group_size_z
      - .offset:         162
        .size:           2
        .value_kind:     hidden_remainder_x
      - .offset:         164
        .size:           2
        .value_kind:     hidden_remainder_y
      - .offset:         166
        .size:           2
        .value_kind:     hidden_remainder_z
      - .offset:         184
        .size:           8
        .value_kind:     hidden_global_offset_x
      - .offset:         192
        .size:           8
        .value_kind:     hidden_global_offset_y
      - .offset:         200
        .size:           8
        .value_kind:     hidden_global_offset_z
      - .offset:         208
        .size:           2
        .value_kind:     hidden_grid_dims
      - .offset:         224
        .size:           8
        .value_kind:     hidden_hostcall_buffer
    .group_segment_fixed_size: 0
    .kernarg_segment_align: 8
    .kernarg_segment_size: 400
    .language:       OpenCL C
    .language_version:
      - 2
      - 0
    .max_flat_workgroup_size: 256
    .name:           _Z39paged_attention_ll4mi_QKV_mfma16_kernelIDF16_hLN4vllm18Fp8KVCacheDataTypeE1EDF16_Li32ELi128ELi256ELb1ELi9EEvPKT_PKT0_S7_ifPKiS9_S9_iPKfiiiPfSC_PS2_PT2_iSB_SB_
    .private_segment_fixed_size: 64
    .sgpr_count:     36
    .sgpr_spill_count: 0
    .symbol:         _Z39paged_attention_ll4mi_QKV_mfma16_kernelIDF16_hLN4vllm18Fp8KVCacheDataTypeE1EDF16_Li32ELi128ELi256ELb1ELi9EEvPKT_PKT0_S7_ifPKiS9_S9_iPKfiiiPfSC_PS2_PT2_iSB_SB_.kd
    .uniform_work_group_size: 1
    .uses_dynamic_stack: false
    .vgpr_count:     51
    .vgpr_spill_count: 0
    .wavefront_size: 32
  - .args:
      - .actual_access:  read_only
        .address_space:  global
        .offset:         0
        .size:           8
        .value_kind:     global_buffer
      - .actual_access:  read_only
        .address_space:  global
        .offset:         8
        .size:           8
        .value_kind:     global_buffer
      - .actual_access:  read_only
        .address_space:  global
        .offset:         16
        .size:           8
        .value_kind:     global_buffer
      - .offset:         24
        .size:           4
        .value_kind:     by_value
      - .offset:         28
        .size:           4
        .value_kind:     by_value
      - .actual_access:  read_only
        .address_space:  global
        .offset:         32
        .size:           8
        .value_kind:     global_buffer
      - .actual_access:  read_only
        .address_space:  global
        .offset:         40
        .size:           8
        .value_kind:     global_buffer
      - .actual_access:  read_only
        .address_space:  global
        .offset:         48
        .size:           8
        .value_kind:     global_buffer
      - .offset:         56
        .size:           4
        .value_kind:     by_value
      - .actual_access:  read_only
        .address_space:  global
        .offset:         64
        .size:           8
        .value_kind:     global_buffer
      - .offset:         72
        .size:           4
        .value_kind:     by_value
      - .offset:         76
        .size:           4
        .value_kind:     by_value
      - .offset:         80
        .size:           4
        .value_kind:     by_value
      - .actual_access:  read_only
        .address_space:  global
        .offset:         88
        .size:           8
        .value_kind:     global_buffer
      - .actual_access:  read_only
        .address_space:  global
        .offset:         96
        .size:           8
        .value_kind:     global_buffer
      - .actual_access:  read_only
        .address_space:  global
        .offset:         104
        .size:           8
        .value_kind:     global_buffer
      - .actual_access:  read_only
        .address_space:  global
        .offset:         112
        .size:           8
        .value_kind:     global_buffer
      - .offset:         120
        .size:           4
        .value_kind:     by_value
      - .address_space:  global
        .offset:         128
        .size:           8
        .value_kind:     global_buffer
      - .address_space:  global
        .offset:         136
        .size:           8
        .value_kind:     global_buffer
      - .offset:         144
        .size:           4
        .value_kind:     hidden_block_count_x
      - .offset:         148
        .size:           4
        .value_kind:     hidden_block_count_y
      - .offset:         152
        .size:           4
        .value_kind:     hidden_block_count_z
      - .offset:         156
        .size:           2
        .value_kind:     hidden_group_size_x
      - .offset:         158
        .size:           2
        .value_kind:     hidden_group_size_y
      - .offset:         160
        .size:           2
        .value_kind:     hidden_group_size_z
      - .offset:         162
        .size:           2
        .value_kind:     hidden_remainder_x
      - .offset:         164
        .size:           2
        .value_kind:     hidden_remainder_y
      - .offset:         166
        .size:           2
        .value_kind:     hidden_remainder_z
      - .offset:         184
        .size:           8
        .value_kind:     hidden_global_offset_x
      - .offset:         192
        .size:           8
        .value_kind:     hidden_global_offset_y
      - .offset:         200
        .size:           8
        .value_kind:     hidden_global_offset_z
      - .offset:         208
        .size:           2
        .value_kind:     hidden_grid_dims
      - .offset:         224
        .size:           8
        .value_kind:     hidden_hostcall_buffer
    .group_segment_fixed_size: 0
    .kernarg_segment_align: 8
    .kernarg_segment_size: 400
    .language:       OpenCL C
    .language_version:
      - 2
      - 0
    .max_flat_workgroup_size: 256
    .name:           _Z39paged_attention_ll4mi_QKV_mfma16_kernelIDF16_hLN4vllm18Fp8KVCacheDataTypeE1EDF16_Li32ELi128ELi256ELb1ELi10EEvPKT_PKT0_S7_ifPKiS9_S9_iPKfiiiPfSC_PS2_PT2_iSB_SB_
    .private_segment_fixed_size: 64
    .sgpr_count:     36
    .sgpr_spill_count: 0
    .symbol:         _Z39paged_attention_ll4mi_QKV_mfma16_kernelIDF16_hLN4vllm18Fp8KVCacheDataTypeE1EDF16_Li32ELi128ELi256ELb1ELi10EEvPKT_PKT0_S7_ifPKiS9_S9_iPKfiiiPfSC_PS2_PT2_iSB_SB_.kd
    .uniform_work_group_size: 1
    .uses_dynamic_stack: false
    .vgpr_count:     51
    .vgpr_spill_count: 0
    .wavefront_size: 32
  - .args:
      - .actual_access:  read_only
        .address_space:  global
        .offset:         0
        .size:           8
        .value_kind:     global_buffer
      - .actual_access:  read_only
        .address_space:  global
        .offset:         8
        .size:           8
        .value_kind:     global_buffer
      - .actual_access:  read_only
        .address_space:  global
        .offset:         16
        .size:           8
        .value_kind:     global_buffer
      - .offset:         24
        .size:           4
        .value_kind:     by_value
      - .offset:         28
        .size:           4
        .value_kind:     by_value
      - .actual_access:  read_only
        .address_space:  global
        .offset:         32
        .size:           8
        .value_kind:     global_buffer
      - .actual_access:  read_only
        .address_space:  global
        .offset:         40
        .size:           8
        .value_kind:     global_buffer
      - .actual_access:  read_only
        .address_space:  global
        .offset:         48
        .size:           8
        .value_kind:     global_buffer
      - .offset:         56
        .size:           4
        .value_kind:     by_value
      - .actual_access:  read_only
        .address_space:  global
        .offset:         64
        .size:           8
        .value_kind:     global_buffer
      - .offset:         72
        .size:           4
        .value_kind:     by_value
      - .offset:         76
        .size:           4
        .value_kind:     by_value
      - .offset:         80
        .size:           4
        .value_kind:     by_value
      - .actual_access:  read_only
        .address_space:  global
        .offset:         88
        .size:           8
        .value_kind:     global_buffer
      - .actual_access:  read_only
        .address_space:  global
        .offset:         96
        .size:           8
        .value_kind:     global_buffer
      - .actual_access:  read_only
        .address_space:  global
        .offset:         104
        .size:           8
        .value_kind:     global_buffer
      - .actual_access:  read_only
        .address_space:  global
        .offset:         112
        .size:           8
        .value_kind:     global_buffer
      - .offset:         120
        .size:           4
        .value_kind:     by_value
      - .address_space:  global
        .offset:         128
        .size:           8
        .value_kind:     global_buffer
      - .address_space:  global
        .offset:         136
        .size:           8
        .value_kind:     global_buffer
      - .offset:         144
        .size:           4
        .value_kind:     hidden_block_count_x
      - .offset:         148
        .size:           4
        .value_kind:     hidden_block_count_y
      - .offset:         152
        .size:           4
        .value_kind:     hidden_block_count_z
      - .offset:         156
        .size:           2
        .value_kind:     hidden_group_size_x
      - .offset:         158
        .size:           2
        .value_kind:     hidden_group_size_y
      - .offset:         160
        .size:           2
        .value_kind:     hidden_group_size_z
      - .offset:         162
        .size:           2
        .value_kind:     hidden_remainder_x
      - .offset:         164
        .size:           2
        .value_kind:     hidden_remainder_y
      - .offset:         166
        .size:           2
        .value_kind:     hidden_remainder_z
      - .offset:         184
        .size:           8
        .value_kind:     hidden_global_offset_x
      - .offset:         192
        .size:           8
        .value_kind:     hidden_global_offset_y
      - .offset:         200
        .size:           8
        .value_kind:     hidden_global_offset_z
      - .offset:         208
        .size:           2
        .value_kind:     hidden_grid_dims
      - .offset:         224
        .size:           8
        .value_kind:     hidden_hostcall_buffer
    .group_segment_fixed_size: 0
    .kernarg_segment_align: 8
    .kernarg_segment_size: 400
    .language:       OpenCL C
    .language_version:
      - 2
      - 0
    .max_flat_workgroup_size: 256
    .name:           _Z39paged_attention_ll4mi_QKV_mfma16_kernelIDF16_hLN4vllm18Fp8KVCacheDataTypeE1EDF16_Li32ELi128ELi256ELb1ELi11EEvPKT_PKT0_S7_ifPKiS9_S9_iPKfiiiPfSC_PS2_PT2_iSB_SB_
    .private_segment_fixed_size: 64
    .sgpr_count:     36
    .sgpr_spill_count: 0
    .symbol:         _Z39paged_attention_ll4mi_QKV_mfma16_kernelIDF16_hLN4vllm18Fp8KVCacheDataTypeE1EDF16_Li32ELi128ELi256ELb1ELi11EEvPKT_PKT0_S7_ifPKiS9_S9_iPKfiiiPfSC_PS2_PT2_iSB_SB_.kd
    .uniform_work_group_size: 1
    .uses_dynamic_stack: false
    .vgpr_count:     51
    .vgpr_spill_count: 0
    .wavefront_size: 32
  - .args:
      - .actual_access:  read_only
        .address_space:  global
        .offset:         0
        .size:           8
        .value_kind:     global_buffer
      - .actual_access:  read_only
        .address_space:  global
        .offset:         8
        .size:           8
        .value_kind:     global_buffer
      - .actual_access:  read_only
        .address_space:  global
        .offset:         16
        .size:           8
        .value_kind:     global_buffer
      - .offset:         24
        .size:           4
        .value_kind:     by_value
      - .offset:         28
        .size:           4
        .value_kind:     by_value
      - .actual_access:  read_only
        .address_space:  global
        .offset:         32
        .size:           8
        .value_kind:     global_buffer
      - .actual_access:  read_only
        .address_space:  global
        .offset:         40
        .size:           8
        .value_kind:     global_buffer
      - .actual_access:  read_only
        .address_space:  global
        .offset:         48
        .size:           8
        .value_kind:     global_buffer
      - .offset:         56
        .size:           4
        .value_kind:     by_value
      - .actual_access:  read_only
        .address_space:  global
        .offset:         64
        .size:           8
        .value_kind:     global_buffer
      - .offset:         72
        .size:           4
        .value_kind:     by_value
      - .offset:         76
        .size:           4
        .value_kind:     by_value
      - .offset:         80
        .size:           4
        .value_kind:     by_value
      - .actual_access:  read_only
        .address_space:  global
        .offset:         88
        .size:           8
        .value_kind:     global_buffer
      - .actual_access:  read_only
        .address_space:  global
        .offset:         96
        .size:           8
        .value_kind:     global_buffer
      - .actual_access:  read_only
        .address_space:  global
        .offset:         104
        .size:           8
        .value_kind:     global_buffer
      - .actual_access:  read_only
        .address_space:  global
        .offset:         112
        .size:           8
        .value_kind:     global_buffer
      - .offset:         120
        .size:           4
        .value_kind:     by_value
      - .address_space:  global
        .offset:         128
        .size:           8
        .value_kind:     global_buffer
      - .address_space:  global
        .offset:         136
        .size:           8
        .value_kind:     global_buffer
      - .offset:         144
        .size:           4
        .value_kind:     hidden_block_count_x
      - .offset:         148
        .size:           4
        .value_kind:     hidden_block_count_y
      - .offset:         152
        .size:           4
        .value_kind:     hidden_block_count_z
      - .offset:         156
        .size:           2
        .value_kind:     hidden_group_size_x
      - .offset:         158
        .size:           2
        .value_kind:     hidden_group_size_y
      - .offset:         160
        .size:           2
        .value_kind:     hidden_group_size_z
      - .offset:         162
        .size:           2
        .value_kind:     hidden_remainder_x
      - .offset:         164
        .size:           2
        .value_kind:     hidden_remainder_y
      - .offset:         166
        .size:           2
        .value_kind:     hidden_remainder_z
      - .offset:         184
        .size:           8
        .value_kind:     hidden_global_offset_x
      - .offset:         192
        .size:           8
        .value_kind:     hidden_global_offset_y
      - .offset:         200
        .size:           8
        .value_kind:     hidden_global_offset_z
      - .offset:         208
        .size:           2
        .value_kind:     hidden_grid_dims
      - .offset:         224
        .size:           8
        .value_kind:     hidden_hostcall_buffer
    .group_segment_fixed_size: 0
    .kernarg_segment_align: 8
    .kernarg_segment_size: 400
    .language:       OpenCL C
    .language_version:
      - 2
      - 0
    .max_flat_workgroup_size: 256
    .name:           _Z39paged_attention_ll4mi_QKV_mfma16_kernelIDF16_hLN4vllm18Fp8KVCacheDataTypeE1EDF16_Li32ELi128ELi256ELb1ELi12EEvPKT_PKT0_S7_ifPKiS9_S9_iPKfiiiPfSC_PS2_PT2_iSB_SB_
    .private_segment_fixed_size: 64
    .sgpr_count:     36
    .sgpr_spill_count: 0
    .symbol:         _Z39paged_attention_ll4mi_QKV_mfma16_kernelIDF16_hLN4vllm18Fp8KVCacheDataTypeE1EDF16_Li32ELi128ELi256ELb1ELi12EEvPKT_PKT0_S7_ifPKiS9_S9_iPKfiiiPfSC_PS2_PT2_iSB_SB_.kd
    .uniform_work_group_size: 1
    .uses_dynamic_stack: false
    .vgpr_count:     51
    .vgpr_spill_count: 0
    .wavefront_size: 32
  - .args:
      - .actual_access:  read_only
        .address_space:  global
        .offset:         0
        .size:           8
        .value_kind:     global_buffer
      - .actual_access:  read_only
        .address_space:  global
        .offset:         8
        .size:           8
        .value_kind:     global_buffer
      - .actual_access:  read_only
        .address_space:  global
        .offset:         16
        .size:           8
        .value_kind:     global_buffer
      - .offset:         24
        .size:           4
        .value_kind:     by_value
      - .offset:         28
        .size:           4
        .value_kind:     by_value
      - .actual_access:  read_only
        .address_space:  global
        .offset:         32
        .size:           8
        .value_kind:     global_buffer
      - .actual_access:  read_only
        .address_space:  global
        .offset:         40
        .size:           8
        .value_kind:     global_buffer
      - .actual_access:  read_only
        .address_space:  global
        .offset:         48
        .size:           8
        .value_kind:     global_buffer
      - .offset:         56
        .size:           4
        .value_kind:     by_value
      - .actual_access:  read_only
        .address_space:  global
        .offset:         64
        .size:           8
        .value_kind:     global_buffer
      - .offset:         72
        .size:           4
        .value_kind:     by_value
      - .offset:         76
        .size:           4
        .value_kind:     by_value
      - .offset:         80
        .size:           4
        .value_kind:     by_value
      - .actual_access:  read_only
        .address_space:  global
        .offset:         88
        .size:           8
        .value_kind:     global_buffer
      - .actual_access:  read_only
        .address_space:  global
        .offset:         96
        .size:           8
        .value_kind:     global_buffer
      - .actual_access:  read_only
        .address_space:  global
        .offset:         104
        .size:           8
        .value_kind:     global_buffer
      - .actual_access:  read_only
        .address_space:  global
        .offset:         112
        .size:           8
        .value_kind:     global_buffer
      - .offset:         120
        .size:           4
        .value_kind:     by_value
      - .address_space:  global
        .offset:         128
        .size:           8
        .value_kind:     global_buffer
      - .address_space:  global
        .offset:         136
        .size:           8
        .value_kind:     global_buffer
      - .offset:         144
        .size:           4
        .value_kind:     hidden_block_count_x
      - .offset:         148
        .size:           4
        .value_kind:     hidden_block_count_y
      - .offset:         152
        .size:           4
        .value_kind:     hidden_block_count_z
      - .offset:         156
        .size:           2
        .value_kind:     hidden_group_size_x
      - .offset:         158
        .size:           2
        .value_kind:     hidden_group_size_y
      - .offset:         160
        .size:           2
        .value_kind:     hidden_group_size_z
      - .offset:         162
        .size:           2
        .value_kind:     hidden_remainder_x
      - .offset:         164
        .size:           2
        .value_kind:     hidden_remainder_y
      - .offset:         166
        .size:           2
        .value_kind:     hidden_remainder_z
      - .offset:         184
        .size:           8
        .value_kind:     hidden_global_offset_x
      - .offset:         192
        .size:           8
        .value_kind:     hidden_global_offset_y
      - .offset:         200
        .size:           8
        .value_kind:     hidden_global_offset_z
      - .offset:         208
        .size:           2
        .value_kind:     hidden_grid_dims
      - .offset:         224
        .size:           8
        .value_kind:     hidden_hostcall_buffer
    .group_segment_fixed_size: 0
    .kernarg_segment_align: 8
    .kernarg_segment_size: 400
    .language:       OpenCL C
    .language_version:
      - 2
      - 0
    .max_flat_workgroup_size: 256
    .name:           _Z39paged_attention_ll4mi_QKV_mfma16_kernelIDF16_hLN4vllm18Fp8KVCacheDataTypeE1EDF16_Li32ELi128ELi256ELb1ELi13EEvPKT_PKT0_S7_ifPKiS9_S9_iPKfiiiPfSC_PS2_PT2_iSB_SB_
    .private_segment_fixed_size: 64
    .sgpr_count:     36
    .sgpr_spill_count: 0
    .symbol:         _Z39paged_attention_ll4mi_QKV_mfma16_kernelIDF16_hLN4vllm18Fp8KVCacheDataTypeE1EDF16_Li32ELi128ELi256ELb1ELi13EEvPKT_PKT0_S7_ifPKiS9_S9_iPKfiiiPfSC_PS2_PT2_iSB_SB_.kd
    .uniform_work_group_size: 1
    .uses_dynamic_stack: false
    .vgpr_count:     51
    .vgpr_spill_count: 0
    .wavefront_size: 32
  - .args:
      - .actual_access:  read_only
        .address_space:  global
        .offset:         0
        .size:           8
        .value_kind:     global_buffer
      - .actual_access:  read_only
        .address_space:  global
        .offset:         8
        .size:           8
        .value_kind:     global_buffer
      - .actual_access:  read_only
        .address_space:  global
        .offset:         16
        .size:           8
        .value_kind:     global_buffer
      - .offset:         24
        .size:           4
        .value_kind:     by_value
      - .offset:         28
        .size:           4
        .value_kind:     by_value
      - .actual_access:  read_only
        .address_space:  global
        .offset:         32
        .size:           8
        .value_kind:     global_buffer
      - .actual_access:  read_only
        .address_space:  global
        .offset:         40
        .size:           8
        .value_kind:     global_buffer
      - .actual_access:  read_only
        .address_space:  global
        .offset:         48
        .size:           8
        .value_kind:     global_buffer
      - .offset:         56
        .size:           4
        .value_kind:     by_value
      - .actual_access:  read_only
        .address_space:  global
        .offset:         64
        .size:           8
        .value_kind:     global_buffer
      - .offset:         72
        .size:           4
        .value_kind:     by_value
      - .offset:         76
        .size:           4
        .value_kind:     by_value
      - .offset:         80
        .size:           4
        .value_kind:     by_value
      - .actual_access:  read_only
        .address_space:  global
        .offset:         88
        .size:           8
        .value_kind:     global_buffer
      - .actual_access:  read_only
        .address_space:  global
        .offset:         96
        .size:           8
        .value_kind:     global_buffer
      - .actual_access:  read_only
        .address_space:  global
        .offset:         104
        .size:           8
        .value_kind:     global_buffer
      - .actual_access:  read_only
        .address_space:  global
        .offset:         112
        .size:           8
        .value_kind:     global_buffer
      - .offset:         120
        .size:           4
        .value_kind:     by_value
      - .address_space:  global
        .offset:         128
        .size:           8
        .value_kind:     global_buffer
      - .address_space:  global
        .offset:         136
        .size:           8
        .value_kind:     global_buffer
      - .offset:         144
        .size:           4
        .value_kind:     hidden_block_count_x
      - .offset:         148
        .size:           4
        .value_kind:     hidden_block_count_y
      - .offset:         152
        .size:           4
        .value_kind:     hidden_block_count_z
      - .offset:         156
        .size:           2
        .value_kind:     hidden_group_size_x
      - .offset:         158
        .size:           2
        .value_kind:     hidden_group_size_y
      - .offset:         160
        .size:           2
        .value_kind:     hidden_group_size_z
      - .offset:         162
        .size:           2
        .value_kind:     hidden_remainder_x
      - .offset:         164
        .size:           2
        .value_kind:     hidden_remainder_y
      - .offset:         166
        .size:           2
        .value_kind:     hidden_remainder_z
      - .offset:         184
        .size:           8
        .value_kind:     hidden_global_offset_x
      - .offset:         192
        .size:           8
        .value_kind:     hidden_global_offset_y
      - .offset:         200
        .size:           8
        .value_kind:     hidden_global_offset_z
      - .offset:         208
        .size:           2
        .value_kind:     hidden_grid_dims
      - .offset:         224
        .size:           8
        .value_kind:     hidden_hostcall_buffer
    .group_segment_fixed_size: 0
    .kernarg_segment_align: 8
    .kernarg_segment_size: 400
    .language:       OpenCL C
    .language_version:
      - 2
      - 0
    .max_flat_workgroup_size: 256
    .name:           _Z39paged_attention_ll4mi_QKV_mfma16_kernelIDF16_hLN4vllm18Fp8KVCacheDataTypeE1EDF16_Li32ELi128ELi256ELb1ELi14EEvPKT_PKT0_S7_ifPKiS9_S9_iPKfiiiPfSC_PS2_PT2_iSB_SB_
    .private_segment_fixed_size: 64
    .sgpr_count:     36
    .sgpr_spill_count: 0
    .symbol:         _Z39paged_attention_ll4mi_QKV_mfma16_kernelIDF16_hLN4vllm18Fp8KVCacheDataTypeE1EDF16_Li32ELi128ELi256ELb1ELi14EEvPKT_PKT0_S7_ifPKiS9_S9_iPKfiiiPfSC_PS2_PT2_iSB_SB_.kd
    .uniform_work_group_size: 1
    .uses_dynamic_stack: false
    .vgpr_count:     51
    .vgpr_spill_count: 0
    .wavefront_size: 32
  - .args:
      - .actual_access:  read_only
        .address_space:  global
        .offset:         0
        .size:           8
        .value_kind:     global_buffer
      - .actual_access:  read_only
        .address_space:  global
        .offset:         8
        .size:           8
        .value_kind:     global_buffer
      - .actual_access:  read_only
        .address_space:  global
        .offset:         16
        .size:           8
        .value_kind:     global_buffer
      - .offset:         24
        .size:           4
        .value_kind:     by_value
      - .offset:         28
        .size:           4
        .value_kind:     by_value
      - .actual_access:  read_only
        .address_space:  global
        .offset:         32
        .size:           8
        .value_kind:     global_buffer
      - .actual_access:  read_only
        .address_space:  global
        .offset:         40
        .size:           8
        .value_kind:     global_buffer
      - .actual_access:  read_only
        .address_space:  global
        .offset:         48
        .size:           8
        .value_kind:     global_buffer
      - .offset:         56
        .size:           4
        .value_kind:     by_value
      - .actual_access:  read_only
        .address_space:  global
        .offset:         64
        .size:           8
        .value_kind:     global_buffer
      - .offset:         72
        .size:           4
        .value_kind:     by_value
      - .offset:         76
        .size:           4
        .value_kind:     by_value
      - .offset:         80
        .size:           4
        .value_kind:     by_value
      - .actual_access:  read_only
        .address_space:  global
        .offset:         88
        .size:           8
        .value_kind:     global_buffer
      - .actual_access:  read_only
        .address_space:  global
        .offset:         96
        .size:           8
        .value_kind:     global_buffer
      - .actual_access:  read_only
        .address_space:  global
        .offset:         104
        .size:           8
        .value_kind:     global_buffer
      - .actual_access:  read_only
        .address_space:  global
        .offset:         112
        .size:           8
        .value_kind:     global_buffer
      - .offset:         120
        .size:           4
        .value_kind:     by_value
      - .address_space:  global
        .offset:         128
        .size:           8
        .value_kind:     global_buffer
      - .address_space:  global
        .offset:         136
        .size:           8
        .value_kind:     global_buffer
      - .offset:         144
        .size:           4
        .value_kind:     hidden_block_count_x
      - .offset:         148
        .size:           4
        .value_kind:     hidden_block_count_y
      - .offset:         152
        .size:           4
        .value_kind:     hidden_block_count_z
      - .offset:         156
        .size:           2
        .value_kind:     hidden_group_size_x
      - .offset:         158
        .size:           2
        .value_kind:     hidden_group_size_y
      - .offset:         160
        .size:           2
        .value_kind:     hidden_group_size_z
      - .offset:         162
        .size:           2
        .value_kind:     hidden_remainder_x
      - .offset:         164
        .size:           2
        .value_kind:     hidden_remainder_y
      - .offset:         166
        .size:           2
        .value_kind:     hidden_remainder_z
      - .offset:         184
        .size:           8
        .value_kind:     hidden_global_offset_x
      - .offset:         192
        .size:           8
        .value_kind:     hidden_global_offset_y
      - .offset:         200
        .size:           8
        .value_kind:     hidden_global_offset_z
      - .offset:         208
        .size:           2
        .value_kind:     hidden_grid_dims
      - .offset:         224
        .size:           8
        .value_kind:     hidden_hostcall_buffer
    .group_segment_fixed_size: 0
    .kernarg_segment_align: 8
    .kernarg_segment_size: 400
    .language:       OpenCL C
    .language_version:
      - 2
      - 0
    .max_flat_workgroup_size: 256
    .name:           _Z39paged_attention_ll4mi_QKV_mfma16_kernelIDF16_hLN4vllm18Fp8KVCacheDataTypeE1EDF16_Li32ELi128ELi256ELb1ELi15EEvPKT_PKT0_S7_ifPKiS9_S9_iPKfiiiPfSC_PS2_PT2_iSB_SB_
    .private_segment_fixed_size: 64
    .sgpr_count:     36
    .sgpr_spill_count: 0
    .symbol:         _Z39paged_attention_ll4mi_QKV_mfma16_kernelIDF16_hLN4vllm18Fp8KVCacheDataTypeE1EDF16_Li32ELi128ELi256ELb1ELi15EEvPKT_PKT0_S7_ifPKiS9_S9_iPKfiiiPfSC_PS2_PT2_iSB_SB_.kd
    .uniform_work_group_size: 1
    .uses_dynamic_stack: false
    .vgpr_count:     51
    .vgpr_spill_count: 0
    .wavefront_size: 32
  - .args:
      - .actual_access:  read_only
        .address_space:  global
        .offset:         0
        .size:           8
        .value_kind:     global_buffer
      - .actual_access:  read_only
        .address_space:  global
        .offset:         8
        .size:           8
        .value_kind:     global_buffer
      - .actual_access:  read_only
        .address_space:  global
        .offset:         16
        .size:           8
        .value_kind:     global_buffer
      - .offset:         24
        .size:           4
        .value_kind:     by_value
      - .offset:         28
        .size:           4
        .value_kind:     by_value
      - .actual_access:  read_only
        .address_space:  global
        .offset:         32
        .size:           8
        .value_kind:     global_buffer
      - .actual_access:  read_only
        .address_space:  global
        .offset:         40
        .size:           8
        .value_kind:     global_buffer
      - .actual_access:  read_only
        .address_space:  global
        .offset:         48
        .size:           8
        .value_kind:     global_buffer
      - .offset:         56
        .size:           4
        .value_kind:     by_value
      - .actual_access:  read_only
        .address_space:  global
        .offset:         64
        .size:           8
        .value_kind:     global_buffer
      - .offset:         72
        .size:           4
        .value_kind:     by_value
      - .offset:         76
        .size:           4
        .value_kind:     by_value
      - .offset:         80
        .size:           4
        .value_kind:     by_value
      - .actual_access:  read_only
        .address_space:  global
        .offset:         88
        .size:           8
        .value_kind:     global_buffer
      - .actual_access:  read_only
        .address_space:  global
        .offset:         96
        .size:           8
        .value_kind:     global_buffer
      - .actual_access:  read_only
        .address_space:  global
        .offset:         104
        .size:           8
        .value_kind:     global_buffer
      - .actual_access:  read_only
        .address_space:  global
        .offset:         112
        .size:           8
        .value_kind:     global_buffer
      - .offset:         120
        .size:           4
        .value_kind:     by_value
      - .address_space:  global
        .offset:         128
        .size:           8
        .value_kind:     global_buffer
      - .address_space:  global
        .offset:         136
        .size:           8
        .value_kind:     global_buffer
      - .offset:         144
        .size:           4
        .value_kind:     hidden_block_count_x
      - .offset:         148
        .size:           4
        .value_kind:     hidden_block_count_y
      - .offset:         152
        .size:           4
        .value_kind:     hidden_block_count_z
      - .offset:         156
        .size:           2
        .value_kind:     hidden_group_size_x
      - .offset:         158
        .size:           2
        .value_kind:     hidden_group_size_y
      - .offset:         160
        .size:           2
        .value_kind:     hidden_group_size_z
      - .offset:         162
        .size:           2
        .value_kind:     hidden_remainder_x
      - .offset:         164
        .size:           2
        .value_kind:     hidden_remainder_y
      - .offset:         166
        .size:           2
        .value_kind:     hidden_remainder_z
      - .offset:         184
        .size:           8
        .value_kind:     hidden_global_offset_x
      - .offset:         192
        .size:           8
        .value_kind:     hidden_global_offset_y
      - .offset:         200
        .size:           8
        .value_kind:     hidden_global_offset_z
      - .offset:         208
        .size:           2
        .value_kind:     hidden_grid_dims
      - .offset:         224
        .size:           8
        .value_kind:     hidden_hostcall_buffer
    .group_segment_fixed_size: 0
    .kernarg_segment_align: 8
    .kernarg_segment_size: 400
    .language:       OpenCL C
    .language_version:
      - 2
      - 0
    .max_flat_workgroup_size: 256
    .name:           _Z39paged_attention_ll4mi_QKV_mfma16_kernelIDF16_hLN4vllm18Fp8KVCacheDataTypeE1EDF16_Li32ELi128ELi256ELb1ELi16EEvPKT_PKT0_S7_ifPKiS9_S9_iPKfiiiPfSC_PS2_PT2_iSB_SB_
    .private_segment_fixed_size: 64
    .sgpr_count:     36
    .sgpr_spill_count: 0
    .symbol:         _Z39paged_attention_ll4mi_QKV_mfma16_kernelIDF16_hLN4vllm18Fp8KVCacheDataTypeE1EDF16_Li32ELi128ELi256ELb1ELi16EEvPKT_PKT0_S7_ifPKiS9_S9_iPKfiiiPfSC_PS2_PT2_iSB_SB_.kd
    .uniform_work_group_size: 1
    .uses_dynamic_stack: false
    .vgpr_count:     51
    .vgpr_spill_count: 0
    .wavefront_size: 32
  - .args:
      - .actual_access:  read_only
        .address_space:  global
        .offset:         0
        .size:           8
        .value_kind:     global_buffer
      - .actual_access:  read_only
        .address_space:  global
        .offset:         8
        .size:           8
        .value_kind:     global_buffer
      - .actual_access:  read_only
        .address_space:  global
        .offset:         16
        .size:           8
        .value_kind:     global_buffer
      - .offset:         24
        .size:           4
        .value_kind:     by_value
      - .offset:         28
        .size:           4
        .value_kind:     by_value
      - .actual_access:  read_only
        .address_space:  global
        .offset:         32
        .size:           8
        .value_kind:     global_buffer
      - .actual_access:  read_only
        .address_space:  global
        .offset:         40
        .size:           8
        .value_kind:     global_buffer
      - .actual_access:  read_only
        .address_space:  global
        .offset:         48
        .size:           8
        .value_kind:     global_buffer
      - .offset:         56
        .size:           4
        .value_kind:     by_value
      - .actual_access:  read_only
        .address_space:  global
        .offset:         64
        .size:           8
        .value_kind:     global_buffer
      - .offset:         72
        .size:           4
        .value_kind:     by_value
      - .offset:         76
        .size:           4
        .value_kind:     by_value
      - .offset:         80
        .size:           4
        .value_kind:     by_value
      - .actual_access:  read_only
        .address_space:  global
        .offset:         88
        .size:           8
        .value_kind:     global_buffer
      - .actual_access:  read_only
        .address_space:  global
        .offset:         96
        .size:           8
        .value_kind:     global_buffer
      - .actual_access:  read_only
        .address_space:  global
        .offset:         104
        .size:           8
        .value_kind:     global_buffer
      - .actual_access:  read_only
        .address_space:  global
        .offset:         112
        .size:           8
        .value_kind:     global_buffer
      - .offset:         120
        .size:           4
        .value_kind:     by_value
      - .address_space:  global
        .offset:         128
        .size:           8
        .value_kind:     global_buffer
      - .address_space:  global
        .offset:         136
        .size:           8
        .value_kind:     global_buffer
      - .offset:         144
        .size:           4
        .value_kind:     hidden_block_count_x
      - .offset:         148
        .size:           4
        .value_kind:     hidden_block_count_y
      - .offset:         152
        .size:           4
        .value_kind:     hidden_block_count_z
      - .offset:         156
        .size:           2
        .value_kind:     hidden_group_size_x
      - .offset:         158
        .size:           2
        .value_kind:     hidden_group_size_y
      - .offset:         160
        .size:           2
        .value_kind:     hidden_group_size_z
      - .offset:         162
        .size:           2
        .value_kind:     hidden_remainder_x
      - .offset:         164
        .size:           2
        .value_kind:     hidden_remainder_y
      - .offset:         166
        .size:           2
        .value_kind:     hidden_remainder_z
      - .offset:         184
        .size:           8
        .value_kind:     hidden_global_offset_x
      - .offset:         192
        .size:           8
        .value_kind:     hidden_global_offset_y
      - .offset:         200
        .size:           8
        .value_kind:     hidden_global_offset_z
      - .offset:         208
        .size:           2
        .value_kind:     hidden_grid_dims
      - .offset:         224
        .size:           8
        .value_kind:     hidden_hostcall_buffer
    .group_segment_fixed_size: 0
    .kernarg_segment_align: 8
    .kernarg_segment_size: 400
    .language:       OpenCL C
    .language_version:
      - 2
      - 0
    .max_flat_workgroup_size: 256
    .name:           _Z39paged_attention_ll4mi_QKV_mfma16_kernelIDF16_hLN4vllm18Fp8KVCacheDataTypeE1EDF16_Li32ELi128ELi256ELb1ELi1EEvPKT_PKT0_S7_ifPKiS9_S9_iPKfiiiPfSC_PS2_PT2_iSB_SB_
    .private_segment_fixed_size: 64
    .sgpr_count:     36
    .sgpr_spill_count: 0
    .symbol:         _Z39paged_attention_ll4mi_QKV_mfma16_kernelIDF16_hLN4vllm18Fp8KVCacheDataTypeE1EDF16_Li32ELi128ELi256ELb1ELi1EEvPKT_PKT0_S7_ifPKiS9_S9_iPKfiiiPfSC_PS2_PT2_iSB_SB_.kd
    .uniform_work_group_size: 1
    .uses_dynamic_stack: false
    .vgpr_count:     51
    .vgpr_spill_count: 0
    .wavefront_size: 32
  - .args:
      - .actual_access:  read_only
        .address_space:  global
        .offset:         0
        .size:           8
        .value_kind:     global_buffer
      - .actual_access:  read_only
        .address_space:  global
        .offset:         8
        .size:           8
        .value_kind:     global_buffer
      - .actual_access:  read_only
        .address_space:  global
        .offset:         16
        .size:           8
        .value_kind:     global_buffer
      - .offset:         24
        .size:           4
        .value_kind:     by_value
      - .offset:         28
        .size:           4
        .value_kind:     by_value
      - .actual_access:  read_only
        .address_space:  global
        .offset:         32
        .size:           8
        .value_kind:     global_buffer
      - .actual_access:  read_only
        .address_space:  global
        .offset:         40
        .size:           8
        .value_kind:     global_buffer
      - .actual_access:  read_only
        .address_space:  global
        .offset:         48
        .size:           8
        .value_kind:     global_buffer
      - .offset:         56
        .size:           4
        .value_kind:     by_value
      - .actual_access:  read_only
        .address_space:  global
        .offset:         64
        .size:           8
        .value_kind:     global_buffer
      - .offset:         72
        .size:           4
        .value_kind:     by_value
      - .offset:         76
        .size:           4
        .value_kind:     by_value
      - .offset:         80
        .size:           4
        .value_kind:     by_value
      - .actual_access:  read_only
        .address_space:  global
        .offset:         88
        .size:           8
        .value_kind:     global_buffer
      - .actual_access:  read_only
        .address_space:  global
        .offset:         96
        .size:           8
        .value_kind:     global_buffer
      - .actual_access:  read_only
        .address_space:  global
        .offset:         104
        .size:           8
        .value_kind:     global_buffer
      - .actual_access:  read_only
        .address_space:  global
        .offset:         112
        .size:           8
        .value_kind:     global_buffer
      - .offset:         120
        .size:           4
        .value_kind:     by_value
      - .address_space:  global
        .offset:         128
        .size:           8
        .value_kind:     global_buffer
      - .address_space:  global
        .offset:         136
        .size:           8
        .value_kind:     global_buffer
      - .offset:         144
        .size:           4
        .value_kind:     hidden_block_count_x
      - .offset:         148
        .size:           4
        .value_kind:     hidden_block_count_y
      - .offset:         152
        .size:           4
        .value_kind:     hidden_block_count_z
      - .offset:         156
        .size:           2
        .value_kind:     hidden_group_size_x
      - .offset:         158
        .size:           2
        .value_kind:     hidden_group_size_y
      - .offset:         160
        .size:           2
        .value_kind:     hidden_group_size_z
      - .offset:         162
        .size:           2
        .value_kind:     hidden_remainder_x
      - .offset:         164
        .size:           2
        .value_kind:     hidden_remainder_y
      - .offset:         166
        .size:           2
        .value_kind:     hidden_remainder_z
      - .offset:         184
        .size:           8
        .value_kind:     hidden_global_offset_x
      - .offset:         192
        .size:           8
        .value_kind:     hidden_global_offset_y
      - .offset:         200
        .size:           8
        .value_kind:     hidden_global_offset_z
      - .offset:         208
        .size:           2
        .value_kind:     hidden_grid_dims
      - .offset:         224
        .size:           8
        .value_kind:     hidden_hostcall_buffer
    .group_segment_fixed_size: 0
    .kernarg_segment_align: 8
    .kernarg_segment_size: 400
    .language:       OpenCL C
    .language_version:
      - 2
      - 0
    .max_flat_workgroup_size: 256
    .name:           _Z39paged_attention_ll4mi_QKV_mfma16_kernelIDF16_hLN4vllm18Fp8KVCacheDataTypeE1EDF16_Li32ELi128ELi256ELb1ELi2EEvPKT_PKT0_S7_ifPKiS9_S9_iPKfiiiPfSC_PS2_PT2_iSB_SB_
    .private_segment_fixed_size: 64
    .sgpr_count:     36
    .sgpr_spill_count: 0
    .symbol:         _Z39paged_attention_ll4mi_QKV_mfma16_kernelIDF16_hLN4vllm18Fp8KVCacheDataTypeE1EDF16_Li32ELi128ELi256ELb1ELi2EEvPKT_PKT0_S7_ifPKiS9_S9_iPKfiiiPfSC_PS2_PT2_iSB_SB_.kd
    .uniform_work_group_size: 1
    .uses_dynamic_stack: false
    .vgpr_count:     51
    .vgpr_spill_count: 0
    .wavefront_size: 32
  - .args:
      - .actual_access:  read_only
        .address_space:  global
        .offset:         0
        .size:           8
        .value_kind:     global_buffer
      - .actual_access:  read_only
        .address_space:  global
        .offset:         8
        .size:           8
        .value_kind:     global_buffer
      - .actual_access:  read_only
        .address_space:  global
        .offset:         16
        .size:           8
        .value_kind:     global_buffer
      - .offset:         24
        .size:           4
        .value_kind:     by_value
      - .offset:         28
        .size:           4
        .value_kind:     by_value
      - .actual_access:  read_only
        .address_space:  global
        .offset:         32
        .size:           8
        .value_kind:     global_buffer
      - .actual_access:  read_only
        .address_space:  global
        .offset:         40
        .size:           8
        .value_kind:     global_buffer
      - .actual_access:  read_only
        .address_space:  global
        .offset:         48
        .size:           8
        .value_kind:     global_buffer
      - .offset:         56
        .size:           4
        .value_kind:     by_value
      - .actual_access:  read_only
        .address_space:  global
        .offset:         64
        .size:           8
        .value_kind:     global_buffer
      - .offset:         72
        .size:           4
        .value_kind:     by_value
      - .offset:         76
        .size:           4
        .value_kind:     by_value
      - .offset:         80
        .size:           4
        .value_kind:     by_value
      - .actual_access:  read_only
        .address_space:  global
        .offset:         88
        .size:           8
        .value_kind:     global_buffer
      - .actual_access:  read_only
        .address_space:  global
        .offset:         96
        .size:           8
        .value_kind:     global_buffer
      - .actual_access:  read_only
        .address_space:  global
        .offset:         104
        .size:           8
        .value_kind:     global_buffer
      - .actual_access:  read_only
        .address_space:  global
        .offset:         112
        .size:           8
        .value_kind:     global_buffer
      - .offset:         120
        .size:           4
        .value_kind:     by_value
      - .address_space:  global
        .offset:         128
        .size:           8
        .value_kind:     global_buffer
      - .address_space:  global
        .offset:         136
        .size:           8
        .value_kind:     global_buffer
      - .offset:         144
        .size:           4
        .value_kind:     hidden_block_count_x
      - .offset:         148
        .size:           4
        .value_kind:     hidden_block_count_y
      - .offset:         152
        .size:           4
        .value_kind:     hidden_block_count_z
      - .offset:         156
        .size:           2
        .value_kind:     hidden_group_size_x
      - .offset:         158
        .size:           2
        .value_kind:     hidden_group_size_y
      - .offset:         160
        .size:           2
        .value_kind:     hidden_group_size_z
      - .offset:         162
        .size:           2
        .value_kind:     hidden_remainder_x
      - .offset:         164
        .size:           2
        .value_kind:     hidden_remainder_y
      - .offset:         166
        .size:           2
        .value_kind:     hidden_remainder_z
      - .offset:         184
        .size:           8
        .value_kind:     hidden_global_offset_x
      - .offset:         192
        .size:           8
        .value_kind:     hidden_global_offset_y
      - .offset:         200
        .size:           8
        .value_kind:     hidden_global_offset_z
      - .offset:         208
        .size:           2
        .value_kind:     hidden_grid_dims
      - .offset:         224
        .size:           8
        .value_kind:     hidden_hostcall_buffer
    .group_segment_fixed_size: 0
    .kernarg_segment_align: 8
    .kernarg_segment_size: 400
    .language:       OpenCL C
    .language_version:
      - 2
      - 0
    .max_flat_workgroup_size: 256
    .name:           _Z39paged_attention_ll4mi_QKV_mfma16_kernelIDF16_hLN4vllm18Fp8KVCacheDataTypeE1EDF16_Li32ELi128ELi256ELb1ELi3EEvPKT_PKT0_S7_ifPKiS9_S9_iPKfiiiPfSC_PS2_PT2_iSB_SB_
    .private_segment_fixed_size: 64
    .sgpr_count:     36
    .sgpr_spill_count: 0
    .symbol:         _Z39paged_attention_ll4mi_QKV_mfma16_kernelIDF16_hLN4vllm18Fp8KVCacheDataTypeE1EDF16_Li32ELi128ELi256ELb1ELi3EEvPKT_PKT0_S7_ifPKiS9_S9_iPKfiiiPfSC_PS2_PT2_iSB_SB_.kd
    .uniform_work_group_size: 1
    .uses_dynamic_stack: false
    .vgpr_count:     51
    .vgpr_spill_count: 0
    .wavefront_size: 32
  - .args:
      - .actual_access:  read_only
        .address_space:  global
        .offset:         0
        .size:           8
        .value_kind:     global_buffer
      - .actual_access:  read_only
        .address_space:  global
        .offset:         8
        .size:           8
        .value_kind:     global_buffer
      - .actual_access:  read_only
        .address_space:  global
        .offset:         16
        .size:           8
        .value_kind:     global_buffer
      - .offset:         24
        .size:           4
        .value_kind:     by_value
      - .offset:         28
        .size:           4
        .value_kind:     by_value
      - .actual_access:  read_only
        .address_space:  global
        .offset:         32
        .size:           8
        .value_kind:     global_buffer
      - .actual_access:  read_only
        .address_space:  global
        .offset:         40
        .size:           8
        .value_kind:     global_buffer
      - .actual_access:  read_only
        .address_space:  global
        .offset:         48
        .size:           8
        .value_kind:     global_buffer
      - .offset:         56
        .size:           4
        .value_kind:     by_value
      - .actual_access:  read_only
        .address_space:  global
        .offset:         64
        .size:           8
        .value_kind:     global_buffer
      - .offset:         72
        .size:           4
        .value_kind:     by_value
      - .offset:         76
        .size:           4
        .value_kind:     by_value
      - .offset:         80
        .size:           4
        .value_kind:     by_value
      - .actual_access:  read_only
        .address_space:  global
        .offset:         88
        .size:           8
        .value_kind:     global_buffer
      - .actual_access:  read_only
        .address_space:  global
        .offset:         96
        .size:           8
        .value_kind:     global_buffer
      - .actual_access:  read_only
        .address_space:  global
        .offset:         104
        .size:           8
        .value_kind:     global_buffer
      - .actual_access:  read_only
        .address_space:  global
        .offset:         112
        .size:           8
        .value_kind:     global_buffer
      - .offset:         120
        .size:           4
        .value_kind:     by_value
      - .address_space:  global
        .offset:         128
        .size:           8
        .value_kind:     global_buffer
      - .address_space:  global
        .offset:         136
        .size:           8
        .value_kind:     global_buffer
      - .offset:         144
        .size:           4
        .value_kind:     hidden_block_count_x
      - .offset:         148
        .size:           4
        .value_kind:     hidden_block_count_y
      - .offset:         152
        .size:           4
        .value_kind:     hidden_block_count_z
      - .offset:         156
        .size:           2
        .value_kind:     hidden_group_size_x
      - .offset:         158
        .size:           2
        .value_kind:     hidden_group_size_y
      - .offset:         160
        .size:           2
        .value_kind:     hidden_group_size_z
      - .offset:         162
        .size:           2
        .value_kind:     hidden_remainder_x
      - .offset:         164
        .size:           2
        .value_kind:     hidden_remainder_y
      - .offset:         166
        .size:           2
        .value_kind:     hidden_remainder_z
      - .offset:         184
        .size:           8
        .value_kind:     hidden_global_offset_x
      - .offset:         192
        .size:           8
        .value_kind:     hidden_global_offset_y
      - .offset:         200
        .size:           8
        .value_kind:     hidden_global_offset_z
      - .offset:         208
        .size:           2
        .value_kind:     hidden_grid_dims
      - .offset:         224
        .size:           8
        .value_kind:     hidden_hostcall_buffer
    .group_segment_fixed_size: 0
    .kernarg_segment_align: 8
    .kernarg_segment_size: 400
    .language:       OpenCL C
    .language_version:
      - 2
      - 0
    .max_flat_workgroup_size: 256
    .name:           _Z39paged_attention_ll4mi_QKV_mfma16_kernelIDF16_hLN4vllm18Fp8KVCacheDataTypeE1EDF16_Li32ELi128ELi256ELb1ELi4EEvPKT_PKT0_S7_ifPKiS9_S9_iPKfiiiPfSC_PS2_PT2_iSB_SB_
    .private_segment_fixed_size: 64
    .sgpr_count:     36
    .sgpr_spill_count: 0
    .symbol:         _Z39paged_attention_ll4mi_QKV_mfma16_kernelIDF16_hLN4vllm18Fp8KVCacheDataTypeE1EDF16_Li32ELi128ELi256ELb1ELi4EEvPKT_PKT0_S7_ifPKiS9_S9_iPKfiiiPfSC_PS2_PT2_iSB_SB_.kd
    .uniform_work_group_size: 1
    .uses_dynamic_stack: false
    .vgpr_count:     51
    .vgpr_spill_count: 0
    .wavefront_size: 32
  - .args:
      - .actual_access:  read_only
        .address_space:  global
        .offset:         0
        .size:           8
        .value_kind:     global_buffer
      - .actual_access:  read_only
        .address_space:  global
        .offset:         8
        .size:           8
        .value_kind:     global_buffer
      - .actual_access:  read_only
        .address_space:  global
        .offset:         16
        .size:           8
        .value_kind:     global_buffer
      - .offset:         24
        .size:           4
        .value_kind:     by_value
      - .offset:         28
        .size:           4
        .value_kind:     by_value
      - .actual_access:  read_only
        .address_space:  global
        .offset:         32
        .size:           8
        .value_kind:     global_buffer
      - .actual_access:  read_only
        .address_space:  global
        .offset:         40
        .size:           8
        .value_kind:     global_buffer
      - .actual_access:  read_only
        .address_space:  global
        .offset:         48
        .size:           8
        .value_kind:     global_buffer
      - .offset:         56
        .size:           4
        .value_kind:     by_value
      - .actual_access:  read_only
        .address_space:  global
        .offset:         64
        .size:           8
        .value_kind:     global_buffer
      - .offset:         72
        .size:           4
        .value_kind:     by_value
      - .offset:         76
        .size:           4
        .value_kind:     by_value
      - .offset:         80
        .size:           4
        .value_kind:     by_value
      - .actual_access:  read_only
        .address_space:  global
        .offset:         88
        .size:           8
        .value_kind:     global_buffer
      - .actual_access:  read_only
        .address_space:  global
        .offset:         96
        .size:           8
        .value_kind:     global_buffer
      - .actual_access:  read_only
        .address_space:  global
        .offset:         104
        .size:           8
        .value_kind:     global_buffer
      - .actual_access:  read_only
        .address_space:  global
        .offset:         112
        .size:           8
        .value_kind:     global_buffer
      - .offset:         120
        .size:           4
        .value_kind:     by_value
      - .address_space:  global
        .offset:         128
        .size:           8
        .value_kind:     global_buffer
      - .address_space:  global
        .offset:         136
        .size:           8
        .value_kind:     global_buffer
      - .offset:         144
        .size:           4
        .value_kind:     hidden_block_count_x
      - .offset:         148
        .size:           4
        .value_kind:     hidden_block_count_y
      - .offset:         152
        .size:           4
        .value_kind:     hidden_block_count_z
      - .offset:         156
        .size:           2
        .value_kind:     hidden_group_size_x
      - .offset:         158
        .size:           2
        .value_kind:     hidden_group_size_y
      - .offset:         160
        .size:           2
        .value_kind:     hidden_group_size_z
      - .offset:         162
        .size:           2
        .value_kind:     hidden_remainder_x
      - .offset:         164
        .size:           2
        .value_kind:     hidden_remainder_y
      - .offset:         166
        .size:           2
        .value_kind:     hidden_remainder_z
      - .offset:         184
        .size:           8
        .value_kind:     hidden_global_offset_x
      - .offset:         192
        .size:           8
        .value_kind:     hidden_global_offset_y
      - .offset:         200
        .size:           8
        .value_kind:     hidden_global_offset_z
      - .offset:         208
        .size:           2
        .value_kind:     hidden_grid_dims
      - .offset:         224
        .size:           8
        .value_kind:     hidden_hostcall_buffer
    .group_segment_fixed_size: 0
    .kernarg_segment_align: 8
    .kernarg_segment_size: 400
    .language:       OpenCL C
    .language_version:
      - 2
      - 0
    .max_flat_workgroup_size: 256
    .name:           _Z38paged_attention_ll4mi_QKV_mfma4_kernelIDF16_hLN4vllm18Fp8KVCacheDataTypeE1EDF16_Li32ELi128ELi256ELb0ELi1EEvPKT_PKT0_S7_ifPKiS9_S9_iPKfiiiPfSC_PS2_PT2_iSB_SB_
    .private_segment_fixed_size: 64
    .sgpr_count:     36
    .sgpr_spill_count: 0
    .symbol:         _Z38paged_attention_ll4mi_QKV_mfma4_kernelIDF16_hLN4vllm18Fp8KVCacheDataTypeE1EDF16_Li32ELi128ELi256ELb0ELi1EEvPKT_PKT0_S7_ifPKiS9_S9_iPKfiiiPfSC_PS2_PT2_iSB_SB_.kd
    .uniform_work_group_size: 1
    .uses_dynamic_stack: false
    .vgpr_count:     51
    .vgpr_spill_count: 0
    .wavefront_size: 32
  - .args:
      - .actual_access:  read_only
        .address_space:  global
        .offset:         0
        .size:           8
        .value_kind:     global_buffer
      - .actual_access:  read_only
        .address_space:  global
        .offset:         8
        .size:           8
        .value_kind:     global_buffer
      - .actual_access:  read_only
        .address_space:  global
        .offset:         16
        .size:           8
        .value_kind:     global_buffer
      - .offset:         24
        .size:           4
        .value_kind:     by_value
      - .offset:         28
        .size:           4
        .value_kind:     by_value
      - .actual_access:  read_only
        .address_space:  global
        .offset:         32
        .size:           8
        .value_kind:     global_buffer
      - .actual_access:  read_only
        .address_space:  global
        .offset:         40
        .size:           8
        .value_kind:     global_buffer
      - .actual_access:  read_only
        .address_space:  global
        .offset:         48
        .size:           8
        .value_kind:     global_buffer
      - .offset:         56
        .size:           4
        .value_kind:     by_value
      - .actual_access:  read_only
        .address_space:  global
        .offset:         64
        .size:           8
        .value_kind:     global_buffer
      - .offset:         72
        .size:           4
        .value_kind:     by_value
      - .offset:         76
        .size:           4
        .value_kind:     by_value
      - .offset:         80
        .size:           4
        .value_kind:     by_value
      - .actual_access:  read_only
        .address_space:  global
        .offset:         88
        .size:           8
        .value_kind:     global_buffer
      - .actual_access:  read_only
        .address_space:  global
        .offset:         96
        .size:           8
        .value_kind:     global_buffer
      - .actual_access:  read_only
        .address_space:  global
        .offset:         104
        .size:           8
        .value_kind:     global_buffer
      - .actual_access:  read_only
        .address_space:  global
        .offset:         112
        .size:           8
        .value_kind:     global_buffer
      - .offset:         120
        .size:           4
        .value_kind:     by_value
      - .address_space:  global
        .offset:         128
        .size:           8
        .value_kind:     global_buffer
      - .address_space:  global
        .offset:         136
        .size:           8
        .value_kind:     global_buffer
      - .offset:         144
        .size:           4
        .value_kind:     hidden_block_count_x
      - .offset:         148
        .size:           4
        .value_kind:     hidden_block_count_y
      - .offset:         152
        .size:           4
        .value_kind:     hidden_block_count_z
      - .offset:         156
        .size:           2
        .value_kind:     hidden_group_size_x
      - .offset:         158
        .size:           2
        .value_kind:     hidden_group_size_y
      - .offset:         160
        .size:           2
        .value_kind:     hidden_group_size_z
      - .offset:         162
        .size:           2
        .value_kind:     hidden_remainder_x
      - .offset:         164
        .size:           2
        .value_kind:     hidden_remainder_y
      - .offset:         166
        .size:           2
        .value_kind:     hidden_remainder_z
      - .offset:         184
        .size:           8
        .value_kind:     hidden_global_offset_x
      - .offset:         192
        .size:           8
        .value_kind:     hidden_global_offset_y
      - .offset:         200
        .size:           8
        .value_kind:     hidden_global_offset_z
      - .offset:         208
        .size:           2
        .value_kind:     hidden_grid_dims
      - .offset:         224
        .size:           8
        .value_kind:     hidden_hostcall_buffer
    .group_segment_fixed_size: 0
    .kernarg_segment_align: 8
    .kernarg_segment_size: 400
    .language:       OpenCL C
    .language_version:
      - 2
      - 0
    .max_flat_workgroup_size: 256
    .name:           _Z38paged_attention_ll4mi_QKV_mfma4_kernelIDF16_hLN4vllm18Fp8KVCacheDataTypeE1EDF16_Li32ELi128ELi256ELb0ELi2EEvPKT_PKT0_S7_ifPKiS9_S9_iPKfiiiPfSC_PS2_PT2_iSB_SB_
    .private_segment_fixed_size: 64
    .sgpr_count:     36
    .sgpr_spill_count: 0
    .symbol:         _Z38paged_attention_ll4mi_QKV_mfma4_kernelIDF16_hLN4vllm18Fp8KVCacheDataTypeE1EDF16_Li32ELi128ELi256ELb0ELi2EEvPKT_PKT0_S7_ifPKiS9_S9_iPKfiiiPfSC_PS2_PT2_iSB_SB_.kd
    .uniform_work_group_size: 1
    .uses_dynamic_stack: false
    .vgpr_count:     51
    .vgpr_spill_count: 0
    .wavefront_size: 32
  - .args:
      - .actual_access:  read_only
        .address_space:  global
        .offset:         0
        .size:           8
        .value_kind:     global_buffer
      - .actual_access:  read_only
        .address_space:  global
        .offset:         8
        .size:           8
        .value_kind:     global_buffer
      - .actual_access:  read_only
        .address_space:  global
        .offset:         16
        .size:           8
        .value_kind:     global_buffer
      - .offset:         24
        .size:           4
        .value_kind:     by_value
      - .offset:         28
        .size:           4
        .value_kind:     by_value
      - .actual_access:  read_only
        .address_space:  global
        .offset:         32
        .size:           8
        .value_kind:     global_buffer
      - .actual_access:  read_only
        .address_space:  global
        .offset:         40
        .size:           8
        .value_kind:     global_buffer
      - .actual_access:  read_only
        .address_space:  global
        .offset:         48
        .size:           8
        .value_kind:     global_buffer
      - .offset:         56
        .size:           4
        .value_kind:     by_value
      - .actual_access:  read_only
        .address_space:  global
        .offset:         64
        .size:           8
        .value_kind:     global_buffer
      - .offset:         72
        .size:           4
        .value_kind:     by_value
      - .offset:         76
        .size:           4
        .value_kind:     by_value
      - .offset:         80
        .size:           4
        .value_kind:     by_value
      - .actual_access:  read_only
        .address_space:  global
        .offset:         88
        .size:           8
        .value_kind:     global_buffer
      - .actual_access:  read_only
        .address_space:  global
        .offset:         96
        .size:           8
        .value_kind:     global_buffer
      - .actual_access:  read_only
        .address_space:  global
        .offset:         104
        .size:           8
        .value_kind:     global_buffer
      - .actual_access:  read_only
        .address_space:  global
        .offset:         112
        .size:           8
        .value_kind:     global_buffer
      - .offset:         120
        .size:           4
        .value_kind:     by_value
      - .address_space:  global
        .offset:         128
        .size:           8
        .value_kind:     global_buffer
      - .address_space:  global
        .offset:         136
        .size:           8
        .value_kind:     global_buffer
      - .offset:         144
        .size:           4
        .value_kind:     hidden_block_count_x
      - .offset:         148
        .size:           4
        .value_kind:     hidden_block_count_y
      - .offset:         152
        .size:           4
        .value_kind:     hidden_block_count_z
      - .offset:         156
        .size:           2
        .value_kind:     hidden_group_size_x
      - .offset:         158
        .size:           2
        .value_kind:     hidden_group_size_y
      - .offset:         160
        .size:           2
        .value_kind:     hidden_group_size_z
      - .offset:         162
        .size:           2
        .value_kind:     hidden_remainder_x
      - .offset:         164
        .size:           2
        .value_kind:     hidden_remainder_y
      - .offset:         166
        .size:           2
        .value_kind:     hidden_remainder_z
      - .offset:         184
        .size:           8
        .value_kind:     hidden_global_offset_x
      - .offset:         192
        .size:           8
        .value_kind:     hidden_global_offset_y
      - .offset:         200
        .size:           8
        .value_kind:     hidden_global_offset_z
      - .offset:         208
        .size:           2
        .value_kind:     hidden_grid_dims
      - .offset:         224
        .size:           8
        .value_kind:     hidden_hostcall_buffer
    .group_segment_fixed_size: 0
    .kernarg_segment_align: 8
    .kernarg_segment_size: 400
    .language:       OpenCL C
    .language_version:
      - 2
      - 0
    .max_flat_workgroup_size: 256
    .name:           _Z38paged_attention_ll4mi_QKV_mfma4_kernelIDF16_hLN4vllm18Fp8KVCacheDataTypeE1EDF16_Li32ELi128ELi256ELb0ELi3EEvPKT_PKT0_S7_ifPKiS9_S9_iPKfiiiPfSC_PS2_PT2_iSB_SB_
    .private_segment_fixed_size: 64
    .sgpr_count:     36
    .sgpr_spill_count: 0
    .symbol:         _Z38paged_attention_ll4mi_QKV_mfma4_kernelIDF16_hLN4vllm18Fp8KVCacheDataTypeE1EDF16_Li32ELi128ELi256ELb0ELi3EEvPKT_PKT0_S7_ifPKiS9_S9_iPKfiiiPfSC_PS2_PT2_iSB_SB_.kd
    .uniform_work_group_size: 1
    .uses_dynamic_stack: false
    .vgpr_count:     51
    .vgpr_spill_count: 0
    .wavefront_size: 32
  - .args:
      - .actual_access:  read_only
        .address_space:  global
        .offset:         0
        .size:           8
        .value_kind:     global_buffer
      - .actual_access:  read_only
        .address_space:  global
        .offset:         8
        .size:           8
        .value_kind:     global_buffer
      - .actual_access:  read_only
        .address_space:  global
        .offset:         16
        .size:           8
        .value_kind:     global_buffer
      - .offset:         24
        .size:           4
        .value_kind:     by_value
      - .offset:         28
        .size:           4
        .value_kind:     by_value
      - .actual_access:  read_only
        .address_space:  global
        .offset:         32
        .size:           8
        .value_kind:     global_buffer
      - .actual_access:  read_only
        .address_space:  global
        .offset:         40
        .size:           8
        .value_kind:     global_buffer
      - .actual_access:  read_only
        .address_space:  global
        .offset:         48
        .size:           8
        .value_kind:     global_buffer
      - .offset:         56
        .size:           4
        .value_kind:     by_value
      - .actual_access:  read_only
        .address_space:  global
        .offset:         64
        .size:           8
        .value_kind:     global_buffer
      - .offset:         72
        .size:           4
        .value_kind:     by_value
      - .offset:         76
        .size:           4
        .value_kind:     by_value
      - .offset:         80
        .size:           4
        .value_kind:     by_value
      - .actual_access:  read_only
        .address_space:  global
        .offset:         88
        .size:           8
        .value_kind:     global_buffer
      - .actual_access:  read_only
        .address_space:  global
        .offset:         96
        .size:           8
        .value_kind:     global_buffer
      - .actual_access:  read_only
        .address_space:  global
        .offset:         104
        .size:           8
        .value_kind:     global_buffer
      - .actual_access:  read_only
        .address_space:  global
        .offset:         112
        .size:           8
        .value_kind:     global_buffer
      - .offset:         120
        .size:           4
        .value_kind:     by_value
      - .address_space:  global
        .offset:         128
        .size:           8
        .value_kind:     global_buffer
      - .address_space:  global
        .offset:         136
        .size:           8
        .value_kind:     global_buffer
      - .offset:         144
        .size:           4
        .value_kind:     hidden_block_count_x
      - .offset:         148
        .size:           4
        .value_kind:     hidden_block_count_y
      - .offset:         152
        .size:           4
        .value_kind:     hidden_block_count_z
      - .offset:         156
        .size:           2
        .value_kind:     hidden_group_size_x
      - .offset:         158
        .size:           2
        .value_kind:     hidden_group_size_y
      - .offset:         160
        .size:           2
        .value_kind:     hidden_group_size_z
      - .offset:         162
        .size:           2
        .value_kind:     hidden_remainder_x
      - .offset:         164
        .size:           2
        .value_kind:     hidden_remainder_y
      - .offset:         166
        .size:           2
        .value_kind:     hidden_remainder_z
      - .offset:         184
        .size:           8
        .value_kind:     hidden_global_offset_x
      - .offset:         192
        .size:           8
        .value_kind:     hidden_global_offset_y
      - .offset:         200
        .size:           8
        .value_kind:     hidden_global_offset_z
      - .offset:         208
        .size:           2
        .value_kind:     hidden_grid_dims
      - .offset:         224
        .size:           8
        .value_kind:     hidden_hostcall_buffer
    .group_segment_fixed_size: 0
    .kernarg_segment_align: 8
    .kernarg_segment_size: 400
    .language:       OpenCL C
    .language_version:
      - 2
      - 0
    .max_flat_workgroup_size: 256
    .name:           _Z38paged_attention_ll4mi_QKV_mfma4_kernelIDF16_hLN4vllm18Fp8KVCacheDataTypeE1EDF16_Li32ELi128ELi256ELb0ELi4EEvPKT_PKT0_S7_ifPKiS9_S9_iPKfiiiPfSC_PS2_PT2_iSB_SB_
    .private_segment_fixed_size: 64
    .sgpr_count:     36
    .sgpr_spill_count: 0
    .symbol:         _Z38paged_attention_ll4mi_QKV_mfma4_kernelIDF16_hLN4vllm18Fp8KVCacheDataTypeE1EDF16_Li32ELi128ELi256ELb0ELi4EEvPKT_PKT0_S7_ifPKiS9_S9_iPKfiiiPfSC_PS2_PT2_iSB_SB_.kd
    .uniform_work_group_size: 1
    .uses_dynamic_stack: false
    .vgpr_count:     51
    .vgpr_spill_count: 0
    .wavefront_size: 32
  - .args:
      - .actual_access:  read_only
        .address_space:  global
        .offset:         0
        .size:           8
        .value_kind:     global_buffer
      - .actual_access:  read_only
        .address_space:  global
        .offset:         8
        .size:           8
        .value_kind:     global_buffer
      - .actual_access:  read_only
        .address_space:  global
        .offset:         16
        .size:           8
        .value_kind:     global_buffer
      - .offset:         24
        .size:           4
        .value_kind:     by_value
      - .offset:         28
        .size:           4
        .value_kind:     by_value
      - .actual_access:  read_only
        .address_space:  global
        .offset:         32
        .size:           8
        .value_kind:     global_buffer
      - .actual_access:  read_only
        .address_space:  global
        .offset:         40
        .size:           8
        .value_kind:     global_buffer
      - .actual_access:  read_only
        .address_space:  global
        .offset:         48
        .size:           8
        .value_kind:     global_buffer
      - .offset:         56
        .size:           4
        .value_kind:     by_value
      - .actual_access:  read_only
        .address_space:  global
        .offset:         64
        .size:           8
        .value_kind:     global_buffer
      - .offset:         72
        .size:           4
        .value_kind:     by_value
      - .offset:         76
        .size:           4
        .value_kind:     by_value
      - .offset:         80
        .size:           4
        .value_kind:     by_value
      - .actual_access:  read_only
        .address_space:  global
        .offset:         88
        .size:           8
        .value_kind:     global_buffer
      - .actual_access:  read_only
        .address_space:  global
        .offset:         96
        .size:           8
        .value_kind:     global_buffer
      - .actual_access:  read_only
        .address_space:  global
        .offset:         104
        .size:           8
        .value_kind:     global_buffer
      - .actual_access:  read_only
        .address_space:  global
        .offset:         112
        .size:           8
        .value_kind:     global_buffer
      - .offset:         120
        .size:           4
        .value_kind:     by_value
      - .address_space:  global
        .offset:         128
        .size:           8
        .value_kind:     global_buffer
      - .address_space:  global
        .offset:         136
        .size:           8
        .value_kind:     global_buffer
      - .offset:         144
        .size:           4
        .value_kind:     hidden_block_count_x
      - .offset:         148
        .size:           4
        .value_kind:     hidden_block_count_y
      - .offset:         152
        .size:           4
        .value_kind:     hidden_block_count_z
      - .offset:         156
        .size:           2
        .value_kind:     hidden_group_size_x
      - .offset:         158
        .size:           2
        .value_kind:     hidden_group_size_y
      - .offset:         160
        .size:           2
        .value_kind:     hidden_group_size_z
      - .offset:         162
        .size:           2
        .value_kind:     hidden_remainder_x
      - .offset:         164
        .size:           2
        .value_kind:     hidden_remainder_y
      - .offset:         166
        .size:           2
        .value_kind:     hidden_remainder_z
      - .offset:         184
        .size:           8
        .value_kind:     hidden_global_offset_x
      - .offset:         192
        .size:           8
        .value_kind:     hidden_global_offset_y
      - .offset:         200
        .size:           8
        .value_kind:     hidden_global_offset_z
      - .offset:         208
        .size:           2
        .value_kind:     hidden_grid_dims
      - .offset:         224
        .size:           8
        .value_kind:     hidden_hostcall_buffer
    .group_segment_fixed_size: 0
    .kernarg_segment_align: 8
    .kernarg_segment_size: 400
    .language:       OpenCL C
    .language_version:
      - 2
      - 0
    .max_flat_workgroup_size: 256
    .name:           _Z39paged_attention_ll4mi_QKV_mfma16_kernelIDF16_hLN4vllm18Fp8KVCacheDataTypeE1EDF16_Li32ELi128ELi256ELb0ELi5EEvPKT_PKT0_S7_ifPKiS9_S9_iPKfiiiPfSC_PS2_PT2_iSB_SB_
    .private_segment_fixed_size: 64
    .sgpr_count:     36
    .sgpr_spill_count: 0
    .symbol:         _Z39paged_attention_ll4mi_QKV_mfma16_kernelIDF16_hLN4vllm18Fp8KVCacheDataTypeE1EDF16_Li32ELi128ELi256ELb0ELi5EEvPKT_PKT0_S7_ifPKiS9_S9_iPKfiiiPfSC_PS2_PT2_iSB_SB_.kd
    .uniform_work_group_size: 1
    .uses_dynamic_stack: false
    .vgpr_count:     51
    .vgpr_spill_count: 0
    .wavefront_size: 32
  - .args:
      - .actual_access:  read_only
        .address_space:  global
        .offset:         0
        .size:           8
        .value_kind:     global_buffer
      - .actual_access:  read_only
        .address_space:  global
        .offset:         8
        .size:           8
        .value_kind:     global_buffer
      - .actual_access:  read_only
        .address_space:  global
        .offset:         16
        .size:           8
        .value_kind:     global_buffer
      - .offset:         24
        .size:           4
        .value_kind:     by_value
      - .offset:         28
        .size:           4
        .value_kind:     by_value
      - .actual_access:  read_only
        .address_space:  global
        .offset:         32
        .size:           8
        .value_kind:     global_buffer
      - .actual_access:  read_only
        .address_space:  global
        .offset:         40
        .size:           8
        .value_kind:     global_buffer
      - .actual_access:  read_only
        .address_space:  global
        .offset:         48
        .size:           8
        .value_kind:     global_buffer
      - .offset:         56
        .size:           4
        .value_kind:     by_value
      - .actual_access:  read_only
        .address_space:  global
        .offset:         64
        .size:           8
        .value_kind:     global_buffer
      - .offset:         72
        .size:           4
        .value_kind:     by_value
      - .offset:         76
        .size:           4
        .value_kind:     by_value
      - .offset:         80
        .size:           4
        .value_kind:     by_value
      - .actual_access:  read_only
        .address_space:  global
        .offset:         88
        .size:           8
        .value_kind:     global_buffer
      - .actual_access:  read_only
        .address_space:  global
        .offset:         96
        .size:           8
        .value_kind:     global_buffer
      - .actual_access:  read_only
        .address_space:  global
        .offset:         104
        .size:           8
        .value_kind:     global_buffer
      - .actual_access:  read_only
        .address_space:  global
        .offset:         112
        .size:           8
        .value_kind:     global_buffer
      - .offset:         120
        .size:           4
        .value_kind:     by_value
      - .address_space:  global
        .offset:         128
        .size:           8
        .value_kind:     global_buffer
      - .address_space:  global
        .offset:         136
        .size:           8
        .value_kind:     global_buffer
      - .offset:         144
        .size:           4
        .value_kind:     hidden_block_count_x
      - .offset:         148
        .size:           4
        .value_kind:     hidden_block_count_y
      - .offset:         152
        .size:           4
        .value_kind:     hidden_block_count_z
      - .offset:         156
        .size:           2
        .value_kind:     hidden_group_size_x
      - .offset:         158
        .size:           2
        .value_kind:     hidden_group_size_y
      - .offset:         160
        .size:           2
        .value_kind:     hidden_group_size_z
      - .offset:         162
        .size:           2
        .value_kind:     hidden_remainder_x
      - .offset:         164
        .size:           2
        .value_kind:     hidden_remainder_y
      - .offset:         166
        .size:           2
        .value_kind:     hidden_remainder_z
      - .offset:         184
        .size:           8
        .value_kind:     hidden_global_offset_x
      - .offset:         192
        .size:           8
        .value_kind:     hidden_global_offset_y
      - .offset:         200
        .size:           8
        .value_kind:     hidden_global_offset_z
      - .offset:         208
        .size:           2
        .value_kind:     hidden_grid_dims
      - .offset:         224
        .size:           8
        .value_kind:     hidden_hostcall_buffer
    .group_segment_fixed_size: 0
    .kernarg_segment_align: 8
    .kernarg_segment_size: 400
    .language:       OpenCL C
    .language_version:
      - 2
      - 0
    .max_flat_workgroup_size: 256
    .name:           _Z39paged_attention_ll4mi_QKV_mfma16_kernelIDF16_hLN4vllm18Fp8KVCacheDataTypeE1EDF16_Li32ELi128ELi256ELb0ELi6EEvPKT_PKT0_S7_ifPKiS9_S9_iPKfiiiPfSC_PS2_PT2_iSB_SB_
    .private_segment_fixed_size: 64
    .sgpr_count:     36
    .sgpr_spill_count: 0
    .symbol:         _Z39paged_attention_ll4mi_QKV_mfma16_kernelIDF16_hLN4vllm18Fp8KVCacheDataTypeE1EDF16_Li32ELi128ELi256ELb0ELi6EEvPKT_PKT0_S7_ifPKiS9_S9_iPKfiiiPfSC_PS2_PT2_iSB_SB_.kd
    .uniform_work_group_size: 1
    .uses_dynamic_stack: false
    .vgpr_count:     51
    .vgpr_spill_count: 0
    .wavefront_size: 32
  - .args:
      - .actual_access:  read_only
        .address_space:  global
        .offset:         0
        .size:           8
        .value_kind:     global_buffer
      - .actual_access:  read_only
        .address_space:  global
        .offset:         8
        .size:           8
        .value_kind:     global_buffer
      - .actual_access:  read_only
        .address_space:  global
        .offset:         16
        .size:           8
        .value_kind:     global_buffer
      - .offset:         24
        .size:           4
        .value_kind:     by_value
      - .offset:         28
        .size:           4
        .value_kind:     by_value
      - .actual_access:  read_only
        .address_space:  global
        .offset:         32
        .size:           8
        .value_kind:     global_buffer
      - .actual_access:  read_only
        .address_space:  global
        .offset:         40
        .size:           8
        .value_kind:     global_buffer
      - .actual_access:  read_only
        .address_space:  global
        .offset:         48
        .size:           8
        .value_kind:     global_buffer
      - .offset:         56
        .size:           4
        .value_kind:     by_value
      - .actual_access:  read_only
        .address_space:  global
        .offset:         64
        .size:           8
        .value_kind:     global_buffer
      - .offset:         72
        .size:           4
        .value_kind:     by_value
      - .offset:         76
        .size:           4
        .value_kind:     by_value
      - .offset:         80
        .size:           4
        .value_kind:     by_value
      - .actual_access:  read_only
        .address_space:  global
        .offset:         88
        .size:           8
        .value_kind:     global_buffer
      - .actual_access:  read_only
        .address_space:  global
        .offset:         96
        .size:           8
        .value_kind:     global_buffer
      - .actual_access:  read_only
        .address_space:  global
        .offset:         104
        .size:           8
        .value_kind:     global_buffer
      - .actual_access:  read_only
        .address_space:  global
        .offset:         112
        .size:           8
        .value_kind:     global_buffer
      - .offset:         120
        .size:           4
        .value_kind:     by_value
      - .address_space:  global
        .offset:         128
        .size:           8
        .value_kind:     global_buffer
      - .address_space:  global
        .offset:         136
        .size:           8
        .value_kind:     global_buffer
      - .offset:         144
        .size:           4
        .value_kind:     hidden_block_count_x
      - .offset:         148
        .size:           4
        .value_kind:     hidden_block_count_y
      - .offset:         152
        .size:           4
        .value_kind:     hidden_block_count_z
      - .offset:         156
        .size:           2
        .value_kind:     hidden_group_size_x
      - .offset:         158
        .size:           2
        .value_kind:     hidden_group_size_y
      - .offset:         160
        .size:           2
        .value_kind:     hidden_group_size_z
      - .offset:         162
        .size:           2
        .value_kind:     hidden_remainder_x
      - .offset:         164
        .size:           2
        .value_kind:     hidden_remainder_y
      - .offset:         166
        .size:           2
        .value_kind:     hidden_remainder_z
      - .offset:         184
        .size:           8
        .value_kind:     hidden_global_offset_x
      - .offset:         192
        .size:           8
        .value_kind:     hidden_global_offset_y
      - .offset:         200
        .size:           8
        .value_kind:     hidden_global_offset_z
      - .offset:         208
        .size:           2
        .value_kind:     hidden_grid_dims
      - .offset:         224
        .size:           8
        .value_kind:     hidden_hostcall_buffer
    .group_segment_fixed_size: 0
    .kernarg_segment_align: 8
    .kernarg_segment_size: 400
    .language:       OpenCL C
    .language_version:
      - 2
      - 0
    .max_flat_workgroup_size: 256
    .name:           _Z39paged_attention_ll4mi_QKV_mfma16_kernelIDF16_hLN4vllm18Fp8KVCacheDataTypeE1EDF16_Li32ELi128ELi256ELb0ELi7EEvPKT_PKT0_S7_ifPKiS9_S9_iPKfiiiPfSC_PS2_PT2_iSB_SB_
    .private_segment_fixed_size: 64
    .sgpr_count:     36
    .sgpr_spill_count: 0
    .symbol:         _Z39paged_attention_ll4mi_QKV_mfma16_kernelIDF16_hLN4vllm18Fp8KVCacheDataTypeE1EDF16_Li32ELi128ELi256ELb0ELi7EEvPKT_PKT0_S7_ifPKiS9_S9_iPKfiiiPfSC_PS2_PT2_iSB_SB_.kd
    .uniform_work_group_size: 1
    .uses_dynamic_stack: false
    .vgpr_count:     51
    .vgpr_spill_count: 0
    .wavefront_size: 32
  - .args:
      - .actual_access:  read_only
        .address_space:  global
        .offset:         0
        .size:           8
        .value_kind:     global_buffer
      - .actual_access:  read_only
        .address_space:  global
        .offset:         8
        .size:           8
        .value_kind:     global_buffer
      - .actual_access:  read_only
        .address_space:  global
        .offset:         16
        .size:           8
        .value_kind:     global_buffer
      - .offset:         24
        .size:           4
        .value_kind:     by_value
      - .offset:         28
        .size:           4
        .value_kind:     by_value
      - .actual_access:  read_only
        .address_space:  global
        .offset:         32
        .size:           8
        .value_kind:     global_buffer
      - .actual_access:  read_only
        .address_space:  global
        .offset:         40
        .size:           8
        .value_kind:     global_buffer
      - .actual_access:  read_only
        .address_space:  global
        .offset:         48
        .size:           8
        .value_kind:     global_buffer
      - .offset:         56
        .size:           4
        .value_kind:     by_value
      - .actual_access:  read_only
        .address_space:  global
        .offset:         64
        .size:           8
        .value_kind:     global_buffer
      - .offset:         72
        .size:           4
        .value_kind:     by_value
      - .offset:         76
        .size:           4
        .value_kind:     by_value
      - .offset:         80
        .size:           4
        .value_kind:     by_value
      - .actual_access:  read_only
        .address_space:  global
        .offset:         88
        .size:           8
        .value_kind:     global_buffer
      - .actual_access:  read_only
        .address_space:  global
        .offset:         96
        .size:           8
        .value_kind:     global_buffer
      - .actual_access:  read_only
        .address_space:  global
        .offset:         104
        .size:           8
        .value_kind:     global_buffer
      - .actual_access:  read_only
        .address_space:  global
        .offset:         112
        .size:           8
        .value_kind:     global_buffer
      - .offset:         120
        .size:           4
        .value_kind:     by_value
      - .address_space:  global
        .offset:         128
        .size:           8
        .value_kind:     global_buffer
      - .address_space:  global
        .offset:         136
        .size:           8
        .value_kind:     global_buffer
      - .offset:         144
        .size:           4
        .value_kind:     hidden_block_count_x
      - .offset:         148
        .size:           4
        .value_kind:     hidden_block_count_y
      - .offset:         152
        .size:           4
        .value_kind:     hidden_block_count_z
      - .offset:         156
        .size:           2
        .value_kind:     hidden_group_size_x
      - .offset:         158
        .size:           2
        .value_kind:     hidden_group_size_y
      - .offset:         160
        .size:           2
        .value_kind:     hidden_group_size_z
      - .offset:         162
        .size:           2
        .value_kind:     hidden_remainder_x
      - .offset:         164
        .size:           2
        .value_kind:     hidden_remainder_y
      - .offset:         166
        .size:           2
        .value_kind:     hidden_remainder_z
      - .offset:         184
        .size:           8
        .value_kind:     hidden_global_offset_x
      - .offset:         192
        .size:           8
        .value_kind:     hidden_global_offset_y
      - .offset:         200
        .size:           8
        .value_kind:     hidden_global_offset_z
      - .offset:         208
        .size:           2
        .value_kind:     hidden_grid_dims
      - .offset:         224
        .size:           8
        .value_kind:     hidden_hostcall_buffer
    .group_segment_fixed_size: 0
    .kernarg_segment_align: 8
    .kernarg_segment_size: 400
    .language:       OpenCL C
    .language_version:
      - 2
      - 0
    .max_flat_workgroup_size: 256
    .name:           _Z39paged_attention_ll4mi_QKV_mfma16_kernelIDF16_hLN4vllm18Fp8KVCacheDataTypeE1EDF16_Li32ELi128ELi256ELb0ELi8EEvPKT_PKT0_S7_ifPKiS9_S9_iPKfiiiPfSC_PS2_PT2_iSB_SB_
    .private_segment_fixed_size: 64
    .sgpr_count:     36
    .sgpr_spill_count: 0
    .symbol:         _Z39paged_attention_ll4mi_QKV_mfma16_kernelIDF16_hLN4vllm18Fp8KVCacheDataTypeE1EDF16_Li32ELi128ELi256ELb0ELi8EEvPKT_PKT0_S7_ifPKiS9_S9_iPKfiiiPfSC_PS2_PT2_iSB_SB_.kd
    .uniform_work_group_size: 1
    .uses_dynamic_stack: false
    .vgpr_count:     51
    .vgpr_spill_count: 0
    .wavefront_size: 32
  - .args:
      - .actual_access:  read_only
        .address_space:  global
        .offset:         0
        .size:           8
        .value_kind:     global_buffer
      - .actual_access:  read_only
        .address_space:  global
        .offset:         8
        .size:           8
        .value_kind:     global_buffer
      - .actual_access:  read_only
        .address_space:  global
        .offset:         16
        .size:           8
        .value_kind:     global_buffer
      - .offset:         24
        .size:           4
        .value_kind:     by_value
      - .offset:         28
        .size:           4
        .value_kind:     by_value
      - .actual_access:  read_only
        .address_space:  global
        .offset:         32
        .size:           8
        .value_kind:     global_buffer
      - .actual_access:  read_only
        .address_space:  global
        .offset:         40
        .size:           8
        .value_kind:     global_buffer
      - .actual_access:  read_only
        .address_space:  global
        .offset:         48
        .size:           8
        .value_kind:     global_buffer
      - .offset:         56
        .size:           4
        .value_kind:     by_value
      - .actual_access:  read_only
        .address_space:  global
        .offset:         64
        .size:           8
        .value_kind:     global_buffer
      - .offset:         72
        .size:           4
        .value_kind:     by_value
      - .offset:         76
        .size:           4
        .value_kind:     by_value
      - .offset:         80
        .size:           4
        .value_kind:     by_value
      - .actual_access:  read_only
        .address_space:  global
        .offset:         88
        .size:           8
        .value_kind:     global_buffer
      - .actual_access:  read_only
        .address_space:  global
        .offset:         96
        .size:           8
        .value_kind:     global_buffer
      - .actual_access:  read_only
        .address_space:  global
        .offset:         104
        .size:           8
        .value_kind:     global_buffer
      - .actual_access:  read_only
        .address_space:  global
        .offset:         112
        .size:           8
        .value_kind:     global_buffer
      - .offset:         120
        .size:           4
        .value_kind:     by_value
      - .address_space:  global
        .offset:         128
        .size:           8
        .value_kind:     global_buffer
      - .address_space:  global
        .offset:         136
        .size:           8
        .value_kind:     global_buffer
      - .offset:         144
        .size:           4
        .value_kind:     hidden_block_count_x
      - .offset:         148
        .size:           4
        .value_kind:     hidden_block_count_y
      - .offset:         152
        .size:           4
        .value_kind:     hidden_block_count_z
      - .offset:         156
        .size:           2
        .value_kind:     hidden_group_size_x
      - .offset:         158
        .size:           2
        .value_kind:     hidden_group_size_y
      - .offset:         160
        .size:           2
        .value_kind:     hidden_group_size_z
      - .offset:         162
        .size:           2
        .value_kind:     hidden_remainder_x
      - .offset:         164
        .size:           2
        .value_kind:     hidden_remainder_y
      - .offset:         166
        .size:           2
        .value_kind:     hidden_remainder_z
      - .offset:         184
        .size:           8
        .value_kind:     hidden_global_offset_x
      - .offset:         192
        .size:           8
        .value_kind:     hidden_global_offset_y
      - .offset:         200
        .size:           8
        .value_kind:     hidden_global_offset_z
      - .offset:         208
        .size:           2
        .value_kind:     hidden_grid_dims
      - .offset:         224
        .size:           8
        .value_kind:     hidden_hostcall_buffer
    .group_segment_fixed_size: 0
    .kernarg_segment_align: 8
    .kernarg_segment_size: 400
    .language:       OpenCL C
    .language_version:
      - 2
      - 0
    .max_flat_workgroup_size: 256
    .name:           _Z39paged_attention_ll4mi_QKV_mfma16_kernelIDF16_hLN4vllm18Fp8KVCacheDataTypeE1EDF16_Li32ELi128ELi256ELb0ELi9EEvPKT_PKT0_S7_ifPKiS9_S9_iPKfiiiPfSC_PS2_PT2_iSB_SB_
    .private_segment_fixed_size: 64
    .sgpr_count:     36
    .sgpr_spill_count: 0
    .symbol:         _Z39paged_attention_ll4mi_QKV_mfma16_kernelIDF16_hLN4vllm18Fp8KVCacheDataTypeE1EDF16_Li32ELi128ELi256ELb0ELi9EEvPKT_PKT0_S7_ifPKiS9_S9_iPKfiiiPfSC_PS2_PT2_iSB_SB_.kd
    .uniform_work_group_size: 1
    .uses_dynamic_stack: false
    .vgpr_count:     51
    .vgpr_spill_count: 0
    .wavefront_size: 32
  - .args:
      - .actual_access:  read_only
        .address_space:  global
        .offset:         0
        .size:           8
        .value_kind:     global_buffer
      - .actual_access:  read_only
        .address_space:  global
        .offset:         8
        .size:           8
        .value_kind:     global_buffer
      - .actual_access:  read_only
        .address_space:  global
        .offset:         16
        .size:           8
        .value_kind:     global_buffer
      - .offset:         24
        .size:           4
        .value_kind:     by_value
      - .offset:         28
        .size:           4
        .value_kind:     by_value
      - .actual_access:  read_only
        .address_space:  global
        .offset:         32
        .size:           8
        .value_kind:     global_buffer
      - .actual_access:  read_only
        .address_space:  global
        .offset:         40
        .size:           8
        .value_kind:     global_buffer
      - .actual_access:  read_only
        .address_space:  global
        .offset:         48
        .size:           8
        .value_kind:     global_buffer
      - .offset:         56
        .size:           4
        .value_kind:     by_value
      - .actual_access:  read_only
        .address_space:  global
        .offset:         64
        .size:           8
        .value_kind:     global_buffer
      - .offset:         72
        .size:           4
        .value_kind:     by_value
      - .offset:         76
        .size:           4
        .value_kind:     by_value
      - .offset:         80
        .size:           4
        .value_kind:     by_value
      - .actual_access:  read_only
        .address_space:  global
        .offset:         88
        .size:           8
        .value_kind:     global_buffer
      - .actual_access:  read_only
        .address_space:  global
        .offset:         96
        .size:           8
        .value_kind:     global_buffer
      - .actual_access:  read_only
        .address_space:  global
        .offset:         104
        .size:           8
        .value_kind:     global_buffer
      - .actual_access:  read_only
        .address_space:  global
        .offset:         112
        .size:           8
        .value_kind:     global_buffer
      - .offset:         120
        .size:           4
        .value_kind:     by_value
      - .address_space:  global
        .offset:         128
        .size:           8
        .value_kind:     global_buffer
      - .address_space:  global
        .offset:         136
        .size:           8
        .value_kind:     global_buffer
      - .offset:         144
        .size:           4
        .value_kind:     hidden_block_count_x
      - .offset:         148
        .size:           4
        .value_kind:     hidden_block_count_y
      - .offset:         152
        .size:           4
        .value_kind:     hidden_block_count_z
      - .offset:         156
        .size:           2
        .value_kind:     hidden_group_size_x
      - .offset:         158
        .size:           2
        .value_kind:     hidden_group_size_y
      - .offset:         160
        .size:           2
        .value_kind:     hidden_group_size_z
      - .offset:         162
        .size:           2
        .value_kind:     hidden_remainder_x
      - .offset:         164
        .size:           2
        .value_kind:     hidden_remainder_y
      - .offset:         166
        .size:           2
        .value_kind:     hidden_remainder_z
      - .offset:         184
        .size:           8
        .value_kind:     hidden_global_offset_x
      - .offset:         192
        .size:           8
        .value_kind:     hidden_global_offset_y
      - .offset:         200
        .size:           8
        .value_kind:     hidden_global_offset_z
      - .offset:         208
        .size:           2
        .value_kind:     hidden_grid_dims
      - .offset:         224
        .size:           8
        .value_kind:     hidden_hostcall_buffer
    .group_segment_fixed_size: 0
    .kernarg_segment_align: 8
    .kernarg_segment_size: 400
    .language:       OpenCL C
    .language_version:
      - 2
      - 0
    .max_flat_workgroup_size: 256
    .name:           _Z39paged_attention_ll4mi_QKV_mfma16_kernelIDF16_hLN4vllm18Fp8KVCacheDataTypeE1EDF16_Li32ELi128ELi256ELb0ELi10EEvPKT_PKT0_S7_ifPKiS9_S9_iPKfiiiPfSC_PS2_PT2_iSB_SB_
    .private_segment_fixed_size: 64
    .sgpr_count:     36
    .sgpr_spill_count: 0
    .symbol:         _Z39paged_attention_ll4mi_QKV_mfma16_kernelIDF16_hLN4vllm18Fp8KVCacheDataTypeE1EDF16_Li32ELi128ELi256ELb0ELi10EEvPKT_PKT0_S7_ifPKiS9_S9_iPKfiiiPfSC_PS2_PT2_iSB_SB_.kd
    .uniform_work_group_size: 1
    .uses_dynamic_stack: false
    .vgpr_count:     51
    .vgpr_spill_count: 0
    .wavefront_size: 32
  - .args:
      - .actual_access:  read_only
        .address_space:  global
        .offset:         0
        .size:           8
        .value_kind:     global_buffer
      - .actual_access:  read_only
        .address_space:  global
        .offset:         8
        .size:           8
        .value_kind:     global_buffer
      - .actual_access:  read_only
        .address_space:  global
        .offset:         16
        .size:           8
        .value_kind:     global_buffer
      - .offset:         24
        .size:           4
        .value_kind:     by_value
      - .offset:         28
        .size:           4
        .value_kind:     by_value
      - .actual_access:  read_only
        .address_space:  global
        .offset:         32
        .size:           8
        .value_kind:     global_buffer
      - .actual_access:  read_only
        .address_space:  global
        .offset:         40
        .size:           8
        .value_kind:     global_buffer
      - .actual_access:  read_only
        .address_space:  global
        .offset:         48
        .size:           8
        .value_kind:     global_buffer
      - .offset:         56
        .size:           4
        .value_kind:     by_value
      - .actual_access:  read_only
        .address_space:  global
        .offset:         64
        .size:           8
        .value_kind:     global_buffer
      - .offset:         72
        .size:           4
        .value_kind:     by_value
      - .offset:         76
        .size:           4
        .value_kind:     by_value
      - .offset:         80
        .size:           4
        .value_kind:     by_value
      - .actual_access:  read_only
        .address_space:  global
        .offset:         88
        .size:           8
        .value_kind:     global_buffer
      - .actual_access:  read_only
        .address_space:  global
        .offset:         96
        .size:           8
        .value_kind:     global_buffer
      - .actual_access:  read_only
        .address_space:  global
        .offset:         104
        .size:           8
        .value_kind:     global_buffer
      - .actual_access:  read_only
        .address_space:  global
        .offset:         112
        .size:           8
        .value_kind:     global_buffer
      - .offset:         120
        .size:           4
        .value_kind:     by_value
      - .address_space:  global
        .offset:         128
        .size:           8
        .value_kind:     global_buffer
      - .address_space:  global
        .offset:         136
        .size:           8
        .value_kind:     global_buffer
      - .offset:         144
        .size:           4
        .value_kind:     hidden_block_count_x
      - .offset:         148
        .size:           4
        .value_kind:     hidden_block_count_y
      - .offset:         152
        .size:           4
        .value_kind:     hidden_block_count_z
      - .offset:         156
        .size:           2
        .value_kind:     hidden_group_size_x
      - .offset:         158
        .size:           2
        .value_kind:     hidden_group_size_y
      - .offset:         160
        .size:           2
        .value_kind:     hidden_group_size_z
      - .offset:         162
        .size:           2
        .value_kind:     hidden_remainder_x
      - .offset:         164
        .size:           2
        .value_kind:     hidden_remainder_y
      - .offset:         166
        .size:           2
        .value_kind:     hidden_remainder_z
      - .offset:         184
        .size:           8
        .value_kind:     hidden_global_offset_x
      - .offset:         192
        .size:           8
        .value_kind:     hidden_global_offset_y
      - .offset:         200
        .size:           8
        .value_kind:     hidden_global_offset_z
      - .offset:         208
        .size:           2
        .value_kind:     hidden_grid_dims
      - .offset:         224
        .size:           8
        .value_kind:     hidden_hostcall_buffer
    .group_segment_fixed_size: 0
    .kernarg_segment_align: 8
    .kernarg_segment_size: 400
    .language:       OpenCL C
    .language_version:
      - 2
      - 0
    .max_flat_workgroup_size: 256
    .name:           _Z39paged_attention_ll4mi_QKV_mfma16_kernelIDF16_hLN4vllm18Fp8KVCacheDataTypeE1EDF16_Li32ELi128ELi256ELb0ELi11EEvPKT_PKT0_S7_ifPKiS9_S9_iPKfiiiPfSC_PS2_PT2_iSB_SB_
    .private_segment_fixed_size: 64
    .sgpr_count:     36
    .sgpr_spill_count: 0
    .symbol:         _Z39paged_attention_ll4mi_QKV_mfma16_kernelIDF16_hLN4vllm18Fp8KVCacheDataTypeE1EDF16_Li32ELi128ELi256ELb0ELi11EEvPKT_PKT0_S7_ifPKiS9_S9_iPKfiiiPfSC_PS2_PT2_iSB_SB_.kd
    .uniform_work_group_size: 1
    .uses_dynamic_stack: false
    .vgpr_count:     51
    .vgpr_spill_count: 0
    .wavefront_size: 32
  - .args:
      - .actual_access:  read_only
        .address_space:  global
        .offset:         0
        .size:           8
        .value_kind:     global_buffer
      - .actual_access:  read_only
        .address_space:  global
        .offset:         8
        .size:           8
        .value_kind:     global_buffer
      - .actual_access:  read_only
        .address_space:  global
        .offset:         16
        .size:           8
        .value_kind:     global_buffer
      - .offset:         24
        .size:           4
        .value_kind:     by_value
      - .offset:         28
        .size:           4
        .value_kind:     by_value
      - .actual_access:  read_only
        .address_space:  global
        .offset:         32
        .size:           8
        .value_kind:     global_buffer
      - .actual_access:  read_only
        .address_space:  global
        .offset:         40
        .size:           8
        .value_kind:     global_buffer
      - .actual_access:  read_only
        .address_space:  global
        .offset:         48
        .size:           8
        .value_kind:     global_buffer
      - .offset:         56
        .size:           4
        .value_kind:     by_value
      - .actual_access:  read_only
        .address_space:  global
        .offset:         64
        .size:           8
        .value_kind:     global_buffer
      - .offset:         72
        .size:           4
        .value_kind:     by_value
      - .offset:         76
        .size:           4
        .value_kind:     by_value
      - .offset:         80
        .size:           4
        .value_kind:     by_value
      - .actual_access:  read_only
        .address_space:  global
        .offset:         88
        .size:           8
        .value_kind:     global_buffer
      - .actual_access:  read_only
        .address_space:  global
        .offset:         96
        .size:           8
        .value_kind:     global_buffer
      - .actual_access:  read_only
        .address_space:  global
        .offset:         104
        .size:           8
        .value_kind:     global_buffer
      - .actual_access:  read_only
        .address_space:  global
        .offset:         112
        .size:           8
        .value_kind:     global_buffer
      - .offset:         120
        .size:           4
        .value_kind:     by_value
      - .address_space:  global
        .offset:         128
        .size:           8
        .value_kind:     global_buffer
      - .address_space:  global
        .offset:         136
        .size:           8
        .value_kind:     global_buffer
      - .offset:         144
        .size:           4
        .value_kind:     hidden_block_count_x
      - .offset:         148
        .size:           4
        .value_kind:     hidden_block_count_y
      - .offset:         152
        .size:           4
        .value_kind:     hidden_block_count_z
      - .offset:         156
        .size:           2
        .value_kind:     hidden_group_size_x
      - .offset:         158
        .size:           2
        .value_kind:     hidden_group_size_y
      - .offset:         160
        .size:           2
        .value_kind:     hidden_group_size_z
      - .offset:         162
        .size:           2
        .value_kind:     hidden_remainder_x
      - .offset:         164
        .size:           2
        .value_kind:     hidden_remainder_y
      - .offset:         166
        .size:           2
        .value_kind:     hidden_remainder_z
      - .offset:         184
        .size:           8
        .value_kind:     hidden_global_offset_x
      - .offset:         192
        .size:           8
        .value_kind:     hidden_global_offset_y
      - .offset:         200
        .size:           8
        .value_kind:     hidden_global_offset_z
      - .offset:         208
        .size:           2
        .value_kind:     hidden_grid_dims
      - .offset:         224
        .size:           8
        .value_kind:     hidden_hostcall_buffer
    .group_segment_fixed_size: 0
    .kernarg_segment_align: 8
    .kernarg_segment_size: 400
    .language:       OpenCL C
    .language_version:
      - 2
      - 0
    .max_flat_workgroup_size: 256
    .name:           _Z39paged_attention_ll4mi_QKV_mfma16_kernelIDF16_hLN4vllm18Fp8KVCacheDataTypeE1EDF16_Li32ELi128ELi256ELb0ELi12EEvPKT_PKT0_S7_ifPKiS9_S9_iPKfiiiPfSC_PS2_PT2_iSB_SB_
    .private_segment_fixed_size: 64
    .sgpr_count:     36
    .sgpr_spill_count: 0
    .symbol:         _Z39paged_attention_ll4mi_QKV_mfma16_kernelIDF16_hLN4vllm18Fp8KVCacheDataTypeE1EDF16_Li32ELi128ELi256ELb0ELi12EEvPKT_PKT0_S7_ifPKiS9_S9_iPKfiiiPfSC_PS2_PT2_iSB_SB_.kd
    .uniform_work_group_size: 1
    .uses_dynamic_stack: false
    .vgpr_count:     51
    .vgpr_spill_count: 0
    .wavefront_size: 32
  - .args:
      - .actual_access:  read_only
        .address_space:  global
        .offset:         0
        .size:           8
        .value_kind:     global_buffer
      - .actual_access:  read_only
        .address_space:  global
        .offset:         8
        .size:           8
        .value_kind:     global_buffer
      - .actual_access:  read_only
        .address_space:  global
        .offset:         16
        .size:           8
        .value_kind:     global_buffer
      - .offset:         24
        .size:           4
        .value_kind:     by_value
      - .offset:         28
        .size:           4
        .value_kind:     by_value
      - .actual_access:  read_only
        .address_space:  global
        .offset:         32
        .size:           8
        .value_kind:     global_buffer
      - .actual_access:  read_only
        .address_space:  global
        .offset:         40
        .size:           8
        .value_kind:     global_buffer
      - .actual_access:  read_only
        .address_space:  global
        .offset:         48
        .size:           8
        .value_kind:     global_buffer
      - .offset:         56
        .size:           4
        .value_kind:     by_value
      - .actual_access:  read_only
        .address_space:  global
        .offset:         64
        .size:           8
        .value_kind:     global_buffer
      - .offset:         72
        .size:           4
        .value_kind:     by_value
      - .offset:         76
        .size:           4
        .value_kind:     by_value
      - .offset:         80
        .size:           4
        .value_kind:     by_value
      - .actual_access:  read_only
        .address_space:  global
        .offset:         88
        .size:           8
        .value_kind:     global_buffer
      - .actual_access:  read_only
        .address_space:  global
        .offset:         96
        .size:           8
        .value_kind:     global_buffer
      - .actual_access:  read_only
        .address_space:  global
        .offset:         104
        .size:           8
        .value_kind:     global_buffer
      - .actual_access:  read_only
        .address_space:  global
        .offset:         112
        .size:           8
        .value_kind:     global_buffer
      - .offset:         120
        .size:           4
        .value_kind:     by_value
      - .address_space:  global
        .offset:         128
        .size:           8
        .value_kind:     global_buffer
      - .address_space:  global
        .offset:         136
        .size:           8
        .value_kind:     global_buffer
      - .offset:         144
        .size:           4
        .value_kind:     hidden_block_count_x
      - .offset:         148
        .size:           4
        .value_kind:     hidden_block_count_y
      - .offset:         152
        .size:           4
        .value_kind:     hidden_block_count_z
      - .offset:         156
        .size:           2
        .value_kind:     hidden_group_size_x
      - .offset:         158
        .size:           2
        .value_kind:     hidden_group_size_y
      - .offset:         160
        .size:           2
        .value_kind:     hidden_group_size_z
      - .offset:         162
        .size:           2
        .value_kind:     hidden_remainder_x
      - .offset:         164
        .size:           2
        .value_kind:     hidden_remainder_y
      - .offset:         166
        .size:           2
        .value_kind:     hidden_remainder_z
      - .offset:         184
        .size:           8
        .value_kind:     hidden_global_offset_x
      - .offset:         192
        .size:           8
        .value_kind:     hidden_global_offset_y
      - .offset:         200
        .size:           8
        .value_kind:     hidden_global_offset_z
      - .offset:         208
        .size:           2
        .value_kind:     hidden_grid_dims
      - .offset:         224
        .size:           8
        .value_kind:     hidden_hostcall_buffer
    .group_segment_fixed_size: 0
    .kernarg_segment_align: 8
    .kernarg_segment_size: 400
    .language:       OpenCL C
    .language_version:
      - 2
      - 0
    .max_flat_workgroup_size: 256
    .name:           _Z39paged_attention_ll4mi_QKV_mfma16_kernelIDF16_hLN4vllm18Fp8KVCacheDataTypeE1EDF16_Li32ELi128ELi256ELb0ELi13EEvPKT_PKT0_S7_ifPKiS9_S9_iPKfiiiPfSC_PS2_PT2_iSB_SB_
    .private_segment_fixed_size: 64
    .sgpr_count:     36
    .sgpr_spill_count: 0
    .symbol:         _Z39paged_attention_ll4mi_QKV_mfma16_kernelIDF16_hLN4vllm18Fp8KVCacheDataTypeE1EDF16_Li32ELi128ELi256ELb0ELi13EEvPKT_PKT0_S7_ifPKiS9_S9_iPKfiiiPfSC_PS2_PT2_iSB_SB_.kd
    .uniform_work_group_size: 1
    .uses_dynamic_stack: false
    .vgpr_count:     51
    .vgpr_spill_count: 0
    .wavefront_size: 32
  - .args:
      - .actual_access:  read_only
        .address_space:  global
        .offset:         0
        .size:           8
        .value_kind:     global_buffer
      - .actual_access:  read_only
        .address_space:  global
        .offset:         8
        .size:           8
        .value_kind:     global_buffer
      - .actual_access:  read_only
        .address_space:  global
        .offset:         16
        .size:           8
        .value_kind:     global_buffer
      - .offset:         24
        .size:           4
        .value_kind:     by_value
      - .offset:         28
        .size:           4
        .value_kind:     by_value
      - .actual_access:  read_only
        .address_space:  global
        .offset:         32
        .size:           8
        .value_kind:     global_buffer
      - .actual_access:  read_only
        .address_space:  global
        .offset:         40
        .size:           8
        .value_kind:     global_buffer
      - .actual_access:  read_only
        .address_space:  global
        .offset:         48
        .size:           8
        .value_kind:     global_buffer
      - .offset:         56
        .size:           4
        .value_kind:     by_value
      - .actual_access:  read_only
        .address_space:  global
        .offset:         64
        .size:           8
        .value_kind:     global_buffer
      - .offset:         72
        .size:           4
        .value_kind:     by_value
      - .offset:         76
        .size:           4
        .value_kind:     by_value
      - .offset:         80
        .size:           4
        .value_kind:     by_value
      - .actual_access:  read_only
        .address_space:  global
        .offset:         88
        .size:           8
        .value_kind:     global_buffer
      - .actual_access:  read_only
        .address_space:  global
        .offset:         96
        .size:           8
        .value_kind:     global_buffer
      - .actual_access:  read_only
        .address_space:  global
        .offset:         104
        .size:           8
        .value_kind:     global_buffer
      - .actual_access:  read_only
        .address_space:  global
        .offset:         112
        .size:           8
        .value_kind:     global_buffer
      - .offset:         120
        .size:           4
        .value_kind:     by_value
      - .address_space:  global
        .offset:         128
        .size:           8
        .value_kind:     global_buffer
      - .address_space:  global
        .offset:         136
        .size:           8
        .value_kind:     global_buffer
      - .offset:         144
        .size:           4
        .value_kind:     hidden_block_count_x
      - .offset:         148
        .size:           4
        .value_kind:     hidden_block_count_y
      - .offset:         152
        .size:           4
        .value_kind:     hidden_block_count_z
      - .offset:         156
        .size:           2
        .value_kind:     hidden_group_size_x
      - .offset:         158
        .size:           2
        .value_kind:     hidden_group_size_y
      - .offset:         160
        .size:           2
        .value_kind:     hidden_group_size_z
      - .offset:         162
        .size:           2
        .value_kind:     hidden_remainder_x
      - .offset:         164
        .size:           2
        .value_kind:     hidden_remainder_y
      - .offset:         166
        .size:           2
        .value_kind:     hidden_remainder_z
      - .offset:         184
        .size:           8
        .value_kind:     hidden_global_offset_x
      - .offset:         192
        .size:           8
        .value_kind:     hidden_global_offset_y
      - .offset:         200
        .size:           8
        .value_kind:     hidden_global_offset_z
      - .offset:         208
        .size:           2
        .value_kind:     hidden_grid_dims
      - .offset:         224
        .size:           8
        .value_kind:     hidden_hostcall_buffer
    .group_segment_fixed_size: 0
    .kernarg_segment_align: 8
    .kernarg_segment_size: 400
    .language:       OpenCL C
    .language_version:
      - 2
      - 0
    .max_flat_workgroup_size: 256
    .name:           _Z39paged_attention_ll4mi_QKV_mfma16_kernelIDF16_hLN4vllm18Fp8KVCacheDataTypeE1EDF16_Li32ELi128ELi256ELb0ELi14EEvPKT_PKT0_S7_ifPKiS9_S9_iPKfiiiPfSC_PS2_PT2_iSB_SB_
    .private_segment_fixed_size: 64
    .sgpr_count:     36
    .sgpr_spill_count: 0
    .symbol:         _Z39paged_attention_ll4mi_QKV_mfma16_kernelIDF16_hLN4vllm18Fp8KVCacheDataTypeE1EDF16_Li32ELi128ELi256ELb0ELi14EEvPKT_PKT0_S7_ifPKiS9_S9_iPKfiiiPfSC_PS2_PT2_iSB_SB_.kd
    .uniform_work_group_size: 1
    .uses_dynamic_stack: false
    .vgpr_count:     51
    .vgpr_spill_count: 0
    .wavefront_size: 32
  - .args:
      - .actual_access:  read_only
        .address_space:  global
        .offset:         0
        .size:           8
        .value_kind:     global_buffer
      - .actual_access:  read_only
        .address_space:  global
        .offset:         8
        .size:           8
        .value_kind:     global_buffer
      - .actual_access:  read_only
        .address_space:  global
        .offset:         16
        .size:           8
        .value_kind:     global_buffer
      - .offset:         24
        .size:           4
        .value_kind:     by_value
      - .offset:         28
        .size:           4
        .value_kind:     by_value
      - .actual_access:  read_only
        .address_space:  global
        .offset:         32
        .size:           8
        .value_kind:     global_buffer
      - .actual_access:  read_only
        .address_space:  global
        .offset:         40
        .size:           8
        .value_kind:     global_buffer
      - .actual_access:  read_only
        .address_space:  global
        .offset:         48
        .size:           8
        .value_kind:     global_buffer
      - .offset:         56
        .size:           4
        .value_kind:     by_value
      - .actual_access:  read_only
        .address_space:  global
        .offset:         64
        .size:           8
        .value_kind:     global_buffer
      - .offset:         72
        .size:           4
        .value_kind:     by_value
      - .offset:         76
        .size:           4
        .value_kind:     by_value
      - .offset:         80
        .size:           4
        .value_kind:     by_value
      - .actual_access:  read_only
        .address_space:  global
        .offset:         88
        .size:           8
        .value_kind:     global_buffer
      - .actual_access:  read_only
        .address_space:  global
        .offset:         96
        .size:           8
        .value_kind:     global_buffer
      - .actual_access:  read_only
        .address_space:  global
        .offset:         104
        .size:           8
        .value_kind:     global_buffer
      - .actual_access:  read_only
        .address_space:  global
        .offset:         112
        .size:           8
        .value_kind:     global_buffer
      - .offset:         120
        .size:           4
        .value_kind:     by_value
      - .address_space:  global
        .offset:         128
        .size:           8
        .value_kind:     global_buffer
      - .address_space:  global
        .offset:         136
        .size:           8
        .value_kind:     global_buffer
      - .offset:         144
        .size:           4
        .value_kind:     hidden_block_count_x
      - .offset:         148
        .size:           4
        .value_kind:     hidden_block_count_y
      - .offset:         152
        .size:           4
        .value_kind:     hidden_block_count_z
      - .offset:         156
        .size:           2
        .value_kind:     hidden_group_size_x
      - .offset:         158
        .size:           2
        .value_kind:     hidden_group_size_y
      - .offset:         160
        .size:           2
        .value_kind:     hidden_group_size_z
      - .offset:         162
        .size:           2
        .value_kind:     hidden_remainder_x
      - .offset:         164
        .size:           2
        .value_kind:     hidden_remainder_y
      - .offset:         166
        .size:           2
        .value_kind:     hidden_remainder_z
      - .offset:         184
        .size:           8
        .value_kind:     hidden_global_offset_x
      - .offset:         192
        .size:           8
        .value_kind:     hidden_global_offset_y
      - .offset:         200
        .size:           8
        .value_kind:     hidden_global_offset_z
      - .offset:         208
        .size:           2
        .value_kind:     hidden_grid_dims
      - .offset:         224
        .size:           8
        .value_kind:     hidden_hostcall_buffer
    .group_segment_fixed_size: 0
    .kernarg_segment_align: 8
    .kernarg_segment_size: 400
    .language:       OpenCL C
    .language_version:
      - 2
      - 0
    .max_flat_workgroup_size: 256
    .name:           _Z39paged_attention_ll4mi_QKV_mfma16_kernelIDF16_hLN4vllm18Fp8KVCacheDataTypeE1EDF16_Li32ELi128ELi256ELb0ELi15EEvPKT_PKT0_S7_ifPKiS9_S9_iPKfiiiPfSC_PS2_PT2_iSB_SB_
    .private_segment_fixed_size: 64
    .sgpr_count:     36
    .sgpr_spill_count: 0
    .symbol:         _Z39paged_attention_ll4mi_QKV_mfma16_kernelIDF16_hLN4vllm18Fp8KVCacheDataTypeE1EDF16_Li32ELi128ELi256ELb0ELi15EEvPKT_PKT0_S7_ifPKiS9_S9_iPKfiiiPfSC_PS2_PT2_iSB_SB_.kd
    .uniform_work_group_size: 1
    .uses_dynamic_stack: false
    .vgpr_count:     51
    .vgpr_spill_count: 0
    .wavefront_size: 32
  - .args:
      - .actual_access:  read_only
        .address_space:  global
        .offset:         0
        .size:           8
        .value_kind:     global_buffer
      - .actual_access:  read_only
        .address_space:  global
        .offset:         8
        .size:           8
        .value_kind:     global_buffer
      - .actual_access:  read_only
        .address_space:  global
        .offset:         16
        .size:           8
        .value_kind:     global_buffer
      - .offset:         24
        .size:           4
        .value_kind:     by_value
      - .offset:         28
        .size:           4
        .value_kind:     by_value
      - .actual_access:  read_only
        .address_space:  global
        .offset:         32
        .size:           8
        .value_kind:     global_buffer
      - .actual_access:  read_only
        .address_space:  global
        .offset:         40
        .size:           8
        .value_kind:     global_buffer
      - .actual_access:  read_only
        .address_space:  global
        .offset:         48
        .size:           8
        .value_kind:     global_buffer
      - .offset:         56
        .size:           4
        .value_kind:     by_value
      - .actual_access:  read_only
        .address_space:  global
        .offset:         64
        .size:           8
        .value_kind:     global_buffer
      - .offset:         72
        .size:           4
        .value_kind:     by_value
      - .offset:         76
        .size:           4
        .value_kind:     by_value
      - .offset:         80
        .size:           4
        .value_kind:     by_value
      - .actual_access:  read_only
        .address_space:  global
        .offset:         88
        .size:           8
        .value_kind:     global_buffer
      - .actual_access:  read_only
        .address_space:  global
        .offset:         96
        .size:           8
        .value_kind:     global_buffer
      - .actual_access:  read_only
        .address_space:  global
        .offset:         104
        .size:           8
        .value_kind:     global_buffer
      - .actual_access:  read_only
        .address_space:  global
        .offset:         112
        .size:           8
        .value_kind:     global_buffer
      - .offset:         120
        .size:           4
        .value_kind:     by_value
      - .address_space:  global
        .offset:         128
        .size:           8
        .value_kind:     global_buffer
      - .address_space:  global
        .offset:         136
        .size:           8
        .value_kind:     global_buffer
      - .offset:         144
        .size:           4
        .value_kind:     hidden_block_count_x
      - .offset:         148
        .size:           4
        .value_kind:     hidden_block_count_y
      - .offset:         152
        .size:           4
        .value_kind:     hidden_block_count_z
      - .offset:         156
        .size:           2
        .value_kind:     hidden_group_size_x
      - .offset:         158
        .size:           2
        .value_kind:     hidden_group_size_y
      - .offset:         160
        .size:           2
        .value_kind:     hidden_group_size_z
      - .offset:         162
        .size:           2
        .value_kind:     hidden_remainder_x
      - .offset:         164
        .size:           2
        .value_kind:     hidden_remainder_y
      - .offset:         166
        .size:           2
        .value_kind:     hidden_remainder_z
      - .offset:         184
        .size:           8
        .value_kind:     hidden_global_offset_x
      - .offset:         192
        .size:           8
        .value_kind:     hidden_global_offset_y
      - .offset:         200
        .size:           8
        .value_kind:     hidden_global_offset_z
      - .offset:         208
        .size:           2
        .value_kind:     hidden_grid_dims
      - .offset:         224
        .size:           8
        .value_kind:     hidden_hostcall_buffer
    .group_segment_fixed_size: 0
    .kernarg_segment_align: 8
    .kernarg_segment_size: 400
    .language:       OpenCL C
    .language_version:
      - 2
      - 0
    .max_flat_workgroup_size: 256
    .name:           _Z39paged_attention_ll4mi_QKV_mfma16_kernelIDF16_hLN4vllm18Fp8KVCacheDataTypeE1EDF16_Li32ELi128ELi256ELb0ELi16EEvPKT_PKT0_S7_ifPKiS9_S9_iPKfiiiPfSC_PS2_PT2_iSB_SB_
    .private_segment_fixed_size: 64
    .sgpr_count:     36
    .sgpr_spill_count: 0
    .symbol:         _Z39paged_attention_ll4mi_QKV_mfma16_kernelIDF16_hLN4vllm18Fp8KVCacheDataTypeE1EDF16_Li32ELi128ELi256ELb0ELi16EEvPKT_PKT0_S7_ifPKiS9_S9_iPKfiiiPfSC_PS2_PT2_iSB_SB_.kd
    .uniform_work_group_size: 1
    .uses_dynamic_stack: false
    .vgpr_count:     51
    .vgpr_spill_count: 0
    .wavefront_size: 32
  - .args:
      - .actual_access:  read_only
        .address_space:  global
        .offset:         0
        .size:           8
        .value_kind:     global_buffer
      - .actual_access:  read_only
        .address_space:  global
        .offset:         8
        .size:           8
        .value_kind:     global_buffer
      - .actual_access:  read_only
        .address_space:  global
        .offset:         16
        .size:           8
        .value_kind:     global_buffer
      - .offset:         24
        .size:           4
        .value_kind:     by_value
      - .offset:         28
        .size:           4
        .value_kind:     by_value
      - .actual_access:  read_only
        .address_space:  global
        .offset:         32
        .size:           8
        .value_kind:     global_buffer
      - .actual_access:  read_only
        .address_space:  global
        .offset:         40
        .size:           8
        .value_kind:     global_buffer
      - .actual_access:  read_only
        .address_space:  global
        .offset:         48
        .size:           8
        .value_kind:     global_buffer
      - .offset:         56
        .size:           4
        .value_kind:     by_value
      - .actual_access:  read_only
        .address_space:  global
        .offset:         64
        .size:           8
        .value_kind:     global_buffer
      - .offset:         72
        .size:           4
        .value_kind:     by_value
      - .offset:         76
        .size:           4
        .value_kind:     by_value
      - .offset:         80
        .size:           4
        .value_kind:     by_value
      - .actual_access:  read_only
        .address_space:  global
        .offset:         88
        .size:           8
        .value_kind:     global_buffer
      - .actual_access:  read_only
        .address_space:  global
        .offset:         96
        .size:           8
        .value_kind:     global_buffer
      - .actual_access:  read_only
        .address_space:  global
        .offset:         104
        .size:           8
        .value_kind:     global_buffer
      - .actual_access:  read_only
        .address_space:  global
        .offset:         112
        .size:           8
        .value_kind:     global_buffer
      - .offset:         120
        .size:           4
        .value_kind:     by_value
      - .address_space:  global
        .offset:         128
        .size:           8
        .value_kind:     global_buffer
      - .address_space:  global
        .offset:         136
        .size:           8
        .value_kind:     global_buffer
      - .offset:         144
        .size:           4
        .value_kind:     hidden_block_count_x
      - .offset:         148
        .size:           4
        .value_kind:     hidden_block_count_y
      - .offset:         152
        .size:           4
        .value_kind:     hidden_block_count_z
      - .offset:         156
        .size:           2
        .value_kind:     hidden_group_size_x
      - .offset:         158
        .size:           2
        .value_kind:     hidden_group_size_y
      - .offset:         160
        .size:           2
        .value_kind:     hidden_group_size_z
      - .offset:         162
        .size:           2
        .value_kind:     hidden_remainder_x
      - .offset:         164
        .size:           2
        .value_kind:     hidden_remainder_y
      - .offset:         166
        .size:           2
        .value_kind:     hidden_remainder_z
      - .offset:         184
        .size:           8
        .value_kind:     hidden_global_offset_x
      - .offset:         192
        .size:           8
        .value_kind:     hidden_global_offset_y
      - .offset:         200
        .size:           8
        .value_kind:     hidden_global_offset_z
      - .offset:         208
        .size:           2
        .value_kind:     hidden_grid_dims
      - .offset:         224
        .size:           8
        .value_kind:     hidden_hostcall_buffer
    .group_segment_fixed_size: 0
    .kernarg_segment_align: 8
    .kernarg_segment_size: 400
    .language:       OpenCL C
    .language_version:
      - 2
      - 0
    .max_flat_workgroup_size: 256
    .name:           _Z39paged_attention_ll4mi_QKV_mfma16_kernelIDF16_hLN4vllm18Fp8KVCacheDataTypeE1EDF16_Li32ELi128ELi256ELb0ELi1EEvPKT_PKT0_S7_ifPKiS9_S9_iPKfiiiPfSC_PS2_PT2_iSB_SB_
    .private_segment_fixed_size: 64
    .sgpr_count:     36
    .sgpr_spill_count: 0
    .symbol:         _Z39paged_attention_ll4mi_QKV_mfma16_kernelIDF16_hLN4vllm18Fp8KVCacheDataTypeE1EDF16_Li32ELi128ELi256ELb0ELi1EEvPKT_PKT0_S7_ifPKiS9_S9_iPKfiiiPfSC_PS2_PT2_iSB_SB_.kd
    .uniform_work_group_size: 1
    .uses_dynamic_stack: false
    .vgpr_count:     51
    .vgpr_spill_count: 0
    .wavefront_size: 32
  - .args:
      - .actual_access:  read_only
        .address_space:  global
        .offset:         0
        .size:           8
        .value_kind:     global_buffer
      - .actual_access:  read_only
        .address_space:  global
        .offset:         8
        .size:           8
        .value_kind:     global_buffer
      - .actual_access:  read_only
        .address_space:  global
        .offset:         16
        .size:           8
        .value_kind:     global_buffer
      - .offset:         24
        .size:           4
        .value_kind:     by_value
      - .offset:         28
        .size:           4
        .value_kind:     by_value
      - .actual_access:  read_only
        .address_space:  global
        .offset:         32
        .size:           8
        .value_kind:     global_buffer
      - .actual_access:  read_only
        .address_space:  global
        .offset:         40
        .size:           8
        .value_kind:     global_buffer
      - .actual_access:  read_only
        .address_space:  global
        .offset:         48
        .size:           8
        .value_kind:     global_buffer
      - .offset:         56
        .size:           4
        .value_kind:     by_value
      - .actual_access:  read_only
        .address_space:  global
        .offset:         64
        .size:           8
        .value_kind:     global_buffer
      - .offset:         72
        .size:           4
        .value_kind:     by_value
      - .offset:         76
        .size:           4
        .value_kind:     by_value
      - .offset:         80
        .size:           4
        .value_kind:     by_value
      - .actual_access:  read_only
        .address_space:  global
        .offset:         88
        .size:           8
        .value_kind:     global_buffer
      - .actual_access:  read_only
        .address_space:  global
        .offset:         96
        .size:           8
        .value_kind:     global_buffer
      - .actual_access:  read_only
        .address_space:  global
        .offset:         104
        .size:           8
        .value_kind:     global_buffer
      - .actual_access:  read_only
        .address_space:  global
        .offset:         112
        .size:           8
        .value_kind:     global_buffer
      - .offset:         120
        .size:           4
        .value_kind:     by_value
      - .address_space:  global
        .offset:         128
        .size:           8
        .value_kind:     global_buffer
      - .address_space:  global
        .offset:         136
        .size:           8
        .value_kind:     global_buffer
      - .offset:         144
        .size:           4
        .value_kind:     hidden_block_count_x
      - .offset:         148
        .size:           4
        .value_kind:     hidden_block_count_y
      - .offset:         152
        .size:           4
        .value_kind:     hidden_block_count_z
      - .offset:         156
        .size:           2
        .value_kind:     hidden_group_size_x
      - .offset:         158
        .size:           2
        .value_kind:     hidden_group_size_y
      - .offset:         160
        .size:           2
        .value_kind:     hidden_group_size_z
      - .offset:         162
        .size:           2
        .value_kind:     hidden_remainder_x
      - .offset:         164
        .size:           2
        .value_kind:     hidden_remainder_y
      - .offset:         166
        .size:           2
        .value_kind:     hidden_remainder_z
      - .offset:         184
        .size:           8
        .value_kind:     hidden_global_offset_x
      - .offset:         192
        .size:           8
        .value_kind:     hidden_global_offset_y
      - .offset:         200
        .size:           8
        .value_kind:     hidden_global_offset_z
      - .offset:         208
        .size:           2
        .value_kind:     hidden_grid_dims
      - .offset:         224
        .size:           8
        .value_kind:     hidden_hostcall_buffer
    .group_segment_fixed_size: 0
    .kernarg_segment_align: 8
    .kernarg_segment_size: 400
    .language:       OpenCL C
    .language_version:
      - 2
      - 0
    .max_flat_workgroup_size: 256
    .name:           _Z39paged_attention_ll4mi_QKV_mfma16_kernelIDF16_hLN4vllm18Fp8KVCacheDataTypeE1EDF16_Li32ELi128ELi256ELb0ELi2EEvPKT_PKT0_S7_ifPKiS9_S9_iPKfiiiPfSC_PS2_PT2_iSB_SB_
    .private_segment_fixed_size: 64
    .sgpr_count:     36
    .sgpr_spill_count: 0
    .symbol:         _Z39paged_attention_ll4mi_QKV_mfma16_kernelIDF16_hLN4vllm18Fp8KVCacheDataTypeE1EDF16_Li32ELi128ELi256ELb0ELi2EEvPKT_PKT0_S7_ifPKiS9_S9_iPKfiiiPfSC_PS2_PT2_iSB_SB_.kd
    .uniform_work_group_size: 1
    .uses_dynamic_stack: false
    .vgpr_count:     51
    .vgpr_spill_count: 0
    .wavefront_size: 32
  - .args:
      - .actual_access:  read_only
        .address_space:  global
        .offset:         0
        .size:           8
        .value_kind:     global_buffer
      - .actual_access:  read_only
        .address_space:  global
        .offset:         8
        .size:           8
        .value_kind:     global_buffer
      - .actual_access:  read_only
        .address_space:  global
        .offset:         16
        .size:           8
        .value_kind:     global_buffer
      - .offset:         24
        .size:           4
        .value_kind:     by_value
      - .offset:         28
        .size:           4
        .value_kind:     by_value
      - .actual_access:  read_only
        .address_space:  global
        .offset:         32
        .size:           8
        .value_kind:     global_buffer
      - .actual_access:  read_only
        .address_space:  global
        .offset:         40
        .size:           8
        .value_kind:     global_buffer
      - .actual_access:  read_only
        .address_space:  global
        .offset:         48
        .size:           8
        .value_kind:     global_buffer
      - .offset:         56
        .size:           4
        .value_kind:     by_value
      - .actual_access:  read_only
        .address_space:  global
        .offset:         64
        .size:           8
        .value_kind:     global_buffer
      - .offset:         72
        .size:           4
        .value_kind:     by_value
      - .offset:         76
        .size:           4
        .value_kind:     by_value
      - .offset:         80
        .size:           4
        .value_kind:     by_value
      - .actual_access:  read_only
        .address_space:  global
        .offset:         88
        .size:           8
        .value_kind:     global_buffer
      - .actual_access:  read_only
        .address_space:  global
        .offset:         96
        .size:           8
        .value_kind:     global_buffer
      - .actual_access:  read_only
        .address_space:  global
        .offset:         104
        .size:           8
        .value_kind:     global_buffer
      - .actual_access:  read_only
        .address_space:  global
        .offset:         112
        .size:           8
        .value_kind:     global_buffer
      - .offset:         120
        .size:           4
        .value_kind:     by_value
      - .address_space:  global
        .offset:         128
        .size:           8
        .value_kind:     global_buffer
      - .address_space:  global
        .offset:         136
        .size:           8
        .value_kind:     global_buffer
      - .offset:         144
        .size:           4
        .value_kind:     hidden_block_count_x
      - .offset:         148
        .size:           4
        .value_kind:     hidden_block_count_y
      - .offset:         152
        .size:           4
        .value_kind:     hidden_block_count_z
      - .offset:         156
        .size:           2
        .value_kind:     hidden_group_size_x
      - .offset:         158
        .size:           2
        .value_kind:     hidden_group_size_y
      - .offset:         160
        .size:           2
        .value_kind:     hidden_group_size_z
      - .offset:         162
        .size:           2
        .value_kind:     hidden_remainder_x
      - .offset:         164
        .size:           2
        .value_kind:     hidden_remainder_y
      - .offset:         166
        .size:           2
        .value_kind:     hidden_remainder_z
      - .offset:         184
        .size:           8
        .value_kind:     hidden_global_offset_x
      - .offset:         192
        .size:           8
        .value_kind:     hidden_global_offset_y
      - .offset:         200
        .size:           8
        .value_kind:     hidden_global_offset_z
      - .offset:         208
        .size:           2
        .value_kind:     hidden_grid_dims
      - .offset:         224
        .size:           8
        .value_kind:     hidden_hostcall_buffer
    .group_segment_fixed_size: 0
    .kernarg_segment_align: 8
    .kernarg_segment_size: 400
    .language:       OpenCL C
    .language_version:
      - 2
      - 0
    .max_flat_workgroup_size: 256
    .name:           _Z39paged_attention_ll4mi_QKV_mfma16_kernelIDF16_hLN4vllm18Fp8KVCacheDataTypeE1EDF16_Li32ELi128ELi256ELb0ELi3EEvPKT_PKT0_S7_ifPKiS9_S9_iPKfiiiPfSC_PS2_PT2_iSB_SB_
    .private_segment_fixed_size: 64
    .sgpr_count:     36
    .sgpr_spill_count: 0
    .symbol:         _Z39paged_attention_ll4mi_QKV_mfma16_kernelIDF16_hLN4vllm18Fp8KVCacheDataTypeE1EDF16_Li32ELi128ELi256ELb0ELi3EEvPKT_PKT0_S7_ifPKiS9_S9_iPKfiiiPfSC_PS2_PT2_iSB_SB_.kd
    .uniform_work_group_size: 1
    .uses_dynamic_stack: false
    .vgpr_count:     51
    .vgpr_spill_count: 0
    .wavefront_size: 32
  - .args:
      - .actual_access:  read_only
        .address_space:  global
        .offset:         0
        .size:           8
        .value_kind:     global_buffer
      - .actual_access:  read_only
        .address_space:  global
        .offset:         8
        .size:           8
        .value_kind:     global_buffer
      - .actual_access:  read_only
        .address_space:  global
        .offset:         16
        .size:           8
        .value_kind:     global_buffer
      - .offset:         24
        .size:           4
        .value_kind:     by_value
      - .offset:         28
        .size:           4
        .value_kind:     by_value
      - .actual_access:  read_only
        .address_space:  global
        .offset:         32
        .size:           8
        .value_kind:     global_buffer
      - .actual_access:  read_only
        .address_space:  global
        .offset:         40
        .size:           8
        .value_kind:     global_buffer
      - .actual_access:  read_only
        .address_space:  global
        .offset:         48
        .size:           8
        .value_kind:     global_buffer
      - .offset:         56
        .size:           4
        .value_kind:     by_value
      - .actual_access:  read_only
        .address_space:  global
        .offset:         64
        .size:           8
        .value_kind:     global_buffer
      - .offset:         72
        .size:           4
        .value_kind:     by_value
      - .offset:         76
        .size:           4
        .value_kind:     by_value
      - .offset:         80
        .size:           4
        .value_kind:     by_value
      - .actual_access:  read_only
        .address_space:  global
        .offset:         88
        .size:           8
        .value_kind:     global_buffer
      - .actual_access:  read_only
        .address_space:  global
        .offset:         96
        .size:           8
        .value_kind:     global_buffer
      - .actual_access:  read_only
        .address_space:  global
        .offset:         104
        .size:           8
        .value_kind:     global_buffer
      - .actual_access:  read_only
        .address_space:  global
        .offset:         112
        .size:           8
        .value_kind:     global_buffer
      - .offset:         120
        .size:           4
        .value_kind:     by_value
      - .address_space:  global
        .offset:         128
        .size:           8
        .value_kind:     global_buffer
      - .address_space:  global
        .offset:         136
        .size:           8
        .value_kind:     global_buffer
      - .offset:         144
        .size:           4
        .value_kind:     hidden_block_count_x
      - .offset:         148
        .size:           4
        .value_kind:     hidden_block_count_y
      - .offset:         152
        .size:           4
        .value_kind:     hidden_block_count_z
      - .offset:         156
        .size:           2
        .value_kind:     hidden_group_size_x
      - .offset:         158
        .size:           2
        .value_kind:     hidden_group_size_y
      - .offset:         160
        .size:           2
        .value_kind:     hidden_group_size_z
      - .offset:         162
        .size:           2
        .value_kind:     hidden_remainder_x
      - .offset:         164
        .size:           2
        .value_kind:     hidden_remainder_y
      - .offset:         166
        .size:           2
        .value_kind:     hidden_remainder_z
      - .offset:         184
        .size:           8
        .value_kind:     hidden_global_offset_x
      - .offset:         192
        .size:           8
        .value_kind:     hidden_global_offset_y
      - .offset:         200
        .size:           8
        .value_kind:     hidden_global_offset_z
      - .offset:         208
        .size:           2
        .value_kind:     hidden_grid_dims
      - .offset:         224
        .size:           8
        .value_kind:     hidden_hostcall_buffer
    .group_segment_fixed_size: 0
    .kernarg_segment_align: 8
    .kernarg_segment_size: 400
    .language:       OpenCL C
    .language_version:
      - 2
      - 0
    .max_flat_workgroup_size: 256
    .name:           _Z39paged_attention_ll4mi_QKV_mfma16_kernelIDF16_hLN4vllm18Fp8KVCacheDataTypeE1EDF16_Li32ELi128ELi256ELb0ELi4EEvPKT_PKT0_S7_ifPKiS9_S9_iPKfiiiPfSC_PS2_PT2_iSB_SB_
    .private_segment_fixed_size: 64
    .sgpr_count:     36
    .sgpr_spill_count: 0
    .symbol:         _Z39paged_attention_ll4mi_QKV_mfma16_kernelIDF16_hLN4vllm18Fp8KVCacheDataTypeE1EDF16_Li32ELi128ELi256ELb0ELi4EEvPKT_PKT0_S7_ifPKiS9_S9_iPKfiiiPfSC_PS2_PT2_iSB_SB_.kd
    .uniform_work_group_size: 1
    .uses_dynamic_stack: false
    .vgpr_count:     51
    .vgpr_spill_count: 0
    .wavefront_size: 32
  - .args:
      - .actual_access:  read_only
        .address_space:  global
        .offset:         0
        .size:           8
        .value_kind:     global_buffer
      - .actual_access:  read_only
        .address_space:  global
        .offset:         8
        .size:           8
        .value_kind:     global_buffer
      - .actual_access:  read_only
        .address_space:  global
        .offset:         16
        .size:           8
        .value_kind:     global_buffer
      - .offset:         24
        .size:           4
        .value_kind:     by_value
      - .offset:         28
        .size:           4
        .value_kind:     by_value
      - .actual_access:  read_only
        .address_space:  global
        .offset:         32
        .size:           8
        .value_kind:     global_buffer
      - .actual_access:  read_only
        .address_space:  global
        .offset:         40
        .size:           8
        .value_kind:     global_buffer
      - .actual_access:  read_only
        .address_space:  global
        .offset:         48
        .size:           8
        .value_kind:     global_buffer
      - .offset:         56
        .size:           4
        .value_kind:     by_value
      - .actual_access:  read_only
        .address_space:  global
        .offset:         64
        .size:           8
        .value_kind:     global_buffer
      - .offset:         72
        .size:           4
        .value_kind:     by_value
      - .offset:         76
        .size:           4
        .value_kind:     by_value
      - .offset:         80
        .size:           4
        .value_kind:     by_value
      - .actual_access:  read_only
        .address_space:  global
        .offset:         88
        .size:           8
        .value_kind:     global_buffer
      - .actual_access:  read_only
        .address_space:  global
        .offset:         96
        .size:           8
        .value_kind:     global_buffer
      - .actual_access:  read_only
        .address_space:  global
        .offset:         104
        .size:           8
        .value_kind:     global_buffer
      - .actual_access:  read_only
        .address_space:  global
        .offset:         112
        .size:           8
        .value_kind:     global_buffer
      - .offset:         120
        .size:           4
        .value_kind:     by_value
      - .address_space:  global
        .offset:         128
        .size:           8
        .value_kind:     global_buffer
      - .address_space:  global
        .offset:         136
        .size:           8
        .value_kind:     global_buffer
      - .offset:         144
        .size:           4
        .value_kind:     hidden_block_count_x
      - .offset:         148
        .size:           4
        .value_kind:     hidden_block_count_y
      - .offset:         152
        .size:           4
        .value_kind:     hidden_block_count_z
      - .offset:         156
        .size:           2
        .value_kind:     hidden_group_size_x
      - .offset:         158
        .size:           2
        .value_kind:     hidden_group_size_y
      - .offset:         160
        .size:           2
        .value_kind:     hidden_group_size_z
      - .offset:         162
        .size:           2
        .value_kind:     hidden_remainder_x
      - .offset:         164
        .size:           2
        .value_kind:     hidden_remainder_y
      - .offset:         166
        .size:           2
        .value_kind:     hidden_remainder_z
      - .offset:         184
        .size:           8
        .value_kind:     hidden_global_offset_x
      - .offset:         192
        .size:           8
        .value_kind:     hidden_global_offset_y
      - .offset:         200
        .size:           8
        .value_kind:     hidden_global_offset_z
      - .offset:         208
        .size:           2
        .value_kind:     hidden_grid_dims
      - .offset:         224
        .size:           8
        .value_kind:     hidden_hostcall_buffer
    .group_segment_fixed_size: 0
    .kernarg_segment_align: 8
    .kernarg_segment_size: 400
    .language:       OpenCL C
    .language_version:
      - 2
      - 0
    .max_flat_workgroup_size: 256
    .name:           _Z38paged_attention_ll4mi_QKV_mfma4_kernelI14__hip_bfloat16hLN4vllm18Fp8KVCacheDataTypeE1EhLi16ELi64ELi256ELb1ELi1EEvPKT_PKT0_S8_ifPKiSA_SA_iPKfiiiPfSD_PS3_PT2_iSC_SC_
    .private_segment_fixed_size: 64
    .sgpr_count:     36
    .sgpr_spill_count: 0
    .symbol:         _Z38paged_attention_ll4mi_QKV_mfma4_kernelI14__hip_bfloat16hLN4vllm18Fp8KVCacheDataTypeE1EhLi16ELi64ELi256ELb1ELi1EEvPKT_PKT0_S8_ifPKiSA_SA_iPKfiiiPfSD_PS3_PT2_iSC_SC_.kd
    .uniform_work_group_size: 1
    .uses_dynamic_stack: false
    .vgpr_count:     51
    .vgpr_spill_count: 0
    .wavefront_size: 32
  - .args:
      - .actual_access:  read_only
        .address_space:  global
        .offset:         0
        .size:           8
        .value_kind:     global_buffer
      - .actual_access:  read_only
        .address_space:  global
        .offset:         8
        .size:           8
        .value_kind:     global_buffer
      - .actual_access:  read_only
        .address_space:  global
        .offset:         16
        .size:           8
        .value_kind:     global_buffer
      - .offset:         24
        .size:           4
        .value_kind:     by_value
      - .offset:         28
        .size:           4
        .value_kind:     by_value
      - .actual_access:  read_only
        .address_space:  global
        .offset:         32
        .size:           8
        .value_kind:     global_buffer
      - .actual_access:  read_only
        .address_space:  global
        .offset:         40
        .size:           8
        .value_kind:     global_buffer
      - .actual_access:  read_only
        .address_space:  global
        .offset:         48
        .size:           8
        .value_kind:     global_buffer
      - .offset:         56
        .size:           4
        .value_kind:     by_value
      - .actual_access:  read_only
        .address_space:  global
        .offset:         64
        .size:           8
        .value_kind:     global_buffer
      - .offset:         72
        .size:           4
        .value_kind:     by_value
      - .offset:         76
        .size:           4
        .value_kind:     by_value
      - .offset:         80
        .size:           4
        .value_kind:     by_value
      - .actual_access:  read_only
        .address_space:  global
        .offset:         88
        .size:           8
        .value_kind:     global_buffer
      - .actual_access:  read_only
        .address_space:  global
        .offset:         96
        .size:           8
        .value_kind:     global_buffer
      - .actual_access:  read_only
        .address_space:  global
        .offset:         104
        .size:           8
        .value_kind:     global_buffer
      - .actual_access:  read_only
        .address_space:  global
        .offset:         112
        .size:           8
        .value_kind:     global_buffer
      - .offset:         120
        .size:           4
        .value_kind:     by_value
      - .address_space:  global
        .offset:         128
        .size:           8
        .value_kind:     global_buffer
      - .address_space:  global
        .offset:         136
        .size:           8
        .value_kind:     global_buffer
      - .offset:         144
        .size:           4
        .value_kind:     hidden_block_count_x
      - .offset:         148
        .size:           4
        .value_kind:     hidden_block_count_y
      - .offset:         152
        .size:           4
        .value_kind:     hidden_block_count_z
      - .offset:         156
        .size:           2
        .value_kind:     hidden_group_size_x
      - .offset:         158
        .size:           2
        .value_kind:     hidden_group_size_y
      - .offset:         160
        .size:           2
        .value_kind:     hidden_group_size_z
      - .offset:         162
        .size:           2
        .value_kind:     hidden_remainder_x
      - .offset:         164
        .size:           2
        .value_kind:     hidden_remainder_y
      - .offset:         166
        .size:           2
        .value_kind:     hidden_remainder_z
      - .offset:         184
        .size:           8
        .value_kind:     hidden_global_offset_x
      - .offset:         192
        .size:           8
        .value_kind:     hidden_global_offset_y
      - .offset:         200
        .size:           8
        .value_kind:     hidden_global_offset_z
      - .offset:         208
        .size:           2
        .value_kind:     hidden_grid_dims
      - .offset:         224
        .size:           8
        .value_kind:     hidden_hostcall_buffer
    .group_segment_fixed_size: 0
    .kernarg_segment_align: 8
    .kernarg_segment_size: 400
    .language:       OpenCL C
    .language_version:
      - 2
      - 0
    .max_flat_workgroup_size: 256
    .name:           _Z38paged_attention_ll4mi_QKV_mfma4_kernelI14__hip_bfloat16hLN4vllm18Fp8KVCacheDataTypeE1EhLi16ELi64ELi256ELb1ELi2EEvPKT_PKT0_S8_ifPKiSA_SA_iPKfiiiPfSD_PS3_PT2_iSC_SC_
    .private_segment_fixed_size: 64
    .sgpr_count:     36
    .sgpr_spill_count: 0
    .symbol:         _Z38paged_attention_ll4mi_QKV_mfma4_kernelI14__hip_bfloat16hLN4vllm18Fp8KVCacheDataTypeE1EhLi16ELi64ELi256ELb1ELi2EEvPKT_PKT0_S8_ifPKiSA_SA_iPKfiiiPfSD_PS3_PT2_iSC_SC_.kd
    .uniform_work_group_size: 1
    .uses_dynamic_stack: false
    .vgpr_count:     51
    .vgpr_spill_count: 0
    .wavefront_size: 32
  - .args:
      - .actual_access:  read_only
        .address_space:  global
        .offset:         0
        .size:           8
        .value_kind:     global_buffer
      - .actual_access:  read_only
        .address_space:  global
        .offset:         8
        .size:           8
        .value_kind:     global_buffer
      - .actual_access:  read_only
        .address_space:  global
        .offset:         16
        .size:           8
        .value_kind:     global_buffer
      - .offset:         24
        .size:           4
        .value_kind:     by_value
      - .offset:         28
        .size:           4
        .value_kind:     by_value
      - .actual_access:  read_only
        .address_space:  global
        .offset:         32
        .size:           8
        .value_kind:     global_buffer
      - .actual_access:  read_only
        .address_space:  global
        .offset:         40
        .size:           8
        .value_kind:     global_buffer
      - .actual_access:  read_only
        .address_space:  global
        .offset:         48
        .size:           8
        .value_kind:     global_buffer
      - .offset:         56
        .size:           4
        .value_kind:     by_value
      - .actual_access:  read_only
        .address_space:  global
        .offset:         64
        .size:           8
        .value_kind:     global_buffer
      - .offset:         72
        .size:           4
        .value_kind:     by_value
      - .offset:         76
        .size:           4
        .value_kind:     by_value
      - .offset:         80
        .size:           4
        .value_kind:     by_value
      - .actual_access:  read_only
        .address_space:  global
        .offset:         88
        .size:           8
        .value_kind:     global_buffer
      - .actual_access:  read_only
        .address_space:  global
        .offset:         96
        .size:           8
        .value_kind:     global_buffer
      - .actual_access:  read_only
        .address_space:  global
        .offset:         104
        .size:           8
        .value_kind:     global_buffer
      - .actual_access:  read_only
        .address_space:  global
        .offset:         112
        .size:           8
        .value_kind:     global_buffer
      - .offset:         120
        .size:           4
        .value_kind:     by_value
      - .address_space:  global
        .offset:         128
        .size:           8
        .value_kind:     global_buffer
      - .address_space:  global
        .offset:         136
        .size:           8
        .value_kind:     global_buffer
      - .offset:         144
        .size:           4
        .value_kind:     hidden_block_count_x
      - .offset:         148
        .size:           4
        .value_kind:     hidden_block_count_y
      - .offset:         152
        .size:           4
        .value_kind:     hidden_block_count_z
      - .offset:         156
        .size:           2
        .value_kind:     hidden_group_size_x
      - .offset:         158
        .size:           2
        .value_kind:     hidden_group_size_y
      - .offset:         160
        .size:           2
        .value_kind:     hidden_group_size_z
      - .offset:         162
        .size:           2
        .value_kind:     hidden_remainder_x
      - .offset:         164
        .size:           2
        .value_kind:     hidden_remainder_y
      - .offset:         166
        .size:           2
        .value_kind:     hidden_remainder_z
      - .offset:         184
        .size:           8
        .value_kind:     hidden_global_offset_x
      - .offset:         192
        .size:           8
        .value_kind:     hidden_global_offset_y
      - .offset:         200
        .size:           8
        .value_kind:     hidden_global_offset_z
      - .offset:         208
        .size:           2
        .value_kind:     hidden_grid_dims
      - .offset:         224
        .size:           8
        .value_kind:     hidden_hostcall_buffer
    .group_segment_fixed_size: 0
    .kernarg_segment_align: 8
    .kernarg_segment_size: 400
    .language:       OpenCL C
    .language_version:
      - 2
      - 0
    .max_flat_workgroup_size: 256
    .name:           _Z38paged_attention_ll4mi_QKV_mfma4_kernelI14__hip_bfloat16hLN4vllm18Fp8KVCacheDataTypeE1EhLi16ELi64ELi256ELb1ELi3EEvPKT_PKT0_S8_ifPKiSA_SA_iPKfiiiPfSD_PS3_PT2_iSC_SC_
    .private_segment_fixed_size: 64
    .sgpr_count:     36
    .sgpr_spill_count: 0
    .symbol:         _Z38paged_attention_ll4mi_QKV_mfma4_kernelI14__hip_bfloat16hLN4vllm18Fp8KVCacheDataTypeE1EhLi16ELi64ELi256ELb1ELi3EEvPKT_PKT0_S8_ifPKiSA_SA_iPKfiiiPfSD_PS3_PT2_iSC_SC_.kd
    .uniform_work_group_size: 1
    .uses_dynamic_stack: false
    .vgpr_count:     51
    .vgpr_spill_count: 0
    .wavefront_size: 32
  - .args:
      - .actual_access:  read_only
        .address_space:  global
        .offset:         0
        .size:           8
        .value_kind:     global_buffer
      - .actual_access:  read_only
        .address_space:  global
        .offset:         8
        .size:           8
        .value_kind:     global_buffer
      - .actual_access:  read_only
        .address_space:  global
        .offset:         16
        .size:           8
        .value_kind:     global_buffer
      - .offset:         24
        .size:           4
        .value_kind:     by_value
      - .offset:         28
        .size:           4
        .value_kind:     by_value
      - .actual_access:  read_only
        .address_space:  global
        .offset:         32
        .size:           8
        .value_kind:     global_buffer
      - .actual_access:  read_only
        .address_space:  global
        .offset:         40
        .size:           8
        .value_kind:     global_buffer
      - .actual_access:  read_only
        .address_space:  global
        .offset:         48
        .size:           8
        .value_kind:     global_buffer
      - .offset:         56
        .size:           4
        .value_kind:     by_value
      - .actual_access:  read_only
        .address_space:  global
        .offset:         64
        .size:           8
        .value_kind:     global_buffer
      - .offset:         72
        .size:           4
        .value_kind:     by_value
      - .offset:         76
        .size:           4
        .value_kind:     by_value
      - .offset:         80
        .size:           4
        .value_kind:     by_value
      - .actual_access:  read_only
        .address_space:  global
        .offset:         88
        .size:           8
        .value_kind:     global_buffer
      - .actual_access:  read_only
        .address_space:  global
        .offset:         96
        .size:           8
        .value_kind:     global_buffer
      - .actual_access:  read_only
        .address_space:  global
        .offset:         104
        .size:           8
        .value_kind:     global_buffer
      - .actual_access:  read_only
        .address_space:  global
        .offset:         112
        .size:           8
        .value_kind:     global_buffer
      - .offset:         120
        .size:           4
        .value_kind:     by_value
      - .address_space:  global
        .offset:         128
        .size:           8
        .value_kind:     global_buffer
      - .address_space:  global
        .offset:         136
        .size:           8
        .value_kind:     global_buffer
      - .offset:         144
        .size:           4
        .value_kind:     hidden_block_count_x
      - .offset:         148
        .size:           4
        .value_kind:     hidden_block_count_y
      - .offset:         152
        .size:           4
        .value_kind:     hidden_block_count_z
      - .offset:         156
        .size:           2
        .value_kind:     hidden_group_size_x
      - .offset:         158
        .size:           2
        .value_kind:     hidden_group_size_y
      - .offset:         160
        .size:           2
        .value_kind:     hidden_group_size_z
      - .offset:         162
        .size:           2
        .value_kind:     hidden_remainder_x
      - .offset:         164
        .size:           2
        .value_kind:     hidden_remainder_y
      - .offset:         166
        .size:           2
        .value_kind:     hidden_remainder_z
      - .offset:         184
        .size:           8
        .value_kind:     hidden_global_offset_x
      - .offset:         192
        .size:           8
        .value_kind:     hidden_global_offset_y
      - .offset:         200
        .size:           8
        .value_kind:     hidden_global_offset_z
      - .offset:         208
        .size:           2
        .value_kind:     hidden_grid_dims
      - .offset:         224
        .size:           8
        .value_kind:     hidden_hostcall_buffer
    .group_segment_fixed_size: 0
    .kernarg_segment_align: 8
    .kernarg_segment_size: 400
    .language:       OpenCL C
    .language_version:
      - 2
      - 0
    .max_flat_workgroup_size: 256
    .name:           _Z38paged_attention_ll4mi_QKV_mfma4_kernelI14__hip_bfloat16hLN4vllm18Fp8KVCacheDataTypeE1EhLi16ELi64ELi256ELb1ELi4EEvPKT_PKT0_S8_ifPKiSA_SA_iPKfiiiPfSD_PS3_PT2_iSC_SC_
    .private_segment_fixed_size: 64
    .sgpr_count:     36
    .sgpr_spill_count: 0
    .symbol:         _Z38paged_attention_ll4mi_QKV_mfma4_kernelI14__hip_bfloat16hLN4vllm18Fp8KVCacheDataTypeE1EhLi16ELi64ELi256ELb1ELi4EEvPKT_PKT0_S8_ifPKiSA_SA_iPKfiiiPfSD_PS3_PT2_iSC_SC_.kd
    .uniform_work_group_size: 1
    .uses_dynamic_stack: false
    .vgpr_count:     51
    .vgpr_spill_count: 0
    .wavefront_size: 32
  - .args:
      - .actual_access:  read_only
        .address_space:  global
        .offset:         0
        .size:           8
        .value_kind:     global_buffer
      - .actual_access:  read_only
        .address_space:  global
        .offset:         8
        .size:           8
        .value_kind:     global_buffer
      - .actual_access:  read_only
        .address_space:  global
        .offset:         16
        .size:           8
        .value_kind:     global_buffer
      - .offset:         24
        .size:           4
        .value_kind:     by_value
      - .offset:         28
        .size:           4
        .value_kind:     by_value
      - .actual_access:  read_only
        .address_space:  global
        .offset:         32
        .size:           8
        .value_kind:     global_buffer
      - .actual_access:  read_only
        .address_space:  global
        .offset:         40
        .size:           8
        .value_kind:     global_buffer
      - .actual_access:  read_only
        .address_space:  global
        .offset:         48
        .size:           8
        .value_kind:     global_buffer
      - .offset:         56
        .size:           4
        .value_kind:     by_value
      - .actual_access:  read_only
        .address_space:  global
        .offset:         64
        .size:           8
        .value_kind:     global_buffer
      - .offset:         72
        .size:           4
        .value_kind:     by_value
      - .offset:         76
        .size:           4
        .value_kind:     by_value
      - .offset:         80
        .size:           4
        .value_kind:     by_value
      - .actual_access:  read_only
        .address_space:  global
        .offset:         88
        .size:           8
        .value_kind:     global_buffer
      - .actual_access:  read_only
        .address_space:  global
        .offset:         96
        .size:           8
        .value_kind:     global_buffer
      - .actual_access:  read_only
        .address_space:  global
        .offset:         104
        .size:           8
        .value_kind:     global_buffer
      - .actual_access:  read_only
        .address_space:  global
        .offset:         112
        .size:           8
        .value_kind:     global_buffer
      - .offset:         120
        .size:           4
        .value_kind:     by_value
      - .address_space:  global
        .offset:         128
        .size:           8
        .value_kind:     global_buffer
      - .address_space:  global
        .offset:         136
        .size:           8
        .value_kind:     global_buffer
      - .offset:         144
        .size:           4
        .value_kind:     hidden_block_count_x
      - .offset:         148
        .size:           4
        .value_kind:     hidden_block_count_y
      - .offset:         152
        .size:           4
        .value_kind:     hidden_block_count_z
      - .offset:         156
        .size:           2
        .value_kind:     hidden_group_size_x
      - .offset:         158
        .size:           2
        .value_kind:     hidden_group_size_y
      - .offset:         160
        .size:           2
        .value_kind:     hidden_group_size_z
      - .offset:         162
        .size:           2
        .value_kind:     hidden_remainder_x
      - .offset:         164
        .size:           2
        .value_kind:     hidden_remainder_y
      - .offset:         166
        .size:           2
        .value_kind:     hidden_remainder_z
      - .offset:         184
        .size:           8
        .value_kind:     hidden_global_offset_x
      - .offset:         192
        .size:           8
        .value_kind:     hidden_global_offset_y
      - .offset:         200
        .size:           8
        .value_kind:     hidden_global_offset_z
      - .offset:         208
        .size:           2
        .value_kind:     hidden_grid_dims
      - .offset:         224
        .size:           8
        .value_kind:     hidden_hostcall_buffer
    .group_segment_fixed_size: 0
    .kernarg_segment_align: 8
    .kernarg_segment_size: 400
    .language:       OpenCL C
    .language_version:
      - 2
      - 0
    .max_flat_workgroup_size: 256
    .name:           _Z39paged_attention_ll4mi_QKV_mfma16_kernelI14__hip_bfloat16hLN4vllm18Fp8KVCacheDataTypeE1EhLi16ELi64ELi256ELb1ELi5EEvPKT_PKT0_S8_ifPKiSA_SA_iPKfiiiPfSD_PS3_PT2_iSC_SC_
    .private_segment_fixed_size: 64
    .sgpr_count:     36
    .sgpr_spill_count: 0
    .symbol:         _Z39paged_attention_ll4mi_QKV_mfma16_kernelI14__hip_bfloat16hLN4vllm18Fp8KVCacheDataTypeE1EhLi16ELi64ELi256ELb1ELi5EEvPKT_PKT0_S8_ifPKiSA_SA_iPKfiiiPfSD_PS3_PT2_iSC_SC_.kd
    .uniform_work_group_size: 1
    .uses_dynamic_stack: false
    .vgpr_count:     51
    .vgpr_spill_count: 0
    .wavefront_size: 32
  - .args:
      - .actual_access:  read_only
        .address_space:  global
        .offset:         0
        .size:           8
        .value_kind:     global_buffer
      - .actual_access:  read_only
        .address_space:  global
        .offset:         8
        .size:           8
        .value_kind:     global_buffer
      - .actual_access:  read_only
        .address_space:  global
        .offset:         16
        .size:           8
        .value_kind:     global_buffer
      - .offset:         24
        .size:           4
        .value_kind:     by_value
      - .offset:         28
        .size:           4
        .value_kind:     by_value
      - .actual_access:  read_only
        .address_space:  global
        .offset:         32
        .size:           8
        .value_kind:     global_buffer
      - .actual_access:  read_only
        .address_space:  global
        .offset:         40
        .size:           8
        .value_kind:     global_buffer
      - .actual_access:  read_only
        .address_space:  global
        .offset:         48
        .size:           8
        .value_kind:     global_buffer
      - .offset:         56
        .size:           4
        .value_kind:     by_value
      - .actual_access:  read_only
        .address_space:  global
        .offset:         64
        .size:           8
        .value_kind:     global_buffer
      - .offset:         72
        .size:           4
        .value_kind:     by_value
      - .offset:         76
        .size:           4
        .value_kind:     by_value
      - .offset:         80
        .size:           4
        .value_kind:     by_value
      - .actual_access:  read_only
        .address_space:  global
        .offset:         88
        .size:           8
        .value_kind:     global_buffer
      - .actual_access:  read_only
        .address_space:  global
        .offset:         96
        .size:           8
        .value_kind:     global_buffer
      - .actual_access:  read_only
        .address_space:  global
        .offset:         104
        .size:           8
        .value_kind:     global_buffer
      - .actual_access:  read_only
        .address_space:  global
        .offset:         112
        .size:           8
        .value_kind:     global_buffer
      - .offset:         120
        .size:           4
        .value_kind:     by_value
      - .address_space:  global
        .offset:         128
        .size:           8
        .value_kind:     global_buffer
      - .address_space:  global
        .offset:         136
        .size:           8
        .value_kind:     global_buffer
      - .offset:         144
        .size:           4
        .value_kind:     hidden_block_count_x
      - .offset:         148
        .size:           4
        .value_kind:     hidden_block_count_y
      - .offset:         152
        .size:           4
        .value_kind:     hidden_block_count_z
      - .offset:         156
        .size:           2
        .value_kind:     hidden_group_size_x
      - .offset:         158
        .size:           2
        .value_kind:     hidden_group_size_y
      - .offset:         160
        .size:           2
        .value_kind:     hidden_group_size_z
      - .offset:         162
        .size:           2
        .value_kind:     hidden_remainder_x
      - .offset:         164
        .size:           2
        .value_kind:     hidden_remainder_y
      - .offset:         166
        .size:           2
        .value_kind:     hidden_remainder_z
      - .offset:         184
        .size:           8
        .value_kind:     hidden_global_offset_x
      - .offset:         192
        .size:           8
        .value_kind:     hidden_global_offset_y
      - .offset:         200
        .size:           8
        .value_kind:     hidden_global_offset_z
      - .offset:         208
        .size:           2
        .value_kind:     hidden_grid_dims
      - .offset:         224
        .size:           8
        .value_kind:     hidden_hostcall_buffer
    .group_segment_fixed_size: 0
    .kernarg_segment_align: 8
    .kernarg_segment_size: 400
    .language:       OpenCL C
    .language_version:
      - 2
      - 0
    .max_flat_workgroup_size: 256
    .name:           _Z39paged_attention_ll4mi_QKV_mfma16_kernelI14__hip_bfloat16hLN4vllm18Fp8KVCacheDataTypeE1EhLi16ELi64ELi256ELb1ELi6EEvPKT_PKT0_S8_ifPKiSA_SA_iPKfiiiPfSD_PS3_PT2_iSC_SC_
    .private_segment_fixed_size: 64
    .sgpr_count:     36
    .sgpr_spill_count: 0
    .symbol:         _Z39paged_attention_ll4mi_QKV_mfma16_kernelI14__hip_bfloat16hLN4vllm18Fp8KVCacheDataTypeE1EhLi16ELi64ELi256ELb1ELi6EEvPKT_PKT0_S8_ifPKiSA_SA_iPKfiiiPfSD_PS3_PT2_iSC_SC_.kd
    .uniform_work_group_size: 1
    .uses_dynamic_stack: false
    .vgpr_count:     51
    .vgpr_spill_count: 0
    .wavefront_size: 32
  - .args:
      - .actual_access:  read_only
        .address_space:  global
        .offset:         0
        .size:           8
        .value_kind:     global_buffer
      - .actual_access:  read_only
        .address_space:  global
        .offset:         8
        .size:           8
        .value_kind:     global_buffer
      - .actual_access:  read_only
        .address_space:  global
        .offset:         16
        .size:           8
        .value_kind:     global_buffer
      - .offset:         24
        .size:           4
        .value_kind:     by_value
      - .offset:         28
        .size:           4
        .value_kind:     by_value
      - .actual_access:  read_only
        .address_space:  global
        .offset:         32
        .size:           8
        .value_kind:     global_buffer
      - .actual_access:  read_only
        .address_space:  global
        .offset:         40
        .size:           8
        .value_kind:     global_buffer
      - .actual_access:  read_only
        .address_space:  global
        .offset:         48
        .size:           8
        .value_kind:     global_buffer
      - .offset:         56
        .size:           4
        .value_kind:     by_value
      - .actual_access:  read_only
        .address_space:  global
        .offset:         64
        .size:           8
        .value_kind:     global_buffer
      - .offset:         72
        .size:           4
        .value_kind:     by_value
      - .offset:         76
        .size:           4
        .value_kind:     by_value
      - .offset:         80
        .size:           4
        .value_kind:     by_value
      - .actual_access:  read_only
        .address_space:  global
        .offset:         88
        .size:           8
        .value_kind:     global_buffer
      - .actual_access:  read_only
        .address_space:  global
        .offset:         96
        .size:           8
        .value_kind:     global_buffer
      - .actual_access:  read_only
        .address_space:  global
        .offset:         104
        .size:           8
        .value_kind:     global_buffer
      - .actual_access:  read_only
        .address_space:  global
        .offset:         112
        .size:           8
        .value_kind:     global_buffer
      - .offset:         120
        .size:           4
        .value_kind:     by_value
      - .address_space:  global
        .offset:         128
        .size:           8
        .value_kind:     global_buffer
      - .address_space:  global
        .offset:         136
        .size:           8
        .value_kind:     global_buffer
      - .offset:         144
        .size:           4
        .value_kind:     hidden_block_count_x
      - .offset:         148
        .size:           4
        .value_kind:     hidden_block_count_y
      - .offset:         152
        .size:           4
        .value_kind:     hidden_block_count_z
      - .offset:         156
        .size:           2
        .value_kind:     hidden_group_size_x
      - .offset:         158
        .size:           2
        .value_kind:     hidden_group_size_y
      - .offset:         160
        .size:           2
        .value_kind:     hidden_group_size_z
      - .offset:         162
        .size:           2
        .value_kind:     hidden_remainder_x
      - .offset:         164
        .size:           2
        .value_kind:     hidden_remainder_y
      - .offset:         166
        .size:           2
        .value_kind:     hidden_remainder_z
      - .offset:         184
        .size:           8
        .value_kind:     hidden_global_offset_x
      - .offset:         192
        .size:           8
        .value_kind:     hidden_global_offset_y
      - .offset:         200
        .size:           8
        .value_kind:     hidden_global_offset_z
      - .offset:         208
        .size:           2
        .value_kind:     hidden_grid_dims
      - .offset:         224
        .size:           8
        .value_kind:     hidden_hostcall_buffer
    .group_segment_fixed_size: 0
    .kernarg_segment_align: 8
    .kernarg_segment_size: 400
    .language:       OpenCL C
    .language_version:
      - 2
      - 0
    .max_flat_workgroup_size: 256
    .name:           _Z39paged_attention_ll4mi_QKV_mfma16_kernelI14__hip_bfloat16hLN4vllm18Fp8KVCacheDataTypeE1EhLi16ELi64ELi256ELb1ELi7EEvPKT_PKT0_S8_ifPKiSA_SA_iPKfiiiPfSD_PS3_PT2_iSC_SC_
    .private_segment_fixed_size: 64
    .sgpr_count:     36
    .sgpr_spill_count: 0
    .symbol:         _Z39paged_attention_ll4mi_QKV_mfma16_kernelI14__hip_bfloat16hLN4vllm18Fp8KVCacheDataTypeE1EhLi16ELi64ELi256ELb1ELi7EEvPKT_PKT0_S8_ifPKiSA_SA_iPKfiiiPfSD_PS3_PT2_iSC_SC_.kd
    .uniform_work_group_size: 1
    .uses_dynamic_stack: false
    .vgpr_count:     51
    .vgpr_spill_count: 0
    .wavefront_size: 32
  - .args:
      - .actual_access:  read_only
        .address_space:  global
        .offset:         0
        .size:           8
        .value_kind:     global_buffer
      - .actual_access:  read_only
        .address_space:  global
        .offset:         8
        .size:           8
        .value_kind:     global_buffer
      - .actual_access:  read_only
        .address_space:  global
        .offset:         16
        .size:           8
        .value_kind:     global_buffer
      - .offset:         24
        .size:           4
        .value_kind:     by_value
      - .offset:         28
        .size:           4
        .value_kind:     by_value
      - .actual_access:  read_only
        .address_space:  global
        .offset:         32
        .size:           8
        .value_kind:     global_buffer
      - .actual_access:  read_only
        .address_space:  global
        .offset:         40
        .size:           8
        .value_kind:     global_buffer
      - .actual_access:  read_only
        .address_space:  global
        .offset:         48
        .size:           8
        .value_kind:     global_buffer
      - .offset:         56
        .size:           4
        .value_kind:     by_value
      - .actual_access:  read_only
        .address_space:  global
        .offset:         64
        .size:           8
        .value_kind:     global_buffer
      - .offset:         72
        .size:           4
        .value_kind:     by_value
      - .offset:         76
        .size:           4
        .value_kind:     by_value
      - .offset:         80
        .size:           4
        .value_kind:     by_value
      - .actual_access:  read_only
        .address_space:  global
        .offset:         88
        .size:           8
        .value_kind:     global_buffer
      - .actual_access:  read_only
        .address_space:  global
        .offset:         96
        .size:           8
        .value_kind:     global_buffer
      - .actual_access:  read_only
        .address_space:  global
        .offset:         104
        .size:           8
        .value_kind:     global_buffer
      - .actual_access:  read_only
        .address_space:  global
        .offset:         112
        .size:           8
        .value_kind:     global_buffer
      - .offset:         120
        .size:           4
        .value_kind:     by_value
      - .address_space:  global
        .offset:         128
        .size:           8
        .value_kind:     global_buffer
      - .address_space:  global
        .offset:         136
        .size:           8
        .value_kind:     global_buffer
      - .offset:         144
        .size:           4
        .value_kind:     hidden_block_count_x
      - .offset:         148
        .size:           4
        .value_kind:     hidden_block_count_y
      - .offset:         152
        .size:           4
        .value_kind:     hidden_block_count_z
      - .offset:         156
        .size:           2
        .value_kind:     hidden_group_size_x
      - .offset:         158
        .size:           2
        .value_kind:     hidden_group_size_y
      - .offset:         160
        .size:           2
        .value_kind:     hidden_group_size_z
      - .offset:         162
        .size:           2
        .value_kind:     hidden_remainder_x
      - .offset:         164
        .size:           2
        .value_kind:     hidden_remainder_y
      - .offset:         166
        .size:           2
        .value_kind:     hidden_remainder_z
      - .offset:         184
        .size:           8
        .value_kind:     hidden_global_offset_x
      - .offset:         192
        .size:           8
        .value_kind:     hidden_global_offset_y
      - .offset:         200
        .size:           8
        .value_kind:     hidden_global_offset_z
      - .offset:         208
        .size:           2
        .value_kind:     hidden_grid_dims
      - .offset:         224
        .size:           8
        .value_kind:     hidden_hostcall_buffer
    .group_segment_fixed_size: 0
    .kernarg_segment_align: 8
    .kernarg_segment_size: 400
    .language:       OpenCL C
    .language_version:
      - 2
      - 0
    .max_flat_workgroup_size: 256
    .name:           _Z39paged_attention_ll4mi_QKV_mfma16_kernelI14__hip_bfloat16hLN4vllm18Fp8KVCacheDataTypeE1EhLi16ELi64ELi256ELb1ELi8EEvPKT_PKT0_S8_ifPKiSA_SA_iPKfiiiPfSD_PS3_PT2_iSC_SC_
    .private_segment_fixed_size: 64
    .sgpr_count:     36
    .sgpr_spill_count: 0
    .symbol:         _Z39paged_attention_ll4mi_QKV_mfma16_kernelI14__hip_bfloat16hLN4vllm18Fp8KVCacheDataTypeE1EhLi16ELi64ELi256ELb1ELi8EEvPKT_PKT0_S8_ifPKiSA_SA_iPKfiiiPfSD_PS3_PT2_iSC_SC_.kd
    .uniform_work_group_size: 1
    .uses_dynamic_stack: false
    .vgpr_count:     51
    .vgpr_spill_count: 0
    .wavefront_size: 32
  - .args:
      - .actual_access:  read_only
        .address_space:  global
        .offset:         0
        .size:           8
        .value_kind:     global_buffer
      - .actual_access:  read_only
        .address_space:  global
        .offset:         8
        .size:           8
        .value_kind:     global_buffer
      - .actual_access:  read_only
        .address_space:  global
        .offset:         16
        .size:           8
        .value_kind:     global_buffer
      - .offset:         24
        .size:           4
        .value_kind:     by_value
      - .offset:         28
        .size:           4
        .value_kind:     by_value
      - .actual_access:  read_only
        .address_space:  global
        .offset:         32
        .size:           8
        .value_kind:     global_buffer
      - .actual_access:  read_only
        .address_space:  global
        .offset:         40
        .size:           8
        .value_kind:     global_buffer
      - .actual_access:  read_only
        .address_space:  global
        .offset:         48
        .size:           8
        .value_kind:     global_buffer
      - .offset:         56
        .size:           4
        .value_kind:     by_value
      - .actual_access:  read_only
        .address_space:  global
        .offset:         64
        .size:           8
        .value_kind:     global_buffer
      - .offset:         72
        .size:           4
        .value_kind:     by_value
      - .offset:         76
        .size:           4
        .value_kind:     by_value
      - .offset:         80
        .size:           4
        .value_kind:     by_value
      - .actual_access:  read_only
        .address_space:  global
        .offset:         88
        .size:           8
        .value_kind:     global_buffer
      - .actual_access:  read_only
        .address_space:  global
        .offset:         96
        .size:           8
        .value_kind:     global_buffer
      - .actual_access:  read_only
        .address_space:  global
        .offset:         104
        .size:           8
        .value_kind:     global_buffer
      - .actual_access:  read_only
        .address_space:  global
        .offset:         112
        .size:           8
        .value_kind:     global_buffer
      - .offset:         120
        .size:           4
        .value_kind:     by_value
      - .address_space:  global
        .offset:         128
        .size:           8
        .value_kind:     global_buffer
      - .address_space:  global
        .offset:         136
        .size:           8
        .value_kind:     global_buffer
      - .offset:         144
        .size:           4
        .value_kind:     hidden_block_count_x
      - .offset:         148
        .size:           4
        .value_kind:     hidden_block_count_y
      - .offset:         152
        .size:           4
        .value_kind:     hidden_block_count_z
      - .offset:         156
        .size:           2
        .value_kind:     hidden_group_size_x
      - .offset:         158
        .size:           2
        .value_kind:     hidden_group_size_y
      - .offset:         160
        .size:           2
        .value_kind:     hidden_group_size_z
      - .offset:         162
        .size:           2
        .value_kind:     hidden_remainder_x
      - .offset:         164
        .size:           2
        .value_kind:     hidden_remainder_y
      - .offset:         166
        .size:           2
        .value_kind:     hidden_remainder_z
      - .offset:         184
        .size:           8
        .value_kind:     hidden_global_offset_x
      - .offset:         192
        .size:           8
        .value_kind:     hidden_global_offset_y
      - .offset:         200
        .size:           8
        .value_kind:     hidden_global_offset_z
      - .offset:         208
        .size:           2
        .value_kind:     hidden_grid_dims
      - .offset:         224
        .size:           8
        .value_kind:     hidden_hostcall_buffer
    .group_segment_fixed_size: 0
    .kernarg_segment_align: 8
    .kernarg_segment_size: 400
    .language:       OpenCL C
    .language_version:
      - 2
      - 0
    .max_flat_workgroup_size: 256
    .name:           _Z39paged_attention_ll4mi_QKV_mfma16_kernelI14__hip_bfloat16hLN4vllm18Fp8KVCacheDataTypeE1EhLi16ELi64ELi256ELb1ELi9EEvPKT_PKT0_S8_ifPKiSA_SA_iPKfiiiPfSD_PS3_PT2_iSC_SC_
    .private_segment_fixed_size: 64
    .sgpr_count:     36
    .sgpr_spill_count: 0
    .symbol:         _Z39paged_attention_ll4mi_QKV_mfma16_kernelI14__hip_bfloat16hLN4vllm18Fp8KVCacheDataTypeE1EhLi16ELi64ELi256ELb1ELi9EEvPKT_PKT0_S8_ifPKiSA_SA_iPKfiiiPfSD_PS3_PT2_iSC_SC_.kd
    .uniform_work_group_size: 1
    .uses_dynamic_stack: false
    .vgpr_count:     51
    .vgpr_spill_count: 0
    .wavefront_size: 32
  - .args:
      - .actual_access:  read_only
        .address_space:  global
        .offset:         0
        .size:           8
        .value_kind:     global_buffer
      - .actual_access:  read_only
        .address_space:  global
        .offset:         8
        .size:           8
        .value_kind:     global_buffer
      - .actual_access:  read_only
        .address_space:  global
        .offset:         16
        .size:           8
        .value_kind:     global_buffer
      - .offset:         24
        .size:           4
        .value_kind:     by_value
      - .offset:         28
        .size:           4
        .value_kind:     by_value
      - .actual_access:  read_only
        .address_space:  global
        .offset:         32
        .size:           8
        .value_kind:     global_buffer
      - .actual_access:  read_only
        .address_space:  global
        .offset:         40
        .size:           8
        .value_kind:     global_buffer
      - .actual_access:  read_only
        .address_space:  global
        .offset:         48
        .size:           8
        .value_kind:     global_buffer
      - .offset:         56
        .size:           4
        .value_kind:     by_value
      - .actual_access:  read_only
        .address_space:  global
        .offset:         64
        .size:           8
        .value_kind:     global_buffer
      - .offset:         72
        .size:           4
        .value_kind:     by_value
      - .offset:         76
        .size:           4
        .value_kind:     by_value
      - .offset:         80
        .size:           4
        .value_kind:     by_value
      - .actual_access:  read_only
        .address_space:  global
        .offset:         88
        .size:           8
        .value_kind:     global_buffer
      - .actual_access:  read_only
        .address_space:  global
        .offset:         96
        .size:           8
        .value_kind:     global_buffer
      - .actual_access:  read_only
        .address_space:  global
        .offset:         104
        .size:           8
        .value_kind:     global_buffer
      - .actual_access:  read_only
        .address_space:  global
        .offset:         112
        .size:           8
        .value_kind:     global_buffer
      - .offset:         120
        .size:           4
        .value_kind:     by_value
      - .address_space:  global
        .offset:         128
        .size:           8
        .value_kind:     global_buffer
      - .address_space:  global
        .offset:         136
        .size:           8
        .value_kind:     global_buffer
      - .offset:         144
        .size:           4
        .value_kind:     hidden_block_count_x
      - .offset:         148
        .size:           4
        .value_kind:     hidden_block_count_y
      - .offset:         152
        .size:           4
        .value_kind:     hidden_block_count_z
      - .offset:         156
        .size:           2
        .value_kind:     hidden_group_size_x
      - .offset:         158
        .size:           2
        .value_kind:     hidden_group_size_y
      - .offset:         160
        .size:           2
        .value_kind:     hidden_group_size_z
      - .offset:         162
        .size:           2
        .value_kind:     hidden_remainder_x
      - .offset:         164
        .size:           2
        .value_kind:     hidden_remainder_y
      - .offset:         166
        .size:           2
        .value_kind:     hidden_remainder_z
      - .offset:         184
        .size:           8
        .value_kind:     hidden_global_offset_x
      - .offset:         192
        .size:           8
        .value_kind:     hidden_global_offset_y
      - .offset:         200
        .size:           8
        .value_kind:     hidden_global_offset_z
      - .offset:         208
        .size:           2
        .value_kind:     hidden_grid_dims
      - .offset:         224
        .size:           8
        .value_kind:     hidden_hostcall_buffer
    .group_segment_fixed_size: 0
    .kernarg_segment_align: 8
    .kernarg_segment_size: 400
    .language:       OpenCL C
    .language_version:
      - 2
      - 0
    .max_flat_workgroup_size: 256
    .name:           _Z39paged_attention_ll4mi_QKV_mfma16_kernelI14__hip_bfloat16hLN4vllm18Fp8KVCacheDataTypeE1EhLi16ELi64ELi256ELb1ELi10EEvPKT_PKT0_S8_ifPKiSA_SA_iPKfiiiPfSD_PS3_PT2_iSC_SC_
    .private_segment_fixed_size: 64
    .sgpr_count:     36
    .sgpr_spill_count: 0
    .symbol:         _Z39paged_attention_ll4mi_QKV_mfma16_kernelI14__hip_bfloat16hLN4vllm18Fp8KVCacheDataTypeE1EhLi16ELi64ELi256ELb1ELi10EEvPKT_PKT0_S8_ifPKiSA_SA_iPKfiiiPfSD_PS3_PT2_iSC_SC_.kd
    .uniform_work_group_size: 1
    .uses_dynamic_stack: false
    .vgpr_count:     51
    .vgpr_spill_count: 0
    .wavefront_size: 32
  - .args:
      - .actual_access:  read_only
        .address_space:  global
        .offset:         0
        .size:           8
        .value_kind:     global_buffer
      - .actual_access:  read_only
        .address_space:  global
        .offset:         8
        .size:           8
        .value_kind:     global_buffer
      - .actual_access:  read_only
        .address_space:  global
        .offset:         16
        .size:           8
        .value_kind:     global_buffer
      - .offset:         24
        .size:           4
        .value_kind:     by_value
      - .offset:         28
        .size:           4
        .value_kind:     by_value
      - .actual_access:  read_only
        .address_space:  global
        .offset:         32
        .size:           8
        .value_kind:     global_buffer
      - .actual_access:  read_only
        .address_space:  global
        .offset:         40
        .size:           8
        .value_kind:     global_buffer
      - .actual_access:  read_only
        .address_space:  global
        .offset:         48
        .size:           8
        .value_kind:     global_buffer
      - .offset:         56
        .size:           4
        .value_kind:     by_value
      - .actual_access:  read_only
        .address_space:  global
        .offset:         64
        .size:           8
        .value_kind:     global_buffer
      - .offset:         72
        .size:           4
        .value_kind:     by_value
      - .offset:         76
        .size:           4
        .value_kind:     by_value
      - .offset:         80
        .size:           4
        .value_kind:     by_value
      - .actual_access:  read_only
        .address_space:  global
        .offset:         88
        .size:           8
        .value_kind:     global_buffer
      - .actual_access:  read_only
        .address_space:  global
        .offset:         96
        .size:           8
        .value_kind:     global_buffer
      - .actual_access:  read_only
        .address_space:  global
        .offset:         104
        .size:           8
        .value_kind:     global_buffer
      - .actual_access:  read_only
        .address_space:  global
        .offset:         112
        .size:           8
        .value_kind:     global_buffer
      - .offset:         120
        .size:           4
        .value_kind:     by_value
      - .address_space:  global
        .offset:         128
        .size:           8
        .value_kind:     global_buffer
      - .address_space:  global
        .offset:         136
        .size:           8
        .value_kind:     global_buffer
      - .offset:         144
        .size:           4
        .value_kind:     hidden_block_count_x
      - .offset:         148
        .size:           4
        .value_kind:     hidden_block_count_y
      - .offset:         152
        .size:           4
        .value_kind:     hidden_block_count_z
      - .offset:         156
        .size:           2
        .value_kind:     hidden_group_size_x
      - .offset:         158
        .size:           2
        .value_kind:     hidden_group_size_y
      - .offset:         160
        .size:           2
        .value_kind:     hidden_group_size_z
      - .offset:         162
        .size:           2
        .value_kind:     hidden_remainder_x
      - .offset:         164
        .size:           2
        .value_kind:     hidden_remainder_y
      - .offset:         166
        .size:           2
        .value_kind:     hidden_remainder_z
      - .offset:         184
        .size:           8
        .value_kind:     hidden_global_offset_x
      - .offset:         192
        .size:           8
        .value_kind:     hidden_global_offset_y
      - .offset:         200
        .size:           8
        .value_kind:     hidden_global_offset_z
      - .offset:         208
        .size:           2
        .value_kind:     hidden_grid_dims
      - .offset:         224
        .size:           8
        .value_kind:     hidden_hostcall_buffer
    .group_segment_fixed_size: 0
    .kernarg_segment_align: 8
    .kernarg_segment_size: 400
    .language:       OpenCL C
    .language_version:
      - 2
      - 0
    .max_flat_workgroup_size: 256
    .name:           _Z39paged_attention_ll4mi_QKV_mfma16_kernelI14__hip_bfloat16hLN4vllm18Fp8KVCacheDataTypeE1EhLi16ELi64ELi256ELb1ELi11EEvPKT_PKT0_S8_ifPKiSA_SA_iPKfiiiPfSD_PS3_PT2_iSC_SC_
    .private_segment_fixed_size: 64
    .sgpr_count:     36
    .sgpr_spill_count: 0
    .symbol:         _Z39paged_attention_ll4mi_QKV_mfma16_kernelI14__hip_bfloat16hLN4vllm18Fp8KVCacheDataTypeE1EhLi16ELi64ELi256ELb1ELi11EEvPKT_PKT0_S8_ifPKiSA_SA_iPKfiiiPfSD_PS3_PT2_iSC_SC_.kd
    .uniform_work_group_size: 1
    .uses_dynamic_stack: false
    .vgpr_count:     51
    .vgpr_spill_count: 0
    .wavefront_size: 32
  - .args:
      - .actual_access:  read_only
        .address_space:  global
        .offset:         0
        .size:           8
        .value_kind:     global_buffer
      - .actual_access:  read_only
        .address_space:  global
        .offset:         8
        .size:           8
        .value_kind:     global_buffer
      - .actual_access:  read_only
        .address_space:  global
        .offset:         16
        .size:           8
        .value_kind:     global_buffer
      - .offset:         24
        .size:           4
        .value_kind:     by_value
      - .offset:         28
        .size:           4
        .value_kind:     by_value
      - .actual_access:  read_only
        .address_space:  global
        .offset:         32
        .size:           8
        .value_kind:     global_buffer
      - .actual_access:  read_only
        .address_space:  global
        .offset:         40
        .size:           8
        .value_kind:     global_buffer
      - .actual_access:  read_only
        .address_space:  global
        .offset:         48
        .size:           8
        .value_kind:     global_buffer
      - .offset:         56
        .size:           4
        .value_kind:     by_value
      - .actual_access:  read_only
        .address_space:  global
        .offset:         64
        .size:           8
        .value_kind:     global_buffer
      - .offset:         72
        .size:           4
        .value_kind:     by_value
      - .offset:         76
        .size:           4
        .value_kind:     by_value
      - .offset:         80
        .size:           4
        .value_kind:     by_value
      - .actual_access:  read_only
        .address_space:  global
        .offset:         88
        .size:           8
        .value_kind:     global_buffer
      - .actual_access:  read_only
        .address_space:  global
        .offset:         96
        .size:           8
        .value_kind:     global_buffer
      - .actual_access:  read_only
        .address_space:  global
        .offset:         104
        .size:           8
        .value_kind:     global_buffer
      - .actual_access:  read_only
        .address_space:  global
        .offset:         112
        .size:           8
        .value_kind:     global_buffer
      - .offset:         120
        .size:           4
        .value_kind:     by_value
      - .address_space:  global
        .offset:         128
        .size:           8
        .value_kind:     global_buffer
      - .address_space:  global
        .offset:         136
        .size:           8
        .value_kind:     global_buffer
      - .offset:         144
        .size:           4
        .value_kind:     hidden_block_count_x
      - .offset:         148
        .size:           4
        .value_kind:     hidden_block_count_y
      - .offset:         152
        .size:           4
        .value_kind:     hidden_block_count_z
      - .offset:         156
        .size:           2
        .value_kind:     hidden_group_size_x
      - .offset:         158
        .size:           2
        .value_kind:     hidden_group_size_y
      - .offset:         160
        .size:           2
        .value_kind:     hidden_group_size_z
      - .offset:         162
        .size:           2
        .value_kind:     hidden_remainder_x
      - .offset:         164
        .size:           2
        .value_kind:     hidden_remainder_y
      - .offset:         166
        .size:           2
        .value_kind:     hidden_remainder_z
      - .offset:         184
        .size:           8
        .value_kind:     hidden_global_offset_x
      - .offset:         192
        .size:           8
        .value_kind:     hidden_global_offset_y
      - .offset:         200
        .size:           8
        .value_kind:     hidden_global_offset_z
      - .offset:         208
        .size:           2
        .value_kind:     hidden_grid_dims
      - .offset:         224
        .size:           8
        .value_kind:     hidden_hostcall_buffer
    .group_segment_fixed_size: 0
    .kernarg_segment_align: 8
    .kernarg_segment_size: 400
    .language:       OpenCL C
    .language_version:
      - 2
      - 0
    .max_flat_workgroup_size: 256
    .name:           _Z39paged_attention_ll4mi_QKV_mfma16_kernelI14__hip_bfloat16hLN4vllm18Fp8KVCacheDataTypeE1EhLi16ELi64ELi256ELb1ELi12EEvPKT_PKT0_S8_ifPKiSA_SA_iPKfiiiPfSD_PS3_PT2_iSC_SC_
    .private_segment_fixed_size: 64
    .sgpr_count:     36
    .sgpr_spill_count: 0
    .symbol:         _Z39paged_attention_ll4mi_QKV_mfma16_kernelI14__hip_bfloat16hLN4vllm18Fp8KVCacheDataTypeE1EhLi16ELi64ELi256ELb1ELi12EEvPKT_PKT0_S8_ifPKiSA_SA_iPKfiiiPfSD_PS3_PT2_iSC_SC_.kd
    .uniform_work_group_size: 1
    .uses_dynamic_stack: false
    .vgpr_count:     51
    .vgpr_spill_count: 0
    .wavefront_size: 32
  - .args:
      - .actual_access:  read_only
        .address_space:  global
        .offset:         0
        .size:           8
        .value_kind:     global_buffer
      - .actual_access:  read_only
        .address_space:  global
        .offset:         8
        .size:           8
        .value_kind:     global_buffer
      - .actual_access:  read_only
        .address_space:  global
        .offset:         16
        .size:           8
        .value_kind:     global_buffer
      - .offset:         24
        .size:           4
        .value_kind:     by_value
      - .offset:         28
        .size:           4
        .value_kind:     by_value
      - .actual_access:  read_only
        .address_space:  global
        .offset:         32
        .size:           8
        .value_kind:     global_buffer
      - .actual_access:  read_only
        .address_space:  global
        .offset:         40
        .size:           8
        .value_kind:     global_buffer
      - .actual_access:  read_only
        .address_space:  global
        .offset:         48
        .size:           8
        .value_kind:     global_buffer
      - .offset:         56
        .size:           4
        .value_kind:     by_value
      - .actual_access:  read_only
        .address_space:  global
        .offset:         64
        .size:           8
        .value_kind:     global_buffer
      - .offset:         72
        .size:           4
        .value_kind:     by_value
      - .offset:         76
        .size:           4
        .value_kind:     by_value
      - .offset:         80
        .size:           4
        .value_kind:     by_value
      - .actual_access:  read_only
        .address_space:  global
        .offset:         88
        .size:           8
        .value_kind:     global_buffer
      - .actual_access:  read_only
        .address_space:  global
        .offset:         96
        .size:           8
        .value_kind:     global_buffer
      - .actual_access:  read_only
        .address_space:  global
        .offset:         104
        .size:           8
        .value_kind:     global_buffer
      - .actual_access:  read_only
        .address_space:  global
        .offset:         112
        .size:           8
        .value_kind:     global_buffer
      - .offset:         120
        .size:           4
        .value_kind:     by_value
      - .address_space:  global
        .offset:         128
        .size:           8
        .value_kind:     global_buffer
      - .address_space:  global
        .offset:         136
        .size:           8
        .value_kind:     global_buffer
      - .offset:         144
        .size:           4
        .value_kind:     hidden_block_count_x
      - .offset:         148
        .size:           4
        .value_kind:     hidden_block_count_y
      - .offset:         152
        .size:           4
        .value_kind:     hidden_block_count_z
      - .offset:         156
        .size:           2
        .value_kind:     hidden_group_size_x
      - .offset:         158
        .size:           2
        .value_kind:     hidden_group_size_y
      - .offset:         160
        .size:           2
        .value_kind:     hidden_group_size_z
      - .offset:         162
        .size:           2
        .value_kind:     hidden_remainder_x
      - .offset:         164
        .size:           2
        .value_kind:     hidden_remainder_y
      - .offset:         166
        .size:           2
        .value_kind:     hidden_remainder_z
      - .offset:         184
        .size:           8
        .value_kind:     hidden_global_offset_x
      - .offset:         192
        .size:           8
        .value_kind:     hidden_global_offset_y
      - .offset:         200
        .size:           8
        .value_kind:     hidden_global_offset_z
      - .offset:         208
        .size:           2
        .value_kind:     hidden_grid_dims
      - .offset:         224
        .size:           8
        .value_kind:     hidden_hostcall_buffer
    .group_segment_fixed_size: 0
    .kernarg_segment_align: 8
    .kernarg_segment_size: 400
    .language:       OpenCL C
    .language_version:
      - 2
      - 0
    .max_flat_workgroup_size: 256
    .name:           _Z39paged_attention_ll4mi_QKV_mfma16_kernelI14__hip_bfloat16hLN4vllm18Fp8KVCacheDataTypeE1EhLi16ELi64ELi256ELb1ELi13EEvPKT_PKT0_S8_ifPKiSA_SA_iPKfiiiPfSD_PS3_PT2_iSC_SC_
    .private_segment_fixed_size: 64
    .sgpr_count:     36
    .sgpr_spill_count: 0
    .symbol:         _Z39paged_attention_ll4mi_QKV_mfma16_kernelI14__hip_bfloat16hLN4vllm18Fp8KVCacheDataTypeE1EhLi16ELi64ELi256ELb1ELi13EEvPKT_PKT0_S8_ifPKiSA_SA_iPKfiiiPfSD_PS3_PT2_iSC_SC_.kd
    .uniform_work_group_size: 1
    .uses_dynamic_stack: false
    .vgpr_count:     51
    .vgpr_spill_count: 0
    .wavefront_size: 32
  - .args:
      - .actual_access:  read_only
        .address_space:  global
        .offset:         0
        .size:           8
        .value_kind:     global_buffer
      - .actual_access:  read_only
        .address_space:  global
        .offset:         8
        .size:           8
        .value_kind:     global_buffer
      - .actual_access:  read_only
        .address_space:  global
        .offset:         16
        .size:           8
        .value_kind:     global_buffer
      - .offset:         24
        .size:           4
        .value_kind:     by_value
      - .offset:         28
        .size:           4
        .value_kind:     by_value
      - .actual_access:  read_only
        .address_space:  global
        .offset:         32
        .size:           8
        .value_kind:     global_buffer
      - .actual_access:  read_only
        .address_space:  global
        .offset:         40
        .size:           8
        .value_kind:     global_buffer
      - .actual_access:  read_only
        .address_space:  global
        .offset:         48
        .size:           8
        .value_kind:     global_buffer
      - .offset:         56
        .size:           4
        .value_kind:     by_value
      - .actual_access:  read_only
        .address_space:  global
        .offset:         64
        .size:           8
        .value_kind:     global_buffer
      - .offset:         72
        .size:           4
        .value_kind:     by_value
      - .offset:         76
        .size:           4
        .value_kind:     by_value
      - .offset:         80
        .size:           4
        .value_kind:     by_value
      - .actual_access:  read_only
        .address_space:  global
        .offset:         88
        .size:           8
        .value_kind:     global_buffer
      - .actual_access:  read_only
        .address_space:  global
        .offset:         96
        .size:           8
        .value_kind:     global_buffer
      - .actual_access:  read_only
        .address_space:  global
        .offset:         104
        .size:           8
        .value_kind:     global_buffer
      - .actual_access:  read_only
        .address_space:  global
        .offset:         112
        .size:           8
        .value_kind:     global_buffer
      - .offset:         120
        .size:           4
        .value_kind:     by_value
      - .address_space:  global
        .offset:         128
        .size:           8
        .value_kind:     global_buffer
      - .address_space:  global
        .offset:         136
        .size:           8
        .value_kind:     global_buffer
      - .offset:         144
        .size:           4
        .value_kind:     hidden_block_count_x
      - .offset:         148
        .size:           4
        .value_kind:     hidden_block_count_y
      - .offset:         152
        .size:           4
        .value_kind:     hidden_block_count_z
      - .offset:         156
        .size:           2
        .value_kind:     hidden_group_size_x
      - .offset:         158
        .size:           2
        .value_kind:     hidden_group_size_y
      - .offset:         160
        .size:           2
        .value_kind:     hidden_group_size_z
      - .offset:         162
        .size:           2
        .value_kind:     hidden_remainder_x
      - .offset:         164
        .size:           2
        .value_kind:     hidden_remainder_y
      - .offset:         166
        .size:           2
        .value_kind:     hidden_remainder_z
      - .offset:         184
        .size:           8
        .value_kind:     hidden_global_offset_x
      - .offset:         192
        .size:           8
        .value_kind:     hidden_global_offset_y
      - .offset:         200
        .size:           8
        .value_kind:     hidden_global_offset_z
      - .offset:         208
        .size:           2
        .value_kind:     hidden_grid_dims
      - .offset:         224
        .size:           8
        .value_kind:     hidden_hostcall_buffer
    .group_segment_fixed_size: 0
    .kernarg_segment_align: 8
    .kernarg_segment_size: 400
    .language:       OpenCL C
    .language_version:
      - 2
      - 0
    .max_flat_workgroup_size: 256
    .name:           _Z39paged_attention_ll4mi_QKV_mfma16_kernelI14__hip_bfloat16hLN4vllm18Fp8KVCacheDataTypeE1EhLi16ELi64ELi256ELb1ELi14EEvPKT_PKT0_S8_ifPKiSA_SA_iPKfiiiPfSD_PS3_PT2_iSC_SC_
    .private_segment_fixed_size: 64
    .sgpr_count:     36
    .sgpr_spill_count: 0
    .symbol:         _Z39paged_attention_ll4mi_QKV_mfma16_kernelI14__hip_bfloat16hLN4vllm18Fp8KVCacheDataTypeE1EhLi16ELi64ELi256ELb1ELi14EEvPKT_PKT0_S8_ifPKiSA_SA_iPKfiiiPfSD_PS3_PT2_iSC_SC_.kd
    .uniform_work_group_size: 1
    .uses_dynamic_stack: false
    .vgpr_count:     51
    .vgpr_spill_count: 0
    .wavefront_size: 32
  - .args:
      - .actual_access:  read_only
        .address_space:  global
        .offset:         0
        .size:           8
        .value_kind:     global_buffer
      - .actual_access:  read_only
        .address_space:  global
        .offset:         8
        .size:           8
        .value_kind:     global_buffer
      - .actual_access:  read_only
        .address_space:  global
        .offset:         16
        .size:           8
        .value_kind:     global_buffer
      - .offset:         24
        .size:           4
        .value_kind:     by_value
      - .offset:         28
        .size:           4
        .value_kind:     by_value
      - .actual_access:  read_only
        .address_space:  global
        .offset:         32
        .size:           8
        .value_kind:     global_buffer
      - .actual_access:  read_only
        .address_space:  global
        .offset:         40
        .size:           8
        .value_kind:     global_buffer
      - .actual_access:  read_only
        .address_space:  global
        .offset:         48
        .size:           8
        .value_kind:     global_buffer
      - .offset:         56
        .size:           4
        .value_kind:     by_value
      - .actual_access:  read_only
        .address_space:  global
        .offset:         64
        .size:           8
        .value_kind:     global_buffer
      - .offset:         72
        .size:           4
        .value_kind:     by_value
      - .offset:         76
        .size:           4
        .value_kind:     by_value
      - .offset:         80
        .size:           4
        .value_kind:     by_value
      - .actual_access:  read_only
        .address_space:  global
        .offset:         88
        .size:           8
        .value_kind:     global_buffer
      - .actual_access:  read_only
        .address_space:  global
        .offset:         96
        .size:           8
        .value_kind:     global_buffer
      - .actual_access:  read_only
        .address_space:  global
        .offset:         104
        .size:           8
        .value_kind:     global_buffer
      - .actual_access:  read_only
        .address_space:  global
        .offset:         112
        .size:           8
        .value_kind:     global_buffer
      - .offset:         120
        .size:           4
        .value_kind:     by_value
      - .address_space:  global
        .offset:         128
        .size:           8
        .value_kind:     global_buffer
      - .address_space:  global
        .offset:         136
        .size:           8
        .value_kind:     global_buffer
      - .offset:         144
        .size:           4
        .value_kind:     hidden_block_count_x
      - .offset:         148
        .size:           4
        .value_kind:     hidden_block_count_y
      - .offset:         152
        .size:           4
        .value_kind:     hidden_block_count_z
      - .offset:         156
        .size:           2
        .value_kind:     hidden_group_size_x
      - .offset:         158
        .size:           2
        .value_kind:     hidden_group_size_y
      - .offset:         160
        .size:           2
        .value_kind:     hidden_group_size_z
      - .offset:         162
        .size:           2
        .value_kind:     hidden_remainder_x
      - .offset:         164
        .size:           2
        .value_kind:     hidden_remainder_y
      - .offset:         166
        .size:           2
        .value_kind:     hidden_remainder_z
      - .offset:         184
        .size:           8
        .value_kind:     hidden_global_offset_x
      - .offset:         192
        .size:           8
        .value_kind:     hidden_global_offset_y
      - .offset:         200
        .size:           8
        .value_kind:     hidden_global_offset_z
      - .offset:         208
        .size:           2
        .value_kind:     hidden_grid_dims
      - .offset:         224
        .size:           8
        .value_kind:     hidden_hostcall_buffer
    .group_segment_fixed_size: 0
    .kernarg_segment_align: 8
    .kernarg_segment_size: 400
    .language:       OpenCL C
    .language_version:
      - 2
      - 0
    .max_flat_workgroup_size: 256
    .name:           _Z39paged_attention_ll4mi_QKV_mfma16_kernelI14__hip_bfloat16hLN4vllm18Fp8KVCacheDataTypeE1EhLi16ELi64ELi256ELb1ELi15EEvPKT_PKT0_S8_ifPKiSA_SA_iPKfiiiPfSD_PS3_PT2_iSC_SC_
    .private_segment_fixed_size: 64
    .sgpr_count:     36
    .sgpr_spill_count: 0
    .symbol:         _Z39paged_attention_ll4mi_QKV_mfma16_kernelI14__hip_bfloat16hLN4vllm18Fp8KVCacheDataTypeE1EhLi16ELi64ELi256ELb1ELi15EEvPKT_PKT0_S8_ifPKiSA_SA_iPKfiiiPfSD_PS3_PT2_iSC_SC_.kd
    .uniform_work_group_size: 1
    .uses_dynamic_stack: false
    .vgpr_count:     51
    .vgpr_spill_count: 0
    .wavefront_size: 32
  - .args:
      - .actual_access:  read_only
        .address_space:  global
        .offset:         0
        .size:           8
        .value_kind:     global_buffer
      - .actual_access:  read_only
        .address_space:  global
        .offset:         8
        .size:           8
        .value_kind:     global_buffer
      - .actual_access:  read_only
        .address_space:  global
        .offset:         16
        .size:           8
        .value_kind:     global_buffer
      - .offset:         24
        .size:           4
        .value_kind:     by_value
      - .offset:         28
        .size:           4
        .value_kind:     by_value
      - .actual_access:  read_only
        .address_space:  global
        .offset:         32
        .size:           8
        .value_kind:     global_buffer
      - .actual_access:  read_only
        .address_space:  global
        .offset:         40
        .size:           8
        .value_kind:     global_buffer
      - .actual_access:  read_only
        .address_space:  global
        .offset:         48
        .size:           8
        .value_kind:     global_buffer
      - .offset:         56
        .size:           4
        .value_kind:     by_value
      - .actual_access:  read_only
        .address_space:  global
        .offset:         64
        .size:           8
        .value_kind:     global_buffer
      - .offset:         72
        .size:           4
        .value_kind:     by_value
      - .offset:         76
        .size:           4
        .value_kind:     by_value
      - .offset:         80
        .size:           4
        .value_kind:     by_value
      - .actual_access:  read_only
        .address_space:  global
        .offset:         88
        .size:           8
        .value_kind:     global_buffer
      - .actual_access:  read_only
        .address_space:  global
        .offset:         96
        .size:           8
        .value_kind:     global_buffer
      - .actual_access:  read_only
        .address_space:  global
        .offset:         104
        .size:           8
        .value_kind:     global_buffer
      - .actual_access:  read_only
        .address_space:  global
        .offset:         112
        .size:           8
        .value_kind:     global_buffer
      - .offset:         120
        .size:           4
        .value_kind:     by_value
      - .address_space:  global
        .offset:         128
        .size:           8
        .value_kind:     global_buffer
      - .address_space:  global
        .offset:         136
        .size:           8
        .value_kind:     global_buffer
      - .offset:         144
        .size:           4
        .value_kind:     hidden_block_count_x
      - .offset:         148
        .size:           4
        .value_kind:     hidden_block_count_y
      - .offset:         152
        .size:           4
        .value_kind:     hidden_block_count_z
      - .offset:         156
        .size:           2
        .value_kind:     hidden_group_size_x
      - .offset:         158
        .size:           2
        .value_kind:     hidden_group_size_y
      - .offset:         160
        .size:           2
        .value_kind:     hidden_group_size_z
      - .offset:         162
        .size:           2
        .value_kind:     hidden_remainder_x
      - .offset:         164
        .size:           2
        .value_kind:     hidden_remainder_y
      - .offset:         166
        .size:           2
        .value_kind:     hidden_remainder_z
      - .offset:         184
        .size:           8
        .value_kind:     hidden_global_offset_x
      - .offset:         192
        .size:           8
        .value_kind:     hidden_global_offset_y
      - .offset:         200
        .size:           8
        .value_kind:     hidden_global_offset_z
      - .offset:         208
        .size:           2
        .value_kind:     hidden_grid_dims
      - .offset:         224
        .size:           8
        .value_kind:     hidden_hostcall_buffer
    .group_segment_fixed_size: 0
    .kernarg_segment_align: 8
    .kernarg_segment_size: 400
    .language:       OpenCL C
    .language_version:
      - 2
      - 0
    .max_flat_workgroup_size: 256
    .name:           _Z39paged_attention_ll4mi_QKV_mfma16_kernelI14__hip_bfloat16hLN4vllm18Fp8KVCacheDataTypeE1EhLi16ELi64ELi256ELb1ELi16EEvPKT_PKT0_S8_ifPKiSA_SA_iPKfiiiPfSD_PS3_PT2_iSC_SC_
    .private_segment_fixed_size: 64
    .sgpr_count:     36
    .sgpr_spill_count: 0
    .symbol:         _Z39paged_attention_ll4mi_QKV_mfma16_kernelI14__hip_bfloat16hLN4vllm18Fp8KVCacheDataTypeE1EhLi16ELi64ELi256ELb1ELi16EEvPKT_PKT0_S8_ifPKiSA_SA_iPKfiiiPfSD_PS3_PT2_iSC_SC_.kd
    .uniform_work_group_size: 1
    .uses_dynamic_stack: false
    .vgpr_count:     51
    .vgpr_spill_count: 0
    .wavefront_size: 32
  - .args:
      - .actual_access:  read_only
        .address_space:  global
        .offset:         0
        .size:           8
        .value_kind:     global_buffer
      - .actual_access:  read_only
        .address_space:  global
        .offset:         8
        .size:           8
        .value_kind:     global_buffer
      - .actual_access:  read_only
        .address_space:  global
        .offset:         16
        .size:           8
        .value_kind:     global_buffer
      - .offset:         24
        .size:           4
        .value_kind:     by_value
      - .offset:         28
        .size:           4
        .value_kind:     by_value
      - .actual_access:  read_only
        .address_space:  global
        .offset:         32
        .size:           8
        .value_kind:     global_buffer
      - .actual_access:  read_only
        .address_space:  global
        .offset:         40
        .size:           8
        .value_kind:     global_buffer
      - .actual_access:  read_only
        .address_space:  global
        .offset:         48
        .size:           8
        .value_kind:     global_buffer
      - .offset:         56
        .size:           4
        .value_kind:     by_value
      - .actual_access:  read_only
        .address_space:  global
        .offset:         64
        .size:           8
        .value_kind:     global_buffer
      - .offset:         72
        .size:           4
        .value_kind:     by_value
      - .offset:         76
        .size:           4
        .value_kind:     by_value
      - .offset:         80
        .size:           4
        .value_kind:     by_value
      - .actual_access:  read_only
        .address_space:  global
        .offset:         88
        .size:           8
        .value_kind:     global_buffer
      - .actual_access:  read_only
        .address_space:  global
        .offset:         96
        .size:           8
        .value_kind:     global_buffer
      - .actual_access:  read_only
        .address_space:  global
        .offset:         104
        .size:           8
        .value_kind:     global_buffer
      - .actual_access:  read_only
        .address_space:  global
        .offset:         112
        .size:           8
        .value_kind:     global_buffer
      - .offset:         120
        .size:           4
        .value_kind:     by_value
      - .address_space:  global
        .offset:         128
        .size:           8
        .value_kind:     global_buffer
      - .address_space:  global
        .offset:         136
        .size:           8
        .value_kind:     global_buffer
      - .offset:         144
        .size:           4
        .value_kind:     hidden_block_count_x
      - .offset:         148
        .size:           4
        .value_kind:     hidden_block_count_y
      - .offset:         152
        .size:           4
        .value_kind:     hidden_block_count_z
      - .offset:         156
        .size:           2
        .value_kind:     hidden_group_size_x
      - .offset:         158
        .size:           2
        .value_kind:     hidden_group_size_y
      - .offset:         160
        .size:           2
        .value_kind:     hidden_group_size_z
      - .offset:         162
        .size:           2
        .value_kind:     hidden_remainder_x
      - .offset:         164
        .size:           2
        .value_kind:     hidden_remainder_y
      - .offset:         166
        .size:           2
        .value_kind:     hidden_remainder_z
      - .offset:         184
        .size:           8
        .value_kind:     hidden_global_offset_x
      - .offset:         192
        .size:           8
        .value_kind:     hidden_global_offset_y
      - .offset:         200
        .size:           8
        .value_kind:     hidden_global_offset_z
      - .offset:         208
        .size:           2
        .value_kind:     hidden_grid_dims
      - .offset:         224
        .size:           8
        .value_kind:     hidden_hostcall_buffer
    .group_segment_fixed_size: 0
    .kernarg_segment_align: 8
    .kernarg_segment_size: 400
    .language:       OpenCL C
    .language_version:
      - 2
      - 0
    .max_flat_workgroup_size: 256
    .name:           _Z39paged_attention_ll4mi_QKV_mfma16_kernelI14__hip_bfloat16hLN4vllm18Fp8KVCacheDataTypeE1EhLi16ELi64ELi256ELb1ELi1EEvPKT_PKT0_S8_ifPKiSA_SA_iPKfiiiPfSD_PS3_PT2_iSC_SC_
    .private_segment_fixed_size: 64
    .sgpr_count:     36
    .sgpr_spill_count: 0
    .symbol:         _Z39paged_attention_ll4mi_QKV_mfma16_kernelI14__hip_bfloat16hLN4vllm18Fp8KVCacheDataTypeE1EhLi16ELi64ELi256ELb1ELi1EEvPKT_PKT0_S8_ifPKiSA_SA_iPKfiiiPfSD_PS3_PT2_iSC_SC_.kd
    .uniform_work_group_size: 1
    .uses_dynamic_stack: false
    .vgpr_count:     51
    .vgpr_spill_count: 0
    .wavefront_size: 32
  - .args:
      - .actual_access:  read_only
        .address_space:  global
        .offset:         0
        .size:           8
        .value_kind:     global_buffer
      - .actual_access:  read_only
        .address_space:  global
        .offset:         8
        .size:           8
        .value_kind:     global_buffer
      - .actual_access:  read_only
        .address_space:  global
        .offset:         16
        .size:           8
        .value_kind:     global_buffer
      - .offset:         24
        .size:           4
        .value_kind:     by_value
      - .offset:         28
        .size:           4
        .value_kind:     by_value
      - .actual_access:  read_only
        .address_space:  global
        .offset:         32
        .size:           8
        .value_kind:     global_buffer
      - .actual_access:  read_only
        .address_space:  global
        .offset:         40
        .size:           8
        .value_kind:     global_buffer
      - .actual_access:  read_only
        .address_space:  global
        .offset:         48
        .size:           8
        .value_kind:     global_buffer
      - .offset:         56
        .size:           4
        .value_kind:     by_value
      - .actual_access:  read_only
        .address_space:  global
        .offset:         64
        .size:           8
        .value_kind:     global_buffer
      - .offset:         72
        .size:           4
        .value_kind:     by_value
      - .offset:         76
        .size:           4
        .value_kind:     by_value
      - .offset:         80
        .size:           4
        .value_kind:     by_value
      - .actual_access:  read_only
        .address_space:  global
        .offset:         88
        .size:           8
        .value_kind:     global_buffer
      - .actual_access:  read_only
        .address_space:  global
        .offset:         96
        .size:           8
        .value_kind:     global_buffer
      - .actual_access:  read_only
        .address_space:  global
        .offset:         104
        .size:           8
        .value_kind:     global_buffer
      - .actual_access:  read_only
        .address_space:  global
        .offset:         112
        .size:           8
        .value_kind:     global_buffer
      - .offset:         120
        .size:           4
        .value_kind:     by_value
      - .address_space:  global
        .offset:         128
        .size:           8
        .value_kind:     global_buffer
      - .address_space:  global
        .offset:         136
        .size:           8
        .value_kind:     global_buffer
      - .offset:         144
        .size:           4
        .value_kind:     hidden_block_count_x
      - .offset:         148
        .size:           4
        .value_kind:     hidden_block_count_y
      - .offset:         152
        .size:           4
        .value_kind:     hidden_block_count_z
      - .offset:         156
        .size:           2
        .value_kind:     hidden_group_size_x
      - .offset:         158
        .size:           2
        .value_kind:     hidden_group_size_y
      - .offset:         160
        .size:           2
        .value_kind:     hidden_group_size_z
      - .offset:         162
        .size:           2
        .value_kind:     hidden_remainder_x
      - .offset:         164
        .size:           2
        .value_kind:     hidden_remainder_y
      - .offset:         166
        .size:           2
        .value_kind:     hidden_remainder_z
      - .offset:         184
        .size:           8
        .value_kind:     hidden_global_offset_x
      - .offset:         192
        .size:           8
        .value_kind:     hidden_global_offset_y
      - .offset:         200
        .size:           8
        .value_kind:     hidden_global_offset_z
      - .offset:         208
        .size:           2
        .value_kind:     hidden_grid_dims
      - .offset:         224
        .size:           8
        .value_kind:     hidden_hostcall_buffer
    .group_segment_fixed_size: 0
    .kernarg_segment_align: 8
    .kernarg_segment_size: 400
    .language:       OpenCL C
    .language_version:
      - 2
      - 0
    .max_flat_workgroup_size: 256
    .name:           _Z39paged_attention_ll4mi_QKV_mfma16_kernelI14__hip_bfloat16hLN4vllm18Fp8KVCacheDataTypeE1EhLi16ELi64ELi256ELb1ELi2EEvPKT_PKT0_S8_ifPKiSA_SA_iPKfiiiPfSD_PS3_PT2_iSC_SC_
    .private_segment_fixed_size: 64
    .sgpr_count:     36
    .sgpr_spill_count: 0
    .symbol:         _Z39paged_attention_ll4mi_QKV_mfma16_kernelI14__hip_bfloat16hLN4vllm18Fp8KVCacheDataTypeE1EhLi16ELi64ELi256ELb1ELi2EEvPKT_PKT0_S8_ifPKiSA_SA_iPKfiiiPfSD_PS3_PT2_iSC_SC_.kd
    .uniform_work_group_size: 1
    .uses_dynamic_stack: false
    .vgpr_count:     51
    .vgpr_spill_count: 0
    .wavefront_size: 32
  - .args:
      - .actual_access:  read_only
        .address_space:  global
        .offset:         0
        .size:           8
        .value_kind:     global_buffer
      - .actual_access:  read_only
        .address_space:  global
        .offset:         8
        .size:           8
        .value_kind:     global_buffer
      - .actual_access:  read_only
        .address_space:  global
        .offset:         16
        .size:           8
        .value_kind:     global_buffer
      - .offset:         24
        .size:           4
        .value_kind:     by_value
      - .offset:         28
        .size:           4
        .value_kind:     by_value
      - .actual_access:  read_only
        .address_space:  global
        .offset:         32
        .size:           8
        .value_kind:     global_buffer
      - .actual_access:  read_only
        .address_space:  global
        .offset:         40
        .size:           8
        .value_kind:     global_buffer
      - .actual_access:  read_only
        .address_space:  global
        .offset:         48
        .size:           8
        .value_kind:     global_buffer
      - .offset:         56
        .size:           4
        .value_kind:     by_value
      - .actual_access:  read_only
        .address_space:  global
        .offset:         64
        .size:           8
        .value_kind:     global_buffer
      - .offset:         72
        .size:           4
        .value_kind:     by_value
      - .offset:         76
        .size:           4
        .value_kind:     by_value
      - .offset:         80
        .size:           4
        .value_kind:     by_value
      - .actual_access:  read_only
        .address_space:  global
        .offset:         88
        .size:           8
        .value_kind:     global_buffer
      - .actual_access:  read_only
        .address_space:  global
        .offset:         96
        .size:           8
        .value_kind:     global_buffer
      - .actual_access:  read_only
        .address_space:  global
        .offset:         104
        .size:           8
        .value_kind:     global_buffer
      - .actual_access:  read_only
        .address_space:  global
        .offset:         112
        .size:           8
        .value_kind:     global_buffer
      - .offset:         120
        .size:           4
        .value_kind:     by_value
      - .address_space:  global
        .offset:         128
        .size:           8
        .value_kind:     global_buffer
      - .address_space:  global
        .offset:         136
        .size:           8
        .value_kind:     global_buffer
      - .offset:         144
        .size:           4
        .value_kind:     hidden_block_count_x
      - .offset:         148
        .size:           4
        .value_kind:     hidden_block_count_y
      - .offset:         152
        .size:           4
        .value_kind:     hidden_block_count_z
      - .offset:         156
        .size:           2
        .value_kind:     hidden_group_size_x
      - .offset:         158
        .size:           2
        .value_kind:     hidden_group_size_y
      - .offset:         160
        .size:           2
        .value_kind:     hidden_group_size_z
      - .offset:         162
        .size:           2
        .value_kind:     hidden_remainder_x
      - .offset:         164
        .size:           2
        .value_kind:     hidden_remainder_y
      - .offset:         166
        .size:           2
        .value_kind:     hidden_remainder_z
      - .offset:         184
        .size:           8
        .value_kind:     hidden_global_offset_x
      - .offset:         192
        .size:           8
        .value_kind:     hidden_global_offset_y
      - .offset:         200
        .size:           8
        .value_kind:     hidden_global_offset_z
      - .offset:         208
        .size:           2
        .value_kind:     hidden_grid_dims
      - .offset:         224
        .size:           8
        .value_kind:     hidden_hostcall_buffer
    .group_segment_fixed_size: 0
    .kernarg_segment_align: 8
    .kernarg_segment_size: 400
    .language:       OpenCL C
    .language_version:
      - 2
      - 0
    .max_flat_workgroup_size: 256
    .name:           _Z39paged_attention_ll4mi_QKV_mfma16_kernelI14__hip_bfloat16hLN4vllm18Fp8KVCacheDataTypeE1EhLi16ELi64ELi256ELb1ELi3EEvPKT_PKT0_S8_ifPKiSA_SA_iPKfiiiPfSD_PS3_PT2_iSC_SC_
    .private_segment_fixed_size: 64
    .sgpr_count:     36
    .sgpr_spill_count: 0
    .symbol:         _Z39paged_attention_ll4mi_QKV_mfma16_kernelI14__hip_bfloat16hLN4vllm18Fp8KVCacheDataTypeE1EhLi16ELi64ELi256ELb1ELi3EEvPKT_PKT0_S8_ifPKiSA_SA_iPKfiiiPfSD_PS3_PT2_iSC_SC_.kd
    .uniform_work_group_size: 1
    .uses_dynamic_stack: false
    .vgpr_count:     51
    .vgpr_spill_count: 0
    .wavefront_size: 32
  - .args:
      - .actual_access:  read_only
        .address_space:  global
        .offset:         0
        .size:           8
        .value_kind:     global_buffer
      - .actual_access:  read_only
        .address_space:  global
        .offset:         8
        .size:           8
        .value_kind:     global_buffer
      - .actual_access:  read_only
        .address_space:  global
        .offset:         16
        .size:           8
        .value_kind:     global_buffer
      - .offset:         24
        .size:           4
        .value_kind:     by_value
      - .offset:         28
        .size:           4
        .value_kind:     by_value
      - .actual_access:  read_only
        .address_space:  global
        .offset:         32
        .size:           8
        .value_kind:     global_buffer
      - .actual_access:  read_only
        .address_space:  global
        .offset:         40
        .size:           8
        .value_kind:     global_buffer
      - .actual_access:  read_only
        .address_space:  global
        .offset:         48
        .size:           8
        .value_kind:     global_buffer
      - .offset:         56
        .size:           4
        .value_kind:     by_value
      - .actual_access:  read_only
        .address_space:  global
        .offset:         64
        .size:           8
        .value_kind:     global_buffer
      - .offset:         72
        .size:           4
        .value_kind:     by_value
      - .offset:         76
        .size:           4
        .value_kind:     by_value
      - .offset:         80
        .size:           4
        .value_kind:     by_value
      - .actual_access:  read_only
        .address_space:  global
        .offset:         88
        .size:           8
        .value_kind:     global_buffer
      - .actual_access:  read_only
        .address_space:  global
        .offset:         96
        .size:           8
        .value_kind:     global_buffer
      - .actual_access:  read_only
        .address_space:  global
        .offset:         104
        .size:           8
        .value_kind:     global_buffer
      - .actual_access:  read_only
        .address_space:  global
        .offset:         112
        .size:           8
        .value_kind:     global_buffer
      - .offset:         120
        .size:           4
        .value_kind:     by_value
      - .address_space:  global
        .offset:         128
        .size:           8
        .value_kind:     global_buffer
      - .address_space:  global
        .offset:         136
        .size:           8
        .value_kind:     global_buffer
      - .offset:         144
        .size:           4
        .value_kind:     hidden_block_count_x
      - .offset:         148
        .size:           4
        .value_kind:     hidden_block_count_y
      - .offset:         152
        .size:           4
        .value_kind:     hidden_block_count_z
      - .offset:         156
        .size:           2
        .value_kind:     hidden_group_size_x
      - .offset:         158
        .size:           2
        .value_kind:     hidden_group_size_y
      - .offset:         160
        .size:           2
        .value_kind:     hidden_group_size_z
      - .offset:         162
        .size:           2
        .value_kind:     hidden_remainder_x
      - .offset:         164
        .size:           2
        .value_kind:     hidden_remainder_y
      - .offset:         166
        .size:           2
        .value_kind:     hidden_remainder_z
      - .offset:         184
        .size:           8
        .value_kind:     hidden_global_offset_x
      - .offset:         192
        .size:           8
        .value_kind:     hidden_global_offset_y
      - .offset:         200
        .size:           8
        .value_kind:     hidden_global_offset_z
      - .offset:         208
        .size:           2
        .value_kind:     hidden_grid_dims
      - .offset:         224
        .size:           8
        .value_kind:     hidden_hostcall_buffer
    .group_segment_fixed_size: 0
    .kernarg_segment_align: 8
    .kernarg_segment_size: 400
    .language:       OpenCL C
    .language_version:
      - 2
      - 0
    .max_flat_workgroup_size: 256
    .name:           _Z39paged_attention_ll4mi_QKV_mfma16_kernelI14__hip_bfloat16hLN4vllm18Fp8KVCacheDataTypeE1EhLi16ELi64ELi256ELb1ELi4EEvPKT_PKT0_S8_ifPKiSA_SA_iPKfiiiPfSD_PS3_PT2_iSC_SC_
    .private_segment_fixed_size: 64
    .sgpr_count:     36
    .sgpr_spill_count: 0
    .symbol:         _Z39paged_attention_ll4mi_QKV_mfma16_kernelI14__hip_bfloat16hLN4vllm18Fp8KVCacheDataTypeE1EhLi16ELi64ELi256ELb1ELi4EEvPKT_PKT0_S8_ifPKiSA_SA_iPKfiiiPfSD_PS3_PT2_iSC_SC_.kd
    .uniform_work_group_size: 1
    .uses_dynamic_stack: false
    .vgpr_count:     51
    .vgpr_spill_count: 0
    .wavefront_size: 32
  - .args:
      - .actual_access:  read_only
        .address_space:  global
        .offset:         0
        .size:           8
        .value_kind:     global_buffer
      - .actual_access:  read_only
        .address_space:  global
        .offset:         8
        .size:           8
        .value_kind:     global_buffer
      - .actual_access:  read_only
        .address_space:  global
        .offset:         16
        .size:           8
        .value_kind:     global_buffer
      - .offset:         24
        .size:           4
        .value_kind:     by_value
      - .offset:         28
        .size:           4
        .value_kind:     by_value
      - .actual_access:  read_only
        .address_space:  global
        .offset:         32
        .size:           8
        .value_kind:     global_buffer
      - .actual_access:  read_only
        .address_space:  global
        .offset:         40
        .size:           8
        .value_kind:     global_buffer
      - .actual_access:  read_only
        .address_space:  global
        .offset:         48
        .size:           8
        .value_kind:     global_buffer
      - .offset:         56
        .size:           4
        .value_kind:     by_value
      - .actual_access:  read_only
        .address_space:  global
        .offset:         64
        .size:           8
        .value_kind:     global_buffer
      - .offset:         72
        .size:           4
        .value_kind:     by_value
      - .offset:         76
        .size:           4
        .value_kind:     by_value
      - .offset:         80
        .size:           4
        .value_kind:     by_value
      - .actual_access:  read_only
        .address_space:  global
        .offset:         88
        .size:           8
        .value_kind:     global_buffer
      - .actual_access:  read_only
        .address_space:  global
        .offset:         96
        .size:           8
        .value_kind:     global_buffer
      - .actual_access:  read_only
        .address_space:  global
        .offset:         104
        .size:           8
        .value_kind:     global_buffer
      - .actual_access:  read_only
        .address_space:  global
        .offset:         112
        .size:           8
        .value_kind:     global_buffer
      - .offset:         120
        .size:           4
        .value_kind:     by_value
      - .address_space:  global
        .offset:         128
        .size:           8
        .value_kind:     global_buffer
      - .address_space:  global
        .offset:         136
        .size:           8
        .value_kind:     global_buffer
      - .offset:         144
        .size:           4
        .value_kind:     hidden_block_count_x
      - .offset:         148
        .size:           4
        .value_kind:     hidden_block_count_y
      - .offset:         152
        .size:           4
        .value_kind:     hidden_block_count_z
      - .offset:         156
        .size:           2
        .value_kind:     hidden_group_size_x
      - .offset:         158
        .size:           2
        .value_kind:     hidden_group_size_y
      - .offset:         160
        .size:           2
        .value_kind:     hidden_group_size_z
      - .offset:         162
        .size:           2
        .value_kind:     hidden_remainder_x
      - .offset:         164
        .size:           2
        .value_kind:     hidden_remainder_y
      - .offset:         166
        .size:           2
        .value_kind:     hidden_remainder_z
      - .offset:         184
        .size:           8
        .value_kind:     hidden_global_offset_x
      - .offset:         192
        .size:           8
        .value_kind:     hidden_global_offset_y
      - .offset:         200
        .size:           8
        .value_kind:     hidden_global_offset_z
      - .offset:         208
        .size:           2
        .value_kind:     hidden_grid_dims
      - .offset:         224
        .size:           8
        .value_kind:     hidden_hostcall_buffer
    .group_segment_fixed_size: 0
    .kernarg_segment_align: 8
    .kernarg_segment_size: 400
    .language:       OpenCL C
    .language_version:
      - 2
      - 0
    .max_flat_workgroup_size: 256
    .name:           _Z38paged_attention_ll4mi_QKV_mfma4_kernelI14__hip_bfloat16hLN4vllm18Fp8KVCacheDataTypeE1EhLi16ELi64ELi256ELb0ELi1EEvPKT_PKT0_S8_ifPKiSA_SA_iPKfiiiPfSD_PS3_PT2_iSC_SC_
    .private_segment_fixed_size: 64
    .sgpr_count:     36
    .sgpr_spill_count: 0
    .symbol:         _Z38paged_attention_ll4mi_QKV_mfma4_kernelI14__hip_bfloat16hLN4vllm18Fp8KVCacheDataTypeE1EhLi16ELi64ELi256ELb0ELi1EEvPKT_PKT0_S8_ifPKiSA_SA_iPKfiiiPfSD_PS3_PT2_iSC_SC_.kd
    .uniform_work_group_size: 1
    .uses_dynamic_stack: false
    .vgpr_count:     51
    .vgpr_spill_count: 0
    .wavefront_size: 32
  - .args:
      - .actual_access:  read_only
        .address_space:  global
        .offset:         0
        .size:           8
        .value_kind:     global_buffer
      - .actual_access:  read_only
        .address_space:  global
        .offset:         8
        .size:           8
        .value_kind:     global_buffer
      - .actual_access:  read_only
        .address_space:  global
        .offset:         16
        .size:           8
        .value_kind:     global_buffer
      - .offset:         24
        .size:           4
        .value_kind:     by_value
      - .offset:         28
        .size:           4
        .value_kind:     by_value
      - .actual_access:  read_only
        .address_space:  global
        .offset:         32
        .size:           8
        .value_kind:     global_buffer
      - .actual_access:  read_only
        .address_space:  global
        .offset:         40
        .size:           8
        .value_kind:     global_buffer
      - .actual_access:  read_only
        .address_space:  global
        .offset:         48
        .size:           8
        .value_kind:     global_buffer
      - .offset:         56
        .size:           4
        .value_kind:     by_value
      - .actual_access:  read_only
        .address_space:  global
        .offset:         64
        .size:           8
        .value_kind:     global_buffer
      - .offset:         72
        .size:           4
        .value_kind:     by_value
      - .offset:         76
        .size:           4
        .value_kind:     by_value
      - .offset:         80
        .size:           4
        .value_kind:     by_value
      - .actual_access:  read_only
        .address_space:  global
        .offset:         88
        .size:           8
        .value_kind:     global_buffer
      - .actual_access:  read_only
        .address_space:  global
        .offset:         96
        .size:           8
        .value_kind:     global_buffer
      - .actual_access:  read_only
        .address_space:  global
        .offset:         104
        .size:           8
        .value_kind:     global_buffer
      - .actual_access:  read_only
        .address_space:  global
        .offset:         112
        .size:           8
        .value_kind:     global_buffer
      - .offset:         120
        .size:           4
        .value_kind:     by_value
      - .address_space:  global
        .offset:         128
        .size:           8
        .value_kind:     global_buffer
      - .address_space:  global
        .offset:         136
        .size:           8
        .value_kind:     global_buffer
      - .offset:         144
        .size:           4
        .value_kind:     hidden_block_count_x
      - .offset:         148
        .size:           4
        .value_kind:     hidden_block_count_y
      - .offset:         152
        .size:           4
        .value_kind:     hidden_block_count_z
      - .offset:         156
        .size:           2
        .value_kind:     hidden_group_size_x
      - .offset:         158
        .size:           2
        .value_kind:     hidden_group_size_y
      - .offset:         160
        .size:           2
        .value_kind:     hidden_group_size_z
      - .offset:         162
        .size:           2
        .value_kind:     hidden_remainder_x
      - .offset:         164
        .size:           2
        .value_kind:     hidden_remainder_y
      - .offset:         166
        .size:           2
        .value_kind:     hidden_remainder_z
      - .offset:         184
        .size:           8
        .value_kind:     hidden_global_offset_x
      - .offset:         192
        .size:           8
        .value_kind:     hidden_global_offset_y
      - .offset:         200
        .size:           8
        .value_kind:     hidden_global_offset_z
      - .offset:         208
        .size:           2
        .value_kind:     hidden_grid_dims
      - .offset:         224
        .size:           8
        .value_kind:     hidden_hostcall_buffer
    .group_segment_fixed_size: 0
    .kernarg_segment_align: 8
    .kernarg_segment_size: 400
    .language:       OpenCL C
    .language_version:
      - 2
      - 0
    .max_flat_workgroup_size: 256
    .name:           _Z38paged_attention_ll4mi_QKV_mfma4_kernelI14__hip_bfloat16hLN4vllm18Fp8KVCacheDataTypeE1EhLi16ELi64ELi256ELb0ELi2EEvPKT_PKT0_S8_ifPKiSA_SA_iPKfiiiPfSD_PS3_PT2_iSC_SC_
    .private_segment_fixed_size: 64
    .sgpr_count:     36
    .sgpr_spill_count: 0
    .symbol:         _Z38paged_attention_ll4mi_QKV_mfma4_kernelI14__hip_bfloat16hLN4vllm18Fp8KVCacheDataTypeE1EhLi16ELi64ELi256ELb0ELi2EEvPKT_PKT0_S8_ifPKiSA_SA_iPKfiiiPfSD_PS3_PT2_iSC_SC_.kd
    .uniform_work_group_size: 1
    .uses_dynamic_stack: false
    .vgpr_count:     51
    .vgpr_spill_count: 0
    .wavefront_size: 32
  - .args:
      - .actual_access:  read_only
        .address_space:  global
        .offset:         0
        .size:           8
        .value_kind:     global_buffer
      - .actual_access:  read_only
        .address_space:  global
        .offset:         8
        .size:           8
        .value_kind:     global_buffer
      - .actual_access:  read_only
        .address_space:  global
        .offset:         16
        .size:           8
        .value_kind:     global_buffer
      - .offset:         24
        .size:           4
        .value_kind:     by_value
      - .offset:         28
        .size:           4
        .value_kind:     by_value
      - .actual_access:  read_only
        .address_space:  global
        .offset:         32
        .size:           8
        .value_kind:     global_buffer
      - .actual_access:  read_only
        .address_space:  global
        .offset:         40
        .size:           8
        .value_kind:     global_buffer
      - .actual_access:  read_only
        .address_space:  global
        .offset:         48
        .size:           8
        .value_kind:     global_buffer
      - .offset:         56
        .size:           4
        .value_kind:     by_value
      - .actual_access:  read_only
        .address_space:  global
        .offset:         64
        .size:           8
        .value_kind:     global_buffer
      - .offset:         72
        .size:           4
        .value_kind:     by_value
      - .offset:         76
        .size:           4
        .value_kind:     by_value
      - .offset:         80
        .size:           4
        .value_kind:     by_value
      - .actual_access:  read_only
        .address_space:  global
        .offset:         88
        .size:           8
        .value_kind:     global_buffer
      - .actual_access:  read_only
        .address_space:  global
        .offset:         96
        .size:           8
        .value_kind:     global_buffer
      - .actual_access:  read_only
        .address_space:  global
        .offset:         104
        .size:           8
        .value_kind:     global_buffer
      - .actual_access:  read_only
        .address_space:  global
        .offset:         112
        .size:           8
        .value_kind:     global_buffer
      - .offset:         120
        .size:           4
        .value_kind:     by_value
      - .address_space:  global
        .offset:         128
        .size:           8
        .value_kind:     global_buffer
      - .address_space:  global
        .offset:         136
        .size:           8
        .value_kind:     global_buffer
      - .offset:         144
        .size:           4
        .value_kind:     hidden_block_count_x
      - .offset:         148
        .size:           4
        .value_kind:     hidden_block_count_y
      - .offset:         152
        .size:           4
        .value_kind:     hidden_block_count_z
      - .offset:         156
        .size:           2
        .value_kind:     hidden_group_size_x
      - .offset:         158
        .size:           2
        .value_kind:     hidden_group_size_y
      - .offset:         160
        .size:           2
        .value_kind:     hidden_group_size_z
      - .offset:         162
        .size:           2
        .value_kind:     hidden_remainder_x
      - .offset:         164
        .size:           2
        .value_kind:     hidden_remainder_y
      - .offset:         166
        .size:           2
        .value_kind:     hidden_remainder_z
      - .offset:         184
        .size:           8
        .value_kind:     hidden_global_offset_x
      - .offset:         192
        .size:           8
        .value_kind:     hidden_global_offset_y
      - .offset:         200
        .size:           8
        .value_kind:     hidden_global_offset_z
      - .offset:         208
        .size:           2
        .value_kind:     hidden_grid_dims
      - .offset:         224
        .size:           8
        .value_kind:     hidden_hostcall_buffer
    .group_segment_fixed_size: 0
    .kernarg_segment_align: 8
    .kernarg_segment_size: 400
    .language:       OpenCL C
    .language_version:
      - 2
      - 0
    .max_flat_workgroup_size: 256
    .name:           _Z38paged_attention_ll4mi_QKV_mfma4_kernelI14__hip_bfloat16hLN4vllm18Fp8KVCacheDataTypeE1EhLi16ELi64ELi256ELb0ELi3EEvPKT_PKT0_S8_ifPKiSA_SA_iPKfiiiPfSD_PS3_PT2_iSC_SC_
    .private_segment_fixed_size: 64
    .sgpr_count:     36
    .sgpr_spill_count: 0
    .symbol:         _Z38paged_attention_ll4mi_QKV_mfma4_kernelI14__hip_bfloat16hLN4vllm18Fp8KVCacheDataTypeE1EhLi16ELi64ELi256ELb0ELi3EEvPKT_PKT0_S8_ifPKiSA_SA_iPKfiiiPfSD_PS3_PT2_iSC_SC_.kd
    .uniform_work_group_size: 1
    .uses_dynamic_stack: false
    .vgpr_count:     51
    .vgpr_spill_count: 0
    .wavefront_size: 32
  - .args:
      - .actual_access:  read_only
        .address_space:  global
        .offset:         0
        .size:           8
        .value_kind:     global_buffer
      - .actual_access:  read_only
        .address_space:  global
        .offset:         8
        .size:           8
        .value_kind:     global_buffer
      - .actual_access:  read_only
        .address_space:  global
        .offset:         16
        .size:           8
        .value_kind:     global_buffer
      - .offset:         24
        .size:           4
        .value_kind:     by_value
      - .offset:         28
        .size:           4
        .value_kind:     by_value
      - .actual_access:  read_only
        .address_space:  global
        .offset:         32
        .size:           8
        .value_kind:     global_buffer
      - .actual_access:  read_only
        .address_space:  global
        .offset:         40
        .size:           8
        .value_kind:     global_buffer
      - .actual_access:  read_only
        .address_space:  global
        .offset:         48
        .size:           8
        .value_kind:     global_buffer
      - .offset:         56
        .size:           4
        .value_kind:     by_value
      - .actual_access:  read_only
        .address_space:  global
        .offset:         64
        .size:           8
        .value_kind:     global_buffer
      - .offset:         72
        .size:           4
        .value_kind:     by_value
      - .offset:         76
        .size:           4
        .value_kind:     by_value
      - .offset:         80
        .size:           4
        .value_kind:     by_value
      - .actual_access:  read_only
        .address_space:  global
        .offset:         88
        .size:           8
        .value_kind:     global_buffer
      - .actual_access:  read_only
        .address_space:  global
        .offset:         96
        .size:           8
        .value_kind:     global_buffer
      - .actual_access:  read_only
        .address_space:  global
        .offset:         104
        .size:           8
        .value_kind:     global_buffer
      - .actual_access:  read_only
        .address_space:  global
        .offset:         112
        .size:           8
        .value_kind:     global_buffer
      - .offset:         120
        .size:           4
        .value_kind:     by_value
      - .address_space:  global
        .offset:         128
        .size:           8
        .value_kind:     global_buffer
      - .address_space:  global
        .offset:         136
        .size:           8
        .value_kind:     global_buffer
      - .offset:         144
        .size:           4
        .value_kind:     hidden_block_count_x
      - .offset:         148
        .size:           4
        .value_kind:     hidden_block_count_y
      - .offset:         152
        .size:           4
        .value_kind:     hidden_block_count_z
      - .offset:         156
        .size:           2
        .value_kind:     hidden_group_size_x
      - .offset:         158
        .size:           2
        .value_kind:     hidden_group_size_y
      - .offset:         160
        .size:           2
        .value_kind:     hidden_group_size_z
      - .offset:         162
        .size:           2
        .value_kind:     hidden_remainder_x
      - .offset:         164
        .size:           2
        .value_kind:     hidden_remainder_y
      - .offset:         166
        .size:           2
        .value_kind:     hidden_remainder_z
      - .offset:         184
        .size:           8
        .value_kind:     hidden_global_offset_x
      - .offset:         192
        .size:           8
        .value_kind:     hidden_global_offset_y
      - .offset:         200
        .size:           8
        .value_kind:     hidden_global_offset_z
      - .offset:         208
        .size:           2
        .value_kind:     hidden_grid_dims
      - .offset:         224
        .size:           8
        .value_kind:     hidden_hostcall_buffer
    .group_segment_fixed_size: 0
    .kernarg_segment_align: 8
    .kernarg_segment_size: 400
    .language:       OpenCL C
    .language_version:
      - 2
      - 0
    .max_flat_workgroup_size: 256
    .name:           _Z38paged_attention_ll4mi_QKV_mfma4_kernelI14__hip_bfloat16hLN4vllm18Fp8KVCacheDataTypeE1EhLi16ELi64ELi256ELb0ELi4EEvPKT_PKT0_S8_ifPKiSA_SA_iPKfiiiPfSD_PS3_PT2_iSC_SC_
    .private_segment_fixed_size: 64
    .sgpr_count:     36
    .sgpr_spill_count: 0
    .symbol:         _Z38paged_attention_ll4mi_QKV_mfma4_kernelI14__hip_bfloat16hLN4vllm18Fp8KVCacheDataTypeE1EhLi16ELi64ELi256ELb0ELi4EEvPKT_PKT0_S8_ifPKiSA_SA_iPKfiiiPfSD_PS3_PT2_iSC_SC_.kd
    .uniform_work_group_size: 1
    .uses_dynamic_stack: false
    .vgpr_count:     51
    .vgpr_spill_count: 0
    .wavefront_size: 32
  - .args:
      - .actual_access:  read_only
        .address_space:  global
        .offset:         0
        .size:           8
        .value_kind:     global_buffer
      - .actual_access:  read_only
        .address_space:  global
        .offset:         8
        .size:           8
        .value_kind:     global_buffer
      - .actual_access:  read_only
        .address_space:  global
        .offset:         16
        .size:           8
        .value_kind:     global_buffer
      - .offset:         24
        .size:           4
        .value_kind:     by_value
      - .offset:         28
        .size:           4
        .value_kind:     by_value
      - .actual_access:  read_only
        .address_space:  global
        .offset:         32
        .size:           8
        .value_kind:     global_buffer
      - .actual_access:  read_only
        .address_space:  global
        .offset:         40
        .size:           8
        .value_kind:     global_buffer
      - .actual_access:  read_only
        .address_space:  global
        .offset:         48
        .size:           8
        .value_kind:     global_buffer
      - .offset:         56
        .size:           4
        .value_kind:     by_value
      - .actual_access:  read_only
        .address_space:  global
        .offset:         64
        .size:           8
        .value_kind:     global_buffer
      - .offset:         72
        .size:           4
        .value_kind:     by_value
      - .offset:         76
        .size:           4
        .value_kind:     by_value
      - .offset:         80
        .size:           4
        .value_kind:     by_value
      - .actual_access:  read_only
        .address_space:  global
        .offset:         88
        .size:           8
        .value_kind:     global_buffer
      - .actual_access:  read_only
        .address_space:  global
        .offset:         96
        .size:           8
        .value_kind:     global_buffer
      - .actual_access:  read_only
        .address_space:  global
        .offset:         104
        .size:           8
        .value_kind:     global_buffer
      - .actual_access:  read_only
        .address_space:  global
        .offset:         112
        .size:           8
        .value_kind:     global_buffer
      - .offset:         120
        .size:           4
        .value_kind:     by_value
      - .address_space:  global
        .offset:         128
        .size:           8
        .value_kind:     global_buffer
      - .address_space:  global
        .offset:         136
        .size:           8
        .value_kind:     global_buffer
      - .offset:         144
        .size:           4
        .value_kind:     hidden_block_count_x
      - .offset:         148
        .size:           4
        .value_kind:     hidden_block_count_y
      - .offset:         152
        .size:           4
        .value_kind:     hidden_block_count_z
      - .offset:         156
        .size:           2
        .value_kind:     hidden_group_size_x
      - .offset:         158
        .size:           2
        .value_kind:     hidden_group_size_y
      - .offset:         160
        .size:           2
        .value_kind:     hidden_group_size_z
      - .offset:         162
        .size:           2
        .value_kind:     hidden_remainder_x
      - .offset:         164
        .size:           2
        .value_kind:     hidden_remainder_y
      - .offset:         166
        .size:           2
        .value_kind:     hidden_remainder_z
      - .offset:         184
        .size:           8
        .value_kind:     hidden_global_offset_x
      - .offset:         192
        .size:           8
        .value_kind:     hidden_global_offset_y
      - .offset:         200
        .size:           8
        .value_kind:     hidden_global_offset_z
      - .offset:         208
        .size:           2
        .value_kind:     hidden_grid_dims
      - .offset:         224
        .size:           8
        .value_kind:     hidden_hostcall_buffer
    .group_segment_fixed_size: 0
    .kernarg_segment_align: 8
    .kernarg_segment_size: 400
    .language:       OpenCL C
    .language_version:
      - 2
      - 0
    .max_flat_workgroup_size: 256
    .name:           _Z39paged_attention_ll4mi_QKV_mfma16_kernelI14__hip_bfloat16hLN4vllm18Fp8KVCacheDataTypeE1EhLi16ELi64ELi256ELb0ELi5EEvPKT_PKT0_S8_ifPKiSA_SA_iPKfiiiPfSD_PS3_PT2_iSC_SC_
    .private_segment_fixed_size: 64
    .sgpr_count:     36
    .sgpr_spill_count: 0
    .symbol:         _Z39paged_attention_ll4mi_QKV_mfma16_kernelI14__hip_bfloat16hLN4vllm18Fp8KVCacheDataTypeE1EhLi16ELi64ELi256ELb0ELi5EEvPKT_PKT0_S8_ifPKiSA_SA_iPKfiiiPfSD_PS3_PT2_iSC_SC_.kd
    .uniform_work_group_size: 1
    .uses_dynamic_stack: false
    .vgpr_count:     51
    .vgpr_spill_count: 0
    .wavefront_size: 32
  - .args:
      - .actual_access:  read_only
        .address_space:  global
        .offset:         0
        .size:           8
        .value_kind:     global_buffer
      - .actual_access:  read_only
        .address_space:  global
        .offset:         8
        .size:           8
        .value_kind:     global_buffer
      - .actual_access:  read_only
        .address_space:  global
        .offset:         16
        .size:           8
        .value_kind:     global_buffer
      - .offset:         24
        .size:           4
        .value_kind:     by_value
      - .offset:         28
        .size:           4
        .value_kind:     by_value
      - .actual_access:  read_only
        .address_space:  global
        .offset:         32
        .size:           8
        .value_kind:     global_buffer
      - .actual_access:  read_only
        .address_space:  global
        .offset:         40
        .size:           8
        .value_kind:     global_buffer
      - .actual_access:  read_only
        .address_space:  global
        .offset:         48
        .size:           8
        .value_kind:     global_buffer
      - .offset:         56
        .size:           4
        .value_kind:     by_value
      - .actual_access:  read_only
        .address_space:  global
        .offset:         64
        .size:           8
        .value_kind:     global_buffer
      - .offset:         72
        .size:           4
        .value_kind:     by_value
      - .offset:         76
        .size:           4
        .value_kind:     by_value
      - .offset:         80
        .size:           4
        .value_kind:     by_value
      - .actual_access:  read_only
        .address_space:  global
        .offset:         88
        .size:           8
        .value_kind:     global_buffer
      - .actual_access:  read_only
        .address_space:  global
        .offset:         96
        .size:           8
        .value_kind:     global_buffer
      - .actual_access:  read_only
        .address_space:  global
        .offset:         104
        .size:           8
        .value_kind:     global_buffer
      - .actual_access:  read_only
        .address_space:  global
        .offset:         112
        .size:           8
        .value_kind:     global_buffer
      - .offset:         120
        .size:           4
        .value_kind:     by_value
      - .address_space:  global
        .offset:         128
        .size:           8
        .value_kind:     global_buffer
      - .address_space:  global
        .offset:         136
        .size:           8
        .value_kind:     global_buffer
      - .offset:         144
        .size:           4
        .value_kind:     hidden_block_count_x
      - .offset:         148
        .size:           4
        .value_kind:     hidden_block_count_y
      - .offset:         152
        .size:           4
        .value_kind:     hidden_block_count_z
      - .offset:         156
        .size:           2
        .value_kind:     hidden_group_size_x
      - .offset:         158
        .size:           2
        .value_kind:     hidden_group_size_y
      - .offset:         160
        .size:           2
        .value_kind:     hidden_group_size_z
      - .offset:         162
        .size:           2
        .value_kind:     hidden_remainder_x
      - .offset:         164
        .size:           2
        .value_kind:     hidden_remainder_y
      - .offset:         166
        .size:           2
        .value_kind:     hidden_remainder_z
      - .offset:         184
        .size:           8
        .value_kind:     hidden_global_offset_x
      - .offset:         192
        .size:           8
        .value_kind:     hidden_global_offset_y
      - .offset:         200
        .size:           8
        .value_kind:     hidden_global_offset_z
      - .offset:         208
        .size:           2
        .value_kind:     hidden_grid_dims
      - .offset:         224
        .size:           8
        .value_kind:     hidden_hostcall_buffer
    .group_segment_fixed_size: 0
    .kernarg_segment_align: 8
    .kernarg_segment_size: 400
    .language:       OpenCL C
    .language_version:
      - 2
      - 0
    .max_flat_workgroup_size: 256
    .name:           _Z39paged_attention_ll4mi_QKV_mfma16_kernelI14__hip_bfloat16hLN4vllm18Fp8KVCacheDataTypeE1EhLi16ELi64ELi256ELb0ELi6EEvPKT_PKT0_S8_ifPKiSA_SA_iPKfiiiPfSD_PS3_PT2_iSC_SC_
    .private_segment_fixed_size: 64
    .sgpr_count:     36
    .sgpr_spill_count: 0
    .symbol:         _Z39paged_attention_ll4mi_QKV_mfma16_kernelI14__hip_bfloat16hLN4vllm18Fp8KVCacheDataTypeE1EhLi16ELi64ELi256ELb0ELi6EEvPKT_PKT0_S8_ifPKiSA_SA_iPKfiiiPfSD_PS3_PT2_iSC_SC_.kd
    .uniform_work_group_size: 1
    .uses_dynamic_stack: false
    .vgpr_count:     51
    .vgpr_spill_count: 0
    .wavefront_size: 32
  - .args:
      - .actual_access:  read_only
        .address_space:  global
        .offset:         0
        .size:           8
        .value_kind:     global_buffer
      - .actual_access:  read_only
        .address_space:  global
        .offset:         8
        .size:           8
        .value_kind:     global_buffer
      - .actual_access:  read_only
        .address_space:  global
        .offset:         16
        .size:           8
        .value_kind:     global_buffer
      - .offset:         24
        .size:           4
        .value_kind:     by_value
      - .offset:         28
        .size:           4
        .value_kind:     by_value
      - .actual_access:  read_only
        .address_space:  global
        .offset:         32
        .size:           8
        .value_kind:     global_buffer
      - .actual_access:  read_only
        .address_space:  global
        .offset:         40
        .size:           8
        .value_kind:     global_buffer
      - .actual_access:  read_only
        .address_space:  global
        .offset:         48
        .size:           8
        .value_kind:     global_buffer
      - .offset:         56
        .size:           4
        .value_kind:     by_value
      - .actual_access:  read_only
        .address_space:  global
        .offset:         64
        .size:           8
        .value_kind:     global_buffer
      - .offset:         72
        .size:           4
        .value_kind:     by_value
      - .offset:         76
        .size:           4
        .value_kind:     by_value
      - .offset:         80
        .size:           4
        .value_kind:     by_value
      - .actual_access:  read_only
        .address_space:  global
        .offset:         88
        .size:           8
        .value_kind:     global_buffer
      - .actual_access:  read_only
        .address_space:  global
        .offset:         96
        .size:           8
        .value_kind:     global_buffer
      - .actual_access:  read_only
        .address_space:  global
        .offset:         104
        .size:           8
        .value_kind:     global_buffer
      - .actual_access:  read_only
        .address_space:  global
        .offset:         112
        .size:           8
        .value_kind:     global_buffer
      - .offset:         120
        .size:           4
        .value_kind:     by_value
      - .address_space:  global
        .offset:         128
        .size:           8
        .value_kind:     global_buffer
      - .address_space:  global
        .offset:         136
        .size:           8
        .value_kind:     global_buffer
      - .offset:         144
        .size:           4
        .value_kind:     hidden_block_count_x
      - .offset:         148
        .size:           4
        .value_kind:     hidden_block_count_y
      - .offset:         152
        .size:           4
        .value_kind:     hidden_block_count_z
      - .offset:         156
        .size:           2
        .value_kind:     hidden_group_size_x
      - .offset:         158
        .size:           2
        .value_kind:     hidden_group_size_y
      - .offset:         160
        .size:           2
        .value_kind:     hidden_group_size_z
      - .offset:         162
        .size:           2
        .value_kind:     hidden_remainder_x
      - .offset:         164
        .size:           2
        .value_kind:     hidden_remainder_y
      - .offset:         166
        .size:           2
        .value_kind:     hidden_remainder_z
      - .offset:         184
        .size:           8
        .value_kind:     hidden_global_offset_x
      - .offset:         192
        .size:           8
        .value_kind:     hidden_global_offset_y
      - .offset:         200
        .size:           8
        .value_kind:     hidden_global_offset_z
      - .offset:         208
        .size:           2
        .value_kind:     hidden_grid_dims
      - .offset:         224
        .size:           8
        .value_kind:     hidden_hostcall_buffer
    .group_segment_fixed_size: 0
    .kernarg_segment_align: 8
    .kernarg_segment_size: 400
    .language:       OpenCL C
    .language_version:
      - 2
      - 0
    .max_flat_workgroup_size: 256
    .name:           _Z39paged_attention_ll4mi_QKV_mfma16_kernelI14__hip_bfloat16hLN4vllm18Fp8KVCacheDataTypeE1EhLi16ELi64ELi256ELb0ELi7EEvPKT_PKT0_S8_ifPKiSA_SA_iPKfiiiPfSD_PS3_PT2_iSC_SC_
    .private_segment_fixed_size: 64
    .sgpr_count:     36
    .sgpr_spill_count: 0
    .symbol:         _Z39paged_attention_ll4mi_QKV_mfma16_kernelI14__hip_bfloat16hLN4vllm18Fp8KVCacheDataTypeE1EhLi16ELi64ELi256ELb0ELi7EEvPKT_PKT0_S8_ifPKiSA_SA_iPKfiiiPfSD_PS3_PT2_iSC_SC_.kd
    .uniform_work_group_size: 1
    .uses_dynamic_stack: false
    .vgpr_count:     51
    .vgpr_spill_count: 0
    .wavefront_size: 32
  - .args:
      - .actual_access:  read_only
        .address_space:  global
        .offset:         0
        .size:           8
        .value_kind:     global_buffer
      - .actual_access:  read_only
        .address_space:  global
        .offset:         8
        .size:           8
        .value_kind:     global_buffer
      - .actual_access:  read_only
        .address_space:  global
        .offset:         16
        .size:           8
        .value_kind:     global_buffer
      - .offset:         24
        .size:           4
        .value_kind:     by_value
      - .offset:         28
        .size:           4
        .value_kind:     by_value
      - .actual_access:  read_only
        .address_space:  global
        .offset:         32
        .size:           8
        .value_kind:     global_buffer
      - .actual_access:  read_only
        .address_space:  global
        .offset:         40
        .size:           8
        .value_kind:     global_buffer
      - .actual_access:  read_only
        .address_space:  global
        .offset:         48
        .size:           8
        .value_kind:     global_buffer
      - .offset:         56
        .size:           4
        .value_kind:     by_value
      - .actual_access:  read_only
        .address_space:  global
        .offset:         64
        .size:           8
        .value_kind:     global_buffer
      - .offset:         72
        .size:           4
        .value_kind:     by_value
      - .offset:         76
        .size:           4
        .value_kind:     by_value
      - .offset:         80
        .size:           4
        .value_kind:     by_value
      - .actual_access:  read_only
        .address_space:  global
        .offset:         88
        .size:           8
        .value_kind:     global_buffer
      - .actual_access:  read_only
        .address_space:  global
        .offset:         96
        .size:           8
        .value_kind:     global_buffer
      - .actual_access:  read_only
        .address_space:  global
        .offset:         104
        .size:           8
        .value_kind:     global_buffer
      - .actual_access:  read_only
        .address_space:  global
        .offset:         112
        .size:           8
        .value_kind:     global_buffer
      - .offset:         120
        .size:           4
        .value_kind:     by_value
      - .address_space:  global
        .offset:         128
        .size:           8
        .value_kind:     global_buffer
      - .address_space:  global
        .offset:         136
        .size:           8
        .value_kind:     global_buffer
      - .offset:         144
        .size:           4
        .value_kind:     hidden_block_count_x
      - .offset:         148
        .size:           4
        .value_kind:     hidden_block_count_y
      - .offset:         152
        .size:           4
        .value_kind:     hidden_block_count_z
      - .offset:         156
        .size:           2
        .value_kind:     hidden_group_size_x
      - .offset:         158
        .size:           2
        .value_kind:     hidden_group_size_y
      - .offset:         160
        .size:           2
        .value_kind:     hidden_group_size_z
      - .offset:         162
        .size:           2
        .value_kind:     hidden_remainder_x
      - .offset:         164
        .size:           2
        .value_kind:     hidden_remainder_y
      - .offset:         166
        .size:           2
        .value_kind:     hidden_remainder_z
      - .offset:         184
        .size:           8
        .value_kind:     hidden_global_offset_x
      - .offset:         192
        .size:           8
        .value_kind:     hidden_global_offset_y
      - .offset:         200
        .size:           8
        .value_kind:     hidden_global_offset_z
      - .offset:         208
        .size:           2
        .value_kind:     hidden_grid_dims
      - .offset:         224
        .size:           8
        .value_kind:     hidden_hostcall_buffer
    .group_segment_fixed_size: 0
    .kernarg_segment_align: 8
    .kernarg_segment_size: 400
    .language:       OpenCL C
    .language_version:
      - 2
      - 0
    .max_flat_workgroup_size: 256
    .name:           _Z39paged_attention_ll4mi_QKV_mfma16_kernelI14__hip_bfloat16hLN4vllm18Fp8KVCacheDataTypeE1EhLi16ELi64ELi256ELb0ELi8EEvPKT_PKT0_S8_ifPKiSA_SA_iPKfiiiPfSD_PS3_PT2_iSC_SC_
    .private_segment_fixed_size: 64
    .sgpr_count:     36
    .sgpr_spill_count: 0
    .symbol:         _Z39paged_attention_ll4mi_QKV_mfma16_kernelI14__hip_bfloat16hLN4vllm18Fp8KVCacheDataTypeE1EhLi16ELi64ELi256ELb0ELi8EEvPKT_PKT0_S8_ifPKiSA_SA_iPKfiiiPfSD_PS3_PT2_iSC_SC_.kd
    .uniform_work_group_size: 1
    .uses_dynamic_stack: false
    .vgpr_count:     51
    .vgpr_spill_count: 0
    .wavefront_size: 32
  - .args:
      - .actual_access:  read_only
        .address_space:  global
        .offset:         0
        .size:           8
        .value_kind:     global_buffer
      - .actual_access:  read_only
        .address_space:  global
        .offset:         8
        .size:           8
        .value_kind:     global_buffer
      - .actual_access:  read_only
        .address_space:  global
        .offset:         16
        .size:           8
        .value_kind:     global_buffer
      - .offset:         24
        .size:           4
        .value_kind:     by_value
      - .offset:         28
        .size:           4
        .value_kind:     by_value
      - .actual_access:  read_only
        .address_space:  global
        .offset:         32
        .size:           8
        .value_kind:     global_buffer
      - .actual_access:  read_only
        .address_space:  global
        .offset:         40
        .size:           8
        .value_kind:     global_buffer
      - .actual_access:  read_only
        .address_space:  global
        .offset:         48
        .size:           8
        .value_kind:     global_buffer
      - .offset:         56
        .size:           4
        .value_kind:     by_value
      - .actual_access:  read_only
        .address_space:  global
        .offset:         64
        .size:           8
        .value_kind:     global_buffer
      - .offset:         72
        .size:           4
        .value_kind:     by_value
      - .offset:         76
        .size:           4
        .value_kind:     by_value
      - .offset:         80
        .size:           4
        .value_kind:     by_value
      - .actual_access:  read_only
        .address_space:  global
        .offset:         88
        .size:           8
        .value_kind:     global_buffer
      - .actual_access:  read_only
        .address_space:  global
        .offset:         96
        .size:           8
        .value_kind:     global_buffer
      - .actual_access:  read_only
        .address_space:  global
        .offset:         104
        .size:           8
        .value_kind:     global_buffer
      - .actual_access:  read_only
        .address_space:  global
        .offset:         112
        .size:           8
        .value_kind:     global_buffer
      - .offset:         120
        .size:           4
        .value_kind:     by_value
      - .address_space:  global
        .offset:         128
        .size:           8
        .value_kind:     global_buffer
      - .address_space:  global
        .offset:         136
        .size:           8
        .value_kind:     global_buffer
      - .offset:         144
        .size:           4
        .value_kind:     hidden_block_count_x
      - .offset:         148
        .size:           4
        .value_kind:     hidden_block_count_y
      - .offset:         152
        .size:           4
        .value_kind:     hidden_block_count_z
      - .offset:         156
        .size:           2
        .value_kind:     hidden_group_size_x
      - .offset:         158
        .size:           2
        .value_kind:     hidden_group_size_y
      - .offset:         160
        .size:           2
        .value_kind:     hidden_group_size_z
      - .offset:         162
        .size:           2
        .value_kind:     hidden_remainder_x
      - .offset:         164
        .size:           2
        .value_kind:     hidden_remainder_y
      - .offset:         166
        .size:           2
        .value_kind:     hidden_remainder_z
      - .offset:         184
        .size:           8
        .value_kind:     hidden_global_offset_x
      - .offset:         192
        .size:           8
        .value_kind:     hidden_global_offset_y
      - .offset:         200
        .size:           8
        .value_kind:     hidden_global_offset_z
      - .offset:         208
        .size:           2
        .value_kind:     hidden_grid_dims
      - .offset:         224
        .size:           8
        .value_kind:     hidden_hostcall_buffer
    .group_segment_fixed_size: 0
    .kernarg_segment_align: 8
    .kernarg_segment_size: 400
    .language:       OpenCL C
    .language_version:
      - 2
      - 0
    .max_flat_workgroup_size: 256
    .name:           _Z39paged_attention_ll4mi_QKV_mfma16_kernelI14__hip_bfloat16hLN4vllm18Fp8KVCacheDataTypeE1EhLi16ELi64ELi256ELb0ELi9EEvPKT_PKT0_S8_ifPKiSA_SA_iPKfiiiPfSD_PS3_PT2_iSC_SC_
    .private_segment_fixed_size: 64
    .sgpr_count:     36
    .sgpr_spill_count: 0
    .symbol:         _Z39paged_attention_ll4mi_QKV_mfma16_kernelI14__hip_bfloat16hLN4vllm18Fp8KVCacheDataTypeE1EhLi16ELi64ELi256ELb0ELi9EEvPKT_PKT0_S8_ifPKiSA_SA_iPKfiiiPfSD_PS3_PT2_iSC_SC_.kd
    .uniform_work_group_size: 1
    .uses_dynamic_stack: false
    .vgpr_count:     51
    .vgpr_spill_count: 0
    .wavefront_size: 32
  - .args:
      - .actual_access:  read_only
        .address_space:  global
        .offset:         0
        .size:           8
        .value_kind:     global_buffer
      - .actual_access:  read_only
        .address_space:  global
        .offset:         8
        .size:           8
        .value_kind:     global_buffer
      - .actual_access:  read_only
        .address_space:  global
        .offset:         16
        .size:           8
        .value_kind:     global_buffer
      - .offset:         24
        .size:           4
        .value_kind:     by_value
      - .offset:         28
        .size:           4
        .value_kind:     by_value
      - .actual_access:  read_only
        .address_space:  global
        .offset:         32
        .size:           8
        .value_kind:     global_buffer
      - .actual_access:  read_only
        .address_space:  global
        .offset:         40
        .size:           8
        .value_kind:     global_buffer
      - .actual_access:  read_only
        .address_space:  global
        .offset:         48
        .size:           8
        .value_kind:     global_buffer
      - .offset:         56
        .size:           4
        .value_kind:     by_value
      - .actual_access:  read_only
        .address_space:  global
        .offset:         64
        .size:           8
        .value_kind:     global_buffer
      - .offset:         72
        .size:           4
        .value_kind:     by_value
      - .offset:         76
        .size:           4
        .value_kind:     by_value
      - .offset:         80
        .size:           4
        .value_kind:     by_value
      - .actual_access:  read_only
        .address_space:  global
        .offset:         88
        .size:           8
        .value_kind:     global_buffer
      - .actual_access:  read_only
        .address_space:  global
        .offset:         96
        .size:           8
        .value_kind:     global_buffer
      - .actual_access:  read_only
        .address_space:  global
        .offset:         104
        .size:           8
        .value_kind:     global_buffer
      - .actual_access:  read_only
        .address_space:  global
        .offset:         112
        .size:           8
        .value_kind:     global_buffer
      - .offset:         120
        .size:           4
        .value_kind:     by_value
      - .address_space:  global
        .offset:         128
        .size:           8
        .value_kind:     global_buffer
      - .address_space:  global
        .offset:         136
        .size:           8
        .value_kind:     global_buffer
      - .offset:         144
        .size:           4
        .value_kind:     hidden_block_count_x
      - .offset:         148
        .size:           4
        .value_kind:     hidden_block_count_y
      - .offset:         152
        .size:           4
        .value_kind:     hidden_block_count_z
      - .offset:         156
        .size:           2
        .value_kind:     hidden_group_size_x
      - .offset:         158
        .size:           2
        .value_kind:     hidden_group_size_y
      - .offset:         160
        .size:           2
        .value_kind:     hidden_group_size_z
      - .offset:         162
        .size:           2
        .value_kind:     hidden_remainder_x
      - .offset:         164
        .size:           2
        .value_kind:     hidden_remainder_y
      - .offset:         166
        .size:           2
        .value_kind:     hidden_remainder_z
      - .offset:         184
        .size:           8
        .value_kind:     hidden_global_offset_x
      - .offset:         192
        .size:           8
        .value_kind:     hidden_global_offset_y
      - .offset:         200
        .size:           8
        .value_kind:     hidden_global_offset_z
      - .offset:         208
        .size:           2
        .value_kind:     hidden_grid_dims
      - .offset:         224
        .size:           8
        .value_kind:     hidden_hostcall_buffer
    .group_segment_fixed_size: 0
    .kernarg_segment_align: 8
    .kernarg_segment_size: 400
    .language:       OpenCL C
    .language_version:
      - 2
      - 0
    .max_flat_workgroup_size: 256
    .name:           _Z39paged_attention_ll4mi_QKV_mfma16_kernelI14__hip_bfloat16hLN4vllm18Fp8KVCacheDataTypeE1EhLi16ELi64ELi256ELb0ELi10EEvPKT_PKT0_S8_ifPKiSA_SA_iPKfiiiPfSD_PS3_PT2_iSC_SC_
    .private_segment_fixed_size: 64
    .sgpr_count:     36
    .sgpr_spill_count: 0
    .symbol:         _Z39paged_attention_ll4mi_QKV_mfma16_kernelI14__hip_bfloat16hLN4vllm18Fp8KVCacheDataTypeE1EhLi16ELi64ELi256ELb0ELi10EEvPKT_PKT0_S8_ifPKiSA_SA_iPKfiiiPfSD_PS3_PT2_iSC_SC_.kd
    .uniform_work_group_size: 1
    .uses_dynamic_stack: false
    .vgpr_count:     51
    .vgpr_spill_count: 0
    .wavefront_size: 32
  - .args:
      - .actual_access:  read_only
        .address_space:  global
        .offset:         0
        .size:           8
        .value_kind:     global_buffer
      - .actual_access:  read_only
        .address_space:  global
        .offset:         8
        .size:           8
        .value_kind:     global_buffer
      - .actual_access:  read_only
        .address_space:  global
        .offset:         16
        .size:           8
        .value_kind:     global_buffer
      - .offset:         24
        .size:           4
        .value_kind:     by_value
      - .offset:         28
        .size:           4
        .value_kind:     by_value
      - .actual_access:  read_only
        .address_space:  global
        .offset:         32
        .size:           8
        .value_kind:     global_buffer
      - .actual_access:  read_only
        .address_space:  global
        .offset:         40
        .size:           8
        .value_kind:     global_buffer
      - .actual_access:  read_only
        .address_space:  global
        .offset:         48
        .size:           8
        .value_kind:     global_buffer
      - .offset:         56
        .size:           4
        .value_kind:     by_value
      - .actual_access:  read_only
        .address_space:  global
        .offset:         64
        .size:           8
        .value_kind:     global_buffer
      - .offset:         72
        .size:           4
        .value_kind:     by_value
      - .offset:         76
        .size:           4
        .value_kind:     by_value
      - .offset:         80
        .size:           4
        .value_kind:     by_value
      - .actual_access:  read_only
        .address_space:  global
        .offset:         88
        .size:           8
        .value_kind:     global_buffer
      - .actual_access:  read_only
        .address_space:  global
        .offset:         96
        .size:           8
        .value_kind:     global_buffer
      - .actual_access:  read_only
        .address_space:  global
        .offset:         104
        .size:           8
        .value_kind:     global_buffer
      - .actual_access:  read_only
        .address_space:  global
        .offset:         112
        .size:           8
        .value_kind:     global_buffer
      - .offset:         120
        .size:           4
        .value_kind:     by_value
      - .address_space:  global
        .offset:         128
        .size:           8
        .value_kind:     global_buffer
      - .address_space:  global
        .offset:         136
        .size:           8
        .value_kind:     global_buffer
      - .offset:         144
        .size:           4
        .value_kind:     hidden_block_count_x
      - .offset:         148
        .size:           4
        .value_kind:     hidden_block_count_y
      - .offset:         152
        .size:           4
        .value_kind:     hidden_block_count_z
      - .offset:         156
        .size:           2
        .value_kind:     hidden_group_size_x
      - .offset:         158
        .size:           2
        .value_kind:     hidden_group_size_y
      - .offset:         160
        .size:           2
        .value_kind:     hidden_group_size_z
      - .offset:         162
        .size:           2
        .value_kind:     hidden_remainder_x
      - .offset:         164
        .size:           2
        .value_kind:     hidden_remainder_y
      - .offset:         166
        .size:           2
        .value_kind:     hidden_remainder_z
      - .offset:         184
        .size:           8
        .value_kind:     hidden_global_offset_x
      - .offset:         192
        .size:           8
        .value_kind:     hidden_global_offset_y
      - .offset:         200
        .size:           8
        .value_kind:     hidden_global_offset_z
      - .offset:         208
        .size:           2
        .value_kind:     hidden_grid_dims
      - .offset:         224
        .size:           8
        .value_kind:     hidden_hostcall_buffer
    .group_segment_fixed_size: 0
    .kernarg_segment_align: 8
    .kernarg_segment_size: 400
    .language:       OpenCL C
    .language_version:
      - 2
      - 0
    .max_flat_workgroup_size: 256
    .name:           _Z39paged_attention_ll4mi_QKV_mfma16_kernelI14__hip_bfloat16hLN4vllm18Fp8KVCacheDataTypeE1EhLi16ELi64ELi256ELb0ELi11EEvPKT_PKT0_S8_ifPKiSA_SA_iPKfiiiPfSD_PS3_PT2_iSC_SC_
    .private_segment_fixed_size: 64
    .sgpr_count:     36
    .sgpr_spill_count: 0
    .symbol:         _Z39paged_attention_ll4mi_QKV_mfma16_kernelI14__hip_bfloat16hLN4vllm18Fp8KVCacheDataTypeE1EhLi16ELi64ELi256ELb0ELi11EEvPKT_PKT0_S8_ifPKiSA_SA_iPKfiiiPfSD_PS3_PT2_iSC_SC_.kd
    .uniform_work_group_size: 1
    .uses_dynamic_stack: false
    .vgpr_count:     51
    .vgpr_spill_count: 0
    .wavefront_size: 32
  - .args:
      - .actual_access:  read_only
        .address_space:  global
        .offset:         0
        .size:           8
        .value_kind:     global_buffer
      - .actual_access:  read_only
        .address_space:  global
        .offset:         8
        .size:           8
        .value_kind:     global_buffer
      - .actual_access:  read_only
        .address_space:  global
        .offset:         16
        .size:           8
        .value_kind:     global_buffer
      - .offset:         24
        .size:           4
        .value_kind:     by_value
      - .offset:         28
        .size:           4
        .value_kind:     by_value
      - .actual_access:  read_only
        .address_space:  global
        .offset:         32
        .size:           8
        .value_kind:     global_buffer
      - .actual_access:  read_only
        .address_space:  global
        .offset:         40
        .size:           8
        .value_kind:     global_buffer
      - .actual_access:  read_only
        .address_space:  global
        .offset:         48
        .size:           8
        .value_kind:     global_buffer
      - .offset:         56
        .size:           4
        .value_kind:     by_value
      - .actual_access:  read_only
        .address_space:  global
        .offset:         64
        .size:           8
        .value_kind:     global_buffer
      - .offset:         72
        .size:           4
        .value_kind:     by_value
      - .offset:         76
        .size:           4
        .value_kind:     by_value
      - .offset:         80
        .size:           4
        .value_kind:     by_value
      - .actual_access:  read_only
        .address_space:  global
        .offset:         88
        .size:           8
        .value_kind:     global_buffer
      - .actual_access:  read_only
        .address_space:  global
        .offset:         96
        .size:           8
        .value_kind:     global_buffer
      - .actual_access:  read_only
        .address_space:  global
        .offset:         104
        .size:           8
        .value_kind:     global_buffer
      - .actual_access:  read_only
        .address_space:  global
        .offset:         112
        .size:           8
        .value_kind:     global_buffer
      - .offset:         120
        .size:           4
        .value_kind:     by_value
      - .address_space:  global
        .offset:         128
        .size:           8
        .value_kind:     global_buffer
      - .address_space:  global
        .offset:         136
        .size:           8
        .value_kind:     global_buffer
      - .offset:         144
        .size:           4
        .value_kind:     hidden_block_count_x
      - .offset:         148
        .size:           4
        .value_kind:     hidden_block_count_y
      - .offset:         152
        .size:           4
        .value_kind:     hidden_block_count_z
      - .offset:         156
        .size:           2
        .value_kind:     hidden_group_size_x
      - .offset:         158
        .size:           2
        .value_kind:     hidden_group_size_y
      - .offset:         160
        .size:           2
        .value_kind:     hidden_group_size_z
      - .offset:         162
        .size:           2
        .value_kind:     hidden_remainder_x
      - .offset:         164
        .size:           2
        .value_kind:     hidden_remainder_y
      - .offset:         166
        .size:           2
        .value_kind:     hidden_remainder_z
      - .offset:         184
        .size:           8
        .value_kind:     hidden_global_offset_x
      - .offset:         192
        .size:           8
        .value_kind:     hidden_global_offset_y
      - .offset:         200
        .size:           8
        .value_kind:     hidden_global_offset_z
      - .offset:         208
        .size:           2
        .value_kind:     hidden_grid_dims
      - .offset:         224
        .size:           8
        .value_kind:     hidden_hostcall_buffer
    .group_segment_fixed_size: 0
    .kernarg_segment_align: 8
    .kernarg_segment_size: 400
    .language:       OpenCL C
    .language_version:
      - 2
      - 0
    .max_flat_workgroup_size: 256
    .name:           _Z39paged_attention_ll4mi_QKV_mfma16_kernelI14__hip_bfloat16hLN4vllm18Fp8KVCacheDataTypeE1EhLi16ELi64ELi256ELb0ELi12EEvPKT_PKT0_S8_ifPKiSA_SA_iPKfiiiPfSD_PS3_PT2_iSC_SC_
    .private_segment_fixed_size: 64
    .sgpr_count:     36
    .sgpr_spill_count: 0
    .symbol:         _Z39paged_attention_ll4mi_QKV_mfma16_kernelI14__hip_bfloat16hLN4vllm18Fp8KVCacheDataTypeE1EhLi16ELi64ELi256ELb0ELi12EEvPKT_PKT0_S8_ifPKiSA_SA_iPKfiiiPfSD_PS3_PT2_iSC_SC_.kd
    .uniform_work_group_size: 1
    .uses_dynamic_stack: false
    .vgpr_count:     51
    .vgpr_spill_count: 0
    .wavefront_size: 32
  - .args:
      - .actual_access:  read_only
        .address_space:  global
        .offset:         0
        .size:           8
        .value_kind:     global_buffer
      - .actual_access:  read_only
        .address_space:  global
        .offset:         8
        .size:           8
        .value_kind:     global_buffer
      - .actual_access:  read_only
        .address_space:  global
        .offset:         16
        .size:           8
        .value_kind:     global_buffer
      - .offset:         24
        .size:           4
        .value_kind:     by_value
      - .offset:         28
        .size:           4
        .value_kind:     by_value
      - .actual_access:  read_only
        .address_space:  global
        .offset:         32
        .size:           8
        .value_kind:     global_buffer
      - .actual_access:  read_only
        .address_space:  global
        .offset:         40
        .size:           8
        .value_kind:     global_buffer
      - .actual_access:  read_only
        .address_space:  global
        .offset:         48
        .size:           8
        .value_kind:     global_buffer
      - .offset:         56
        .size:           4
        .value_kind:     by_value
      - .actual_access:  read_only
        .address_space:  global
        .offset:         64
        .size:           8
        .value_kind:     global_buffer
      - .offset:         72
        .size:           4
        .value_kind:     by_value
      - .offset:         76
        .size:           4
        .value_kind:     by_value
      - .offset:         80
        .size:           4
        .value_kind:     by_value
      - .actual_access:  read_only
        .address_space:  global
        .offset:         88
        .size:           8
        .value_kind:     global_buffer
      - .actual_access:  read_only
        .address_space:  global
        .offset:         96
        .size:           8
        .value_kind:     global_buffer
      - .actual_access:  read_only
        .address_space:  global
        .offset:         104
        .size:           8
        .value_kind:     global_buffer
      - .actual_access:  read_only
        .address_space:  global
        .offset:         112
        .size:           8
        .value_kind:     global_buffer
      - .offset:         120
        .size:           4
        .value_kind:     by_value
      - .address_space:  global
        .offset:         128
        .size:           8
        .value_kind:     global_buffer
      - .address_space:  global
        .offset:         136
        .size:           8
        .value_kind:     global_buffer
      - .offset:         144
        .size:           4
        .value_kind:     hidden_block_count_x
      - .offset:         148
        .size:           4
        .value_kind:     hidden_block_count_y
      - .offset:         152
        .size:           4
        .value_kind:     hidden_block_count_z
      - .offset:         156
        .size:           2
        .value_kind:     hidden_group_size_x
      - .offset:         158
        .size:           2
        .value_kind:     hidden_group_size_y
      - .offset:         160
        .size:           2
        .value_kind:     hidden_group_size_z
      - .offset:         162
        .size:           2
        .value_kind:     hidden_remainder_x
      - .offset:         164
        .size:           2
        .value_kind:     hidden_remainder_y
      - .offset:         166
        .size:           2
        .value_kind:     hidden_remainder_z
      - .offset:         184
        .size:           8
        .value_kind:     hidden_global_offset_x
      - .offset:         192
        .size:           8
        .value_kind:     hidden_global_offset_y
      - .offset:         200
        .size:           8
        .value_kind:     hidden_global_offset_z
      - .offset:         208
        .size:           2
        .value_kind:     hidden_grid_dims
      - .offset:         224
        .size:           8
        .value_kind:     hidden_hostcall_buffer
    .group_segment_fixed_size: 0
    .kernarg_segment_align: 8
    .kernarg_segment_size: 400
    .language:       OpenCL C
    .language_version:
      - 2
      - 0
    .max_flat_workgroup_size: 256
    .name:           _Z39paged_attention_ll4mi_QKV_mfma16_kernelI14__hip_bfloat16hLN4vllm18Fp8KVCacheDataTypeE1EhLi16ELi64ELi256ELb0ELi13EEvPKT_PKT0_S8_ifPKiSA_SA_iPKfiiiPfSD_PS3_PT2_iSC_SC_
    .private_segment_fixed_size: 64
    .sgpr_count:     36
    .sgpr_spill_count: 0
    .symbol:         _Z39paged_attention_ll4mi_QKV_mfma16_kernelI14__hip_bfloat16hLN4vllm18Fp8KVCacheDataTypeE1EhLi16ELi64ELi256ELb0ELi13EEvPKT_PKT0_S8_ifPKiSA_SA_iPKfiiiPfSD_PS3_PT2_iSC_SC_.kd
    .uniform_work_group_size: 1
    .uses_dynamic_stack: false
    .vgpr_count:     51
    .vgpr_spill_count: 0
    .wavefront_size: 32
  - .args:
      - .actual_access:  read_only
        .address_space:  global
        .offset:         0
        .size:           8
        .value_kind:     global_buffer
      - .actual_access:  read_only
        .address_space:  global
        .offset:         8
        .size:           8
        .value_kind:     global_buffer
      - .actual_access:  read_only
        .address_space:  global
        .offset:         16
        .size:           8
        .value_kind:     global_buffer
      - .offset:         24
        .size:           4
        .value_kind:     by_value
      - .offset:         28
        .size:           4
        .value_kind:     by_value
      - .actual_access:  read_only
        .address_space:  global
        .offset:         32
        .size:           8
        .value_kind:     global_buffer
      - .actual_access:  read_only
        .address_space:  global
        .offset:         40
        .size:           8
        .value_kind:     global_buffer
      - .actual_access:  read_only
        .address_space:  global
        .offset:         48
        .size:           8
        .value_kind:     global_buffer
      - .offset:         56
        .size:           4
        .value_kind:     by_value
      - .actual_access:  read_only
        .address_space:  global
        .offset:         64
        .size:           8
        .value_kind:     global_buffer
      - .offset:         72
        .size:           4
        .value_kind:     by_value
      - .offset:         76
        .size:           4
        .value_kind:     by_value
      - .offset:         80
        .size:           4
        .value_kind:     by_value
      - .actual_access:  read_only
        .address_space:  global
        .offset:         88
        .size:           8
        .value_kind:     global_buffer
      - .actual_access:  read_only
        .address_space:  global
        .offset:         96
        .size:           8
        .value_kind:     global_buffer
      - .actual_access:  read_only
        .address_space:  global
        .offset:         104
        .size:           8
        .value_kind:     global_buffer
      - .actual_access:  read_only
        .address_space:  global
        .offset:         112
        .size:           8
        .value_kind:     global_buffer
      - .offset:         120
        .size:           4
        .value_kind:     by_value
      - .address_space:  global
        .offset:         128
        .size:           8
        .value_kind:     global_buffer
      - .address_space:  global
        .offset:         136
        .size:           8
        .value_kind:     global_buffer
      - .offset:         144
        .size:           4
        .value_kind:     hidden_block_count_x
      - .offset:         148
        .size:           4
        .value_kind:     hidden_block_count_y
      - .offset:         152
        .size:           4
        .value_kind:     hidden_block_count_z
      - .offset:         156
        .size:           2
        .value_kind:     hidden_group_size_x
      - .offset:         158
        .size:           2
        .value_kind:     hidden_group_size_y
      - .offset:         160
        .size:           2
        .value_kind:     hidden_group_size_z
      - .offset:         162
        .size:           2
        .value_kind:     hidden_remainder_x
      - .offset:         164
        .size:           2
        .value_kind:     hidden_remainder_y
      - .offset:         166
        .size:           2
        .value_kind:     hidden_remainder_z
      - .offset:         184
        .size:           8
        .value_kind:     hidden_global_offset_x
      - .offset:         192
        .size:           8
        .value_kind:     hidden_global_offset_y
      - .offset:         200
        .size:           8
        .value_kind:     hidden_global_offset_z
      - .offset:         208
        .size:           2
        .value_kind:     hidden_grid_dims
      - .offset:         224
        .size:           8
        .value_kind:     hidden_hostcall_buffer
    .group_segment_fixed_size: 0
    .kernarg_segment_align: 8
    .kernarg_segment_size: 400
    .language:       OpenCL C
    .language_version:
      - 2
      - 0
    .max_flat_workgroup_size: 256
    .name:           _Z39paged_attention_ll4mi_QKV_mfma16_kernelI14__hip_bfloat16hLN4vllm18Fp8KVCacheDataTypeE1EhLi16ELi64ELi256ELb0ELi14EEvPKT_PKT0_S8_ifPKiSA_SA_iPKfiiiPfSD_PS3_PT2_iSC_SC_
    .private_segment_fixed_size: 64
    .sgpr_count:     36
    .sgpr_spill_count: 0
    .symbol:         _Z39paged_attention_ll4mi_QKV_mfma16_kernelI14__hip_bfloat16hLN4vllm18Fp8KVCacheDataTypeE1EhLi16ELi64ELi256ELb0ELi14EEvPKT_PKT0_S8_ifPKiSA_SA_iPKfiiiPfSD_PS3_PT2_iSC_SC_.kd
    .uniform_work_group_size: 1
    .uses_dynamic_stack: false
    .vgpr_count:     51
    .vgpr_spill_count: 0
    .wavefront_size: 32
  - .args:
      - .actual_access:  read_only
        .address_space:  global
        .offset:         0
        .size:           8
        .value_kind:     global_buffer
      - .actual_access:  read_only
        .address_space:  global
        .offset:         8
        .size:           8
        .value_kind:     global_buffer
      - .actual_access:  read_only
        .address_space:  global
        .offset:         16
        .size:           8
        .value_kind:     global_buffer
      - .offset:         24
        .size:           4
        .value_kind:     by_value
      - .offset:         28
        .size:           4
        .value_kind:     by_value
      - .actual_access:  read_only
        .address_space:  global
        .offset:         32
        .size:           8
        .value_kind:     global_buffer
      - .actual_access:  read_only
        .address_space:  global
        .offset:         40
        .size:           8
        .value_kind:     global_buffer
      - .actual_access:  read_only
        .address_space:  global
        .offset:         48
        .size:           8
        .value_kind:     global_buffer
      - .offset:         56
        .size:           4
        .value_kind:     by_value
      - .actual_access:  read_only
        .address_space:  global
        .offset:         64
        .size:           8
        .value_kind:     global_buffer
      - .offset:         72
        .size:           4
        .value_kind:     by_value
      - .offset:         76
        .size:           4
        .value_kind:     by_value
      - .offset:         80
        .size:           4
        .value_kind:     by_value
      - .actual_access:  read_only
        .address_space:  global
        .offset:         88
        .size:           8
        .value_kind:     global_buffer
      - .actual_access:  read_only
        .address_space:  global
        .offset:         96
        .size:           8
        .value_kind:     global_buffer
      - .actual_access:  read_only
        .address_space:  global
        .offset:         104
        .size:           8
        .value_kind:     global_buffer
      - .actual_access:  read_only
        .address_space:  global
        .offset:         112
        .size:           8
        .value_kind:     global_buffer
      - .offset:         120
        .size:           4
        .value_kind:     by_value
      - .address_space:  global
        .offset:         128
        .size:           8
        .value_kind:     global_buffer
      - .address_space:  global
        .offset:         136
        .size:           8
        .value_kind:     global_buffer
      - .offset:         144
        .size:           4
        .value_kind:     hidden_block_count_x
      - .offset:         148
        .size:           4
        .value_kind:     hidden_block_count_y
      - .offset:         152
        .size:           4
        .value_kind:     hidden_block_count_z
      - .offset:         156
        .size:           2
        .value_kind:     hidden_group_size_x
      - .offset:         158
        .size:           2
        .value_kind:     hidden_group_size_y
      - .offset:         160
        .size:           2
        .value_kind:     hidden_group_size_z
      - .offset:         162
        .size:           2
        .value_kind:     hidden_remainder_x
      - .offset:         164
        .size:           2
        .value_kind:     hidden_remainder_y
      - .offset:         166
        .size:           2
        .value_kind:     hidden_remainder_z
      - .offset:         184
        .size:           8
        .value_kind:     hidden_global_offset_x
      - .offset:         192
        .size:           8
        .value_kind:     hidden_global_offset_y
      - .offset:         200
        .size:           8
        .value_kind:     hidden_global_offset_z
      - .offset:         208
        .size:           2
        .value_kind:     hidden_grid_dims
      - .offset:         224
        .size:           8
        .value_kind:     hidden_hostcall_buffer
    .group_segment_fixed_size: 0
    .kernarg_segment_align: 8
    .kernarg_segment_size: 400
    .language:       OpenCL C
    .language_version:
      - 2
      - 0
    .max_flat_workgroup_size: 256
    .name:           _Z39paged_attention_ll4mi_QKV_mfma16_kernelI14__hip_bfloat16hLN4vllm18Fp8KVCacheDataTypeE1EhLi16ELi64ELi256ELb0ELi15EEvPKT_PKT0_S8_ifPKiSA_SA_iPKfiiiPfSD_PS3_PT2_iSC_SC_
    .private_segment_fixed_size: 64
    .sgpr_count:     36
    .sgpr_spill_count: 0
    .symbol:         _Z39paged_attention_ll4mi_QKV_mfma16_kernelI14__hip_bfloat16hLN4vllm18Fp8KVCacheDataTypeE1EhLi16ELi64ELi256ELb0ELi15EEvPKT_PKT0_S8_ifPKiSA_SA_iPKfiiiPfSD_PS3_PT2_iSC_SC_.kd
    .uniform_work_group_size: 1
    .uses_dynamic_stack: false
    .vgpr_count:     51
    .vgpr_spill_count: 0
    .wavefront_size: 32
  - .args:
      - .actual_access:  read_only
        .address_space:  global
        .offset:         0
        .size:           8
        .value_kind:     global_buffer
      - .actual_access:  read_only
        .address_space:  global
        .offset:         8
        .size:           8
        .value_kind:     global_buffer
      - .actual_access:  read_only
        .address_space:  global
        .offset:         16
        .size:           8
        .value_kind:     global_buffer
      - .offset:         24
        .size:           4
        .value_kind:     by_value
      - .offset:         28
        .size:           4
        .value_kind:     by_value
      - .actual_access:  read_only
        .address_space:  global
        .offset:         32
        .size:           8
        .value_kind:     global_buffer
      - .actual_access:  read_only
        .address_space:  global
        .offset:         40
        .size:           8
        .value_kind:     global_buffer
      - .actual_access:  read_only
        .address_space:  global
        .offset:         48
        .size:           8
        .value_kind:     global_buffer
      - .offset:         56
        .size:           4
        .value_kind:     by_value
      - .actual_access:  read_only
        .address_space:  global
        .offset:         64
        .size:           8
        .value_kind:     global_buffer
      - .offset:         72
        .size:           4
        .value_kind:     by_value
      - .offset:         76
        .size:           4
        .value_kind:     by_value
      - .offset:         80
        .size:           4
        .value_kind:     by_value
      - .actual_access:  read_only
        .address_space:  global
        .offset:         88
        .size:           8
        .value_kind:     global_buffer
      - .actual_access:  read_only
        .address_space:  global
        .offset:         96
        .size:           8
        .value_kind:     global_buffer
      - .actual_access:  read_only
        .address_space:  global
        .offset:         104
        .size:           8
        .value_kind:     global_buffer
      - .actual_access:  read_only
        .address_space:  global
        .offset:         112
        .size:           8
        .value_kind:     global_buffer
      - .offset:         120
        .size:           4
        .value_kind:     by_value
      - .address_space:  global
        .offset:         128
        .size:           8
        .value_kind:     global_buffer
      - .address_space:  global
        .offset:         136
        .size:           8
        .value_kind:     global_buffer
      - .offset:         144
        .size:           4
        .value_kind:     hidden_block_count_x
      - .offset:         148
        .size:           4
        .value_kind:     hidden_block_count_y
      - .offset:         152
        .size:           4
        .value_kind:     hidden_block_count_z
      - .offset:         156
        .size:           2
        .value_kind:     hidden_group_size_x
      - .offset:         158
        .size:           2
        .value_kind:     hidden_group_size_y
      - .offset:         160
        .size:           2
        .value_kind:     hidden_group_size_z
      - .offset:         162
        .size:           2
        .value_kind:     hidden_remainder_x
      - .offset:         164
        .size:           2
        .value_kind:     hidden_remainder_y
      - .offset:         166
        .size:           2
        .value_kind:     hidden_remainder_z
      - .offset:         184
        .size:           8
        .value_kind:     hidden_global_offset_x
      - .offset:         192
        .size:           8
        .value_kind:     hidden_global_offset_y
      - .offset:         200
        .size:           8
        .value_kind:     hidden_global_offset_z
      - .offset:         208
        .size:           2
        .value_kind:     hidden_grid_dims
      - .offset:         224
        .size:           8
        .value_kind:     hidden_hostcall_buffer
    .group_segment_fixed_size: 0
    .kernarg_segment_align: 8
    .kernarg_segment_size: 400
    .language:       OpenCL C
    .language_version:
      - 2
      - 0
    .max_flat_workgroup_size: 256
    .name:           _Z39paged_attention_ll4mi_QKV_mfma16_kernelI14__hip_bfloat16hLN4vllm18Fp8KVCacheDataTypeE1EhLi16ELi64ELi256ELb0ELi16EEvPKT_PKT0_S8_ifPKiSA_SA_iPKfiiiPfSD_PS3_PT2_iSC_SC_
    .private_segment_fixed_size: 64
    .sgpr_count:     36
    .sgpr_spill_count: 0
    .symbol:         _Z39paged_attention_ll4mi_QKV_mfma16_kernelI14__hip_bfloat16hLN4vllm18Fp8KVCacheDataTypeE1EhLi16ELi64ELi256ELb0ELi16EEvPKT_PKT0_S8_ifPKiSA_SA_iPKfiiiPfSD_PS3_PT2_iSC_SC_.kd
    .uniform_work_group_size: 1
    .uses_dynamic_stack: false
    .vgpr_count:     51
    .vgpr_spill_count: 0
    .wavefront_size: 32
  - .args:
      - .actual_access:  read_only
        .address_space:  global
        .offset:         0
        .size:           8
        .value_kind:     global_buffer
      - .actual_access:  read_only
        .address_space:  global
        .offset:         8
        .size:           8
        .value_kind:     global_buffer
      - .actual_access:  read_only
        .address_space:  global
        .offset:         16
        .size:           8
        .value_kind:     global_buffer
      - .offset:         24
        .size:           4
        .value_kind:     by_value
      - .offset:         28
        .size:           4
        .value_kind:     by_value
      - .actual_access:  read_only
        .address_space:  global
        .offset:         32
        .size:           8
        .value_kind:     global_buffer
      - .actual_access:  read_only
        .address_space:  global
        .offset:         40
        .size:           8
        .value_kind:     global_buffer
      - .actual_access:  read_only
        .address_space:  global
        .offset:         48
        .size:           8
        .value_kind:     global_buffer
      - .offset:         56
        .size:           4
        .value_kind:     by_value
      - .actual_access:  read_only
        .address_space:  global
        .offset:         64
        .size:           8
        .value_kind:     global_buffer
      - .offset:         72
        .size:           4
        .value_kind:     by_value
      - .offset:         76
        .size:           4
        .value_kind:     by_value
      - .offset:         80
        .size:           4
        .value_kind:     by_value
      - .actual_access:  read_only
        .address_space:  global
        .offset:         88
        .size:           8
        .value_kind:     global_buffer
      - .actual_access:  read_only
        .address_space:  global
        .offset:         96
        .size:           8
        .value_kind:     global_buffer
      - .actual_access:  read_only
        .address_space:  global
        .offset:         104
        .size:           8
        .value_kind:     global_buffer
      - .actual_access:  read_only
        .address_space:  global
        .offset:         112
        .size:           8
        .value_kind:     global_buffer
      - .offset:         120
        .size:           4
        .value_kind:     by_value
      - .address_space:  global
        .offset:         128
        .size:           8
        .value_kind:     global_buffer
      - .address_space:  global
        .offset:         136
        .size:           8
        .value_kind:     global_buffer
      - .offset:         144
        .size:           4
        .value_kind:     hidden_block_count_x
      - .offset:         148
        .size:           4
        .value_kind:     hidden_block_count_y
      - .offset:         152
        .size:           4
        .value_kind:     hidden_block_count_z
      - .offset:         156
        .size:           2
        .value_kind:     hidden_group_size_x
      - .offset:         158
        .size:           2
        .value_kind:     hidden_group_size_y
      - .offset:         160
        .size:           2
        .value_kind:     hidden_group_size_z
      - .offset:         162
        .size:           2
        .value_kind:     hidden_remainder_x
      - .offset:         164
        .size:           2
        .value_kind:     hidden_remainder_y
      - .offset:         166
        .size:           2
        .value_kind:     hidden_remainder_z
      - .offset:         184
        .size:           8
        .value_kind:     hidden_global_offset_x
      - .offset:         192
        .size:           8
        .value_kind:     hidden_global_offset_y
      - .offset:         200
        .size:           8
        .value_kind:     hidden_global_offset_z
      - .offset:         208
        .size:           2
        .value_kind:     hidden_grid_dims
      - .offset:         224
        .size:           8
        .value_kind:     hidden_hostcall_buffer
    .group_segment_fixed_size: 0
    .kernarg_segment_align: 8
    .kernarg_segment_size: 400
    .language:       OpenCL C
    .language_version:
      - 2
      - 0
    .max_flat_workgroup_size: 256
    .name:           _Z39paged_attention_ll4mi_QKV_mfma16_kernelI14__hip_bfloat16hLN4vllm18Fp8KVCacheDataTypeE1EhLi16ELi64ELi256ELb0ELi1EEvPKT_PKT0_S8_ifPKiSA_SA_iPKfiiiPfSD_PS3_PT2_iSC_SC_
    .private_segment_fixed_size: 64
    .sgpr_count:     36
    .sgpr_spill_count: 0
    .symbol:         _Z39paged_attention_ll4mi_QKV_mfma16_kernelI14__hip_bfloat16hLN4vllm18Fp8KVCacheDataTypeE1EhLi16ELi64ELi256ELb0ELi1EEvPKT_PKT0_S8_ifPKiSA_SA_iPKfiiiPfSD_PS3_PT2_iSC_SC_.kd
    .uniform_work_group_size: 1
    .uses_dynamic_stack: false
    .vgpr_count:     51
    .vgpr_spill_count: 0
    .wavefront_size: 32
  - .args:
      - .actual_access:  read_only
        .address_space:  global
        .offset:         0
        .size:           8
        .value_kind:     global_buffer
      - .actual_access:  read_only
        .address_space:  global
        .offset:         8
        .size:           8
        .value_kind:     global_buffer
      - .actual_access:  read_only
        .address_space:  global
        .offset:         16
        .size:           8
        .value_kind:     global_buffer
      - .offset:         24
        .size:           4
        .value_kind:     by_value
      - .offset:         28
        .size:           4
        .value_kind:     by_value
      - .actual_access:  read_only
        .address_space:  global
        .offset:         32
        .size:           8
        .value_kind:     global_buffer
      - .actual_access:  read_only
        .address_space:  global
        .offset:         40
        .size:           8
        .value_kind:     global_buffer
      - .actual_access:  read_only
        .address_space:  global
        .offset:         48
        .size:           8
        .value_kind:     global_buffer
      - .offset:         56
        .size:           4
        .value_kind:     by_value
      - .actual_access:  read_only
        .address_space:  global
        .offset:         64
        .size:           8
        .value_kind:     global_buffer
      - .offset:         72
        .size:           4
        .value_kind:     by_value
      - .offset:         76
        .size:           4
        .value_kind:     by_value
      - .offset:         80
        .size:           4
        .value_kind:     by_value
      - .actual_access:  read_only
        .address_space:  global
        .offset:         88
        .size:           8
        .value_kind:     global_buffer
      - .actual_access:  read_only
        .address_space:  global
        .offset:         96
        .size:           8
        .value_kind:     global_buffer
      - .actual_access:  read_only
        .address_space:  global
        .offset:         104
        .size:           8
        .value_kind:     global_buffer
      - .actual_access:  read_only
        .address_space:  global
        .offset:         112
        .size:           8
        .value_kind:     global_buffer
      - .offset:         120
        .size:           4
        .value_kind:     by_value
      - .address_space:  global
        .offset:         128
        .size:           8
        .value_kind:     global_buffer
      - .address_space:  global
        .offset:         136
        .size:           8
        .value_kind:     global_buffer
      - .offset:         144
        .size:           4
        .value_kind:     hidden_block_count_x
      - .offset:         148
        .size:           4
        .value_kind:     hidden_block_count_y
      - .offset:         152
        .size:           4
        .value_kind:     hidden_block_count_z
      - .offset:         156
        .size:           2
        .value_kind:     hidden_group_size_x
      - .offset:         158
        .size:           2
        .value_kind:     hidden_group_size_y
      - .offset:         160
        .size:           2
        .value_kind:     hidden_group_size_z
      - .offset:         162
        .size:           2
        .value_kind:     hidden_remainder_x
      - .offset:         164
        .size:           2
        .value_kind:     hidden_remainder_y
      - .offset:         166
        .size:           2
        .value_kind:     hidden_remainder_z
      - .offset:         184
        .size:           8
        .value_kind:     hidden_global_offset_x
      - .offset:         192
        .size:           8
        .value_kind:     hidden_global_offset_y
      - .offset:         200
        .size:           8
        .value_kind:     hidden_global_offset_z
      - .offset:         208
        .size:           2
        .value_kind:     hidden_grid_dims
      - .offset:         224
        .size:           8
        .value_kind:     hidden_hostcall_buffer
    .group_segment_fixed_size: 0
    .kernarg_segment_align: 8
    .kernarg_segment_size: 400
    .language:       OpenCL C
    .language_version:
      - 2
      - 0
    .max_flat_workgroup_size: 256
    .name:           _Z39paged_attention_ll4mi_QKV_mfma16_kernelI14__hip_bfloat16hLN4vllm18Fp8KVCacheDataTypeE1EhLi16ELi64ELi256ELb0ELi2EEvPKT_PKT0_S8_ifPKiSA_SA_iPKfiiiPfSD_PS3_PT2_iSC_SC_
    .private_segment_fixed_size: 64
    .sgpr_count:     36
    .sgpr_spill_count: 0
    .symbol:         _Z39paged_attention_ll4mi_QKV_mfma16_kernelI14__hip_bfloat16hLN4vllm18Fp8KVCacheDataTypeE1EhLi16ELi64ELi256ELb0ELi2EEvPKT_PKT0_S8_ifPKiSA_SA_iPKfiiiPfSD_PS3_PT2_iSC_SC_.kd
    .uniform_work_group_size: 1
    .uses_dynamic_stack: false
    .vgpr_count:     51
    .vgpr_spill_count: 0
    .wavefront_size: 32
  - .args:
      - .actual_access:  read_only
        .address_space:  global
        .offset:         0
        .size:           8
        .value_kind:     global_buffer
      - .actual_access:  read_only
        .address_space:  global
        .offset:         8
        .size:           8
        .value_kind:     global_buffer
      - .actual_access:  read_only
        .address_space:  global
        .offset:         16
        .size:           8
        .value_kind:     global_buffer
      - .offset:         24
        .size:           4
        .value_kind:     by_value
      - .offset:         28
        .size:           4
        .value_kind:     by_value
      - .actual_access:  read_only
        .address_space:  global
        .offset:         32
        .size:           8
        .value_kind:     global_buffer
      - .actual_access:  read_only
        .address_space:  global
        .offset:         40
        .size:           8
        .value_kind:     global_buffer
      - .actual_access:  read_only
        .address_space:  global
        .offset:         48
        .size:           8
        .value_kind:     global_buffer
      - .offset:         56
        .size:           4
        .value_kind:     by_value
      - .actual_access:  read_only
        .address_space:  global
        .offset:         64
        .size:           8
        .value_kind:     global_buffer
      - .offset:         72
        .size:           4
        .value_kind:     by_value
      - .offset:         76
        .size:           4
        .value_kind:     by_value
      - .offset:         80
        .size:           4
        .value_kind:     by_value
      - .actual_access:  read_only
        .address_space:  global
        .offset:         88
        .size:           8
        .value_kind:     global_buffer
      - .actual_access:  read_only
        .address_space:  global
        .offset:         96
        .size:           8
        .value_kind:     global_buffer
      - .actual_access:  read_only
        .address_space:  global
        .offset:         104
        .size:           8
        .value_kind:     global_buffer
      - .actual_access:  read_only
        .address_space:  global
        .offset:         112
        .size:           8
        .value_kind:     global_buffer
      - .offset:         120
        .size:           4
        .value_kind:     by_value
      - .address_space:  global
        .offset:         128
        .size:           8
        .value_kind:     global_buffer
      - .address_space:  global
        .offset:         136
        .size:           8
        .value_kind:     global_buffer
      - .offset:         144
        .size:           4
        .value_kind:     hidden_block_count_x
      - .offset:         148
        .size:           4
        .value_kind:     hidden_block_count_y
      - .offset:         152
        .size:           4
        .value_kind:     hidden_block_count_z
      - .offset:         156
        .size:           2
        .value_kind:     hidden_group_size_x
      - .offset:         158
        .size:           2
        .value_kind:     hidden_group_size_y
      - .offset:         160
        .size:           2
        .value_kind:     hidden_group_size_z
      - .offset:         162
        .size:           2
        .value_kind:     hidden_remainder_x
      - .offset:         164
        .size:           2
        .value_kind:     hidden_remainder_y
      - .offset:         166
        .size:           2
        .value_kind:     hidden_remainder_z
      - .offset:         184
        .size:           8
        .value_kind:     hidden_global_offset_x
      - .offset:         192
        .size:           8
        .value_kind:     hidden_global_offset_y
      - .offset:         200
        .size:           8
        .value_kind:     hidden_global_offset_z
      - .offset:         208
        .size:           2
        .value_kind:     hidden_grid_dims
      - .offset:         224
        .size:           8
        .value_kind:     hidden_hostcall_buffer
    .group_segment_fixed_size: 0
    .kernarg_segment_align: 8
    .kernarg_segment_size: 400
    .language:       OpenCL C
    .language_version:
      - 2
      - 0
    .max_flat_workgroup_size: 256
    .name:           _Z39paged_attention_ll4mi_QKV_mfma16_kernelI14__hip_bfloat16hLN4vllm18Fp8KVCacheDataTypeE1EhLi16ELi64ELi256ELb0ELi3EEvPKT_PKT0_S8_ifPKiSA_SA_iPKfiiiPfSD_PS3_PT2_iSC_SC_
    .private_segment_fixed_size: 64
    .sgpr_count:     36
    .sgpr_spill_count: 0
    .symbol:         _Z39paged_attention_ll4mi_QKV_mfma16_kernelI14__hip_bfloat16hLN4vllm18Fp8KVCacheDataTypeE1EhLi16ELi64ELi256ELb0ELi3EEvPKT_PKT0_S8_ifPKiSA_SA_iPKfiiiPfSD_PS3_PT2_iSC_SC_.kd
    .uniform_work_group_size: 1
    .uses_dynamic_stack: false
    .vgpr_count:     51
    .vgpr_spill_count: 0
    .wavefront_size: 32
  - .args:
      - .actual_access:  read_only
        .address_space:  global
        .offset:         0
        .size:           8
        .value_kind:     global_buffer
      - .actual_access:  read_only
        .address_space:  global
        .offset:         8
        .size:           8
        .value_kind:     global_buffer
      - .actual_access:  read_only
        .address_space:  global
        .offset:         16
        .size:           8
        .value_kind:     global_buffer
      - .offset:         24
        .size:           4
        .value_kind:     by_value
      - .offset:         28
        .size:           4
        .value_kind:     by_value
      - .actual_access:  read_only
        .address_space:  global
        .offset:         32
        .size:           8
        .value_kind:     global_buffer
      - .actual_access:  read_only
        .address_space:  global
        .offset:         40
        .size:           8
        .value_kind:     global_buffer
      - .actual_access:  read_only
        .address_space:  global
        .offset:         48
        .size:           8
        .value_kind:     global_buffer
      - .offset:         56
        .size:           4
        .value_kind:     by_value
      - .actual_access:  read_only
        .address_space:  global
        .offset:         64
        .size:           8
        .value_kind:     global_buffer
      - .offset:         72
        .size:           4
        .value_kind:     by_value
      - .offset:         76
        .size:           4
        .value_kind:     by_value
      - .offset:         80
        .size:           4
        .value_kind:     by_value
      - .actual_access:  read_only
        .address_space:  global
        .offset:         88
        .size:           8
        .value_kind:     global_buffer
      - .actual_access:  read_only
        .address_space:  global
        .offset:         96
        .size:           8
        .value_kind:     global_buffer
      - .actual_access:  read_only
        .address_space:  global
        .offset:         104
        .size:           8
        .value_kind:     global_buffer
      - .actual_access:  read_only
        .address_space:  global
        .offset:         112
        .size:           8
        .value_kind:     global_buffer
      - .offset:         120
        .size:           4
        .value_kind:     by_value
      - .address_space:  global
        .offset:         128
        .size:           8
        .value_kind:     global_buffer
      - .address_space:  global
        .offset:         136
        .size:           8
        .value_kind:     global_buffer
      - .offset:         144
        .size:           4
        .value_kind:     hidden_block_count_x
      - .offset:         148
        .size:           4
        .value_kind:     hidden_block_count_y
      - .offset:         152
        .size:           4
        .value_kind:     hidden_block_count_z
      - .offset:         156
        .size:           2
        .value_kind:     hidden_group_size_x
      - .offset:         158
        .size:           2
        .value_kind:     hidden_group_size_y
      - .offset:         160
        .size:           2
        .value_kind:     hidden_group_size_z
      - .offset:         162
        .size:           2
        .value_kind:     hidden_remainder_x
      - .offset:         164
        .size:           2
        .value_kind:     hidden_remainder_y
      - .offset:         166
        .size:           2
        .value_kind:     hidden_remainder_z
      - .offset:         184
        .size:           8
        .value_kind:     hidden_global_offset_x
      - .offset:         192
        .size:           8
        .value_kind:     hidden_global_offset_y
      - .offset:         200
        .size:           8
        .value_kind:     hidden_global_offset_z
      - .offset:         208
        .size:           2
        .value_kind:     hidden_grid_dims
      - .offset:         224
        .size:           8
        .value_kind:     hidden_hostcall_buffer
    .group_segment_fixed_size: 0
    .kernarg_segment_align: 8
    .kernarg_segment_size: 400
    .language:       OpenCL C
    .language_version:
      - 2
      - 0
    .max_flat_workgroup_size: 256
    .name:           _Z39paged_attention_ll4mi_QKV_mfma16_kernelI14__hip_bfloat16hLN4vllm18Fp8KVCacheDataTypeE1EhLi16ELi64ELi256ELb0ELi4EEvPKT_PKT0_S8_ifPKiSA_SA_iPKfiiiPfSD_PS3_PT2_iSC_SC_
    .private_segment_fixed_size: 64
    .sgpr_count:     36
    .sgpr_spill_count: 0
    .symbol:         _Z39paged_attention_ll4mi_QKV_mfma16_kernelI14__hip_bfloat16hLN4vllm18Fp8KVCacheDataTypeE1EhLi16ELi64ELi256ELb0ELi4EEvPKT_PKT0_S8_ifPKiSA_SA_iPKfiiiPfSD_PS3_PT2_iSC_SC_.kd
    .uniform_work_group_size: 1
    .uses_dynamic_stack: false
    .vgpr_count:     51
    .vgpr_spill_count: 0
    .wavefront_size: 32
  - .args:
      - .actual_access:  read_only
        .address_space:  global
        .offset:         0
        .size:           8
        .value_kind:     global_buffer
      - .actual_access:  read_only
        .address_space:  global
        .offset:         8
        .size:           8
        .value_kind:     global_buffer
      - .actual_access:  read_only
        .address_space:  global
        .offset:         16
        .size:           8
        .value_kind:     global_buffer
      - .offset:         24
        .size:           4
        .value_kind:     by_value
      - .offset:         28
        .size:           4
        .value_kind:     by_value
      - .actual_access:  read_only
        .address_space:  global
        .offset:         32
        .size:           8
        .value_kind:     global_buffer
      - .actual_access:  read_only
        .address_space:  global
        .offset:         40
        .size:           8
        .value_kind:     global_buffer
      - .actual_access:  read_only
        .address_space:  global
        .offset:         48
        .size:           8
        .value_kind:     global_buffer
      - .offset:         56
        .size:           4
        .value_kind:     by_value
      - .actual_access:  read_only
        .address_space:  global
        .offset:         64
        .size:           8
        .value_kind:     global_buffer
      - .offset:         72
        .size:           4
        .value_kind:     by_value
      - .offset:         76
        .size:           4
        .value_kind:     by_value
      - .offset:         80
        .size:           4
        .value_kind:     by_value
      - .actual_access:  read_only
        .address_space:  global
        .offset:         88
        .size:           8
        .value_kind:     global_buffer
      - .actual_access:  read_only
        .address_space:  global
        .offset:         96
        .size:           8
        .value_kind:     global_buffer
      - .actual_access:  read_only
        .address_space:  global
        .offset:         104
        .size:           8
        .value_kind:     global_buffer
      - .actual_access:  read_only
        .address_space:  global
        .offset:         112
        .size:           8
        .value_kind:     global_buffer
      - .offset:         120
        .size:           4
        .value_kind:     by_value
      - .address_space:  global
        .offset:         128
        .size:           8
        .value_kind:     global_buffer
      - .address_space:  global
        .offset:         136
        .size:           8
        .value_kind:     global_buffer
      - .offset:         144
        .size:           4
        .value_kind:     hidden_block_count_x
      - .offset:         148
        .size:           4
        .value_kind:     hidden_block_count_y
      - .offset:         152
        .size:           4
        .value_kind:     hidden_block_count_z
      - .offset:         156
        .size:           2
        .value_kind:     hidden_group_size_x
      - .offset:         158
        .size:           2
        .value_kind:     hidden_group_size_y
      - .offset:         160
        .size:           2
        .value_kind:     hidden_group_size_z
      - .offset:         162
        .size:           2
        .value_kind:     hidden_remainder_x
      - .offset:         164
        .size:           2
        .value_kind:     hidden_remainder_y
      - .offset:         166
        .size:           2
        .value_kind:     hidden_remainder_z
      - .offset:         184
        .size:           8
        .value_kind:     hidden_global_offset_x
      - .offset:         192
        .size:           8
        .value_kind:     hidden_global_offset_y
      - .offset:         200
        .size:           8
        .value_kind:     hidden_global_offset_z
      - .offset:         208
        .size:           2
        .value_kind:     hidden_grid_dims
      - .offset:         224
        .size:           8
        .value_kind:     hidden_hostcall_buffer
    .group_segment_fixed_size: 0
    .kernarg_segment_align: 8
    .kernarg_segment_size: 400
    .language:       OpenCL C
    .language_version:
      - 2
      - 0
    .max_flat_workgroup_size: 256
    .name:           _Z38paged_attention_ll4mi_QKV_mfma4_kernelI14__hip_bfloat16hLN4vllm18Fp8KVCacheDataTypeE1ES0_Li16ELi64ELi256ELb1ELi1EEvPKT_PKT0_S8_ifPKiSA_SA_iPKfiiiPfSD_PS3_PT2_iSC_SC_
    .private_segment_fixed_size: 64
    .sgpr_count:     36
    .sgpr_spill_count: 0
    .symbol:         _Z38paged_attention_ll4mi_QKV_mfma4_kernelI14__hip_bfloat16hLN4vllm18Fp8KVCacheDataTypeE1ES0_Li16ELi64ELi256ELb1ELi1EEvPKT_PKT0_S8_ifPKiSA_SA_iPKfiiiPfSD_PS3_PT2_iSC_SC_.kd
    .uniform_work_group_size: 1
    .uses_dynamic_stack: false
    .vgpr_count:     51
    .vgpr_spill_count: 0
    .wavefront_size: 32
  - .args:
      - .actual_access:  read_only
        .address_space:  global
        .offset:         0
        .size:           8
        .value_kind:     global_buffer
      - .actual_access:  read_only
        .address_space:  global
        .offset:         8
        .size:           8
        .value_kind:     global_buffer
      - .actual_access:  read_only
        .address_space:  global
        .offset:         16
        .size:           8
        .value_kind:     global_buffer
      - .offset:         24
        .size:           4
        .value_kind:     by_value
      - .offset:         28
        .size:           4
        .value_kind:     by_value
      - .actual_access:  read_only
        .address_space:  global
        .offset:         32
        .size:           8
        .value_kind:     global_buffer
      - .actual_access:  read_only
        .address_space:  global
        .offset:         40
        .size:           8
        .value_kind:     global_buffer
      - .actual_access:  read_only
        .address_space:  global
        .offset:         48
        .size:           8
        .value_kind:     global_buffer
      - .offset:         56
        .size:           4
        .value_kind:     by_value
      - .actual_access:  read_only
        .address_space:  global
        .offset:         64
        .size:           8
        .value_kind:     global_buffer
      - .offset:         72
        .size:           4
        .value_kind:     by_value
      - .offset:         76
        .size:           4
        .value_kind:     by_value
      - .offset:         80
        .size:           4
        .value_kind:     by_value
      - .actual_access:  read_only
        .address_space:  global
        .offset:         88
        .size:           8
        .value_kind:     global_buffer
      - .actual_access:  read_only
        .address_space:  global
        .offset:         96
        .size:           8
        .value_kind:     global_buffer
      - .actual_access:  read_only
        .address_space:  global
        .offset:         104
        .size:           8
        .value_kind:     global_buffer
      - .actual_access:  read_only
        .address_space:  global
        .offset:         112
        .size:           8
        .value_kind:     global_buffer
      - .offset:         120
        .size:           4
        .value_kind:     by_value
      - .address_space:  global
        .offset:         128
        .size:           8
        .value_kind:     global_buffer
      - .address_space:  global
        .offset:         136
        .size:           8
        .value_kind:     global_buffer
      - .offset:         144
        .size:           4
        .value_kind:     hidden_block_count_x
      - .offset:         148
        .size:           4
        .value_kind:     hidden_block_count_y
      - .offset:         152
        .size:           4
        .value_kind:     hidden_block_count_z
      - .offset:         156
        .size:           2
        .value_kind:     hidden_group_size_x
      - .offset:         158
        .size:           2
        .value_kind:     hidden_group_size_y
      - .offset:         160
        .size:           2
        .value_kind:     hidden_group_size_z
      - .offset:         162
        .size:           2
        .value_kind:     hidden_remainder_x
      - .offset:         164
        .size:           2
        .value_kind:     hidden_remainder_y
      - .offset:         166
        .size:           2
        .value_kind:     hidden_remainder_z
      - .offset:         184
        .size:           8
        .value_kind:     hidden_global_offset_x
      - .offset:         192
        .size:           8
        .value_kind:     hidden_global_offset_y
      - .offset:         200
        .size:           8
        .value_kind:     hidden_global_offset_z
      - .offset:         208
        .size:           2
        .value_kind:     hidden_grid_dims
      - .offset:         224
        .size:           8
        .value_kind:     hidden_hostcall_buffer
    .group_segment_fixed_size: 0
    .kernarg_segment_align: 8
    .kernarg_segment_size: 400
    .language:       OpenCL C
    .language_version:
      - 2
      - 0
    .max_flat_workgroup_size: 256
    .name:           _Z38paged_attention_ll4mi_QKV_mfma4_kernelI14__hip_bfloat16hLN4vllm18Fp8KVCacheDataTypeE1ES0_Li16ELi64ELi256ELb1ELi2EEvPKT_PKT0_S8_ifPKiSA_SA_iPKfiiiPfSD_PS3_PT2_iSC_SC_
    .private_segment_fixed_size: 64
    .sgpr_count:     36
    .sgpr_spill_count: 0
    .symbol:         _Z38paged_attention_ll4mi_QKV_mfma4_kernelI14__hip_bfloat16hLN4vllm18Fp8KVCacheDataTypeE1ES0_Li16ELi64ELi256ELb1ELi2EEvPKT_PKT0_S8_ifPKiSA_SA_iPKfiiiPfSD_PS3_PT2_iSC_SC_.kd
    .uniform_work_group_size: 1
    .uses_dynamic_stack: false
    .vgpr_count:     51
    .vgpr_spill_count: 0
    .wavefront_size: 32
  - .args:
      - .actual_access:  read_only
        .address_space:  global
        .offset:         0
        .size:           8
        .value_kind:     global_buffer
      - .actual_access:  read_only
        .address_space:  global
        .offset:         8
        .size:           8
        .value_kind:     global_buffer
      - .actual_access:  read_only
        .address_space:  global
        .offset:         16
        .size:           8
        .value_kind:     global_buffer
      - .offset:         24
        .size:           4
        .value_kind:     by_value
      - .offset:         28
        .size:           4
        .value_kind:     by_value
      - .actual_access:  read_only
        .address_space:  global
        .offset:         32
        .size:           8
        .value_kind:     global_buffer
      - .actual_access:  read_only
        .address_space:  global
        .offset:         40
        .size:           8
        .value_kind:     global_buffer
      - .actual_access:  read_only
        .address_space:  global
        .offset:         48
        .size:           8
        .value_kind:     global_buffer
      - .offset:         56
        .size:           4
        .value_kind:     by_value
      - .actual_access:  read_only
        .address_space:  global
        .offset:         64
        .size:           8
        .value_kind:     global_buffer
      - .offset:         72
        .size:           4
        .value_kind:     by_value
      - .offset:         76
        .size:           4
        .value_kind:     by_value
      - .offset:         80
        .size:           4
        .value_kind:     by_value
      - .actual_access:  read_only
        .address_space:  global
        .offset:         88
        .size:           8
        .value_kind:     global_buffer
      - .actual_access:  read_only
        .address_space:  global
        .offset:         96
        .size:           8
        .value_kind:     global_buffer
      - .actual_access:  read_only
        .address_space:  global
        .offset:         104
        .size:           8
        .value_kind:     global_buffer
      - .actual_access:  read_only
        .address_space:  global
        .offset:         112
        .size:           8
        .value_kind:     global_buffer
      - .offset:         120
        .size:           4
        .value_kind:     by_value
      - .address_space:  global
        .offset:         128
        .size:           8
        .value_kind:     global_buffer
      - .address_space:  global
        .offset:         136
        .size:           8
        .value_kind:     global_buffer
      - .offset:         144
        .size:           4
        .value_kind:     hidden_block_count_x
      - .offset:         148
        .size:           4
        .value_kind:     hidden_block_count_y
      - .offset:         152
        .size:           4
        .value_kind:     hidden_block_count_z
      - .offset:         156
        .size:           2
        .value_kind:     hidden_group_size_x
      - .offset:         158
        .size:           2
        .value_kind:     hidden_group_size_y
      - .offset:         160
        .size:           2
        .value_kind:     hidden_group_size_z
      - .offset:         162
        .size:           2
        .value_kind:     hidden_remainder_x
      - .offset:         164
        .size:           2
        .value_kind:     hidden_remainder_y
      - .offset:         166
        .size:           2
        .value_kind:     hidden_remainder_z
      - .offset:         184
        .size:           8
        .value_kind:     hidden_global_offset_x
      - .offset:         192
        .size:           8
        .value_kind:     hidden_global_offset_y
      - .offset:         200
        .size:           8
        .value_kind:     hidden_global_offset_z
      - .offset:         208
        .size:           2
        .value_kind:     hidden_grid_dims
      - .offset:         224
        .size:           8
        .value_kind:     hidden_hostcall_buffer
    .group_segment_fixed_size: 0
    .kernarg_segment_align: 8
    .kernarg_segment_size: 400
    .language:       OpenCL C
    .language_version:
      - 2
      - 0
    .max_flat_workgroup_size: 256
    .name:           _Z38paged_attention_ll4mi_QKV_mfma4_kernelI14__hip_bfloat16hLN4vllm18Fp8KVCacheDataTypeE1ES0_Li16ELi64ELi256ELb1ELi3EEvPKT_PKT0_S8_ifPKiSA_SA_iPKfiiiPfSD_PS3_PT2_iSC_SC_
    .private_segment_fixed_size: 64
    .sgpr_count:     36
    .sgpr_spill_count: 0
    .symbol:         _Z38paged_attention_ll4mi_QKV_mfma4_kernelI14__hip_bfloat16hLN4vllm18Fp8KVCacheDataTypeE1ES0_Li16ELi64ELi256ELb1ELi3EEvPKT_PKT0_S8_ifPKiSA_SA_iPKfiiiPfSD_PS3_PT2_iSC_SC_.kd
    .uniform_work_group_size: 1
    .uses_dynamic_stack: false
    .vgpr_count:     51
    .vgpr_spill_count: 0
    .wavefront_size: 32
  - .args:
      - .actual_access:  read_only
        .address_space:  global
        .offset:         0
        .size:           8
        .value_kind:     global_buffer
      - .actual_access:  read_only
        .address_space:  global
        .offset:         8
        .size:           8
        .value_kind:     global_buffer
      - .actual_access:  read_only
        .address_space:  global
        .offset:         16
        .size:           8
        .value_kind:     global_buffer
      - .offset:         24
        .size:           4
        .value_kind:     by_value
      - .offset:         28
        .size:           4
        .value_kind:     by_value
      - .actual_access:  read_only
        .address_space:  global
        .offset:         32
        .size:           8
        .value_kind:     global_buffer
      - .actual_access:  read_only
        .address_space:  global
        .offset:         40
        .size:           8
        .value_kind:     global_buffer
      - .actual_access:  read_only
        .address_space:  global
        .offset:         48
        .size:           8
        .value_kind:     global_buffer
      - .offset:         56
        .size:           4
        .value_kind:     by_value
      - .actual_access:  read_only
        .address_space:  global
        .offset:         64
        .size:           8
        .value_kind:     global_buffer
      - .offset:         72
        .size:           4
        .value_kind:     by_value
      - .offset:         76
        .size:           4
        .value_kind:     by_value
      - .offset:         80
        .size:           4
        .value_kind:     by_value
      - .actual_access:  read_only
        .address_space:  global
        .offset:         88
        .size:           8
        .value_kind:     global_buffer
      - .actual_access:  read_only
        .address_space:  global
        .offset:         96
        .size:           8
        .value_kind:     global_buffer
      - .actual_access:  read_only
        .address_space:  global
        .offset:         104
        .size:           8
        .value_kind:     global_buffer
      - .actual_access:  read_only
        .address_space:  global
        .offset:         112
        .size:           8
        .value_kind:     global_buffer
      - .offset:         120
        .size:           4
        .value_kind:     by_value
      - .address_space:  global
        .offset:         128
        .size:           8
        .value_kind:     global_buffer
      - .address_space:  global
        .offset:         136
        .size:           8
        .value_kind:     global_buffer
      - .offset:         144
        .size:           4
        .value_kind:     hidden_block_count_x
      - .offset:         148
        .size:           4
        .value_kind:     hidden_block_count_y
      - .offset:         152
        .size:           4
        .value_kind:     hidden_block_count_z
      - .offset:         156
        .size:           2
        .value_kind:     hidden_group_size_x
      - .offset:         158
        .size:           2
        .value_kind:     hidden_group_size_y
      - .offset:         160
        .size:           2
        .value_kind:     hidden_group_size_z
      - .offset:         162
        .size:           2
        .value_kind:     hidden_remainder_x
      - .offset:         164
        .size:           2
        .value_kind:     hidden_remainder_y
      - .offset:         166
        .size:           2
        .value_kind:     hidden_remainder_z
      - .offset:         184
        .size:           8
        .value_kind:     hidden_global_offset_x
      - .offset:         192
        .size:           8
        .value_kind:     hidden_global_offset_y
      - .offset:         200
        .size:           8
        .value_kind:     hidden_global_offset_z
      - .offset:         208
        .size:           2
        .value_kind:     hidden_grid_dims
      - .offset:         224
        .size:           8
        .value_kind:     hidden_hostcall_buffer
    .group_segment_fixed_size: 0
    .kernarg_segment_align: 8
    .kernarg_segment_size: 400
    .language:       OpenCL C
    .language_version:
      - 2
      - 0
    .max_flat_workgroup_size: 256
    .name:           _Z38paged_attention_ll4mi_QKV_mfma4_kernelI14__hip_bfloat16hLN4vllm18Fp8KVCacheDataTypeE1ES0_Li16ELi64ELi256ELb1ELi4EEvPKT_PKT0_S8_ifPKiSA_SA_iPKfiiiPfSD_PS3_PT2_iSC_SC_
    .private_segment_fixed_size: 64
    .sgpr_count:     36
    .sgpr_spill_count: 0
    .symbol:         _Z38paged_attention_ll4mi_QKV_mfma4_kernelI14__hip_bfloat16hLN4vllm18Fp8KVCacheDataTypeE1ES0_Li16ELi64ELi256ELb1ELi4EEvPKT_PKT0_S8_ifPKiSA_SA_iPKfiiiPfSD_PS3_PT2_iSC_SC_.kd
    .uniform_work_group_size: 1
    .uses_dynamic_stack: false
    .vgpr_count:     51
    .vgpr_spill_count: 0
    .wavefront_size: 32
  - .args:
      - .actual_access:  read_only
        .address_space:  global
        .offset:         0
        .size:           8
        .value_kind:     global_buffer
      - .actual_access:  read_only
        .address_space:  global
        .offset:         8
        .size:           8
        .value_kind:     global_buffer
      - .actual_access:  read_only
        .address_space:  global
        .offset:         16
        .size:           8
        .value_kind:     global_buffer
      - .offset:         24
        .size:           4
        .value_kind:     by_value
      - .offset:         28
        .size:           4
        .value_kind:     by_value
      - .actual_access:  read_only
        .address_space:  global
        .offset:         32
        .size:           8
        .value_kind:     global_buffer
      - .actual_access:  read_only
        .address_space:  global
        .offset:         40
        .size:           8
        .value_kind:     global_buffer
      - .actual_access:  read_only
        .address_space:  global
        .offset:         48
        .size:           8
        .value_kind:     global_buffer
      - .offset:         56
        .size:           4
        .value_kind:     by_value
      - .actual_access:  read_only
        .address_space:  global
        .offset:         64
        .size:           8
        .value_kind:     global_buffer
      - .offset:         72
        .size:           4
        .value_kind:     by_value
      - .offset:         76
        .size:           4
        .value_kind:     by_value
      - .offset:         80
        .size:           4
        .value_kind:     by_value
      - .actual_access:  read_only
        .address_space:  global
        .offset:         88
        .size:           8
        .value_kind:     global_buffer
      - .actual_access:  read_only
        .address_space:  global
        .offset:         96
        .size:           8
        .value_kind:     global_buffer
      - .actual_access:  read_only
        .address_space:  global
        .offset:         104
        .size:           8
        .value_kind:     global_buffer
      - .actual_access:  read_only
        .address_space:  global
        .offset:         112
        .size:           8
        .value_kind:     global_buffer
      - .offset:         120
        .size:           4
        .value_kind:     by_value
      - .address_space:  global
        .offset:         128
        .size:           8
        .value_kind:     global_buffer
      - .address_space:  global
        .offset:         136
        .size:           8
        .value_kind:     global_buffer
      - .offset:         144
        .size:           4
        .value_kind:     hidden_block_count_x
      - .offset:         148
        .size:           4
        .value_kind:     hidden_block_count_y
      - .offset:         152
        .size:           4
        .value_kind:     hidden_block_count_z
      - .offset:         156
        .size:           2
        .value_kind:     hidden_group_size_x
      - .offset:         158
        .size:           2
        .value_kind:     hidden_group_size_y
      - .offset:         160
        .size:           2
        .value_kind:     hidden_group_size_z
      - .offset:         162
        .size:           2
        .value_kind:     hidden_remainder_x
      - .offset:         164
        .size:           2
        .value_kind:     hidden_remainder_y
      - .offset:         166
        .size:           2
        .value_kind:     hidden_remainder_z
      - .offset:         184
        .size:           8
        .value_kind:     hidden_global_offset_x
      - .offset:         192
        .size:           8
        .value_kind:     hidden_global_offset_y
      - .offset:         200
        .size:           8
        .value_kind:     hidden_global_offset_z
      - .offset:         208
        .size:           2
        .value_kind:     hidden_grid_dims
      - .offset:         224
        .size:           8
        .value_kind:     hidden_hostcall_buffer
    .group_segment_fixed_size: 0
    .kernarg_segment_align: 8
    .kernarg_segment_size: 400
    .language:       OpenCL C
    .language_version:
      - 2
      - 0
    .max_flat_workgroup_size: 256
    .name:           _Z39paged_attention_ll4mi_QKV_mfma16_kernelI14__hip_bfloat16hLN4vllm18Fp8KVCacheDataTypeE1ES0_Li16ELi64ELi256ELb1ELi5EEvPKT_PKT0_S8_ifPKiSA_SA_iPKfiiiPfSD_PS3_PT2_iSC_SC_
    .private_segment_fixed_size: 64
    .sgpr_count:     36
    .sgpr_spill_count: 0
    .symbol:         _Z39paged_attention_ll4mi_QKV_mfma16_kernelI14__hip_bfloat16hLN4vllm18Fp8KVCacheDataTypeE1ES0_Li16ELi64ELi256ELb1ELi5EEvPKT_PKT0_S8_ifPKiSA_SA_iPKfiiiPfSD_PS3_PT2_iSC_SC_.kd
    .uniform_work_group_size: 1
    .uses_dynamic_stack: false
    .vgpr_count:     51
    .vgpr_spill_count: 0
    .wavefront_size: 32
  - .args:
      - .actual_access:  read_only
        .address_space:  global
        .offset:         0
        .size:           8
        .value_kind:     global_buffer
      - .actual_access:  read_only
        .address_space:  global
        .offset:         8
        .size:           8
        .value_kind:     global_buffer
      - .actual_access:  read_only
        .address_space:  global
        .offset:         16
        .size:           8
        .value_kind:     global_buffer
      - .offset:         24
        .size:           4
        .value_kind:     by_value
      - .offset:         28
        .size:           4
        .value_kind:     by_value
      - .actual_access:  read_only
        .address_space:  global
        .offset:         32
        .size:           8
        .value_kind:     global_buffer
      - .actual_access:  read_only
        .address_space:  global
        .offset:         40
        .size:           8
        .value_kind:     global_buffer
      - .actual_access:  read_only
        .address_space:  global
        .offset:         48
        .size:           8
        .value_kind:     global_buffer
      - .offset:         56
        .size:           4
        .value_kind:     by_value
      - .actual_access:  read_only
        .address_space:  global
        .offset:         64
        .size:           8
        .value_kind:     global_buffer
      - .offset:         72
        .size:           4
        .value_kind:     by_value
      - .offset:         76
        .size:           4
        .value_kind:     by_value
      - .offset:         80
        .size:           4
        .value_kind:     by_value
      - .actual_access:  read_only
        .address_space:  global
        .offset:         88
        .size:           8
        .value_kind:     global_buffer
      - .actual_access:  read_only
        .address_space:  global
        .offset:         96
        .size:           8
        .value_kind:     global_buffer
      - .actual_access:  read_only
        .address_space:  global
        .offset:         104
        .size:           8
        .value_kind:     global_buffer
      - .actual_access:  read_only
        .address_space:  global
        .offset:         112
        .size:           8
        .value_kind:     global_buffer
      - .offset:         120
        .size:           4
        .value_kind:     by_value
      - .address_space:  global
        .offset:         128
        .size:           8
        .value_kind:     global_buffer
      - .address_space:  global
        .offset:         136
        .size:           8
        .value_kind:     global_buffer
      - .offset:         144
        .size:           4
        .value_kind:     hidden_block_count_x
      - .offset:         148
        .size:           4
        .value_kind:     hidden_block_count_y
      - .offset:         152
        .size:           4
        .value_kind:     hidden_block_count_z
      - .offset:         156
        .size:           2
        .value_kind:     hidden_group_size_x
      - .offset:         158
        .size:           2
        .value_kind:     hidden_group_size_y
      - .offset:         160
        .size:           2
        .value_kind:     hidden_group_size_z
      - .offset:         162
        .size:           2
        .value_kind:     hidden_remainder_x
      - .offset:         164
        .size:           2
        .value_kind:     hidden_remainder_y
      - .offset:         166
        .size:           2
        .value_kind:     hidden_remainder_z
      - .offset:         184
        .size:           8
        .value_kind:     hidden_global_offset_x
      - .offset:         192
        .size:           8
        .value_kind:     hidden_global_offset_y
      - .offset:         200
        .size:           8
        .value_kind:     hidden_global_offset_z
      - .offset:         208
        .size:           2
        .value_kind:     hidden_grid_dims
      - .offset:         224
        .size:           8
        .value_kind:     hidden_hostcall_buffer
    .group_segment_fixed_size: 0
    .kernarg_segment_align: 8
    .kernarg_segment_size: 400
    .language:       OpenCL C
    .language_version:
      - 2
      - 0
    .max_flat_workgroup_size: 256
    .name:           _Z39paged_attention_ll4mi_QKV_mfma16_kernelI14__hip_bfloat16hLN4vllm18Fp8KVCacheDataTypeE1ES0_Li16ELi64ELi256ELb1ELi6EEvPKT_PKT0_S8_ifPKiSA_SA_iPKfiiiPfSD_PS3_PT2_iSC_SC_
    .private_segment_fixed_size: 64
    .sgpr_count:     36
    .sgpr_spill_count: 0
    .symbol:         _Z39paged_attention_ll4mi_QKV_mfma16_kernelI14__hip_bfloat16hLN4vllm18Fp8KVCacheDataTypeE1ES0_Li16ELi64ELi256ELb1ELi6EEvPKT_PKT0_S8_ifPKiSA_SA_iPKfiiiPfSD_PS3_PT2_iSC_SC_.kd
    .uniform_work_group_size: 1
    .uses_dynamic_stack: false
    .vgpr_count:     51
    .vgpr_spill_count: 0
    .wavefront_size: 32
  - .args:
      - .actual_access:  read_only
        .address_space:  global
        .offset:         0
        .size:           8
        .value_kind:     global_buffer
      - .actual_access:  read_only
        .address_space:  global
        .offset:         8
        .size:           8
        .value_kind:     global_buffer
      - .actual_access:  read_only
        .address_space:  global
        .offset:         16
        .size:           8
        .value_kind:     global_buffer
      - .offset:         24
        .size:           4
        .value_kind:     by_value
      - .offset:         28
        .size:           4
        .value_kind:     by_value
      - .actual_access:  read_only
        .address_space:  global
        .offset:         32
        .size:           8
        .value_kind:     global_buffer
      - .actual_access:  read_only
        .address_space:  global
        .offset:         40
        .size:           8
        .value_kind:     global_buffer
      - .actual_access:  read_only
        .address_space:  global
        .offset:         48
        .size:           8
        .value_kind:     global_buffer
      - .offset:         56
        .size:           4
        .value_kind:     by_value
      - .actual_access:  read_only
        .address_space:  global
        .offset:         64
        .size:           8
        .value_kind:     global_buffer
      - .offset:         72
        .size:           4
        .value_kind:     by_value
      - .offset:         76
        .size:           4
        .value_kind:     by_value
      - .offset:         80
        .size:           4
        .value_kind:     by_value
      - .actual_access:  read_only
        .address_space:  global
        .offset:         88
        .size:           8
        .value_kind:     global_buffer
      - .actual_access:  read_only
        .address_space:  global
        .offset:         96
        .size:           8
        .value_kind:     global_buffer
      - .actual_access:  read_only
        .address_space:  global
        .offset:         104
        .size:           8
        .value_kind:     global_buffer
      - .actual_access:  read_only
        .address_space:  global
        .offset:         112
        .size:           8
        .value_kind:     global_buffer
      - .offset:         120
        .size:           4
        .value_kind:     by_value
      - .address_space:  global
        .offset:         128
        .size:           8
        .value_kind:     global_buffer
      - .address_space:  global
        .offset:         136
        .size:           8
        .value_kind:     global_buffer
      - .offset:         144
        .size:           4
        .value_kind:     hidden_block_count_x
      - .offset:         148
        .size:           4
        .value_kind:     hidden_block_count_y
      - .offset:         152
        .size:           4
        .value_kind:     hidden_block_count_z
      - .offset:         156
        .size:           2
        .value_kind:     hidden_group_size_x
      - .offset:         158
        .size:           2
        .value_kind:     hidden_group_size_y
      - .offset:         160
        .size:           2
        .value_kind:     hidden_group_size_z
      - .offset:         162
        .size:           2
        .value_kind:     hidden_remainder_x
      - .offset:         164
        .size:           2
        .value_kind:     hidden_remainder_y
      - .offset:         166
        .size:           2
        .value_kind:     hidden_remainder_z
      - .offset:         184
        .size:           8
        .value_kind:     hidden_global_offset_x
      - .offset:         192
        .size:           8
        .value_kind:     hidden_global_offset_y
      - .offset:         200
        .size:           8
        .value_kind:     hidden_global_offset_z
      - .offset:         208
        .size:           2
        .value_kind:     hidden_grid_dims
      - .offset:         224
        .size:           8
        .value_kind:     hidden_hostcall_buffer
    .group_segment_fixed_size: 0
    .kernarg_segment_align: 8
    .kernarg_segment_size: 400
    .language:       OpenCL C
    .language_version:
      - 2
      - 0
    .max_flat_workgroup_size: 256
    .name:           _Z39paged_attention_ll4mi_QKV_mfma16_kernelI14__hip_bfloat16hLN4vllm18Fp8KVCacheDataTypeE1ES0_Li16ELi64ELi256ELb1ELi7EEvPKT_PKT0_S8_ifPKiSA_SA_iPKfiiiPfSD_PS3_PT2_iSC_SC_
    .private_segment_fixed_size: 64
    .sgpr_count:     36
    .sgpr_spill_count: 0
    .symbol:         _Z39paged_attention_ll4mi_QKV_mfma16_kernelI14__hip_bfloat16hLN4vllm18Fp8KVCacheDataTypeE1ES0_Li16ELi64ELi256ELb1ELi7EEvPKT_PKT0_S8_ifPKiSA_SA_iPKfiiiPfSD_PS3_PT2_iSC_SC_.kd
    .uniform_work_group_size: 1
    .uses_dynamic_stack: false
    .vgpr_count:     51
    .vgpr_spill_count: 0
    .wavefront_size: 32
  - .args:
      - .actual_access:  read_only
        .address_space:  global
        .offset:         0
        .size:           8
        .value_kind:     global_buffer
      - .actual_access:  read_only
        .address_space:  global
        .offset:         8
        .size:           8
        .value_kind:     global_buffer
      - .actual_access:  read_only
        .address_space:  global
        .offset:         16
        .size:           8
        .value_kind:     global_buffer
      - .offset:         24
        .size:           4
        .value_kind:     by_value
      - .offset:         28
        .size:           4
        .value_kind:     by_value
      - .actual_access:  read_only
        .address_space:  global
        .offset:         32
        .size:           8
        .value_kind:     global_buffer
      - .actual_access:  read_only
        .address_space:  global
        .offset:         40
        .size:           8
        .value_kind:     global_buffer
      - .actual_access:  read_only
        .address_space:  global
        .offset:         48
        .size:           8
        .value_kind:     global_buffer
      - .offset:         56
        .size:           4
        .value_kind:     by_value
      - .actual_access:  read_only
        .address_space:  global
        .offset:         64
        .size:           8
        .value_kind:     global_buffer
      - .offset:         72
        .size:           4
        .value_kind:     by_value
      - .offset:         76
        .size:           4
        .value_kind:     by_value
      - .offset:         80
        .size:           4
        .value_kind:     by_value
      - .actual_access:  read_only
        .address_space:  global
        .offset:         88
        .size:           8
        .value_kind:     global_buffer
      - .actual_access:  read_only
        .address_space:  global
        .offset:         96
        .size:           8
        .value_kind:     global_buffer
      - .actual_access:  read_only
        .address_space:  global
        .offset:         104
        .size:           8
        .value_kind:     global_buffer
      - .actual_access:  read_only
        .address_space:  global
        .offset:         112
        .size:           8
        .value_kind:     global_buffer
      - .offset:         120
        .size:           4
        .value_kind:     by_value
      - .address_space:  global
        .offset:         128
        .size:           8
        .value_kind:     global_buffer
      - .address_space:  global
        .offset:         136
        .size:           8
        .value_kind:     global_buffer
      - .offset:         144
        .size:           4
        .value_kind:     hidden_block_count_x
      - .offset:         148
        .size:           4
        .value_kind:     hidden_block_count_y
      - .offset:         152
        .size:           4
        .value_kind:     hidden_block_count_z
      - .offset:         156
        .size:           2
        .value_kind:     hidden_group_size_x
      - .offset:         158
        .size:           2
        .value_kind:     hidden_group_size_y
      - .offset:         160
        .size:           2
        .value_kind:     hidden_group_size_z
      - .offset:         162
        .size:           2
        .value_kind:     hidden_remainder_x
      - .offset:         164
        .size:           2
        .value_kind:     hidden_remainder_y
      - .offset:         166
        .size:           2
        .value_kind:     hidden_remainder_z
      - .offset:         184
        .size:           8
        .value_kind:     hidden_global_offset_x
      - .offset:         192
        .size:           8
        .value_kind:     hidden_global_offset_y
      - .offset:         200
        .size:           8
        .value_kind:     hidden_global_offset_z
      - .offset:         208
        .size:           2
        .value_kind:     hidden_grid_dims
      - .offset:         224
        .size:           8
        .value_kind:     hidden_hostcall_buffer
    .group_segment_fixed_size: 0
    .kernarg_segment_align: 8
    .kernarg_segment_size: 400
    .language:       OpenCL C
    .language_version:
      - 2
      - 0
    .max_flat_workgroup_size: 256
    .name:           _Z39paged_attention_ll4mi_QKV_mfma16_kernelI14__hip_bfloat16hLN4vllm18Fp8KVCacheDataTypeE1ES0_Li16ELi64ELi256ELb1ELi8EEvPKT_PKT0_S8_ifPKiSA_SA_iPKfiiiPfSD_PS3_PT2_iSC_SC_
    .private_segment_fixed_size: 64
    .sgpr_count:     36
    .sgpr_spill_count: 0
    .symbol:         _Z39paged_attention_ll4mi_QKV_mfma16_kernelI14__hip_bfloat16hLN4vllm18Fp8KVCacheDataTypeE1ES0_Li16ELi64ELi256ELb1ELi8EEvPKT_PKT0_S8_ifPKiSA_SA_iPKfiiiPfSD_PS3_PT2_iSC_SC_.kd
    .uniform_work_group_size: 1
    .uses_dynamic_stack: false
    .vgpr_count:     51
    .vgpr_spill_count: 0
    .wavefront_size: 32
  - .args:
      - .actual_access:  read_only
        .address_space:  global
        .offset:         0
        .size:           8
        .value_kind:     global_buffer
      - .actual_access:  read_only
        .address_space:  global
        .offset:         8
        .size:           8
        .value_kind:     global_buffer
      - .actual_access:  read_only
        .address_space:  global
        .offset:         16
        .size:           8
        .value_kind:     global_buffer
      - .offset:         24
        .size:           4
        .value_kind:     by_value
      - .offset:         28
        .size:           4
        .value_kind:     by_value
      - .actual_access:  read_only
        .address_space:  global
        .offset:         32
        .size:           8
        .value_kind:     global_buffer
      - .actual_access:  read_only
        .address_space:  global
        .offset:         40
        .size:           8
        .value_kind:     global_buffer
      - .actual_access:  read_only
        .address_space:  global
        .offset:         48
        .size:           8
        .value_kind:     global_buffer
      - .offset:         56
        .size:           4
        .value_kind:     by_value
      - .actual_access:  read_only
        .address_space:  global
        .offset:         64
        .size:           8
        .value_kind:     global_buffer
      - .offset:         72
        .size:           4
        .value_kind:     by_value
      - .offset:         76
        .size:           4
        .value_kind:     by_value
      - .offset:         80
        .size:           4
        .value_kind:     by_value
      - .actual_access:  read_only
        .address_space:  global
        .offset:         88
        .size:           8
        .value_kind:     global_buffer
      - .actual_access:  read_only
        .address_space:  global
        .offset:         96
        .size:           8
        .value_kind:     global_buffer
      - .actual_access:  read_only
        .address_space:  global
        .offset:         104
        .size:           8
        .value_kind:     global_buffer
      - .actual_access:  read_only
        .address_space:  global
        .offset:         112
        .size:           8
        .value_kind:     global_buffer
      - .offset:         120
        .size:           4
        .value_kind:     by_value
      - .address_space:  global
        .offset:         128
        .size:           8
        .value_kind:     global_buffer
      - .address_space:  global
        .offset:         136
        .size:           8
        .value_kind:     global_buffer
      - .offset:         144
        .size:           4
        .value_kind:     hidden_block_count_x
      - .offset:         148
        .size:           4
        .value_kind:     hidden_block_count_y
      - .offset:         152
        .size:           4
        .value_kind:     hidden_block_count_z
      - .offset:         156
        .size:           2
        .value_kind:     hidden_group_size_x
      - .offset:         158
        .size:           2
        .value_kind:     hidden_group_size_y
      - .offset:         160
        .size:           2
        .value_kind:     hidden_group_size_z
      - .offset:         162
        .size:           2
        .value_kind:     hidden_remainder_x
      - .offset:         164
        .size:           2
        .value_kind:     hidden_remainder_y
      - .offset:         166
        .size:           2
        .value_kind:     hidden_remainder_z
      - .offset:         184
        .size:           8
        .value_kind:     hidden_global_offset_x
      - .offset:         192
        .size:           8
        .value_kind:     hidden_global_offset_y
      - .offset:         200
        .size:           8
        .value_kind:     hidden_global_offset_z
      - .offset:         208
        .size:           2
        .value_kind:     hidden_grid_dims
      - .offset:         224
        .size:           8
        .value_kind:     hidden_hostcall_buffer
    .group_segment_fixed_size: 0
    .kernarg_segment_align: 8
    .kernarg_segment_size: 400
    .language:       OpenCL C
    .language_version:
      - 2
      - 0
    .max_flat_workgroup_size: 256
    .name:           _Z39paged_attention_ll4mi_QKV_mfma16_kernelI14__hip_bfloat16hLN4vllm18Fp8KVCacheDataTypeE1ES0_Li16ELi64ELi256ELb1ELi9EEvPKT_PKT0_S8_ifPKiSA_SA_iPKfiiiPfSD_PS3_PT2_iSC_SC_
    .private_segment_fixed_size: 64
    .sgpr_count:     36
    .sgpr_spill_count: 0
    .symbol:         _Z39paged_attention_ll4mi_QKV_mfma16_kernelI14__hip_bfloat16hLN4vllm18Fp8KVCacheDataTypeE1ES0_Li16ELi64ELi256ELb1ELi9EEvPKT_PKT0_S8_ifPKiSA_SA_iPKfiiiPfSD_PS3_PT2_iSC_SC_.kd
    .uniform_work_group_size: 1
    .uses_dynamic_stack: false
    .vgpr_count:     51
    .vgpr_spill_count: 0
    .wavefront_size: 32
  - .args:
      - .actual_access:  read_only
        .address_space:  global
        .offset:         0
        .size:           8
        .value_kind:     global_buffer
      - .actual_access:  read_only
        .address_space:  global
        .offset:         8
        .size:           8
        .value_kind:     global_buffer
      - .actual_access:  read_only
        .address_space:  global
        .offset:         16
        .size:           8
        .value_kind:     global_buffer
      - .offset:         24
        .size:           4
        .value_kind:     by_value
      - .offset:         28
        .size:           4
        .value_kind:     by_value
      - .actual_access:  read_only
        .address_space:  global
        .offset:         32
        .size:           8
        .value_kind:     global_buffer
      - .actual_access:  read_only
        .address_space:  global
        .offset:         40
        .size:           8
        .value_kind:     global_buffer
      - .actual_access:  read_only
        .address_space:  global
        .offset:         48
        .size:           8
        .value_kind:     global_buffer
      - .offset:         56
        .size:           4
        .value_kind:     by_value
      - .actual_access:  read_only
        .address_space:  global
        .offset:         64
        .size:           8
        .value_kind:     global_buffer
      - .offset:         72
        .size:           4
        .value_kind:     by_value
      - .offset:         76
        .size:           4
        .value_kind:     by_value
      - .offset:         80
        .size:           4
        .value_kind:     by_value
      - .actual_access:  read_only
        .address_space:  global
        .offset:         88
        .size:           8
        .value_kind:     global_buffer
      - .actual_access:  read_only
        .address_space:  global
        .offset:         96
        .size:           8
        .value_kind:     global_buffer
      - .actual_access:  read_only
        .address_space:  global
        .offset:         104
        .size:           8
        .value_kind:     global_buffer
      - .actual_access:  read_only
        .address_space:  global
        .offset:         112
        .size:           8
        .value_kind:     global_buffer
      - .offset:         120
        .size:           4
        .value_kind:     by_value
      - .address_space:  global
        .offset:         128
        .size:           8
        .value_kind:     global_buffer
      - .address_space:  global
        .offset:         136
        .size:           8
        .value_kind:     global_buffer
      - .offset:         144
        .size:           4
        .value_kind:     hidden_block_count_x
      - .offset:         148
        .size:           4
        .value_kind:     hidden_block_count_y
      - .offset:         152
        .size:           4
        .value_kind:     hidden_block_count_z
      - .offset:         156
        .size:           2
        .value_kind:     hidden_group_size_x
      - .offset:         158
        .size:           2
        .value_kind:     hidden_group_size_y
      - .offset:         160
        .size:           2
        .value_kind:     hidden_group_size_z
      - .offset:         162
        .size:           2
        .value_kind:     hidden_remainder_x
      - .offset:         164
        .size:           2
        .value_kind:     hidden_remainder_y
      - .offset:         166
        .size:           2
        .value_kind:     hidden_remainder_z
      - .offset:         184
        .size:           8
        .value_kind:     hidden_global_offset_x
      - .offset:         192
        .size:           8
        .value_kind:     hidden_global_offset_y
      - .offset:         200
        .size:           8
        .value_kind:     hidden_global_offset_z
      - .offset:         208
        .size:           2
        .value_kind:     hidden_grid_dims
      - .offset:         224
        .size:           8
        .value_kind:     hidden_hostcall_buffer
    .group_segment_fixed_size: 0
    .kernarg_segment_align: 8
    .kernarg_segment_size: 400
    .language:       OpenCL C
    .language_version:
      - 2
      - 0
    .max_flat_workgroup_size: 256
    .name:           _Z39paged_attention_ll4mi_QKV_mfma16_kernelI14__hip_bfloat16hLN4vllm18Fp8KVCacheDataTypeE1ES0_Li16ELi64ELi256ELb1ELi10EEvPKT_PKT0_S8_ifPKiSA_SA_iPKfiiiPfSD_PS3_PT2_iSC_SC_
    .private_segment_fixed_size: 64
    .sgpr_count:     36
    .sgpr_spill_count: 0
    .symbol:         _Z39paged_attention_ll4mi_QKV_mfma16_kernelI14__hip_bfloat16hLN4vllm18Fp8KVCacheDataTypeE1ES0_Li16ELi64ELi256ELb1ELi10EEvPKT_PKT0_S8_ifPKiSA_SA_iPKfiiiPfSD_PS3_PT2_iSC_SC_.kd
    .uniform_work_group_size: 1
    .uses_dynamic_stack: false
    .vgpr_count:     51
    .vgpr_spill_count: 0
    .wavefront_size: 32
  - .args:
      - .actual_access:  read_only
        .address_space:  global
        .offset:         0
        .size:           8
        .value_kind:     global_buffer
      - .actual_access:  read_only
        .address_space:  global
        .offset:         8
        .size:           8
        .value_kind:     global_buffer
      - .actual_access:  read_only
        .address_space:  global
        .offset:         16
        .size:           8
        .value_kind:     global_buffer
      - .offset:         24
        .size:           4
        .value_kind:     by_value
      - .offset:         28
        .size:           4
        .value_kind:     by_value
      - .actual_access:  read_only
        .address_space:  global
        .offset:         32
        .size:           8
        .value_kind:     global_buffer
      - .actual_access:  read_only
        .address_space:  global
        .offset:         40
        .size:           8
        .value_kind:     global_buffer
      - .actual_access:  read_only
        .address_space:  global
        .offset:         48
        .size:           8
        .value_kind:     global_buffer
      - .offset:         56
        .size:           4
        .value_kind:     by_value
      - .actual_access:  read_only
        .address_space:  global
        .offset:         64
        .size:           8
        .value_kind:     global_buffer
      - .offset:         72
        .size:           4
        .value_kind:     by_value
      - .offset:         76
        .size:           4
        .value_kind:     by_value
      - .offset:         80
        .size:           4
        .value_kind:     by_value
      - .actual_access:  read_only
        .address_space:  global
        .offset:         88
        .size:           8
        .value_kind:     global_buffer
      - .actual_access:  read_only
        .address_space:  global
        .offset:         96
        .size:           8
        .value_kind:     global_buffer
      - .actual_access:  read_only
        .address_space:  global
        .offset:         104
        .size:           8
        .value_kind:     global_buffer
      - .actual_access:  read_only
        .address_space:  global
        .offset:         112
        .size:           8
        .value_kind:     global_buffer
      - .offset:         120
        .size:           4
        .value_kind:     by_value
      - .address_space:  global
        .offset:         128
        .size:           8
        .value_kind:     global_buffer
      - .address_space:  global
        .offset:         136
        .size:           8
        .value_kind:     global_buffer
      - .offset:         144
        .size:           4
        .value_kind:     hidden_block_count_x
      - .offset:         148
        .size:           4
        .value_kind:     hidden_block_count_y
      - .offset:         152
        .size:           4
        .value_kind:     hidden_block_count_z
      - .offset:         156
        .size:           2
        .value_kind:     hidden_group_size_x
      - .offset:         158
        .size:           2
        .value_kind:     hidden_group_size_y
      - .offset:         160
        .size:           2
        .value_kind:     hidden_group_size_z
      - .offset:         162
        .size:           2
        .value_kind:     hidden_remainder_x
      - .offset:         164
        .size:           2
        .value_kind:     hidden_remainder_y
      - .offset:         166
        .size:           2
        .value_kind:     hidden_remainder_z
      - .offset:         184
        .size:           8
        .value_kind:     hidden_global_offset_x
      - .offset:         192
        .size:           8
        .value_kind:     hidden_global_offset_y
      - .offset:         200
        .size:           8
        .value_kind:     hidden_global_offset_z
      - .offset:         208
        .size:           2
        .value_kind:     hidden_grid_dims
      - .offset:         224
        .size:           8
        .value_kind:     hidden_hostcall_buffer
    .group_segment_fixed_size: 0
    .kernarg_segment_align: 8
    .kernarg_segment_size: 400
    .language:       OpenCL C
    .language_version:
      - 2
      - 0
    .max_flat_workgroup_size: 256
    .name:           _Z39paged_attention_ll4mi_QKV_mfma16_kernelI14__hip_bfloat16hLN4vllm18Fp8KVCacheDataTypeE1ES0_Li16ELi64ELi256ELb1ELi11EEvPKT_PKT0_S8_ifPKiSA_SA_iPKfiiiPfSD_PS3_PT2_iSC_SC_
    .private_segment_fixed_size: 64
    .sgpr_count:     36
    .sgpr_spill_count: 0
    .symbol:         _Z39paged_attention_ll4mi_QKV_mfma16_kernelI14__hip_bfloat16hLN4vllm18Fp8KVCacheDataTypeE1ES0_Li16ELi64ELi256ELb1ELi11EEvPKT_PKT0_S8_ifPKiSA_SA_iPKfiiiPfSD_PS3_PT2_iSC_SC_.kd
    .uniform_work_group_size: 1
    .uses_dynamic_stack: false
    .vgpr_count:     51
    .vgpr_spill_count: 0
    .wavefront_size: 32
  - .args:
      - .actual_access:  read_only
        .address_space:  global
        .offset:         0
        .size:           8
        .value_kind:     global_buffer
      - .actual_access:  read_only
        .address_space:  global
        .offset:         8
        .size:           8
        .value_kind:     global_buffer
      - .actual_access:  read_only
        .address_space:  global
        .offset:         16
        .size:           8
        .value_kind:     global_buffer
      - .offset:         24
        .size:           4
        .value_kind:     by_value
      - .offset:         28
        .size:           4
        .value_kind:     by_value
      - .actual_access:  read_only
        .address_space:  global
        .offset:         32
        .size:           8
        .value_kind:     global_buffer
      - .actual_access:  read_only
        .address_space:  global
        .offset:         40
        .size:           8
        .value_kind:     global_buffer
      - .actual_access:  read_only
        .address_space:  global
        .offset:         48
        .size:           8
        .value_kind:     global_buffer
      - .offset:         56
        .size:           4
        .value_kind:     by_value
      - .actual_access:  read_only
        .address_space:  global
        .offset:         64
        .size:           8
        .value_kind:     global_buffer
      - .offset:         72
        .size:           4
        .value_kind:     by_value
      - .offset:         76
        .size:           4
        .value_kind:     by_value
      - .offset:         80
        .size:           4
        .value_kind:     by_value
      - .actual_access:  read_only
        .address_space:  global
        .offset:         88
        .size:           8
        .value_kind:     global_buffer
      - .actual_access:  read_only
        .address_space:  global
        .offset:         96
        .size:           8
        .value_kind:     global_buffer
      - .actual_access:  read_only
        .address_space:  global
        .offset:         104
        .size:           8
        .value_kind:     global_buffer
      - .actual_access:  read_only
        .address_space:  global
        .offset:         112
        .size:           8
        .value_kind:     global_buffer
      - .offset:         120
        .size:           4
        .value_kind:     by_value
      - .address_space:  global
        .offset:         128
        .size:           8
        .value_kind:     global_buffer
      - .address_space:  global
        .offset:         136
        .size:           8
        .value_kind:     global_buffer
      - .offset:         144
        .size:           4
        .value_kind:     hidden_block_count_x
      - .offset:         148
        .size:           4
        .value_kind:     hidden_block_count_y
      - .offset:         152
        .size:           4
        .value_kind:     hidden_block_count_z
      - .offset:         156
        .size:           2
        .value_kind:     hidden_group_size_x
      - .offset:         158
        .size:           2
        .value_kind:     hidden_group_size_y
      - .offset:         160
        .size:           2
        .value_kind:     hidden_group_size_z
      - .offset:         162
        .size:           2
        .value_kind:     hidden_remainder_x
      - .offset:         164
        .size:           2
        .value_kind:     hidden_remainder_y
      - .offset:         166
        .size:           2
        .value_kind:     hidden_remainder_z
      - .offset:         184
        .size:           8
        .value_kind:     hidden_global_offset_x
      - .offset:         192
        .size:           8
        .value_kind:     hidden_global_offset_y
      - .offset:         200
        .size:           8
        .value_kind:     hidden_global_offset_z
      - .offset:         208
        .size:           2
        .value_kind:     hidden_grid_dims
      - .offset:         224
        .size:           8
        .value_kind:     hidden_hostcall_buffer
    .group_segment_fixed_size: 0
    .kernarg_segment_align: 8
    .kernarg_segment_size: 400
    .language:       OpenCL C
    .language_version:
      - 2
      - 0
    .max_flat_workgroup_size: 256
    .name:           _Z39paged_attention_ll4mi_QKV_mfma16_kernelI14__hip_bfloat16hLN4vllm18Fp8KVCacheDataTypeE1ES0_Li16ELi64ELi256ELb1ELi12EEvPKT_PKT0_S8_ifPKiSA_SA_iPKfiiiPfSD_PS3_PT2_iSC_SC_
    .private_segment_fixed_size: 64
    .sgpr_count:     36
    .sgpr_spill_count: 0
    .symbol:         _Z39paged_attention_ll4mi_QKV_mfma16_kernelI14__hip_bfloat16hLN4vllm18Fp8KVCacheDataTypeE1ES0_Li16ELi64ELi256ELb1ELi12EEvPKT_PKT0_S8_ifPKiSA_SA_iPKfiiiPfSD_PS3_PT2_iSC_SC_.kd
    .uniform_work_group_size: 1
    .uses_dynamic_stack: false
    .vgpr_count:     51
    .vgpr_spill_count: 0
    .wavefront_size: 32
  - .args:
      - .actual_access:  read_only
        .address_space:  global
        .offset:         0
        .size:           8
        .value_kind:     global_buffer
      - .actual_access:  read_only
        .address_space:  global
        .offset:         8
        .size:           8
        .value_kind:     global_buffer
      - .actual_access:  read_only
        .address_space:  global
        .offset:         16
        .size:           8
        .value_kind:     global_buffer
      - .offset:         24
        .size:           4
        .value_kind:     by_value
      - .offset:         28
        .size:           4
        .value_kind:     by_value
      - .actual_access:  read_only
        .address_space:  global
        .offset:         32
        .size:           8
        .value_kind:     global_buffer
      - .actual_access:  read_only
        .address_space:  global
        .offset:         40
        .size:           8
        .value_kind:     global_buffer
      - .actual_access:  read_only
        .address_space:  global
        .offset:         48
        .size:           8
        .value_kind:     global_buffer
      - .offset:         56
        .size:           4
        .value_kind:     by_value
      - .actual_access:  read_only
        .address_space:  global
        .offset:         64
        .size:           8
        .value_kind:     global_buffer
      - .offset:         72
        .size:           4
        .value_kind:     by_value
      - .offset:         76
        .size:           4
        .value_kind:     by_value
      - .offset:         80
        .size:           4
        .value_kind:     by_value
      - .actual_access:  read_only
        .address_space:  global
        .offset:         88
        .size:           8
        .value_kind:     global_buffer
      - .actual_access:  read_only
        .address_space:  global
        .offset:         96
        .size:           8
        .value_kind:     global_buffer
      - .actual_access:  read_only
        .address_space:  global
        .offset:         104
        .size:           8
        .value_kind:     global_buffer
      - .actual_access:  read_only
        .address_space:  global
        .offset:         112
        .size:           8
        .value_kind:     global_buffer
      - .offset:         120
        .size:           4
        .value_kind:     by_value
      - .address_space:  global
        .offset:         128
        .size:           8
        .value_kind:     global_buffer
      - .address_space:  global
        .offset:         136
        .size:           8
        .value_kind:     global_buffer
      - .offset:         144
        .size:           4
        .value_kind:     hidden_block_count_x
      - .offset:         148
        .size:           4
        .value_kind:     hidden_block_count_y
      - .offset:         152
        .size:           4
        .value_kind:     hidden_block_count_z
      - .offset:         156
        .size:           2
        .value_kind:     hidden_group_size_x
      - .offset:         158
        .size:           2
        .value_kind:     hidden_group_size_y
      - .offset:         160
        .size:           2
        .value_kind:     hidden_group_size_z
      - .offset:         162
        .size:           2
        .value_kind:     hidden_remainder_x
      - .offset:         164
        .size:           2
        .value_kind:     hidden_remainder_y
      - .offset:         166
        .size:           2
        .value_kind:     hidden_remainder_z
      - .offset:         184
        .size:           8
        .value_kind:     hidden_global_offset_x
      - .offset:         192
        .size:           8
        .value_kind:     hidden_global_offset_y
      - .offset:         200
        .size:           8
        .value_kind:     hidden_global_offset_z
      - .offset:         208
        .size:           2
        .value_kind:     hidden_grid_dims
      - .offset:         224
        .size:           8
        .value_kind:     hidden_hostcall_buffer
    .group_segment_fixed_size: 0
    .kernarg_segment_align: 8
    .kernarg_segment_size: 400
    .language:       OpenCL C
    .language_version:
      - 2
      - 0
    .max_flat_workgroup_size: 256
    .name:           _Z39paged_attention_ll4mi_QKV_mfma16_kernelI14__hip_bfloat16hLN4vllm18Fp8KVCacheDataTypeE1ES0_Li16ELi64ELi256ELb1ELi13EEvPKT_PKT0_S8_ifPKiSA_SA_iPKfiiiPfSD_PS3_PT2_iSC_SC_
    .private_segment_fixed_size: 64
    .sgpr_count:     36
    .sgpr_spill_count: 0
    .symbol:         _Z39paged_attention_ll4mi_QKV_mfma16_kernelI14__hip_bfloat16hLN4vllm18Fp8KVCacheDataTypeE1ES0_Li16ELi64ELi256ELb1ELi13EEvPKT_PKT0_S8_ifPKiSA_SA_iPKfiiiPfSD_PS3_PT2_iSC_SC_.kd
    .uniform_work_group_size: 1
    .uses_dynamic_stack: false
    .vgpr_count:     51
    .vgpr_spill_count: 0
    .wavefront_size: 32
  - .args:
      - .actual_access:  read_only
        .address_space:  global
        .offset:         0
        .size:           8
        .value_kind:     global_buffer
      - .actual_access:  read_only
        .address_space:  global
        .offset:         8
        .size:           8
        .value_kind:     global_buffer
      - .actual_access:  read_only
        .address_space:  global
        .offset:         16
        .size:           8
        .value_kind:     global_buffer
      - .offset:         24
        .size:           4
        .value_kind:     by_value
      - .offset:         28
        .size:           4
        .value_kind:     by_value
      - .actual_access:  read_only
        .address_space:  global
        .offset:         32
        .size:           8
        .value_kind:     global_buffer
      - .actual_access:  read_only
        .address_space:  global
        .offset:         40
        .size:           8
        .value_kind:     global_buffer
      - .actual_access:  read_only
        .address_space:  global
        .offset:         48
        .size:           8
        .value_kind:     global_buffer
      - .offset:         56
        .size:           4
        .value_kind:     by_value
      - .actual_access:  read_only
        .address_space:  global
        .offset:         64
        .size:           8
        .value_kind:     global_buffer
      - .offset:         72
        .size:           4
        .value_kind:     by_value
      - .offset:         76
        .size:           4
        .value_kind:     by_value
      - .offset:         80
        .size:           4
        .value_kind:     by_value
      - .actual_access:  read_only
        .address_space:  global
        .offset:         88
        .size:           8
        .value_kind:     global_buffer
      - .actual_access:  read_only
        .address_space:  global
        .offset:         96
        .size:           8
        .value_kind:     global_buffer
      - .actual_access:  read_only
        .address_space:  global
        .offset:         104
        .size:           8
        .value_kind:     global_buffer
      - .actual_access:  read_only
        .address_space:  global
        .offset:         112
        .size:           8
        .value_kind:     global_buffer
      - .offset:         120
        .size:           4
        .value_kind:     by_value
      - .address_space:  global
        .offset:         128
        .size:           8
        .value_kind:     global_buffer
      - .address_space:  global
        .offset:         136
        .size:           8
        .value_kind:     global_buffer
      - .offset:         144
        .size:           4
        .value_kind:     hidden_block_count_x
      - .offset:         148
        .size:           4
        .value_kind:     hidden_block_count_y
      - .offset:         152
        .size:           4
        .value_kind:     hidden_block_count_z
      - .offset:         156
        .size:           2
        .value_kind:     hidden_group_size_x
      - .offset:         158
        .size:           2
        .value_kind:     hidden_group_size_y
      - .offset:         160
        .size:           2
        .value_kind:     hidden_group_size_z
      - .offset:         162
        .size:           2
        .value_kind:     hidden_remainder_x
      - .offset:         164
        .size:           2
        .value_kind:     hidden_remainder_y
      - .offset:         166
        .size:           2
        .value_kind:     hidden_remainder_z
      - .offset:         184
        .size:           8
        .value_kind:     hidden_global_offset_x
      - .offset:         192
        .size:           8
        .value_kind:     hidden_global_offset_y
      - .offset:         200
        .size:           8
        .value_kind:     hidden_global_offset_z
      - .offset:         208
        .size:           2
        .value_kind:     hidden_grid_dims
      - .offset:         224
        .size:           8
        .value_kind:     hidden_hostcall_buffer
    .group_segment_fixed_size: 0
    .kernarg_segment_align: 8
    .kernarg_segment_size: 400
    .language:       OpenCL C
    .language_version:
      - 2
      - 0
    .max_flat_workgroup_size: 256
    .name:           _Z39paged_attention_ll4mi_QKV_mfma16_kernelI14__hip_bfloat16hLN4vllm18Fp8KVCacheDataTypeE1ES0_Li16ELi64ELi256ELb1ELi14EEvPKT_PKT0_S8_ifPKiSA_SA_iPKfiiiPfSD_PS3_PT2_iSC_SC_
    .private_segment_fixed_size: 64
    .sgpr_count:     36
    .sgpr_spill_count: 0
    .symbol:         _Z39paged_attention_ll4mi_QKV_mfma16_kernelI14__hip_bfloat16hLN4vllm18Fp8KVCacheDataTypeE1ES0_Li16ELi64ELi256ELb1ELi14EEvPKT_PKT0_S8_ifPKiSA_SA_iPKfiiiPfSD_PS3_PT2_iSC_SC_.kd
    .uniform_work_group_size: 1
    .uses_dynamic_stack: false
    .vgpr_count:     51
    .vgpr_spill_count: 0
    .wavefront_size: 32
  - .args:
      - .actual_access:  read_only
        .address_space:  global
        .offset:         0
        .size:           8
        .value_kind:     global_buffer
      - .actual_access:  read_only
        .address_space:  global
        .offset:         8
        .size:           8
        .value_kind:     global_buffer
      - .actual_access:  read_only
        .address_space:  global
        .offset:         16
        .size:           8
        .value_kind:     global_buffer
      - .offset:         24
        .size:           4
        .value_kind:     by_value
      - .offset:         28
        .size:           4
        .value_kind:     by_value
      - .actual_access:  read_only
        .address_space:  global
        .offset:         32
        .size:           8
        .value_kind:     global_buffer
      - .actual_access:  read_only
        .address_space:  global
        .offset:         40
        .size:           8
        .value_kind:     global_buffer
      - .actual_access:  read_only
        .address_space:  global
        .offset:         48
        .size:           8
        .value_kind:     global_buffer
      - .offset:         56
        .size:           4
        .value_kind:     by_value
      - .actual_access:  read_only
        .address_space:  global
        .offset:         64
        .size:           8
        .value_kind:     global_buffer
      - .offset:         72
        .size:           4
        .value_kind:     by_value
      - .offset:         76
        .size:           4
        .value_kind:     by_value
      - .offset:         80
        .size:           4
        .value_kind:     by_value
      - .actual_access:  read_only
        .address_space:  global
        .offset:         88
        .size:           8
        .value_kind:     global_buffer
      - .actual_access:  read_only
        .address_space:  global
        .offset:         96
        .size:           8
        .value_kind:     global_buffer
      - .actual_access:  read_only
        .address_space:  global
        .offset:         104
        .size:           8
        .value_kind:     global_buffer
      - .actual_access:  read_only
        .address_space:  global
        .offset:         112
        .size:           8
        .value_kind:     global_buffer
      - .offset:         120
        .size:           4
        .value_kind:     by_value
      - .address_space:  global
        .offset:         128
        .size:           8
        .value_kind:     global_buffer
      - .address_space:  global
        .offset:         136
        .size:           8
        .value_kind:     global_buffer
      - .offset:         144
        .size:           4
        .value_kind:     hidden_block_count_x
      - .offset:         148
        .size:           4
        .value_kind:     hidden_block_count_y
      - .offset:         152
        .size:           4
        .value_kind:     hidden_block_count_z
      - .offset:         156
        .size:           2
        .value_kind:     hidden_group_size_x
      - .offset:         158
        .size:           2
        .value_kind:     hidden_group_size_y
      - .offset:         160
        .size:           2
        .value_kind:     hidden_group_size_z
      - .offset:         162
        .size:           2
        .value_kind:     hidden_remainder_x
      - .offset:         164
        .size:           2
        .value_kind:     hidden_remainder_y
      - .offset:         166
        .size:           2
        .value_kind:     hidden_remainder_z
      - .offset:         184
        .size:           8
        .value_kind:     hidden_global_offset_x
      - .offset:         192
        .size:           8
        .value_kind:     hidden_global_offset_y
      - .offset:         200
        .size:           8
        .value_kind:     hidden_global_offset_z
      - .offset:         208
        .size:           2
        .value_kind:     hidden_grid_dims
      - .offset:         224
        .size:           8
        .value_kind:     hidden_hostcall_buffer
    .group_segment_fixed_size: 0
    .kernarg_segment_align: 8
    .kernarg_segment_size: 400
    .language:       OpenCL C
    .language_version:
      - 2
      - 0
    .max_flat_workgroup_size: 256
    .name:           _Z39paged_attention_ll4mi_QKV_mfma16_kernelI14__hip_bfloat16hLN4vllm18Fp8KVCacheDataTypeE1ES0_Li16ELi64ELi256ELb1ELi15EEvPKT_PKT0_S8_ifPKiSA_SA_iPKfiiiPfSD_PS3_PT2_iSC_SC_
    .private_segment_fixed_size: 64
    .sgpr_count:     36
    .sgpr_spill_count: 0
    .symbol:         _Z39paged_attention_ll4mi_QKV_mfma16_kernelI14__hip_bfloat16hLN4vllm18Fp8KVCacheDataTypeE1ES0_Li16ELi64ELi256ELb1ELi15EEvPKT_PKT0_S8_ifPKiSA_SA_iPKfiiiPfSD_PS3_PT2_iSC_SC_.kd
    .uniform_work_group_size: 1
    .uses_dynamic_stack: false
    .vgpr_count:     51
    .vgpr_spill_count: 0
    .wavefront_size: 32
  - .args:
      - .actual_access:  read_only
        .address_space:  global
        .offset:         0
        .size:           8
        .value_kind:     global_buffer
      - .actual_access:  read_only
        .address_space:  global
        .offset:         8
        .size:           8
        .value_kind:     global_buffer
      - .actual_access:  read_only
        .address_space:  global
        .offset:         16
        .size:           8
        .value_kind:     global_buffer
      - .offset:         24
        .size:           4
        .value_kind:     by_value
      - .offset:         28
        .size:           4
        .value_kind:     by_value
      - .actual_access:  read_only
        .address_space:  global
        .offset:         32
        .size:           8
        .value_kind:     global_buffer
      - .actual_access:  read_only
        .address_space:  global
        .offset:         40
        .size:           8
        .value_kind:     global_buffer
      - .actual_access:  read_only
        .address_space:  global
        .offset:         48
        .size:           8
        .value_kind:     global_buffer
      - .offset:         56
        .size:           4
        .value_kind:     by_value
      - .actual_access:  read_only
        .address_space:  global
        .offset:         64
        .size:           8
        .value_kind:     global_buffer
      - .offset:         72
        .size:           4
        .value_kind:     by_value
      - .offset:         76
        .size:           4
        .value_kind:     by_value
      - .offset:         80
        .size:           4
        .value_kind:     by_value
      - .actual_access:  read_only
        .address_space:  global
        .offset:         88
        .size:           8
        .value_kind:     global_buffer
      - .actual_access:  read_only
        .address_space:  global
        .offset:         96
        .size:           8
        .value_kind:     global_buffer
      - .actual_access:  read_only
        .address_space:  global
        .offset:         104
        .size:           8
        .value_kind:     global_buffer
      - .actual_access:  read_only
        .address_space:  global
        .offset:         112
        .size:           8
        .value_kind:     global_buffer
      - .offset:         120
        .size:           4
        .value_kind:     by_value
      - .address_space:  global
        .offset:         128
        .size:           8
        .value_kind:     global_buffer
      - .address_space:  global
        .offset:         136
        .size:           8
        .value_kind:     global_buffer
      - .offset:         144
        .size:           4
        .value_kind:     hidden_block_count_x
      - .offset:         148
        .size:           4
        .value_kind:     hidden_block_count_y
      - .offset:         152
        .size:           4
        .value_kind:     hidden_block_count_z
      - .offset:         156
        .size:           2
        .value_kind:     hidden_group_size_x
      - .offset:         158
        .size:           2
        .value_kind:     hidden_group_size_y
      - .offset:         160
        .size:           2
        .value_kind:     hidden_group_size_z
      - .offset:         162
        .size:           2
        .value_kind:     hidden_remainder_x
      - .offset:         164
        .size:           2
        .value_kind:     hidden_remainder_y
      - .offset:         166
        .size:           2
        .value_kind:     hidden_remainder_z
      - .offset:         184
        .size:           8
        .value_kind:     hidden_global_offset_x
      - .offset:         192
        .size:           8
        .value_kind:     hidden_global_offset_y
      - .offset:         200
        .size:           8
        .value_kind:     hidden_global_offset_z
      - .offset:         208
        .size:           2
        .value_kind:     hidden_grid_dims
      - .offset:         224
        .size:           8
        .value_kind:     hidden_hostcall_buffer
    .group_segment_fixed_size: 0
    .kernarg_segment_align: 8
    .kernarg_segment_size: 400
    .language:       OpenCL C
    .language_version:
      - 2
      - 0
    .max_flat_workgroup_size: 256
    .name:           _Z39paged_attention_ll4mi_QKV_mfma16_kernelI14__hip_bfloat16hLN4vllm18Fp8KVCacheDataTypeE1ES0_Li16ELi64ELi256ELb1ELi16EEvPKT_PKT0_S8_ifPKiSA_SA_iPKfiiiPfSD_PS3_PT2_iSC_SC_
    .private_segment_fixed_size: 64
    .sgpr_count:     36
    .sgpr_spill_count: 0
    .symbol:         _Z39paged_attention_ll4mi_QKV_mfma16_kernelI14__hip_bfloat16hLN4vllm18Fp8KVCacheDataTypeE1ES0_Li16ELi64ELi256ELb1ELi16EEvPKT_PKT0_S8_ifPKiSA_SA_iPKfiiiPfSD_PS3_PT2_iSC_SC_.kd
    .uniform_work_group_size: 1
    .uses_dynamic_stack: false
    .vgpr_count:     51
    .vgpr_spill_count: 0
    .wavefront_size: 32
  - .args:
      - .actual_access:  read_only
        .address_space:  global
        .offset:         0
        .size:           8
        .value_kind:     global_buffer
      - .actual_access:  read_only
        .address_space:  global
        .offset:         8
        .size:           8
        .value_kind:     global_buffer
      - .actual_access:  read_only
        .address_space:  global
        .offset:         16
        .size:           8
        .value_kind:     global_buffer
      - .offset:         24
        .size:           4
        .value_kind:     by_value
      - .offset:         28
        .size:           4
        .value_kind:     by_value
      - .actual_access:  read_only
        .address_space:  global
        .offset:         32
        .size:           8
        .value_kind:     global_buffer
      - .actual_access:  read_only
        .address_space:  global
        .offset:         40
        .size:           8
        .value_kind:     global_buffer
      - .actual_access:  read_only
        .address_space:  global
        .offset:         48
        .size:           8
        .value_kind:     global_buffer
      - .offset:         56
        .size:           4
        .value_kind:     by_value
      - .actual_access:  read_only
        .address_space:  global
        .offset:         64
        .size:           8
        .value_kind:     global_buffer
      - .offset:         72
        .size:           4
        .value_kind:     by_value
      - .offset:         76
        .size:           4
        .value_kind:     by_value
      - .offset:         80
        .size:           4
        .value_kind:     by_value
      - .actual_access:  read_only
        .address_space:  global
        .offset:         88
        .size:           8
        .value_kind:     global_buffer
      - .actual_access:  read_only
        .address_space:  global
        .offset:         96
        .size:           8
        .value_kind:     global_buffer
      - .actual_access:  read_only
        .address_space:  global
        .offset:         104
        .size:           8
        .value_kind:     global_buffer
      - .actual_access:  read_only
        .address_space:  global
        .offset:         112
        .size:           8
        .value_kind:     global_buffer
      - .offset:         120
        .size:           4
        .value_kind:     by_value
      - .address_space:  global
        .offset:         128
        .size:           8
        .value_kind:     global_buffer
      - .address_space:  global
        .offset:         136
        .size:           8
        .value_kind:     global_buffer
      - .offset:         144
        .size:           4
        .value_kind:     hidden_block_count_x
      - .offset:         148
        .size:           4
        .value_kind:     hidden_block_count_y
      - .offset:         152
        .size:           4
        .value_kind:     hidden_block_count_z
      - .offset:         156
        .size:           2
        .value_kind:     hidden_group_size_x
      - .offset:         158
        .size:           2
        .value_kind:     hidden_group_size_y
      - .offset:         160
        .size:           2
        .value_kind:     hidden_group_size_z
      - .offset:         162
        .size:           2
        .value_kind:     hidden_remainder_x
      - .offset:         164
        .size:           2
        .value_kind:     hidden_remainder_y
      - .offset:         166
        .size:           2
        .value_kind:     hidden_remainder_z
      - .offset:         184
        .size:           8
        .value_kind:     hidden_global_offset_x
      - .offset:         192
        .size:           8
        .value_kind:     hidden_global_offset_y
      - .offset:         200
        .size:           8
        .value_kind:     hidden_global_offset_z
      - .offset:         208
        .size:           2
        .value_kind:     hidden_grid_dims
      - .offset:         224
        .size:           8
        .value_kind:     hidden_hostcall_buffer
    .group_segment_fixed_size: 0
    .kernarg_segment_align: 8
    .kernarg_segment_size: 400
    .language:       OpenCL C
    .language_version:
      - 2
      - 0
    .max_flat_workgroup_size: 256
    .name:           _Z39paged_attention_ll4mi_QKV_mfma16_kernelI14__hip_bfloat16hLN4vllm18Fp8KVCacheDataTypeE1ES0_Li16ELi64ELi256ELb1ELi1EEvPKT_PKT0_S8_ifPKiSA_SA_iPKfiiiPfSD_PS3_PT2_iSC_SC_
    .private_segment_fixed_size: 64
    .sgpr_count:     36
    .sgpr_spill_count: 0
    .symbol:         _Z39paged_attention_ll4mi_QKV_mfma16_kernelI14__hip_bfloat16hLN4vllm18Fp8KVCacheDataTypeE1ES0_Li16ELi64ELi256ELb1ELi1EEvPKT_PKT0_S8_ifPKiSA_SA_iPKfiiiPfSD_PS3_PT2_iSC_SC_.kd
    .uniform_work_group_size: 1
    .uses_dynamic_stack: false
    .vgpr_count:     51
    .vgpr_spill_count: 0
    .wavefront_size: 32
  - .args:
      - .actual_access:  read_only
        .address_space:  global
        .offset:         0
        .size:           8
        .value_kind:     global_buffer
      - .actual_access:  read_only
        .address_space:  global
        .offset:         8
        .size:           8
        .value_kind:     global_buffer
      - .actual_access:  read_only
        .address_space:  global
        .offset:         16
        .size:           8
        .value_kind:     global_buffer
      - .offset:         24
        .size:           4
        .value_kind:     by_value
      - .offset:         28
        .size:           4
        .value_kind:     by_value
      - .actual_access:  read_only
        .address_space:  global
        .offset:         32
        .size:           8
        .value_kind:     global_buffer
      - .actual_access:  read_only
        .address_space:  global
        .offset:         40
        .size:           8
        .value_kind:     global_buffer
      - .actual_access:  read_only
        .address_space:  global
        .offset:         48
        .size:           8
        .value_kind:     global_buffer
      - .offset:         56
        .size:           4
        .value_kind:     by_value
      - .actual_access:  read_only
        .address_space:  global
        .offset:         64
        .size:           8
        .value_kind:     global_buffer
      - .offset:         72
        .size:           4
        .value_kind:     by_value
      - .offset:         76
        .size:           4
        .value_kind:     by_value
      - .offset:         80
        .size:           4
        .value_kind:     by_value
      - .actual_access:  read_only
        .address_space:  global
        .offset:         88
        .size:           8
        .value_kind:     global_buffer
      - .actual_access:  read_only
        .address_space:  global
        .offset:         96
        .size:           8
        .value_kind:     global_buffer
      - .actual_access:  read_only
        .address_space:  global
        .offset:         104
        .size:           8
        .value_kind:     global_buffer
      - .actual_access:  read_only
        .address_space:  global
        .offset:         112
        .size:           8
        .value_kind:     global_buffer
      - .offset:         120
        .size:           4
        .value_kind:     by_value
      - .address_space:  global
        .offset:         128
        .size:           8
        .value_kind:     global_buffer
      - .address_space:  global
        .offset:         136
        .size:           8
        .value_kind:     global_buffer
      - .offset:         144
        .size:           4
        .value_kind:     hidden_block_count_x
      - .offset:         148
        .size:           4
        .value_kind:     hidden_block_count_y
      - .offset:         152
        .size:           4
        .value_kind:     hidden_block_count_z
      - .offset:         156
        .size:           2
        .value_kind:     hidden_group_size_x
      - .offset:         158
        .size:           2
        .value_kind:     hidden_group_size_y
      - .offset:         160
        .size:           2
        .value_kind:     hidden_group_size_z
      - .offset:         162
        .size:           2
        .value_kind:     hidden_remainder_x
      - .offset:         164
        .size:           2
        .value_kind:     hidden_remainder_y
      - .offset:         166
        .size:           2
        .value_kind:     hidden_remainder_z
      - .offset:         184
        .size:           8
        .value_kind:     hidden_global_offset_x
      - .offset:         192
        .size:           8
        .value_kind:     hidden_global_offset_y
      - .offset:         200
        .size:           8
        .value_kind:     hidden_global_offset_z
      - .offset:         208
        .size:           2
        .value_kind:     hidden_grid_dims
      - .offset:         224
        .size:           8
        .value_kind:     hidden_hostcall_buffer
    .group_segment_fixed_size: 0
    .kernarg_segment_align: 8
    .kernarg_segment_size: 400
    .language:       OpenCL C
    .language_version:
      - 2
      - 0
    .max_flat_workgroup_size: 256
    .name:           _Z39paged_attention_ll4mi_QKV_mfma16_kernelI14__hip_bfloat16hLN4vllm18Fp8KVCacheDataTypeE1ES0_Li16ELi64ELi256ELb1ELi2EEvPKT_PKT0_S8_ifPKiSA_SA_iPKfiiiPfSD_PS3_PT2_iSC_SC_
    .private_segment_fixed_size: 64
    .sgpr_count:     36
    .sgpr_spill_count: 0
    .symbol:         _Z39paged_attention_ll4mi_QKV_mfma16_kernelI14__hip_bfloat16hLN4vllm18Fp8KVCacheDataTypeE1ES0_Li16ELi64ELi256ELb1ELi2EEvPKT_PKT0_S8_ifPKiSA_SA_iPKfiiiPfSD_PS3_PT2_iSC_SC_.kd
    .uniform_work_group_size: 1
    .uses_dynamic_stack: false
    .vgpr_count:     51
    .vgpr_spill_count: 0
    .wavefront_size: 32
  - .args:
      - .actual_access:  read_only
        .address_space:  global
        .offset:         0
        .size:           8
        .value_kind:     global_buffer
      - .actual_access:  read_only
        .address_space:  global
        .offset:         8
        .size:           8
        .value_kind:     global_buffer
      - .actual_access:  read_only
        .address_space:  global
        .offset:         16
        .size:           8
        .value_kind:     global_buffer
      - .offset:         24
        .size:           4
        .value_kind:     by_value
      - .offset:         28
        .size:           4
        .value_kind:     by_value
      - .actual_access:  read_only
        .address_space:  global
        .offset:         32
        .size:           8
        .value_kind:     global_buffer
      - .actual_access:  read_only
        .address_space:  global
        .offset:         40
        .size:           8
        .value_kind:     global_buffer
      - .actual_access:  read_only
        .address_space:  global
        .offset:         48
        .size:           8
        .value_kind:     global_buffer
      - .offset:         56
        .size:           4
        .value_kind:     by_value
      - .actual_access:  read_only
        .address_space:  global
        .offset:         64
        .size:           8
        .value_kind:     global_buffer
      - .offset:         72
        .size:           4
        .value_kind:     by_value
      - .offset:         76
        .size:           4
        .value_kind:     by_value
      - .offset:         80
        .size:           4
        .value_kind:     by_value
      - .actual_access:  read_only
        .address_space:  global
        .offset:         88
        .size:           8
        .value_kind:     global_buffer
      - .actual_access:  read_only
        .address_space:  global
        .offset:         96
        .size:           8
        .value_kind:     global_buffer
      - .actual_access:  read_only
        .address_space:  global
        .offset:         104
        .size:           8
        .value_kind:     global_buffer
      - .actual_access:  read_only
        .address_space:  global
        .offset:         112
        .size:           8
        .value_kind:     global_buffer
      - .offset:         120
        .size:           4
        .value_kind:     by_value
      - .address_space:  global
        .offset:         128
        .size:           8
        .value_kind:     global_buffer
      - .address_space:  global
        .offset:         136
        .size:           8
        .value_kind:     global_buffer
      - .offset:         144
        .size:           4
        .value_kind:     hidden_block_count_x
      - .offset:         148
        .size:           4
        .value_kind:     hidden_block_count_y
      - .offset:         152
        .size:           4
        .value_kind:     hidden_block_count_z
      - .offset:         156
        .size:           2
        .value_kind:     hidden_group_size_x
      - .offset:         158
        .size:           2
        .value_kind:     hidden_group_size_y
      - .offset:         160
        .size:           2
        .value_kind:     hidden_group_size_z
      - .offset:         162
        .size:           2
        .value_kind:     hidden_remainder_x
      - .offset:         164
        .size:           2
        .value_kind:     hidden_remainder_y
      - .offset:         166
        .size:           2
        .value_kind:     hidden_remainder_z
      - .offset:         184
        .size:           8
        .value_kind:     hidden_global_offset_x
      - .offset:         192
        .size:           8
        .value_kind:     hidden_global_offset_y
      - .offset:         200
        .size:           8
        .value_kind:     hidden_global_offset_z
      - .offset:         208
        .size:           2
        .value_kind:     hidden_grid_dims
      - .offset:         224
        .size:           8
        .value_kind:     hidden_hostcall_buffer
    .group_segment_fixed_size: 0
    .kernarg_segment_align: 8
    .kernarg_segment_size: 400
    .language:       OpenCL C
    .language_version:
      - 2
      - 0
    .max_flat_workgroup_size: 256
    .name:           _Z39paged_attention_ll4mi_QKV_mfma16_kernelI14__hip_bfloat16hLN4vllm18Fp8KVCacheDataTypeE1ES0_Li16ELi64ELi256ELb1ELi3EEvPKT_PKT0_S8_ifPKiSA_SA_iPKfiiiPfSD_PS3_PT2_iSC_SC_
    .private_segment_fixed_size: 64
    .sgpr_count:     36
    .sgpr_spill_count: 0
    .symbol:         _Z39paged_attention_ll4mi_QKV_mfma16_kernelI14__hip_bfloat16hLN4vllm18Fp8KVCacheDataTypeE1ES0_Li16ELi64ELi256ELb1ELi3EEvPKT_PKT0_S8_ifPKiSA_SA_iPKfiiiPfSD_PS3_PT2_iSC_SC_.kd
    .uniform_work_group_size: 1
    .uses_dynamic_stack: false
    .vgpr_count:     51
    .vgpr_spill_count: 0
    .wavefront_size: 32
  - .args:
      - .actual_access:  read_only
        .address_space:  global
        .offset:         0
        .size:           8
        .value_kind:     global_buffer
      - .actual_access:  read_only
        .address_space:  global
        .offset:         8
        .size:           8
        .value_kind:     global_buffer
      - .actual_access:  read_only
        .address_space:  global
        .offset:         16
        .size:           8
        .value_kind:     global_buffer
      - .offset:         24
        .size:           4
        .value_kind:     by_value
      - .offset:         28
        .size:           4
        .value_kind:     by_value
      - .actual_access:  read_only
        .address_space:  global
        .offset:         32
        .size:           8
        .value_kind:     global_buffer
      - .actual_access:  read_only
        .address_space:  global
        .offset:         40
        .size:           8
        .value_kind:     global_buffer
      - .actual_access:  read_only
        .address_space:  global
        .offset:         48
        .size:           8
        .value_kind:     global_buffer
      - .offset:         56
        .size:           4
        .value_kind:     by_value
      - .actual_access:  read_only
        .address_space:  global
        .offset:         64
        .size:           8
        .value_kind:     global_buffer
      - .offset:         72
        .size:           4
        .value_kind:     by_value
      - .offset:         76
        .size:           4
        .value_kind:     by_value
      - .offset:         80
        .size:           4
        .value_kind:     by_value
      - .actual_access:  read_only
        .address_space:  global
        .offset:         88
        .size:           8
        .value_kind:     global_buffer
      - .actual_access:  read_only
        .address_space:  global
        .offset:         96
        .size:           8
        .value_kind:     global_buffer
      - .actual_access:  read_only
        .address_space:  global
        .offset:         104
        .size:           8
        .value_kind:     global_buffer
      - .actual_access:  read_only
        .address_space:  global
        .offset:         112
        .size:           8
        .value_kind:     global_buffer
      - .offset:         120
        .size:           4
        .value_kind:     by_value
      - .address_space:  global
        .offset:         128
        .size:           8
        .value_kind:     global_buffer
      - .address_space:  global
        .offset:         136
        .size:           8
        .value_kind:     global_buffer
      - .offset:         144
        .size:           4
        .value_kind:     hidden_block_count_x
      - .offset:         148
        .size:           4
        .value_kind:     hidden_block_count_y
      - .offset:         152
        .size:           4
        .value_kind:     hidden_block_count_z
      - .offset:         156
        .size:           2
        .value_kind:     hidden_group_size_x
      - .offset:         158
        .size:           2
        .value_kind:     hidden_group_size_y
      - .offset:         160
        .size:           2
        .value_kind:     hidden_group_size_z
      - .offset:         162
        .size:           2
        .value_kind:     hidden_remainder_x
      - .offset:         164
        .size:           2
        .value_kind:     hidden_remainder_y
      - .offset:         166
        .size:           2
        .value_kind:     hidden_remainder_z
      - .offset:         184
        .size:           8
        .value_kind:     hidden_global_offset_x
      - .offset:         192
        .size:           8
        .value_kind:     hidden_global_offset_y
      - .offset:         200
        .size:           8
        .value_kind:     hidden_global_offset_z
      - .offset:         208
        .size:           2
        .value_kind:     hidden_grid_dims
      - .offset:         224
        .size:           8
        .value_kind:     hidden_hostcall_buffer
    .group_segment_fixed_size: 0
    .kernarg_segment_align: 8
    .kernarg_segment_size: 400
    .language:       OpenCL C
    .language_version:
      - 2
      - 0
    .max_flat_workgroup_size: 256
    .name:           _Z39paged_attention_ll4mi_QKV_mfma16_kernelI14__hip_bfloat16hLN4vllm18Fp8KVCacheDataTypeE1ES0_Li16ELi64ELi256ELb1ELi4EEvPKT_PKT0_S8_ifPKiSA_SA_iPKfiiiPfSD_PS3_PT2_iSC_SC_
    .private_segment_fixed_size: 64
    .sgpr_count:     36
    .sgpr_spill_count: 0
    .symbol:         _Z39paged_attention_ll4mi_QKV_mfma16_kernelI14__hip_bfloat16hLN4vllm18Fp8KVCacheDataTypeE1ES0_Li16ELi64ELi256ELb1ELi4EEvPKT_PKT0_S8_ifPKiSA_SA_iPKfiiiPfSD_PS3_PT2_iSC_SC_.kd
    .uniform_work_group_size: 1
    .uses_dynamic_stack: false
    .vgpr_count:     51
    .vgpr_spill_count: 0
    .wavefront_size: 32
  - .args:
      - .actual_access:  read_only
        .address_space:  global
        .offset:         0
        .size:           8
        .value_kind:     global_buffer
      - .actual_access:  read_only
        .address_space:  global
        .offset:         8
        .size:           8
        .value_kind:     global_buffer
      - .actual_access:  read_only
        .address_space:  global
        .offset:         16
        .size:           8
        .value_kind:     global_buffer
      - .offset:         24
        .size:           4
        .value_kind:     by_value
      - .offset:         28
        .size:           4
        .value_kind:     by_value
      - .actual_access:  read_only
        .address_space:  global
        .offset:         32
        .size:           8
        .value_kind:     global_buffer
      - .actual_access:  read_only
        .address_space:  global
        .offset:         40
        .size:           8
        .value_kind:     global_buffer
      - .actual_access:  read_only
        .address_space:  global
        .offset:         48
        .size:           8
        .value_kind:     global_buffer
      - .offset:         56
        .size:           4
        .value_kind:     by_value
      - .actual_access:  read_only
        .address_space:  global
        .offset:         64
        .size:           8
        .value_kind:     global_buffer
      - .offset:         72
        .size:           4
        .value_kind:     by_value
      - .offset:         76
        .size:           4
        .value_kind:     by_value
      - .offset:         80
        .size:           4
        .value_kind:     by_value
      - .actual_access:  read_only
        .address_space:  global
        .offset:         88
        .size:           8
        .value_kind:     global_buffer
      - .actual_access:  read_only
        .address_space:  global
        .offset:         96
        .size:           8
        .value_kind:     global_buffer
      - .actual_access:  read_only
        .address_space:  global
        .offset:         104
        .size:           8
        .value_kind:     global_buffer
      - .actual_access:  read_only
        .address_space:  global
        .offset:         112
        .size:           8
        .value_kind:     global_buffer
      - .offset:         120
        .size:           4
        .value_kind:     by_value
      - .address_space:  global
        .offset:         128
        .size:           8
        .value_kind:     global_buffer
      - .address_space:  global
        .offset:         136
        .size:           8
        .value_kind:     global_buffer
      - .offset:         144
        .size:           4
        .value_kind:     hidden_block_count_x
      - .offset:         148
        .size:           4
        .value_kind:     hidden_block_count_y
      - .offset:         152
        .size:           4
        .value_kind:     hidden_block_count_z
      - .offset:         156
        .size:           2
        .value_kind:     hidden_group_size_x
      - .offset:         158
        .size:           2
        .value_kind:     hidden_group_size_y
      - .offset:         160
        .size:           2
        .value_kind:     hidden_group_size_z
      - .offset:         162
        .size:           2
        .value_kind:     hidden_remainder_x
      - .offset:         164
        .size:           2
        .value_kind:     hidden_remainder_y
      - .offset:         166
        .size:           2
        .value_kind:     hidden_remainder_z
      - .offset:         184
        .size:           8
        .value_kind:     hidden_global_offset_x
      - .offset:         192
        .size:           8
        .value_kind:     hidden_global_offset_y
      - .offset:         200
        .size:           8
        .value_kind:     hidden_global_offset_z
      - .offset:         208
        .size:           2
        .value_kind:     hidden_grid_dims
      - .offset:         224
        .size:           8
        .value_kind:     hidden_hostcall_buffer
    .group_segment_fixed_size: 0
    .kernarg_segment_align: 8
    .kernarg_segment_size: 400
    .language:       OpenCL C
    .language_version:
      - 2
      - 0
    .max_flat_workgroup_size: 256
    .name:           _Z38paged_attention_ll4mi_QKV_mfma4_kernelI14__hip_bfloat16hLN4vllm18Fp8KVCacheDataTypeE1ES0_Li16ELi64ELi256ELb0ELi1EEvPKT_PKT0_S8_ifPKiSA_SA_iPKfiiiPfSD_PS3_PT2_iSC_SC_
    .private_segment_fixed_size: 64
    .sgpr_count:     36
    .sgpr_spill_count: 0
    .symbol:         _Z38paged_attention_ll4mi_QKV_mfma4_kernelI14__hip_bfloat16hLN4vllm18Fp8KVCacheDataTypeE1ES0_Li16ELi64ELi256ELb0ELi1EEvPKT_PKT0_S8_ifPKiSA_SA_iPKfiiiPfSD_PS3_PT2_iSC_SC_.kd
    .uniform_work_group_size: 1
    .uses_dynamic_stack: false
    .vgpr_count:     51
    .vgpr_spill_count: 0
    .wavefront_size: 32
  - .args:
      - .actual_access:  read_only
        .address_space:  global
        .offset:         0
        .size:           8
        .value_kind:     global_buffer
      - .actual_access:  read_only
        .address_space:  global
        .offset:         8
        .size:           8
        .value_kind:     global_buffer
      - .actual_access:  read_only
        .address_space:  global
        .offset:         16
        .size:           8
        .value_kind:     global_buffer
      - .offset:         24
        .size:           4
        .value_kind:     by_value
      - .offset:         28
        .size:           4
        .value_kind:     by_value
      - .actual_access:  read_only
        .address_space:  global
        .offset:         32
        .size:           8
        .value_kind:     global_buffer
      - .actual_access:  read_only
        .address_space:  global
        .offset:         40
        .size:           8
        .value_kind:     global_buffer
      - .actual_access:  read_only
        .address_space:  global
        .offset:         48
        .size:           8
        .value_kind:     global_buffer
      - .offset:         56
        .size:           4
        .value_kind:     by_value
      - .actual_access:  read_only
        .address_space:  global
        .offset:         64
        .size:           8
        .value_kind:     global_buffer
      - .offset:         72
        .size:           4
        .value_kind:     by_value
      - .offset:         76
        .size:           4
        .value_kind:     by_value
      - .offset:         80
        .size:           4
        .value_kind:     by_value
      - .actual_access:  read_only
        .address_space:  global
        .offset:         88
        .size:           8
        .value_kind:     global_buffer
      - .actual_access:  read_only
        .address_space:  global
        .offset:         96
        .size:           8
        .value_kind:     global_buffer
      - .actual_access:  read_only
        .address_space:  global
        .offset:         104
        .size:           8
        .value_kind:     global_buffer
      - .actual_access:  read_only
        .address_space:  global
        .offset:         112
        .size:           8
        .value_kind:     global_buffer
      - .offset:         120
        .size:           4
        .value_kind:     by_value
      - .address_space:  global
        .offset:         128
        .size:           8
        .value_kind:     global_buffer
      - .address_space:  global
        .offset:         136
        .size:           8
        .value_kind:     global_buffer
      - .offset:         144
        .size:           4
        .value_kind:     hidden_block_count_x
      - .offset:         148
        .size:           4
        .value_kind:     hidden_block_count_y
      - .offset:         152
        .size:           4
        .value_kind:     hidden_block_count_z
      - .offset:         156
        .size:           2
        .value_kind:     hidden_group_size_x
      - .offset:         158
        .size:           2
        .value_kind:     hidden_group_size_y
      - .offset:         160
        .size:           2
        .value_kind:     hidden_group_size_z
      - .offset:         162
        .size:           2
        .value_kind:     hidden_remainder_x
      - .offset:         164
        .size:           2
        .value_kind:     hidden_remainder_y
      - .offset:         166
        .size:           2
        .value_kind:     hidden_remainder_z
      - .offset:         184
        .size:           8
        .value_kind:     hidden_global_offset_x
      - .offset:         192
        .size:           8
        .value_kind:     hidden_global_offset_y
      - .offset:         200
        .size:           8
        .value_kind:     hidden_global_offset_z
      - .offset:         208
        .size:           2
        .value_kind:     hidden_grid_dims
      - .offset:         224
        .size:           8
        .value_kind:     hidden_hostcall_buffer
    .group_segment_fixed_size: 0
    .kernarg_segment_align: 8
    .kernarg_segment_size: 400
    .language:       OpenCL C
    .language_version:
      - 2
      - 0
    .max_flat_workgroup_size: 256
    .name:           _Z38paged_attention_ll4mi_QKV_mfma4_kernelI14__hip_bfloat16hLN4vllm18Fp8KVCacheDataTypeE1ES0_Li16ELi64ELi256ELb0ELi2EEvPKT_PKT0_S8_ifPKiSA_SA_iPKfiiiPfSD_PS3_PT2_iSC_SC_
    .private_segment_fixed_size: 64
    .sgpr_count:     36
    .sgpr_spill_count: 0
    .symbol:         _Z38paged_attention_ll4mi_QKV_mfma4_kernelI14__hip_bfloat16hLN4vllm18Fp8KVCacheDataTypeE1ES0_Li16ELi64ELi256ELb0ELi2EEvPKT_PKT0_S8_ifPKiSA_SA_iPKfiiiPfSD_PS3_PT2_iSC_SC_.kd
    .uniform_work_group_size: 1
    .uses_dynamic_stack: false
    .vgpr_count:     51
    .vgpr_spill_count: 0
    .wavefront_size: 32
  - .args:
      - .actual_access:  read_only
        .address_space:  global
        .offset:         0
        .size:           8
        .value_kind:     global_buffer
      - .actual_access:  read_only
        .address_space:  global
        .offset:         8
        .size:           8
        .value_kind:     global_buffer
      - .actual_access:  read_only
        .address_space:  global
        .offset:         16
        .size:           8
        .value_kind:     global_buffer
      - .offset:         24
        .size:           4
        .value_kind:     by_value
      - .offset:         28
        .size:           4
        .value_kind:     by_value
      - .actual_access:  read_only
        .address_space:  global
        .offset:         32
        .size:           8
        .value_kind:     global_buffer
      - .actual_access:  read_only
        .address_space:  global
        .offset:         40
        .size:           8
        .value_kind:     global_buffer
      - .actual_access:  read_only
        .address_space:  global
        .offset:         48
        .size:           8
        .value_kind:     global_buffer
      - .offset:         56
        .size:           4
        .value_kind:     by_value
      - .actual_access:  read_only
        .address_space:  global
        .offset:         64
        .size:           8
        .value_kind:     global_buffer
      - .offset:         72
        .size:           4
        .value_kind:     by_value
      - .offset:         76
        .size:           4
        .value_kind:     by_value
      - .offset:         80
        .size:           4
        .value_kind:     by_value
      - .actual_access:  read_only
        .address_space:  global
        .offset:         88
        .size:           8
        .value_kind:     global_buffer
      - .actual_access:  read_only
        .address_space:  global
        .offset:         96
        .size:           8
        .value_kind:     global_buffer
      - .actual_access:  read_only
        .address_space:  global
        .offset:         104
        .size:           8
        .value_kind:     global_buffer
      - .actual_access:  read_only
        .address_space:  global
        .offset:         112
        .size:           8
        .value_kind:     global_buffer
      - .offset:         120
        .size:           4
        .value_kind:     by_value
      - .address_space:  global
        .offset:         128
        .size:           8
        .value_kind:     global_buffer
      - .address_space:  global
        .offset:         136
        .size:           8
        .value_kind:     global_buffer
      - .offset:         144
        .size:           4
        .value_kind:     hidden_block_count_x
      - .offset:         148
        .size:           4
        .value_kind:     hidden_block_count_y
      - .offset:         152
        .size:           4
        .value_kind:     hidden_block_count_z
      - .offset:         156
        .size:           2
        .value_kind:     hidden_group_size_x
      - .offset:         158
        .size:           2
        .value_kind:     hidden_group_size_y
      - .offset:         160
        .size:           2
        .value_kind:     hidden_group_size_z
      - .offset:         162
        .size:           2
        .value_kind:     hidden_remainder_x
      - .offset:         164
        .size:           2
        .value_kind:     hidden_remainder_y
      - .offset:         166
        .size:           2
        .value_kind:     hidden_remainder_z
      - .offset:         184
        .size:           8
        .value_kind:     hidden_global_offset_x
      - .offset:         192
        .size:           8
        .value_kind:     hidden_global_offset_y
      - .offset:         200
        .size:           8
        .value_kind:     hidden_global_offset_z
      - .offset:         208
        .size:           2
        .value_kind:     hidden_grid_dims
      - .offset:         224
        .size:           8
        .value_kind:     hidden_hostcall_buffer
    .group_segment_fixed_size: 0
    .kernarg_segment_align: 8
    .kernarg_segment_size: 400
    .language:       OpenCL C
    .language_version:
      - 2
      - 0
    .max_flat_workgroup_size: 256
    .name:           _Z38paged_attention_ll4mi_QKV_mfma4_kernelI14__hip_bfloat16hLN4vllm18Fp8KVCacheDataTypeE1ES0_Li16ELi64ELi256ELb0ELi3EEvPKT_PKT0_S8_ifPKiSA_SA_iPKfiiiPfSD_PS3_PT2_iSC_SC_
    .private_segment_fixed_size: 64
    .sgpr_count:     36
    .sgpr_spill_count: 0
    .symbol:         _Z38paged_attention_ll4mi_QKV_mfma4_kernelI14__hip_bfloat16hLN4vllm18Fp8KVCacheDataTypeE1ES0_Li16ELi64ELi256ELb0ELi3EEvPKT_PKT0_S8_ifPKiSA_SA_iPKfiiiPfSD_PS3_PT2_iSC_SC_.kd
    .uniform_work_group_size: 1
    .uses_dynamic_stack: false
    .vgpr_count:     51
    .vgpr_spill_count: 0
    .wavefront_size: 32
  - .args:
      - .actual_access:  read_only
        .address_space:  global
        .offset:         0
        .size:           8
        .value_kind:     global_buffer
      - .actual_access:  read_only
        .address_space:  global
        .offset:         8
        .size:           8
        .value_kind:     global_buffer
      - .actual_access:  read_only
        .address_space:  global
        .offset:         16
        .size:           8
        .value_kind:     global_buffer
      - .offset:         24
        .size:           4
        .value_kind:     by_value
      - .offset:         28
        .size:           4
        .value_kind:     by_value
      - .actual_access:  read_only
        .address_space:  global
        .offset:         32
        .size:           8
        .value_kind:     global_buffer
      - .actual_access:  read_only
        .address_space:  global
        .offset:         40
        .size:           8
        .value_kind:     global_buffer
      - .actual_access:  read_only
        .address_space:  global
        .offset:         48
        .size:           8
        .value_kind:     global_buffer
      - .offset:         56
        .size:           4
        .value_kind:     by_value
      - .actual_access:  read_only
        .address_space:  global
        .offset:         64
        .size:           8
        .value_kind:     global_buffer
      - .offset:         72
        .size:           4
        .value_kind:     by_value
      - .offset:         76
        .size:           4
        .value_kind:     by_value
      - .offset:         80
        .size:           4
        .value_kind:     by_value
      - .actual_access:  read_only
        .address_space:  global
        .offset:         88
        .size:           8
        .value_kind:     global_buffer
      - .actual_access:  read_only
        .address_space:  global
        .offset:         96
        .size:           8
        .value_kind:     global_buffer
      - .actual_access:  read_only
        .address_space:  global
        .offset:         104
        .size:           8
        .value_kind:     global_buffer
      - .actual_access:  read_only
        .address_space:  global
        .offset:         112
        .size:           8
        .value_kind:     global_buffer
      - .offset:         120
        .size:           4
        .value_kind:     by_value
      - .address_space:  global
        .offset:         128
        .size:           8
        .value_kind:     global_buffer
      - .address_space:  global
        .offset:         136
        .size:           8
        .value_kind:     global_buffer
      - .offset:         144
        .size:           4
        .value_kind:     hidden_block_count_x
      - .offset:         148
        .size:           4
        .value_kind:     hidden_block_count_y
      - .offset:         152
        .size:           4
        .value_kind:     hidden_block_count_z
      - .offset:         156
        .size:           2
        .value_kind:     hidden_group_size_x
      - .offset:         158
        .size:           2
        .value_kind:     hidden_group_size_y
      - .offset:         160
        .size:           2
        .value_kind:     hidden_group_size_z
      - .offset:         162
        .size:           2
        .value_kind:     hidden_remainder_x
      - .offset:         164
        .size:           2
        .value_kind:     hidden_remainder_y
      - .offset:         166
        .size:           2
        .value_kind:     hidden_remainder_z
      - .offset:         184
        .size:           8
        .value_kind:     hidden_global_offset_x
      - .offset:         192
        .size:           8
        .value_kind:     hidden_global_offset_y
      - .offset:         200
        .size:           8
        .value_kind:     hidden_global_offset_z
      - .offset:         208
        .size:           2
        .value_kind:     hidden_grid_dims
      - .offset:         224
        .size:           8
        .value_kind:     hidden_hostcall_buffer
    .group_segment_fixed_size: 0
    .kernarg_segment_align: 8
    .kernarg_segment_size: 400
    .language:       OpenCL C
    .language_version:
      - 2
      - 0
    .max_flat_workgroup_size: 256
    .name:           _Z38paged_attention_ll4mi_QKV_mfma4_kernelI14__hip_bfloat16hLN4vllm18Fp8KVCacheDataTypeE1ES0_Li16ELi64ELi256ELb0ELi4EEvPKT_PKT0_S8_ifPKiSA_SA_iPKfiiiPfSD_PS3_PT2_iSC_SC_
    .private_segment_fixed_size: 64
    .sgpr_count:     36
    .sgpr_spill_count: 0
    .symbol:         _Z38paged_attention_ll4mi_QKV_mfma4_kernelI14__hip_bfloat16hLN4vllm18Fp8KVCacheDataTypeE1ES0_Li16ELi64ELi256ELb0ELi4EEvPKT_PKT0_S8_ifPKiSA_SA_iPKfiiiPfSD_PS3_PT2_iSC_SC_.kd
    .uniform_work_group_size: 1
    .uses_dynamic_stack: false
    .vgpr_count:     51
    .vgpr_spill_count: 0
    .wavefront_size: 32
  - .args:
      - .actual_access:  read_only
        .address_space:  global
        .offset:         0
        .size:           8
        .value_kind:     global_buffer
      - .actual_access:  read_only
        .address_space:  global
        .offset:         8
        .size:           8
        .value_kind:     global_buffer
      - .actual_access:  read_only
        .address_space:  global
        .offset:         16
        .size:           8
        .value_kind:     global_buffer
      - .offset:         24
        .size:           4
        .value_kind:     by_value
      - .offset:         28
        .size:           4
        .value_kind:     by_value
      - .actual_access:  read_only
        .address_space:  global
        .offset:         32
        .size:           8
        .value_kind:     global_buffer
      - .actual_access:  read_only
        .address_space:  global
        .offset:         40
        .size:           8
        .value_kind:     global_buffer
      - .actual_access:  read_only
        .address_space:  global
        .offset:         48
        .size:           8
        .value_kind:     global_buffer
      - .offset:         56
        .size:           4
        .value_kind:     by_value
      - .actual_access:  read_only
        .address_space:  global
        .offset:         64
        .size:           8
        .value_kind:     global_buffer
      - .offset:         72
        .size:           4
        .value_kind:     by_value
      - .offset:         76
        .size:           4
        .value_kind:     by_value
      - .offset:         80
        .size:           4
        .value_kind:     by_value
      - .actual_access:  read_only
        .address_space:  global
        .offset:         88
        .size:           8
        .value_kind:     global_buffer
      - .actual_access:  read_only
        .address_space:  global
        .offset:         96
        .size:           8
        .value_kind:     global_buffer
      - .actual_access:  read_only
        .address_space:  global
        .offset:         104
        .size:           8
        .value_kind:     global_buffer
      - .actual_access:  read_only
        .address_space:  global
        .offset:         112
        .size:           8
        .value_kind:     global_buffer
      - .offset:         120
        .size:           4
        .value_kind:     by_value
      - .address_space:  global
        .offset:         128
        .size:           8
        .value_kind:     global_buffer
      - .address_space:  global
        .offset:         136
        .size:           8
        .value_kind:     global_buffer
      - .offset:         144
        .size:           4
        .value_kind:     hidden_block_count_x
      - .offset:         148
        .size:           4
        .value_kind:     hidden_block_count_y
      - .offset:         152
        .size:           4
        .value_kind:     hidden_block_count_z
      - .offset:         156
        .size:           2
        .value_kind:     hidden_group_size_x
      - .offset:         158
        .size:           2
        .value_kind:     hidden_group_size_y
      - .offset:         160
        .size:           2
        .value_kind:     hidden_group_size_z
      - .offset:         162
        .size:           2
        .value_kind:     hidden_remainder_x
      - .offset:         164
        .size:           2
        .value_kind:     hidden_remainder_y
      - .offset:         166
        .size:           2
        .value_kind:     hidden_remainder_z
      - .offset:         184
        .size:           8
        .value_kind:     hidden_global_offset_x
      - .offset:         192
        .size:           8
        .value_kind:     hidden_global_offset_y
      - .offset:         200
        .size:           8
        .value_kind:     hidden_global_offset_z
      - .offset:         208
        .size:           2
        .value_kind:     hidden_grid_dims
      - .offset:         224
        .size:           8
        .value_kind:     hidden_hostcall_buffer
    .group_segment_fixed_size: 0
    .kernarg_segment_align: 8
    .kernarg_segment_size: 400
    .language:       OpenCL C
    .language_version:
      - 2
      - 0
    .max_flat_workgroup_size: 256
    .name:           _Z39paged_attention_ll4mi_QKV_mfma16_kernelI14__hip_bfloat16hLN4vllm18Fp8KVCacheDataTypeE1ES0_Li16ELi64ELi256ELb0ELi5EEvPKT_PKT0_S8_ifPKiSA_SA_iPKfiiiPfSD_PS3_PT2_iSC_SC_
    .private_segment_fixed_size: 64
    .sgpr_count:     36
    .sgpr_spill_count: 0
    .symbol:         _Z39paged_attention_ll4mi_QKV_mfma16_kernelI14__hip_bfloat16hLN4vllm18Fp8KVCacheDataTypeE1ES0_Li16ELi64ELi256ELb0ELi5EEvPKT_PKT0_S8_ifPKiSA_SA_iPKfiiiPfSD_PS3_PT2_iSC_SC_.kd
    .uniform_work_group_size: 1
    .uses_dynamic_stack: false
    .vgpr_count:     51
    .vgpr_spill_count: 0
    .wavefront_size: 32
  - .args:
      - .actual_access:  read_only
        .address_space:  global
        .offset:         0
        .size:           8
        .value_kind:     global_buffer
      - .actual_access:  read_only
        .address_space:  global
        .offset:         8
        .size:           8
        .value_kind:     global_buffer
      - .actual_access:  read_only
        .address_space:  global
        .offset:         16
        .size:           8
        .value_kind:     global_buffer
      - .offset:         24
        .size:           4
        .value_kind:     by_value
      - .offset:         28
        .size:           4
        .value_kind:     by_value
      - .actual_access:  read_only
        .address_space:  global
        .offset:         32
        .size:           8
        .value_kind:     global_buffer
      - .actual_access:  read_only
        .address_space:  global
        .offset:         40
        .size:           8
        .value_kind:     global_buffer
      - .actual_access:  read_only
        .address_space:  global
        .offset:         48
        .size:           8
        .value_kind:     global_buffer
      - .offset:         56
        .size:           4
        .value_kind:     by_value
      - .actual_access:  read_only
        .address_space:  global
        .offset:         64
        .size:           8
        .value_kind:     global_buffer
      - .offset:         72
        .size:           4
        .value_kind:     by_value
      - .offset:         76
        .size:           4
        .value_kind:     by_value
      - .offset:         80
        .size:           4
        .value_kind:     by_value
      - .actual_access:  read_only
        .address_space:  global
        .offset:         88
        .size:           8
        .value_kind:     global_buffer
      - .actual_access:  read_only
        .address_space:  global
        .offset:         96
        .size:           8
        .value_kind:     global_buffer
      - .actual_access:  read_only
        .address_space:  global
        .offset:         104
        .size:           8
        .value_kind:     global_buffer
      - .actual_access:  read_only
        .address_space:  global
        .offset:         112
        .size:           8
        .value_kind:     global_buffer
      - .offset:         120
        .size:           4
        .value_kind:     by_value
      - .address_space:  global
        .offset:         128
        .size:           8
        .value_kind:     global_buffer
      - .address_space:  global
        .offset:         136
        .size:           8
        .value_kind:     global_buffer
      - .offset:         144
        .size:           4
        .value_kind:     hidden_block_count_x
      - .offset:         148
        .size:           4
        .value_kind:     hidden_block_count_y
      - .offset:         152
        .size:           4
        .value_kind:     hidden_block_count_z
      - .offset:         156
        .size:           2
        .value_kind:     hidden_group_size_x
      - .offset:         158
        .size:           2
        .value_kind:     hidden_group_size_y
      - .offset:         160
        .size:           2
        .value_kind:     hidden_group_size_z
      - .offset:         162
        .size:           2
        .value_kind:     hidden_remainder_x
      - .offset:         164
        .size:           2
        .value_kind:     hidden_remainder_y
      - .offset:         166
        .size:           2
        .value_kind:     hidden_remainder_z
      - .offset:         184
        .size:           8
        .value_kind:     hidden_global_offset_x
      - .offset:         192
        .size:           8
        .value_kind:     hidden_global_offset_y
      - .offset:         200
        .size:           8
        .value_kind:     hidden_global_offset_z
      - .offset:         208
        .size:           2
        .value_kind:     hidden_grid_dims
      - .offset:         224
        .size:           8
        .value_kind:     hidden_hostcall_buffer
    .group_segment_fixed_size: 0
    .kernarg_segment_align: 8
    .kernarg_segment_size: 400
    .language:       OpenCL C
    .language_version:
      - 2
      - 0
    .max_flat_workgroup_size: 256
    .name:           _Z39paged_attention_ll4mi_QKV_mfma16_kernelI14__hip_bfloat16hLN4vllm18Fp8KVCacheDataTypeE1ES0_Li16ELi64ELi256ELb0ELi6EEvPKT_PKT0_S8_ifPKiSA_SA_iPKfiiiPfSD_PS3_PT2_iSC_SC_
    .private_segment_fixed_size: 64
    .sgpr_count:     36
    .sgpr_spill_count: 0
    .symbol:         _Z39paged_attention_ll4mi_QKV_mfma16_kernelI14__hip_bfloat16hLN4vllm18Fp8KVCacheDataTypeE1ES0_Li16ELi64ELi256ELb0ELi6EEvPKT_PKT0_S8_ifPKiSA_SA_iPKfiiiPfSD_PS3_PT2_iSC_SC_.kd
    .uniform_work_group_size: 1
    .uses_dynamic_stack: false
    .vgpr_count:     51
    .vgpr_spill_count: 0
    .wavefront_size: 32
  - .args:
      - .actual_access:  read_only
        .address_space:  global
        .offset:         0
        .size:           8
        .value_kind:     global_buffer
      - .actual_access:  read_only
        .address_space:  global
        .offset:         8
        .size:           8
        .value_kind:     global_buffer
      - .actual_access:  read_only
        .address_space:  global
        .offset:         16
        .size:           8
        .value_kind:     global_buffer
      - .offset:         24
        .size:           4
        .value_kind:     by_value
      - .offset:         28
        .size:           4
        .value_kind:     by_value
      - .actual_access:  read_only
        .address_space:  global
        .offset:         32
        .size:           8
        .value_kind:     global_buffer
      - .actual_access:  read_only
        .address_space:  global
        .offset:         40
        .size:           8
        .value_kind:     global_buffer
      - .actual_access:  read_only
        .address_space:  global
        .offset:         48
        .size:           8
        .value_kind:     global_buffer
      - .offset:         56
        .size:           4
        .value_kind:     by_value
      - .actual_access:  read_only
        .address_space:  global
        .offset:         64
        .size:           8
        .value_kind:     global_buffer
      - .offset:         72
        .size:           4
        .value_kind:     by_value
      - .offset:         76
        .size:           4
        .value_kind:     by_value
      - .offset:         80
        .size:           4
        .value_kind:     by_value
      - .actual_access:  read_only
        .address_space:  global
        .offset:         88
        .size:           8
        .value_kind:     global_buffer
      - .actual_access:  read_only
        .address_space:  global
        .offset:         96
        .size:           8
        .value_kind:     global_buffer
      - .actual_access:  read_only
        .address_space:  global
        .offset:         104
        .size:           8
        .value_kind:     global_buffer
      - .actual_access:  read_only
        .address_space:  global
        .offset:         112
        .size:           8
        .value_kind:     global_buffer
      - .offset:         120
        .size:           4
        .value_kind:     by_value
      - .address_space:  global
        .offset:         128
        .size:           8
        .value_kind:     global_buffer
      - .address_space:  global
        .offset:         136
        .size:           8
        .value_kind:     global_buffer
      - .offset:         144
        .size:           4
        .value_kind:     hidden_block_count_x
      - .offset:         148
        .size:           4
        .value_kind:     hidden_block_count_y
      - .offset:         152
        .size:           4
        .value_kind:     hidden_block_count_z
      - .offset:         156
        .size:           2
        .value_kind:     hidden_group_size_x
      - .offset:         158
        .size:           2
        .value_kind:     hidden_group_size_y
      - .offset:         160
        .size:           2
        .value_kind:     hidden_group_size_z
      - .offset:         162
        .size:           2
        .value_kind:     hidden_remainder_x
      - .offset:         164
        .size:           2
        .value_kind:     hidden_remainder_y
      - .offset:         166
        .size:           2
        .value_kind:     hidden_remainder_z
      - .offset:         184
        .size:           8
        .value_kind:     hidden_global_offset_x
      - .offset:         192
        .size:           8
        .value_kind:     hidden_global_offset_y
      - .offset:         200
        .size:           8
        .value_kind:     hidden_global_offset_z
      - .offset:         208
        .size:           2
        .value_kind:     hidden_grid_dims
      - .offset:         224
        .size:           8
        .value_kind:     hidden_hostcall_buffer
    .group_segment_fixed_size: 0
    .kernarg_segment_align: 8
    .kernarg_segment_size: 400
    .language:       OpenCL C
    .language_version:
      - 2
      - 0
    .max_flat_workgroup_size: 256
    .name:           _Z39paged_attention_ll4mi_QKV_mfma16_kernelI14__hip_bfloat16hLN4vllm18Fp8KVCacheDataTypeE1ES0_Li16ELi64ELi256ELb0ELi7EEvPKT_PKT0_S8_ifPKiSA_SA_iPKfiiiPfSD_PS3_PT2_iSC_SC_
    .private_segment_fixed_size: 64
    .sgpr_count:     36
    .sgpr_spill_count: 0
    .symbol:         _Z39paged_attention_ll4mi_QKV_mfma16_kernelI14__hip_bfloat16hLN4vllm18Fp8KVCacheDataTypeE1ES0_Li16ELi64ELi256ELb0ELi7EEvPKT_PKT0_S8_ifPKiSA_SA_iPKfiiiPfSD_PS3_PT2_iSC_SC_.kd
    .uniform_work_group_size: 1
    .uses_dynamic_stack: false
    .vgpr_count:     51
    .vgpr_spill_count: 0
    .wavefront_size: 32
  - .args:
      - .actual_access:  read_only
        .address_space:  global
        .offset:         0
        .size:           8
        .value_kind:     global_buffer
      - .actual_access:  read_only
        .address_space:  global
        .offset:         8
        .size:           8
        .value_kind:     global_buffer
      - .actual_access:  read_only
        .address_space:  global
        .offset:         16
        .size:           8
        .value_kind:     global_buffer
      - .offset:         24
        .size:           4
        .value_kind:     by_value
      - .offset:         28
        .size:           4
        .value_kind:     by_value
      - .actual_access:  read_only
        .address_space:  global
        .offset:         32
        .size:           8
        .value_kind:     global_buffer
      - .actual_access:  read_only
        .address_space:  global
        .offset:         40
        .size:           8
        .value_kind:     global_buffer
      - .actual_access:  read_only
        .address_space:  global
        .offset:         48
        .size:           8
        .value_kind:     global_buffer
      - .offset:         56
        .size:           4
        .value_kind:     by_value
      - .actual_access:  read_only
        .address_space:  global
        .offset:         64
        .size:           8
        .value_kind:     global_buffer
      - .offset:         72
        .size:           4
        .value_kind:     by_value
      - .offset:         76
        .size:           4
        .value_kind:     by_value
      - .offset:         80
        .size:           4
        .value_kind:     by_value
      - .actual_access:  read_only
        .address_space:  global
        .offset:         88
        .size:           8
        .value_kind:     global_buffer
      - .actual_access:  read_only
        .address_space:  global
        .offset:         96
        .size:           8
        .value_kind:     global_buffer
      - .actual_access:  read_only
        .address_space:  global
        .offset:         104
        .size:           8
        .value_kind:     global_buffer
      - .actual_access:  read_only
        .address_space:  global
        .offset:         112
        .size:           8
        .value_kind:     global_buffer
      - .offset:         120
        .size:           4
        .value_kind:     by_value
      - .address_space:  global
        .offset:         128
        .size:           8
        .value_kind:     global_buffer
      - .address_space:  global
        .offset:         136
        .size:           8
        .value_kind:     global_buffer
      - .offset:         144
        .size:           4
        .value_kind:     hidden_block_count_x
      - .offset:         148
        .size:           4
        .value_kind:     hidden_block_count_y
      - .offset:         152
        .size:           4
        .value_kind:     hidden_block_count_z
      - .offset:         156
        .size:           2
        .value_kind:     hidden_group_size_x
      - .offset:         158
        .size:           2
        .value_kind:     hidden_group_size_y
      - .offset:         160
        .size:           2
        .value_kind:     hidden_group_size_z
      - .offset:         162
        .size:           2
        .value_kind:     hidden_remainder_x
      - .offset:         164
        .size:           2
        .value_kind:     hidden_remainder_y
      - .offset:         166
        .size:           2
        .value_kind:     hidden_remainder_z
      - .offset:         184
        .size:           8
        .value_kind:     hidden_global_offset_x
      - .offset:         192
        .size:           8
        .value_kind:     hidden_global_offset_y
      - .offset:         200
        .size:           8
        .value_kind:     hidden_global_offset_z
      - .offset:         208
        .size:           2
        .value_kind:     hidden_grid_dims
      - .offset:         224
        .size:           8
        .value_kind:     hidden_hostcall_buffer
    .group_segment_fixed_size: 0
    .kernarg_segment_align: 8
    .kernarg_segment_size: 400
    .language:       OpenCL C
    .language_version:
      - 2
      - 0
    .max_flat_workgroup_size: 256
    .name:           _Z39paged_attention_ll4mi_QKV_mfma16_kernelI14__hip_bfloat16hLN4vllm18Fp8KVCacheDataTypeE1ES0_Li16ELi64ELi256ELb0ELi8EEvPKT_PKT0_S8_ifPKiSA_SA_iPKfiiiPfSD_PS3_PT2_iSC_SC_
    .private_segment_fixed_size: 64
    .sgpr_count:     36
    .sgpr_spill_count: 0
    .symbol:         _Z39paged_attention_ll4mi_QKV_mfma16_kernelI14__hip_bfloat16hLN4vllm18Fp8KVCacheDataTypeE1ES0_Li16ELi64ELi256ELb0ELi8EEvPKT_PKT0_S8_ifPKiSA_SA_iPKfiiiPfSD_PS3_PT2_iSC_SC_.kd
    .uniform_work_group_size: 1
    .uses_dynamic_stack: false
    .vgpr_count:     51
    .vgpr_spill_count: 0
    .wavefront_size: 32
  - .args:
      - .actual_access:  read_only
        .address_space:  global
        .offset:         0
        .size:           8
        .value_kind:     global_buffer
      - .actual_access:  read_only
        .address_space:  global
        .offset:         8
        .size:           8
        .value_kind:     global_buffer
      - .actual_access:  read_only
        .address_space:  global
        .offset:         16
        .size:           8
        .value_kind:     global_buffer
      - .offset:         24
        .size:           4
        .value_kind:     by_value
      - .offset:         28
        .size:           4
        .value_kind:     by_value
      - .actual_access:  read_only
        .address_space:  global
        .offset:         32
        .size:           8
        .value_kind:     global_buffer
      - .actual_access:  read_only
        .address_space:  global
        .offset:         40
        .size:           8
        .value_kind:     global_buffer
      - .actual_access:  read_only
        .address_space:  global
        .offset:         48
        .size:           8
        .value_kind:     global_buffer
      - .offset:         56
        .size:           4
        .value_kind:     by_value
      - .actual_access:  read_only
        .address_space:  global
        .offset:         64
        .size:           8
        .value_kind:     global_buffer
      - .offset:         72
        .size:           4
        .value_kind:     by_value
      - .offset:         76
        .size:           4
        .value_kind:     by_value
      - .offset:         80
        .size:           4
        .value_kind:     by_value
      - .actual_access:  read_only
        .address_space:  global
        .offset:         88
        .size:           8
        .value_kind:     global_buffer
      - .actual_access:  read_only
        .address_space:  global
        .offset:         96
        .size:           8
        .value_kind:     global_buffer
      - .actual_access:  read_only
        .address_space:  global
        .offset:         104
        .size:           8
        .value_kind:     global_buffer
      - .actual_access:  read_only
        .address_space:  global
        .offset:         112
        .size:           8
        .value_kind:     global_buffer
      - .offset:         120
        .size:           4
        .value_kind:     by_value
      - .address_space:  global
        .offset:         128
        .size:           8
        .value_kind:     global_buffer
      - .address_space:  global
        .offset:         136
        .size:           8
        .value_kind:     global_buffer
      - .offset:         144
        .size:           4
        .value_kind:     hidden_block_count_x
      - .offset:         148
        .size:           4
        .value_kind:     hidden_block_count_y
      - .offset:         152
        .size:           4
        .value_kind:     hidden_block_count_z
      - .offset:         156
        .size:           2
        .value_kind:     hidden_group_size_x
      - .offset:         158
        .size:           2
        .value_kind:     hidden_group_size_y
      - .offset:         160
        .size:           2
        .value_kind:     hidden_group_size_z
      - .offset:         162
        .size:           2
        .value_kind:     hidden_remainder_x
      - .offset:         164
        .size:           2
        .value_kind:     hidden_remainder_y
      - .offset:         166
        .size:           2
        .value_kind:     hidden_remainder_z
      - .offset:         184
        .size:           8
        .value_kind:     hidden_global_offset_x
      - .offset:         192
        .size:           8
        .value_kind:     hidden_global_offset_y
      - .offset:         200
        .size:           8
        .value_kind:     hidden_global_offset_z
      - .offset:         208
        .size:           2
        .value_kind:     hidden_grid_dims
      - .offset:         224
        .size:           8
        .value_kind:     hidden_hostcall_buffer
    .group_segment_fixed_size: 0
    .kernarg_segment_align: 8
    .kernarg_segment_size: 400
    .language:       OpenCL C
    .language_version:
      - 2
      - 0
    .max_flat_workgroup_size: 256
    .name:           _Z39paged_attention_ll4mi_QKV_mfma16_kernelI14__hip_bfloat16hLN4vllm18Fp8KVCacheDataTypeE1ES0_Li16ELi64ELi256ELb0ELi9EEvPKT_PKT0_S8_ifPKiSA_SA_iPKfiiiPfSD_PS3_PT2_iSC_SC_
    .private_segment_fixed_size: 64
    .sgpr_count:     36
    .sgpr_spill_count: 0
    .symbol:         _Z39paged_attention_ll4mi_QKV_mfma16_kernelI14__hip_bfloat16hLN4vllm18Fp8KVCacheDataTypeE1ES0_Li16ELi64ELi256ELb0ELi9EEvPKT_PKT0_S8_ifPKiSA_SA_iPKfiiiPfSD_PS3_PT2_iSC_SC_.kd
    .uniform_work_group_size: 1
    .uses_dynamic_stack: false
    .vgpr_count:     51
    .vgpr_spill_count: 0
    .wavefront_size: 32
  - .args:
      - .actual_access:  read_only
        .address_space:  global
        .offset:         0
        .size:           8
        .value_kind:     global_buffer
      - .actual_access:  read_only
        .address_space:  global
        .offset:         8
        .size:           8
        .value_kind:     global_buffer
      - .actual_access:  read_only
        .address_space:  global
        .offset:         16
        .size:           8
        .value_kind:     global_buffer
      - .offset:         24
        .size:           4
        .value_kind:     by_value
      - .offset:         28
        .size:           4
        .value_kind:     by_value
      - .actual_access:  read_only
        .address_space:  global
        .offset:         32
        .size:           8
        .value_kind:     global_buffer
      - .actual_access:  read_only
        .address_space:  global
        .offset:         40
        .size:           8
        .value_kind:     global_buffer
      - .actual_access:  read_only
        .address_space:  global
        .offset:         48
        .size:           8
        .value_kind:     global_buffer
      - .offset:         56
        .size:           4
        .value_kind:     by_value
      - .actual_access:  read_only
        .address_space:  global
        .offset:         64
        .size:           8
        .value_kind:     global_buffer
      - .offset:         72
        .size:           4
        .value_kind:     by_value
      - .offset:         76
        .size:           4
        .value_kind:     by_value
      - .offset:         80
        .size:           4
        .value_kind:     by_value
      - .actual_access:  read_only
        .address_space:  global
        .offset:         88
        .size:           8
        .value_kind:     global_buffer
      - .actual_access:  read_only
        .address_space:  global
        .offset:         96
        .size:           8
        .value_kind:     global_buffer
      - .actual_access:  read_only
        .address_space:  global
        .offset:         104
        .size:           8
        .value_kind:     global_buffer
      - .actual_access:  read_only
        .address_space:  global
        .offset:         112
        .size:           8
        .value_kind:     global_buffer
      - .offset:         120
        .size:           4
        .value_kind:     by_value
      - .address_space:  global
        .offset:         128
        .size:           8
        .value_kind:     global_buffer
      - .address_space:  global
        .offset:         136
        .size:           8
        .value_kind:     global_buffer
      - .offset:         144
        .size:           4
        .value_kind:     hidden_block_count_x
      - .offset:         148
        .size:           4
        .value_kind:     hidden_block_count_y
      - .offset:         152
        .size:           4
        .value_kind:     hidden_block_count_z
      - .offset:         156
        .size:           2
        .value_kind:     hidden_group_size_x
      - .offset:         158
        .size:           2
        .value_kind:     hidden_group_size_y
      - .offset:         160
        .size:           2
        .value_kind:     hidden_group_size_z
      - .offset:         162
        .size:           2
        .value_kind:     hidden_remainder_x
      - .offset:         164
        .size:           2
        .value_kind:     hidden_remainder_y
      - .offset:         166
        .size:           2
        .value_kind:     hidden_remainder_z
      - .offset:         184
        .size:           8
        .value_kind:     hidden_global_offset_x
      - .offset:         192
        .size:           8
        .value_kind:     hidden_global_offset_y
      - .offset:         200
        .size:           8
        .value_kind:     hidden_global_offset_z
      - .offset:         208
        .size:           2
        .value_kind:     hidden_grid_dims
      - .offset:         224
        .size:           8
        .value_kind:     hidden_hostcall_buffer
    .group_segment_fixed_size: 0
    .kernarg_segment_align: 8
    .kernarg_segment_size: 400
    .language:       OpenCL C
    .language_version:
      - 2
      - 0
    .max_flat_workgroup_size: 256
    .name:           _Z39paged_attention_ll4mi_QKV_mfma16_kernelI14__hip_bfloat16hLN4vllm18Fp8KVCacheDataTypeE1ES0_Li16ELi64ELi256ELb0ELi10EEvPKT_PKT0_S8_ifPKiSA_SA_iPKfiiiPfSD_PS3_PT2_iSC_SC_
    .private_segment_fixed_size: 64
    .sgpr_count:     36
    .sgpr_spill_count: 0
    .symbol:         _Z39paged_attention_ll4mi_QKV_mfma16_kernelI14__hip_bfloat16hLN4vllm18Fp8KVCacheDataTypeE1ES0_Li16ELi64ELi256ELb0ELi10EEvPKT_PKT0_S8_ifPKiSA_SA_iPKfiiiPfSD_PS3_PT2_iSC_SC_.kd
    .uniform_work_group_size: 1
    .uses_dynamic_stack: false
    .vgpr_count:     51
    .vgpr_spill_count: 0
    .wavefront_size: 32
  - .args:
      - .actual_access:  read_only
        .address_space:  global
        .offset:         0
        .size:           8
        .value_kind:     global_buffer
      - .actual_access:  read_only
        .address_space:  global
        .offset:         8
        .size:           8
        .value_kind:     global_buffer
      - .actual_access:  read_only
        .address_space:  global
        .offset:         16
        .size:           8
        .value_kind:     global_buffer
      - .offset:         24
        .size:           4
        .value_kind:     by_value
      - .offset:         28
        .size:           4
        .value_kind:     by_value
      - .actual_access:  read_only
        .address_space:  global
        .offset:         32
        .size:           8
        .value_kind:     global_buffer
      - .actual_access:  read_only
        .address_space:  global
        .offset:         40
        .size:           8
        .value_kind:     global_buffer
      - .actual_access:  read_only
        .address_space:  global
        .offset:         48
        .size:           8
        .value_kind:     global_buffer
      - .offset:         56
        .size:           4
        .value_kind:     by_value
      - .actual_access:  read_only
        .address_space:  global
        .offset:         64
        .size:           8
        .value_kind:     global_buffer
      - .offset:         72
        .size:           4
        .value_kind:     by_value
      - .offset:         76
        .size:           4
        .value_kind:     by_value
      - .offset:         80
        .size:           4
        .value_kind:     by_value
      - .actual_access:  read_only
        .address_space:  global
        .offset:         88
        .size:           8
        .value_kind:     global_buffer
      - .actual_access:  read_only
        .address_space:  global
        .offset:         96
        .size:           8
        .value_kind:     global_buffer
      - .actual_access:  read_only
        .address_space:  global
        .offset:         104
        .size:           8
        .value_kind:     global_buffer
      - .actual_access:  read_only
        .address_space:  global
        .offset:         112
        .size:           8
        .value_kind:     global_buffer
      - .offset:         120
        .size:           4
        .value_kind:     by_value
      - .address_space:  global
        .offset:         128
        .size:           8
        .value_kind:     global_buffer
      - .address_space:  global
        .offset:         136
        .size:           8
        .value_kind:     global_buffer
      - .offset:         144
        .size:           4
        .value_kind:     hidden_block_count_x
      - .offset:         148
        .size:           4
        .value_kind:     hidden_block_count_y
      - .offset:         152
        .size:           4
        .value_kind:     hidden_block_count_z
      - .offset:         156
        .size:           2
        .value_kind:     hidden_group_size_x
      - .offset:         158
        .size:           2
        .value_kind:     hidden_group_size_y
      - .offset:         160
        .size:           2
        .value_kind:     hidden_group_size_z
      - .offset:         162
        .size:           2
        .value_kind:     hidden_remainder_x
      - .offset:         164
        .size:           2
        .value_kind:     hidden_remainder_y
      - .offset:         166
        .size:           2
        .value_kind:     hidden_remainder_z
      - .offset:         184
        .size:           8
        .value_kind:     hidden_global_offset_x
      - .offset:         192
        .size:           8
        .value_kind:     hidden_global_offset_y
      - .offset:         200
        .size:           8
        .value_kind:     hidden_global_offset_z
      - .offset:         208
        .size:           2
        .value_kind:     hidden_grid_dims
      - .offset:         224
        .size:           8
        .value_kind:     hidden_hostcall_buffer
    .group_segment_fixed_size: 0
    .kernarg_segment_align: 8
    .kernarg_segment_size: 400
    .language:       OpenCL C
    .language_version:
      - 2
      - 0
    .max_flat_workgroup_size: 256
    .name:           _Z39paged_attention_ll4mi_QKV_mfma16_kernelI14__hip_bfloat16hLN4vllm18Fp8KVCacheDataTypeE1ES0_Li16ELi64ELi256ELb0ELi11EEvPKT_PKT0_S8_ifPKiSA_SA_iPKfiiiPfSD_PS3_PT2_iSC_SC_
    .private_segment_fixed_size: 64
    .sgpr_count:     36
    .sgpr_spill_count: 0
    .symbol:         _Z39paged_attention_ll4mi_QKV_mfma16_kernelI14__hip_bfloat16hLN4vllm18Fp8KVCacheDataTypeE1ES0_Li16ELi64ELi256ELb0ELi11EEvPKT_PKT0_S8_ifPKiSA_SA_iPKfiiiPfSD_PS3_PT2_iSC_SC_.kd
    .uniform_work_group_size: 1
    .uses_dynamic_stack: false
    .vgpr_count:     51
    .vgpr_spill_count: 0
    .wavefront_size: 32
  - .args:
      - .actual_access:  read_only
        .address_space:  global
        .offset:         0
        .size:           8
        .value_kind:     global_buffer
      - .actual_access:  read_only
        .address_space:  global
        .offset:         8
        .size:           8
        .value_kind:     global_buffer
      - .actual_access:  read_only
        .address_space:  global
        .offset:         16
        .size:           8
        .value_kind:     global_buffer
      - .offset:         24
        .size:           4
        .value_kind:     by_value
      - .offset:         28
        .size:           4
        .value_kind:     by_value
      - .actual_access:  read_only
        .address_space:  global
        .offset:         32
        .size:           8
        .value_kind:     global_buffer
      - .actual_access:  read_only
        .address_space:  global
        .offset:         40
        .size:           8
        .value_kind:     global_buffer
      - .actual_access:  read_only
        .address_space:  global
        .offset:         48
        .size:           8
        .value_kind:     global_buffer
      - .offset:         56
        .size:           4
        .value_kind:     by_value
      - .actual_access:  read_only
        .address_space:  global
        .offset:         64
        .size:           8
        .value_kind:     global_buffer
      - .offset:         72
        .size:           4
        .value_kind:     by_value
      - .offset:         76
        .size:           4
        .value_kind:     by_value
      - .offset:         80
        .size:           4
        .value_kind:     by_value
      - .actual_access:  read_only
        .address_space:  global
        .offset:         88
        .size:           8
        .value_kind:     global_buffer
      - .actual_access:  read_only
        .address_space:  global
        .offset:         96
        .size:           8
        .value_kind:     global_buffer
      - .actual_access:  read_only
        .address_space:  global
        .offset:         104
        .size:           8
        .value_kind:     global_buffer
      - .actual_access:  read_only
        .address_space:  global
        .offset:         112
        .size:           8
        .value_kind:     global_buffer
      - .offset:         120
        .size:           4
        .value_kind:     by_value
      - .address_space:  global
        .offset:         128
        .size:           8
        .value_kind:     global_buffer
      - .address_space:  global
        .offset:         136
        .size:           8
        .value_kind:     global_buffer
      - .offset:         144
        .size:           4
        .value_kind:     hidden_block_count_x
      - .offset:         148
        .size:           4
        .value_kind:     hidden_block_count_y
      - .offset:         152
        .size:           4
        .value_kind:     hidden_block_count_z
      - .offset:         156
        .size:           2
        .value_kind:     hidden_group_size_x
      - .offset:         158
        .size:           2
        .value_kind:     hidden_group_size_y
      - .offset:         160
        .size:           2
        .value_kind:     hidden_group_size_z
      - .offset:         162
        .size:           2
        .value_kind:     hidden_remainder_x
      - .offset:         164
        .size:           2
        .value_kind:     hidden_remainder_y
      - .offset:         166
        .size:           2
        .value_kind:     hidden_remainder_z
      - .offset:         184
        .size:           8
        .value_kind:     hidden_global_offset_x
      - .offset:         192
        .size:           8
        .value_kind:     hidden_global_offset_y
      - .offset:         200
        .size:           8
        .value_kind:     hidden_global_offset_z
      - .offset:         208
        .size:           2
        .value_kind:     hidden_grid_dims
      - .offset:         224
        .size:           8
        .value_kind:     hidden_hostcall_buffer
    .group_segment_fixed_size: 0
    .kernarg_segment_align: 8
    .kernarg_segment_size: 400
    .language:       OpenCL C
    .language_version:
      - 2
      - 0
    .max_flat_workgroup_size: 256
    .name:           _Z39paged_attention_ll4mi_QKV_mfma16_kernelI14__hip_bfloat16hLN4vllm18Fp8KVCacheDataTypeE1ES0_Li16ELi64ELi256ELb0ELi12EEvPKT_PKT0_S8_ifPKiSA_SA_iPKfiiiPfSD_PS3_PT2_iSC_SC_
    .private_segment_fixed_size: 64
    .sgpr_count:     36
    .sgpr_spill_count: 0
    .symbol:         _Z39paged_attention_ll4mi_QKV_mfma16_kernelI14__hip_bfloat16hLN4vllm18Fp8KVCacheDataTypeE1ES0_Li16ELi64ELi256ELb0ELi12EEvPKT_PKT0_S8_ifPKiSA_SA_iPKfiiiPfSD_PS3_PT2_iSC_SC_.kd
    .uniform_work_group_size: 1
    .uses_dynamic_stack: false
    .vgpr_count:     51
    .vgpr_spill_count: 0
    .wavefront_size: 32
  - .args:
      - .actual_access:  read_only
        .address_space:  global
        .offset:         0
        .size:           8
        .value_kind:     global_buffer
      - .actual_access:  read_only
        .address_space:  global
        .offset:         8
        .size:           8
        .value_kind:     global_buffer
      - .actual_access:  read_only
        .address_space:  global
        .offset:         16
        .size:           8
        .value_kind:     global_buffer
      - .offset:         24
        .size:           4
        .value_kind:     by_value
      - .offset:         28
        .size:           4
        .value_kind:     by_value
      - .actual_access:  read_only
        .address_space:  global
        .offset:         32
        .size:           8
        .value_kind:     global_buffer
      - .actual_access:  read_only
        .address_space:  global
        .offset:         40
        .size:           8
        .value_kind:     global_buffer
      - .actual_access:  read_only
        .address_space:  global
        .offset:         48
        .size:           8
        .value_kind:     global_buffer
      - .offset:         56
        .size:           4
        .value_kind:     by_value
      - .actual_access:  read_only
        .address_space:  global
        .offset:         64
        .size:           8
        .value_kind:     global_buffer
      - .offset:         72
        .size:           4
        .value_kind:     by_value
      - .offset:         76
        .size:           4
        .value_kind:     by_value
      - .offset:         80
        .size:           4
        .value_kind:     by_value
      - .actual_access:  read_only
        .address_space:  global
        .offset:         88
        .size:           8
        .value_kind:     global_buffer
      - .actual_access:  read_only
        .address_space:  global
        .offset:         96
        .size:           8
        .value_kind:     global_buffer
      - .actual_access:  read_only
        .address_space:  global
        .offset:         104
        .size:           8
        .value_kind:     global_buffer
      - .actual_access:  read_only
        .address_space:  global
        .offset:         112
        .size:           8
        .value_kind:     global_buffer
      - .offset:         120
        .size:           4
        .value_kind:     by_value
      - .address_space:  global
        .offset:         128
        .size:           8
        .value_kind:     global_buffer
      - .address_space:  global
        .offset:         136
        .size:           8
        .value_kind:     global_buffer
      - .offset:         144
        .size:           4
        .value_kind:     hidden_block_count_x
      - .offset:         148
        .size:           4
        .value_kind:     hidden_block_count_y
      - .offset:         152
        .size:           4
        .value_kind:     hidden_block_count_z
      - .offset:         156
        .size:           2
        .value_kind:     hidden_group_size_x
      - .offset:         158
        .size:           2
        .value_kind:     hidden_group_size_y
      - .offset:         160
        .size:           2
        .value_kind:     hidden_group_size_z
      - .offset:         162
        .size:           2
        .value_kind:     hidden_remainder_x
      - .offset:         164
        .size:           2
        .value_kind:     hidden_remainder_y
      - .offset:         166
        .size:           2
        .value_kind:     hidden_remainder_z
      - .offset:         184
        .size:           8
        .value_kind:     hidden_global_offset_x
      - .offset:         192
        .size:           8
        .value_kind:     hidden_global_offset_y
      - .offset:         200
        .size:           8
        .value_kind:     hidden_global_offset_z
      - .offset:         208
        .size:           2
        .value_kind:     hidden_grid_dims
      - .offset:         224
        .size:           8
        .value_kind:     hidden_hostcall_buffer
    .group_segment_fixed_size: 0
    .kernarg_segment_align: 8
    .kernarg_segment_size: 400
    .language:       OpenCL C
    .language_version:
      - 2
      - 0
    .max_flat_workgroup_size: 256
    .name:           _Z39paged_attention_ll4mi_QKV_mfma16_kernelI14__hip_bfloat16hLN4vllm18Fp8KVCacheDataTypeE1ES0_Li16ELi64ELi256ELb0ELi13EEvPKT_PKT0_S8_ifPKiSA_SA_iPKfiiiPfSD_PS3_PT2_iSC_SC_
    .private_segment_fixed_size: 64
    .sgpr_count:     36
    .sgpr_spill_count: 0
    .symbol:         _Z39paged_attention_ll4mi_QKV_mfma16_kernelI14__hip_bfloat16hLN4vllm18Fp8KVCacheDataTypeE1ES0_Li16ELi64ELi256ELb0ELi13EEvPKT_PKT0_S8_ifPKiSA_SA_iPKfiiiPfSD_PS3_PT2_iSC_SC_.kd
    .uniform_work_group_size: 1
    .uses_dynamic_stack: false
    .vgpr_count:     51
    .vgpr_spill_count: 0
    .wavefront_size: 32
  - .args:
      - .actual_access:  read_only
        .address_space:  global
        .offset:         0
        .size:           8
        .value_kind:     global_buffer
      - .actual_access:  read_only
        .address_space:  global
        .offset:         8
        .size:           8
        .value_kind:     global_buffer
      - .actual_access:  read_only
        .address_space:  global
        .offset:         16
        .size:           8
        .value_kind:     global_buffer
      - .offset:         24
        .size:           4
        .value_kind:     by_value
      - .offset:         28
        .size:           4
        .value_kind:     by_value
      - .actual_access:  read_only
        .address_space:  global
        .offset:         32
        .size:           8
        .value_kind:     global_buffer
      - .actual_access:  read_only
        .address_space:  global
        .offset:         40
        .size:           8
        .value_kind:     global_buffer
      - .actual_access:  read_only
        .address_space:  global
        .offset:         48
        .size:           8
        .value_kind:     global_buffer
      - .offset:         56
        .size:           4
        .value_kind:     by_value
      - .actual_access:  read_only
        .address_space:  global
        .offset:         64
        .size:           8
        .value_kind:     global_buffer
      - .offset:         72
        .size:           4
        .value_kind:     by_value
      - .offset:         76
        .size:           4
        .value_kind:     by_value
      - .offset:         80
        .size:           4
        .value_kind:     by_value
      - .actual_access:  read_only
        .address_space:  global
        .offset:         88
        .size:           8
        .value_kind:     global_buffer
      - .actual_access:  read_only
        .address_space:  global
        .offset:         96
        .size:           8
        .value_kind:     global_buffer
      - .actual_access:  read_only
        .address_space:  global
        .offset:         104
        .size:           8
        .value_kind:     global_buffer
      - .actual_access:  read_only
        .address_space:  global
        .offset:         112
        .size:           8
        .value_kind:     global_buffer
      - .offset:         120
        .size:           4
        .value_kind:     by_value
      - .address_space:  global
        .offset:         128
        .size:           8
        .value_kind:     global_buffer
      - .address_space:  global
        .offset:         136
        .size:           8
        .value_kind:     global_buffer
      - .offset:         144
        .size:           4
        .value_kind:     hidden_block_count_x
      - .offset:         148
        .size:           4
        .value_kind:     hidden_block_count_y
      - .offset:         152
        .size:           4
        .value_kind:     hidden_block_count_z
      - .offset:         156
        .size:           2
        .value_kind:     hidden_group_size_x
      - .offset:         158
        .size:           2
        .value_kind:     hidden_group_size_y
      - .offset:         160
        .size:           2
        .value_kind:     hidden_group_size_z
      - .offset:         162
        .size:           2
        .value_kind:     hidden_remainder_x
      - .offset:         164
        .size:           2
        .value_kind:     hidden_remainder_y
      - .offset:         166
        .size:           2
        .value_kind:     hidden_remainder_z
      - .offset:         184
        .size:           8
        .value_kind:     hidden_global_offset_x
      - .offset:         192
        .size:           8
        .value_kind:     hidden_global_offset_y
      - .offset:         200
        .size:           8
        .value_kind:     hidden_global_offset_z
      - .offset:         208
        .size:           2
        .value_kind:     hidden_grid_dims
      - .offset:         224
        .size:           8
        .value_kind:     hidden_hostcall_buffer
    .group_segment_fixed_size: 0
    .kernarg_segment_align: 8
    .kernarg_segment_size: 400
    .language:       OpenCL C
    .language_version:
      - 2
      - 0
    .max_flat_workgroup_size: 256
    .name:           _Z39paged_attention_ll4mi_QKV_mfma16_kernelI14__hip_bfloat16hLN4vllm18Fp8KVCacheDataTypeE1ES0_Li16ELi64ELi256ELb0ELi14EEvPKT_PKT0_S8_ifPKiSA_SA_iPKfiiiPfSD_PS3_PT2_iSC_SC_
    .private_segment_fixed_size: 64
    .sgpr_count:     36
    .sgpr_spill_count: 0
    .symbol:         _Z39paged_attention_ll4mi_QKV_mfma16_kernelI14__hip_bfloat16hLN4vllm18Fp8KVCacheDataTypeE1ES0_Li16ELi64ELi256ELb0ELi14EEvPKT_PKT0_S8_ifPKiSA_SA_iPKfiiiPfSD_PS3_PT2_iSC_SC_.kd
    .uniform_work_group_size: 1
    .uses_dynamic_stack: false
    .vgpr_count:     51
    .vgpr_spill_count: 0
    .wavefront_size: 32
  - .args:
      - .actual_access:  read_only
        .address_space:  global
        .offset:         0
        .size:           8
        .value_kind:     global_buffer
      - .actual_access:  read_only
        .address_space:  global
        .offset:         8
        .size:           8
        .value_kind:     global_buffer
      - .actual_access:  read_only
        .address_space:  global
        .offset:         16
        .size:           8
        .value_kind:     global_buffer
      - .offset:         24
        .size:           4
        .value_kind:     by_value
      - .offset:         28
        .size:           4
        .value_kind:     by_value
      - .actual_access:  read_only
        .address_space:  global
        .offset:         32
        .size:           8
        .value_kind:     global_buffer
      - .actual_access:  read_only
        .address_space:  global
        .offset:         40
        .size:           8
        .value_kind:     global_buffer
      - .actual_access:  read_only
        .address_space:  global
        .offset:         48
        .size:           8
        .value_kind:     global_buffer
      - .offset:         56
        .size:           4
        .value_kind:     by_value
      - .actual_access:  read_only
        .address_space:  global
        .offset:         64
        .size:           8
        .value_kind:     global_buffer
      - .offset:         72
        .size:           4
        .value_kind:     by_value
      - .offset:         76
        .size:           4
        .value_kind:     by_value
      - .offset:         80
        .size:           4
        .value_kind:     by_value
      - .actual_access:  read_only
        .address_space:  global
        .offset:         88
        .size:           8
        .value_kind:     global_buffer
      - .actual_access:  read_only
        .address_space:  global
        .offset:         96
        .size:           8
        .value_kind:     global_buffer
      - .actual_access:  read_only
        .address_space:  global
        .offset:         104
        .size:           8
        .value_kind:     global_buffer
      - .actual_access:  read_only
        .address_space:  global
        .offset:         112
        .size:           8
        .value_kind:     global_buffer
      - .offset:         120
        .size:           4
        .value_kind:     by_value
      - .address_space:  global
        .offset:         128
        .size:           8
        .value_kind:     global_buffer
      - .address_space:  global
        .offset:         136
        .size:           8
        .value_kind:     global_buffer
      - .offset:         144
        .size:           4
        .value_kind:     hidden_block_count_x
      - .offset:         148
        .size:           4
        .value_kind:     hidden_block_count_y
      - .offset:         152
        .size:           4
        .value_kind:     hidden_block_count_z
      - .offset:         156
        .size:           2
        .value_kind:     hidden_group_size_x
      - .offset:         158
        .size:           2
        .value_kind:     hidden_group_size_y
      - .offset:         160
        .size:           2
        .value_kind:     hidden_group_size_z
      - .offset:         162
        .size:           2
        .value_kind:     hidden_remainder_x
      - .offset:         164
        .size:           2
        .value_kind:     hidden_remainder_y
      - .offset:         166
        .size:           2
        .value_kind:     hidden_remainder_z
      - .offset:         184
        .size:           8
        .value_kind:     hidden_global_offset_x
      - .offset:         192
        .size:           8
        .value_kind:     hidden_global_offset_y
      - .offset:         200
        .size:           8
        .value_kind:     hidden_global_offset_z
      - .offset:         208
        .size:           2
        .value_kind:     hidden_grid_dims
      - .offset:         224
        .size:           8
        .value_kind:     hidden_hostcall_buffer
    .group_segment_fixed_size: 0
    .kernarg_segment_align: 8
    .kernarg_segment_size: 400
    .language:       OpenCL C
    .language_version:
      - 2
      - 0
    .max_flat_workgroup_size: 256
    .name:           _Z39paged_attention_ll4mi_QKV_mfma16_kernelI14__hip_bfloat16hLN4vllm18Fp8KVCacheDataTypeE1ES0_Li16ELi64ELi256ELb0ELi15EEvPKT_PKT0_S8_ifPKiSA_SA_iPKfiiiPfSD_PS3_PT2_iSC_SC_
    .private_segment_fixed_size: 64
    .sgpr_count:     36
    .sgpr_spill_count: 0
    .symbol:         _Z39paged_attention_ll4mi_QKV_mfma16_kernelI14__hip_bfloat16hLN4vllm18Fp8KVCacheDataTypeE1ES0_Li16ELi64ELi256ELb0ELi15EEvPKT_PKT0_S8_ifPKiSA_SA_iPKfiiiPfSD_PS3_PT2_iSC_SC_.kd
    .uniform_work_group_size: 1
    .uses_dynamic_stack: false
    .vgpr_count:     51
    .vgpr_spill_count: 0
    .wavefront_size: 32
  - .args:
      - .actual_access:  read_only
        .address_space:  global
        .offset:         0
        .size:           8
        .value_kind:     global_buffer
      - .actual_access:  read_only
        .address_space:  global
        .offset:         8
        .size:           8
        .value_kind:     global_buffer
      - .actual_access:  read_only
        .address_space:  global
        .offset:         16
        .size:           8
        .value_kind:     global_buffer
      - .offset:         24
        .size:           4
        .value_kind:     by_value
      - .offset:         28
        .size:           4
        .value_kind:     by_value
      - .actual_access:  read_only
        .address_space:  global
        .offset:         32
        .size:           8
        .value_kind:     global_buffer
      - .actual_access:  read_only
        .address_space:  global
        .offset:         40
        .size:           8
        .value_kind:     global_buffer
      - .actual_access:  read_only
        .address_space:  global
        .offset:         48
        .size:           8
        .value_kind:     global_buffer
      - .offset:         56
        .size:           4
        .value_kind:     by_value
      - .actual_access:  read_only
        .address_space:  global
        .offset:         64
        .size:           8
        .value_kind:     global_buffer
      - .offset:         72
        .size:           4
        .value_kind:     by_value
      - .offset:         76
        .size:           4
        .value_kind:     by_value
      - .offset:         80
        .size:           4
        .value_kind:     by_value
      - .actual_access:  read_only
        .address_space:  global
        .offset:         88
        .size:           8
        .value_kind:     global_buffer
      - .actual_access:  read_only
        .address_space:  global
        .offset:         96
        .size:           8
        .value_kind:     global_buffer
      - .actual_access:  read_only
        .address_space:  global
        .offset:         104
        .size:           8
        .value_kind:     global_buffer
      - .actual_access:  read_only
        .address_space:  global
        .offset:         112
        .size:           8
        .value_kind:     global_buffer
      - .offset:         120
        .size:           4
        .value_kind:     by_value
      - .address_space:  global
        .offset:         128
        .size:           8
        .value_kind:     global_buffer
      - .address_space:  global
        .offset:         136
        .size:           8
        .value_kind:     global_buffer
      - .offset:         144
        .size:           4
        .value_kind:     hidden_block_count_x
      - .offset:         148
        .size:           4
        .value_kind:     hidden_block_count_y
      - .offset:         152
        .size:           4
        .value_kind:     hidden_block_count_z
      - .offset:         156
        .size:           2
        .value_kind:     hidden_group_size_x
      - .offset:         158
        .size:           2
        .value_kind:     hidden_group_size_y
      - .offset:         160
        .size:           2
        .value_kind:     hidden_group_size_z
      - .offset:         162
        .size:           2
        .value_kind:     hidden_remainder_x
      - .offset:         164
        .size:           2
        .value_kind:     hidden_remainder_y
      - .offset:         166
        .size:           2
        .value_kind:     hidden_remainder_z
      - .offset:         184
        .size:           8
        .value_kind:     hidden_global_offset_x
      - .offset:         192
        .size:           8
        .value_kind:     hidden_global_offset_y
      - .offset:         200
        .size:           8
        .value_kind:     hidden_global_offset_z
      - .offset:         208
        .size:           2
        .value_kind:     hidden_grid_dims
      - .offset:         224
        .size:           8
        .value_kind:     hidden_hostcall_buffer
    .group_segment_fixed_size: 0
    .kernarg_segment_align: 8
    .kernarg_segment_size: 400
    .language:       OpenCL C
    .language_version:
      - 2
      - 0
    .max_flat_workgroup_size: 256
    .name:           _Z39paged_attention_ll4mi_QKV_mfma16_kernelI14__hip_bfloat16hLN4vllm18Fp8KVCacheDataTypeE1ES0_Li16ELi64ELi256ELb0ELi16EEvPKT_PKT0_S8_ifPKiSA_SA_iPKfiiiPfSD_PS3_PT2_iSC_SC_
    .private_segment_fixed_size: 64
    .sgpr_count:     36
    .sgpr_spill_count: 0
    .symbol:         _Z39paged_attention_ll4mi_QKV_mfma16_kernelI14__hip_bfloat16hLN4vllm18Fp8KVCacheDataTypeE1ES0_Li16ELi64ELi256ELb0ELi16EEvPKT_PKT0_S8_ifPKiSA_SA_iPKfiiiPfSD_PS3_PT2_iSC_SC_.kd
    .uniform_work_group_size: 1
    .uses_dynamic_stack: false
    .vgpr_count:     51
    .vgpr_spill_count: 0
    .wavefront_size: 32
  - .args:
      - .actual_access:  read_only
        .address_space:  global
        .offset:         0
        .size:           8
        .value_kind:     global_buffer
      - .actual_access:  read_only
        .address_space:  global
        .offset:         8
        .size:           8
        .value_kind:     global_buffer
      - .actual_access:  read_only
        .address_space:  global
        .offset:         16
        .size:           8
        .value_kind:     global_buffer
      - .offset:         24
        .size:           4
        .value_kind:     by_value
      - .offset:         28
        .size:           4
        .value_kind:     by_value
      - .actual_access:  read_only
        .address_space:  global
        .offset:         32
        .size:           8
        .value_kind:     global_buffer
      - .actual_access:  read_only
        .address_space:  global
        .offset:         40
        .size:           8
        .value_kind:     global_buffer
      - .actual_access:  read_only
        .address_space:  global
        .offset:         48
        .size:           8
        .value_kind:     global_buffer
      - .offset:         56
        .size:           4
        .value_kind:     by_value
      - .actual_access:  read_only
        .address_space:  global
        .offset:         64
        .size:           8
        .value_kind:     global_buffer
      - .offset:         72
        .size:           4
        .value_kind:     by_value
      - .offset:         76
        .size:           4
        .value_kind:     by_value
      - .offset:         80
        .size:           4
        .value_kind:     by_value
      - .actual_access:  read_only
        .address_space:  global
        .offset:         88
        .size:           8
        .value_kind:     global_buffer
      - .actual_access:  read_only
        .address_space:  global
        .offset:         96
        .size:           8
        .value_kind:     global_buffer
      - .actual_access:  read_only
        .address_space:  global
        .offset:         104
        .size:           8
        .value_kind:     global_buffer
      - .actual_access:  read_only
        .address_space:  global
        .offset:         112
        .size:           8
        .value_kind:     global_buffer
      - .offset:         120
        .size:           4
        .value_kind:     by_value
      - .address_space:  global
        .offset:         128
        .size:           8
        .value_kind:     global_buffer
      - .address_space:  global
        .offset:         136
        .size:           8
        .value_kind:     global_buffer
      - .offset:         144
        .size:           4
        .value_kind:     hidden_block_count_x
      - .offset:         148
        .size:           4
        .value_kind:     hidden_block_count_y
      - .offset:         152
        .size:           4
        .value_kind:     hidden_block_count_z
      - .offset:         156
        .size:           2
        .value_kind:     hidden_group_size_x
      - .offset:         158
        .size:           2
        .value_kind:     hidden_group_size_y
      - .offset:         160
        .size:           2
        .value_kind:     hidden_group_size_z
      - .offset:         162
        .size:           2
        .value_kind:     hidden_remainder_x
      - .offset:         164
        .size:           2
        .value_kind:     hidden_remainder_y
      - .offset:         166
        .size:           2
        .value_kind:     hidden_remainder_z
      - .offset:         184
        .size:           8
        .value_kind:     hidden_global_offset_x
      - .offset:         192
        .size:           8
        .value_kind:     hidden_global_offset_y
      - .offset:         200
        .size:           8
        .value_kind:     hidden_global_offset_z
      - .offset:         208
        .size:           2
        .value_kind:     hidden_grid_dims
      - .offset:         224
        .size:           8
        .value_kind:     hidden_hostcall_buffer
    .group_segment_fixed_size: 0
    .kernarg_segment_align: 8
    .kernarg_segment_size: 400
    .language:       OpenCL C
    .language_version:
      - 2
      - 0
    .max_flat_workgroup_size: 256
    .name:           _Z39paged_attention_ll4mi_QKV_mfma16_kernelI14__hip_bfloat16hLN4vllm18Fp8KVCacheDataTypeE1ES0_Li16ELi64ELi256ELb0ELi1EEvPKT_PKT0_S8_ifPKiSA_SA_iPKfiiiPfSD_PS3_PT2_iSC_SC_
    .private_segment_fixed_size: 64
    .sgpr_count:     36
    .sgpr_spill_count: 0
    .symbol:         _Z39paged_attention_ll4mi_QKV_mfma16_kernelI14__hip_bfloat16hLN4vllm18Fp8KVCacheDataTypeE1ES0_Li16ELi64ELi256ELb0ELi1EEvPKT_PKT0_S8_ifPKiSA_SA_iPKfiiiPfSD_PS3_PT2_iSC_SC_.kd
    .uniform_work_group_size: 1
    .uses_dynamic_stack: false
    .vgpr_count:     51
    .vgpr_spill_count: 0
    .wavefront_size: 32
  - .args:
      - .actual_access:  read_only
        .address_space:  global
        .offset:         0
        .size:           8
        .value_kind:     global_buffer
      - .actual_access:  read_only
        .address_space:  global
        .offset:         8
        .size:           8
        .value_kind:     global_buffer
      - .actual_access:  read_only
        .address_space:  global
        .offset:         16
        .size:           8
        .value_kind:     global_buffer
      - .offset:         24
        .size:           4
        .value_kind:     by_value
      - .offset:         28
        .size:           4
        .value_kind:     by_value
      - .actual_access:  read_only
        .address_space:  global
        .offset:         32
        .size:           8
        .value_kind:     global_buffer
      - .actual_access:  read_only
        .address_space:  global
        .offset:         40
        .size:           8
        .value_kind:     global_buffer
      - .actual_access:  read_only
        .address_space:  global
        .offset:         48
        .size:           8
        .value_kind:     global_buffer
      - .offset:         56
        .size:           4
        .value_kind:     by_value
      - .actual_access:  read_only
        .address_space:  global
        .offset:         64
        .size:           8
        .value_kind:     global_buffer
      - .offset:         72
        .size:           4
        .value_kind:     by_value
      - .offset:         76
        .size:           4
        .value_kind:     by_value
      - .offset:         80
        .size:           4
        .value_kind:     by_value
      - .actual_access:  read_only
        .address_space:  global
        .offset:         88
        .size:           8
        .value_kind:     global_buffer
      - .actual_access:  read_only
        .address_space:  global
        .offset:         96
        .size:           8
        .value_kind:     global_buffer
      - .actual_access:  read_only
        .address_space:  global
        .offset:         104
        .size:           8
        .value_kind:     global_buffer
      - .actual_access:  read_only
        .address_space:  global
        .offset:         112
        .size:           8
        .value_kind:     global_buffer
      - .offset:         120
        .size:           4
        .value_kind:     by_value
      - .address_space:  global
        .offset:         128
        .size:           8
        .value_kind:     global_buffer
      - .address_space:  global
        .offset:         136
        .size:           8
        .value_kind:     global_buffer
      - .offset:         144
        .size:           4
        .value_kind:     hidden_block_count_x
      - .offset:         148
        .size:           4
        .value_kind:     hidden_block_count_y
      - .offset:         152
        .size:           4
        .value_kind:     hidden_block_count_z
      - .offset:         156
        .size:           2
        .value_kind:     hidden_group_size_x
      - .offset:         158
        .size:           2
        .value_kind:     hidden_group_size_y
      - .offset:         160
        .size:           2
        .value_kind:     hidden_group_size_z
      - .offset:         162
        .size:           2
        .value_kind:     hidden_remainder_x
      - .offset:         164
        .size:           2
        .value_kind:     hidden_remainder_y
      - .offset:         166
        .size:           2
        .value_kind:     hidden_remainder_z
      - .offset:         184
        .size:           8
        .value_kind:     hidden_global_offset_x
      - .offset:         192
        .size:           8
        .value_kind:     hidden_global_offset_y
      - .offset:         200
        .size:           8
        .value_kind:     hidden_global_offset_z
      - .offset:         208
        .size:           2
        .value_kind:     hidden_grid_dims
      - .offset:         224
        .size:           8
        .value_kind:     hidden_hostcall_buffer
    .group_segment_fixed_size: 0
    .kernarg_segment_align: 8
    .kernarg_segment_size: 400
    .language:       OpenCL C
    .language_version:
      - 2
      - 0
    .max_flat_workgroup_size: 256
    .name:           _Z39paged_attention_ll4mi_QKV_mfma16_kernelI14__hip_bfloat16hLN4vllm18Fp8KVCacheDataTypeE1ES0_Li16ELi64ELi256ELb0ELi2EEvPKT_PKT0_S8_ifPKiSA_SA_iPKfiiiPfSD_PS3_PT2_iSC_SC_
    .private_segment_fixed_size: 64
    .sgpr_count:     36
    .sgpr_spill_count: 0
    .symbol:         _Z39paged_attention_ll4mi_QKV_mfma16_kernelI14__hip_bfloat16hLN4vllm18Fp8KVCacheDataTypeE1ES0_Li16ELi64ELi256ELb0ELi2EEvPKT_PKT0_S8_ifPKiSA_SA_iPKfiiiPfSD_PS3_PT2_iSC_SC_.kd
    .uniform_work_group_size: 1
    .uses_dynamic_stack: false
    .vgpr_count:     51
    .vgpr_spill_count: 0
    .wavefront_size: 32
  - .args:
      - .actual_access:  read_only
        .address_space:  global
        .offset:         0
        .size:           8
        .value_kind:     global_buffer
      - .actual_access:  read_only
        .address_space:  global
        .offset:         8
        .size:           8
        .value_kind:     global_buffer
      - .actual_access:  read_only
        .address_space:  global
        .offset:         16
        .size:           8
        .value_kind:     global_buffer
      - .offset:         24
        .size:           4
        .value_kind:     by_value
      - .offset:         28
        .size:           4
        .value_kind:     by_value
      - .actual_access:  read_only
        .address_space:  global
        .offset:         32
        .size:           8
        .value_kind:     global_buffer
      - .actual_access:  read_only
        .address_space:  global
        .offset:         40
        .size:           8
        .value_kind:     global_buffer
      - .actual_access:  read_only
        .address_space:  global
        .offset:         48
        .size:           8
        .value_kind:     global_buffer
      - .offset:         56
        .size:           4
        .value_kind:     by_value
      - .actual_access:  read_only
        .address_space:  global
        .offset:         64
        .size:           8
        .value_kind:     global_buffer
      - .offset:         72
        .size:           4
        .value_kind:     by_value
      - .offset:         76
        .size:           4
        .value_kind:     by_value
      - .offset:         80
        .size:           4
        .value_kind:     by_value
      - .actual_access:  read_only
        .address_space:  global
        .offset:         88
        .size:           8
        .value_kind:     global_buffer
      - .actual_access:  read_only
        .address_space:  global
        .offset:         96
        .size:           8
        .value_kind:     global_buffer
      - .actual_access:  read_only
        .address_space:  global
        .offset:         104
        .size:           8
        .value_kind:     global_buffer
      - .actual_access:  read_only
        .address_space:  global
        .offset:         112
        .size:           8
        .value_kind:     global_buffer
      - .offset:         120
        .size:           4
        .value_kind:     by_value
      - .address_space:  global
        .offset:         128
        .size:           8
        .value_kind:     global_buffer
      - .address_space:  global
        .offset:         136
        .size:           8
        .value_kind:     global_buffer
      - .offset:         144
        .size:           4
        .value_kind:     hidden_block_count_x
      - .offset:         148
        .size:           4
        .value_kind:     hidden_block_count_y
      - .offset:         152
        .size:           4
        .value_kind:     hidden_block_count_z
      - .offset:         156
        .size:           2
        .value_kind:     hidden_group_size_x
      - .offset:         158
        .size:           2
        .value_kind:     hidden_group_size_y
      - .offset:         160
        .size:           2
        .value_kind:     hidden_group_size_z
      - .offset:         162
        .size:           2
        .value_kind:     hidden_remainder_x
      - .offset:         164
        .size:           2
        .value_kind:     hidden_remainder_y
      - .offset:         166
        .size:           2
        .value_kind:     hidden_remainder_z
      - .offset:         184
        .size:           8
        .value_kind:     hidden_global_offset_x
      - .offset:         192
        .size:           8
        .value_kind:     hidden_global_offset_y
      - .offset:         200
        .size:           8
        .value_kind:     hidden_global_offset_z
      - .offset:         208
        .size:           2
        .value_kind:     hidden_grid_dims
      - .offset:         224
        .size:           8
        .value_kind:     hidden_hostcall_buffer
    .group_segment_fixed_size: 0
    .kernarg_segment_align: 8
    .kernarg_segment_size: 400
    .language:       OpenCL C
    .language_version:
      - 2
      - 0
    .max_flat_workgroup_size: 256
    .name:           _Z39paged_attention_ll4mi_QKV_mfma16_kernelI14__hip_bfloat16hLN4vllm18Fp8KVCacheDataTypeE1ES0_Li16ELi64ELi256ELb0ELi3EEvPKT_PKT0_S8_ifPKiSA_SA_iPKfiiiPfSD_PS3_PT2_iSC_SC_
    .private_segment_fixed_size: 64
    .sgpr_count:     36
    .sgpr_spill_count: 0
    .symbol:         _Z39paged_attention_ll4mi_QKV_mfma16_kernelI14__hip_bfloat16hLN4vllm18Fp8KVCacheDataTypeE1ES0_Li16ELi64ELi256ELb0ELi3EEvPKT_PKT0_S8_ifPKiSA_SA_iPKfiiiPfSD_PS3_PT2_iSC_SC_.kd
    .uniform_work_group_size: 1
    .uses_dynamic_stack: false
    .vgpr_count:     51
    .vgpr_spill_count: 0
    .wavefront_size: 32
  - .args:
      - .actual_access:  read_only
        .address_space:  global
        .offset:         0
        .size:           8
        .value_kind:     global_buffer
      - .actual_access:  read_only
        .address_space:  global
        .offset:         8
        .size:           8
        .value_kind:     global_buffer
      - .actual_access:  read_only
        .address_space:  global
        .offset:         16
        .size:           8
        .value_kind:     global_buffer
      - .offset:         24
        .size:           4
        .value_kind:     by_value
      - .offset:         28
        .size:           4
        .value_kind:     by_value
      - .actual_access:  read_only
        .address_space:  global
        .offset:         32
        .size:           8
        .value_kind:     global_buffer
      - .actual_access:  read_only
        .address_space:  global
        .offset:         40
        .size:           8
        .value_kind:     global_buffer
      - .actual_access:  read_only
        .address_space:  global
        .offset:         48
        .size:           8
        .value_kind:     global_buffer
      - .offset:         56
        .size:           4
        .value_kind:     by_value
      - .actual_access:  read_only
        .address_space:  global
        .offset:         64
        .size:           8
        .value_kind:     global_buffer
      - .offset:         72
        .size:           4
        .value_kind:     by_value
      - .offset:         76
        .size:           4
        .value_kind:     by_value
      - .offset:         80
        .size:           4
        .value_kind:     by_value
      - .actual_access:  read_only
        .address_space:  global
        .offset:         88
        .size:           8
        .value_kind:     global_buffer
      - .actual_access:  read_only
        .address_space:  global
        .offset:         96
        .size:           8
        .value_kind:     global_buffer
      - .actual_access:  read_only
        .address_space:  global
        .offset:         104
        .size:           8
        .value_kind:     global_buffer
      - .actual_access:  read_only
        .address_space:  global
        .offset:         112
        .size:           8
        .value_kind:     global_buffer
      - .offset:         120
        .size:           4
        .value_kind:     by_value
      - .address_space:  global
        .offset:         128
        .size:           8
        .value_kind:     global_buffer
      - .address_space:  global
        .offset:         136
        .size:           8
        .value_kind:     global_buffer
      - .offset:         144
        .size:           4
        .value_kind:     hidden_block_count_x
      - .offset:         148
        .size:           4
        .value_kind:     hidden_block_count_y
      - .offset:         152
        .size:           4
        .value_kind:     hidden_block_count_z
      - .offset:         156
        .size:           2
        .value_kind:     hidden_group_size_x
      - .offset:         158
        .size:           2
        .value_kind:     hidden_group_size_y
      - .offset:         160
        .size:           2
        .value_kind:     hidden_group_size_z
      - .offset:         162
        .size:           2
        .value_kind:     hidden_remainder_x
      - .offset:         164
        .size:           2
        .value_kind:     hidden_remainder_y
      - .offset:         166
        .size:           2
        .value_kind:     hidden_remainder_z
      - .offset:         184
        .size:           8
        .value_kind:     hidden_global_offset_x
      - .offset:         192
        .size:           8
        .value_kind:     hidden_global_offset_y
      - .offset:         200
        .size:           8
        .value_kind:     hidden_global_offset_z
      - .offset:         208
        .size:           2
        .value_kind:     hidden_grid_dims
      - .offset:         224
        .size:           8
        .value_kind:     hidden_hostcall_buffer
    .group_segment_fixed_size: 0
    .kernarg_segment_align: 8
    .kernarg_segment_size: 400
    .language:       OpenCL C
    .language_version:
      - 2
      - 0
    .max_flat_workgroup_size: 256
    .name:           _Z39paged_attention_ll4mi_QKV_mfma16_kernelI14__hip_bfloat16hLN4vllm18Fp8KVCacheDataTypeE1ES0_Li16ELi64ELi256ELb0ELi4EEvPKT_PKT0_S8_ifPKiSA_SA_iPKfiiiPfSD_PS3_PT2_iSC_SC_
    .private_segment_fixed_size: 64
    .sgpr_count:     36
    .sgpr_spill_count: 0
    .symbol:         _Z39paged_attention_ll4mi_QKV_mfma16_kernelI14__hip_bfloat16hLN4vllm18Fp8KVCacheDataTypeE1ES0_Li16ELi64ELi256ELb0ELi4EEvPKT_PKT0_S8_ifPKiSA_SA_iPKfiiiPfSD_PS3_PT2_iSC_SC_.kd
    .uniform_work_group_size: 1
    .uses_dynamic_stack: false
    .vgpr_count:     51
    .vgpr_spill_count: 0
    .wavefront_size: 32
  - .args:
      - .actual_access:  read_only
        .address_space:  global
        .offset:         0
        .size:           8
        .value_kind:     global_buffer
      - .actual_access:  read_only
        .address_space:  global
        .offset:         8
        .size:           8
        .value_kind:     global_buffer
      - .actual_access:  read_only
        .address_space:  global
        .offset:         16
        .size:           8
        .value_kind:     global_buffer
      - .offset:         24
        .size:           4
        .value_kind:     by_value
      - .offset:         28
        .size:           4
        .value_kind:     by_value
      - .actual_access:  read_only
        .address_space:  global
        .offset:         32
        .size:           8
        .value_kind:     global_buffer
      - .actual_access:  read_only
        .address_space:  global
        .offset:         40
        .size:           8
        .value_kind:     global_buffer
      - .actual_access:  read_only
        .address_space:  global
        .offset:         48
        .size:           8
        .value_kind:     global_buffer
      - .offset:         56
        .size:           4
        .value_kind:     by_value
      - .actual_access:  read_only
        .address_space:  global
        .offset:         64
        .size:           8
        .value_kind:     global_buffer
      - .offset:         72
        .size:           4
        .value_kind:     by_value
      - .offset:         76
        .size:           4
        .value_kind:     by_value
      - .offset:         80
        .size:           4
        .value_kind:     by_value
      - .actual_access:  read_only
        .address_space:  global
        .offset:         88
        .size:           8
        .value_kind:     global_buffer
      - .actual_access:  read_only
        .address_space:  global
        .offset:         96
        .size:           8
        .value_kind:     global_buffer
      - .actual_access:  read_only
        .address_space:  global
        .offset:         104
        .size:           8
        .value_kind:     global_buffer
      - .actual_access:  read_only
        .address_space:  global
        .offset:         112
        .size:           8
        .value_kind:     global_buffer
      - .offset:         120
        .size:           4
        .value_kind:     by_value
      - .address_space:  global
        .offset:         128
        .size:           8
        .value_kind:     global_buffer
      - .address_space:  global
        .offset:         136
        .size:           8
        .value_kind:     global_buffer
      - .offset:         144
        .size:           4
        .value_kind:     hidden_block_count_x
      - .offset:         148
        .size:           4
        .value_kind:     hidden_block_count_y
      - .offset:         152
        .size:           4
        .value_kind:     hidden_block_count_z
      - .offset:         156
        .size:           2
        .value_kind:     hidden_group_size_x
      - .offset:         158
        .size:           2
        .value_kind:     hidden_group_size_y
      - .offset:         160
        .size:           2
        .value_kind:     hidden_group_size_z
      - .offset:         162
        .size:           2
        .value_kind:     hidden_remainder_x
      - .offset:         164
        .size:           2
        .value_kind:     hidden_remainder_y
      - .offset:         166
        .size:           2
        .value_kind:     hidden_remainder_z
      - .offset:         184
        .size:           8
        .value_kind:     hidden_global_offset_x
      - .offset:         192
        .size:           8
        .value_kind:     hidden_global_offset_y
      - .offset:         200
        .size:           8
        .value_kind:     hidden_global_offset_z
      - .offset:         208
        .size:           2
        .value_kind:     hidden_grid_dims
      - .offset:         224
        .size:           8
        .value_kind:     hidden_hostcall_buffer
    .group_segment_fixed_size: 0
    .kernarg_segment_align: 8
    .kernarg_segment_size: 400
    .language:       OpenCL C
    .language_version:
      - 2
      - 0
    .max_flat_workgroup_size: 256
    .name:           _Z38paged_attention_ll4mi_QKV_mfma4_kernelI14__hip_bfloat16hLN4vllm18Fp8KVCacheDataTypeE1EhLi32ELi64ELi256ELb1ELi1EEvPKT_PKT0_S8_ifPKiSA_SA_iPKfiiiPfSD_PS3_PT2_iSC_SC_
    .private_segment_fixed_size: 64
    .sgpr_count:     36
    .sgpr_spill_count: 0
    .symbol:         _Z38paged_attention_ll4mi_QKV_mfma4_kernelI14__hip_bfloat16hLN4vllm18Fp8KVCacheDataTypeE1EhLi32ELi64ELi256ELb1ELi1EEvPKT_PKT0_S8_ifPKiSA_SA_iPKfiiiPfSD_PS3_PT2_iSC_SC_.kd
    .uniform_work_group_size: 1
    .uses_dynamic_stack: false
    .vgpr_count:     51
    .vgpr_spill_count: 0
    .wavefront_size: 32
  - .args:
      - .actual_access:  read_only
        .address_space:  global
        .offset:         0
        .size:           8
        .value_kind:     global_buffer
      - .actual_access:  read_only
        .address_space:  global
        .offset:         8
        .size:           8
        .value_kind:     global_buffer
      - .actual_access:  read_only
        .address_space:  global
        .offset:         16
        .size:           8
        .value_kind:     global_buffer
      - .offset:         24
        .size:           4
        .value_kind:     by_value
      - .offset:         28
        .size:           4
        .value_kind:     by_value
      - .actual_access:  read_only
        .address_space:  global
        .offset:         32
        .size:           8
        .value_kind:     global_buffer
      - .actual_access:  read_only
        .address_space:  global
        .offset:         40
        .size:           8
        .value_kind:     global_buffer
      - .actual_access:  read_only
        .address_space:  global
        .offset:         48
        .size:           8
        .value_kind:     global_buffer
      - .offset:         56
        .size:           4
        .value_kind:     by_value
      - .actual_access:  read_only
        .address_space:  global
        .offset:         64
        .size:           8
        .value_kind:     global_buffer
      - .offset:         72
        .size:           4
        .value_kind:     by_value
      - .offset:         76
        .size:           4
        .value_kind:     by_value
      - .offset:         80
        .size:           4
        .value_kind:     by_value
      - .actual_access:  read_only
        .address_space:  global
        .offset:         88
        .size:           8
        .value_kind:     global_buffer
      - .actual_access:  read_only
        .address_space:  global
        .offset:         96
        .size:           8
        .value_kind:     global_buffer
      - .actual_access:  read_only
        .address_space:  global
        .offset:         104
        .size:           8
        .value_kind:     global_buffer
      - .actual_access:  read_only
        .address_space:  global
        .offset:         112
        .size:           8
        .value_kind:     global_buffer
      - .offset:         120
        .size:           4
        .value_kind:     by_value
      - .address_space:  global
        .offset:         128
        .size:           8
        .value_kind:     global_buffer
      - .address_space:  global
        .offset:         136
        .size:           8
        .value_kind:     global_buffer
      - .offset:         144
        .size:           4
        .value_kind:     hidden_block_count_x
      - .offset:         148
        .size:           4
        .value_kind:     hidden_block_count_y
      - .offset:         152
        .size:           4
        .value_kind:     hidden_block_count_z
      - .offset:         156
        .size:           2
        .value_kind:     hidden_group_size_x
      - .offset:         158
        .size:           2
        .value_kind:     hidden_group_size_y
      - .offset:         160
        .size:           2
        .value_kind:     hidden_group_size_z
      - .offset:         162
        .size:           2
        .value_kind:     hidden_remainder_x
      - .offset:         164
        .size:           2
        .value_kind:     hidden_remainder_y
      - .offset:         166
        .size:           2
        .value_kind:     hidden_remainder_z
      - .offset:         184
        .size:           8
        .value_kind:     hidden_global_offset_x
      - .offset:         192
        .size:           8
        .value_kind:     hidden_global_offset_y
      - .offset:         200
        .size:           8
        .value_kind:     hidden_global_offset_z
      - .offset:         208
        .size:           2
        .value_kind:     hidden_grid_dims
      - .offset:         224
        .size:           8
        .value_kind:     hidden_hostcall_buffer
    .group_segment_fixed_size: 0
    .kernarg_segment_align: 8
    .kernarg_segment_size: 400
    .language:       OpenCL C
    .language_version:
      - 2
      - 0
    .max_flat_workgroup_size: 256
    .name:           _Z38paged_attention_ll4mi_QKV_mfma4_kernelI14__hip_bfloat16hLN4vllm18Fp8KVCacheDataTypeE1EhLi32ELi64ELi256ELb1ELi2EEvPKT_PKT0_S8_ifPKiSA_SA_iPKfiiiPfSD_PS3_PT2_iSC_SC_
    .private_segment_fixed_size: 64
    .sgpr_count:     36
    .sgpr_spill_count: 0
    .symbol:         _Z38paged_attention_ll4mi_QKV_mfma4_kernelI14__hip_bfloat16hLN4vllm18Fp8KVCacheDataTypeE1EhLi32ELi64ELi256ELb1ELi2EEvPKT_PKT0_S8_ifPKiSA_SA_iPKfiiiPfSD_PS3_PT2_iSC_SC_.kd
    .uniform_work_group_size: 1
    .uses_dynamic_stack: false
    .vgpr_count:     51
    .vgpr_spill_count: 0
    .wavefront_size: 32
  - .args:
      - .actual_access:  read_only
        .address_space:  global
        .offset:         0
        .size:           8
        .value_kind:     global_buffer
      - .actual_access:  read_only
        .address_space:  global
        .offset:         8
        .size:           8
        .value_kind:     global_buffer
      - .actual_access:  read_only
        .address_space:  global
        .offset:         16
        .size:           8
        .value_kind:     global_buffer
      - .offset:         24
        .size:           4
        .value_kind:     by_value
      - .offset:         28
        .size:           4
        .value_kind:     by_value
      - .actual_access:  read_only
        .address_space:  global
        .offset:         32
        .size:           8
        .value_kind:     global_buffer
      - .actual_access:  read_only
        .address_space:  global
        .offset:         40
        .size:           8
        .value_kind:     global_buffer
      - .actual_access:  read_only
        .address_space:  global
        .offset:         48
        .size:           8
        .value_kind:     global_buffer
      - .offset:         56
        .size:           4
        .value_kind:     by_value
      - .actual_access:  read_only
        .address_space:  global
        .offset:         64
        .size:           8
        .value_kind:     global_buffer
      - .offset:         72
        .size:           4
        .value_kind:     by_value
      - .offset:         76
        .size:           4
        .value_kind:     by_value
      - .offset:         80
        .size:           4
        .value_kind:     by_value
      - .actual_access:  read_only
        .address_space:  global
        .offset:         88
        .size:           8
        .value_kind:     global_buffer
      - .actual_access:  read_only
        .address_space:  global
        .offset:         96
        .size:           8
        .value_kind:     global_buffer
      - .actual_access:  read_only
        .address_space:  global
        .offset:         104
        .size:           8
        .value_kind:     global_buffer
      - .actual_access:  read_only
        .address_space:  global
        .offset:         112
        .size:           8
        .value_kind:     global_buffer
      - .offset:         120
        .size:           4
        .value_kind:     by_value
      - .address_space:  global
        .offset:         128
        .size:           8
        .value_kind:     global_buffer
      - .address_space:  global
        .offset:         136
        .size:           8
        .value_kind:     global_buffer
      - .offset:         144
        .size:           4
        .value_kind:     hidden_block_count_x
      - .offset:         148
        .size:           4
        .value_kind:     hidden_block_count_y
      - .offset:         152
        .size:           4
        .value_kind:     hidden_block_count_z
      - .offset:         156
        .size:           2
        .value_kind:     hidden_group_size_x
      - .offset:         158
        .size:           2
        .value_kind:     hidden_group_size_y
      - .offset:         160
        .size:           2
        .value_kind:     hidden_group_size_z
      - .offset:         162
        .size:           2
        .value_kind:     hidden_remainder_x
      - .offset:         164
        .size:           2
        .value_kind:     hidden_remainder_y
      - .offset:         166
        .size:           2
        .value_kind:     hidden_remainder_z
      - .offset:         184
        .size:           8
        .value_kind:     hidden_global_offset_x
      - .offset:         192
        .size:           8
        .value_kind:     hidden_global_offset_y
      - .offset:         200
        .size:           8
        .value_kind:     hidden_global_offset_z
      - .offset:         208
        .size:           2
        .value_kind:     hidden_grid_dims
      - .offset:         224
        .size:           8
        .value_kind:     hidden_hostcall_buffer
    .group_segment_fixed_size: 0
    .kernarg_segment_align: 8
    .kernarg_segment_size: 400
    .language:       OpenCL C
    .language_version:
      - 2
      - 0
    .max_flat_workgroup_size: 256
    .name:           _Z38paged_attention_ll4mi_QKV_mfma4_kernelI14__hip_bfloat16hLN4vllm18Fp8KVCacheDataTypeE1EhLi32ELi64ELi256ELb1ELi3EEvPKT_PKT0_S8_ifPKiSA_SA_iPKfiiiPfSD_PS3_PT2_iSC_SC_
    .private_segment_fixed_size: 64
    .sgpr_count:     36
    .sgpr_spill_count: 0
    .symbol:         _Z38paged_attention_ll4mi_QKV_mfma4_kernelI14__hip_bfloat16hLN4vllm18Fp8KVCacheDataTypeE1EhLi32ELi64ELi256ELb1ELi3EEvPKT_PKT0_S8_ifPKiSA_SA_iPKfiiiPfSD_PS3_PT2_iSC_SC_.kd
    .uniform_work_group_size: 1
    .uses_dynamic_stack: false
    .vgpr_count:     51
    .vgpr_spill_count: 0
    .wavefront_size: 32
  - .args:
      - .actual_access:  read_only
        .address_space:  global
        .offset:         0
        .size:           8
        .value_kind:     global_buffer
      - .actual_access:  read_only
        .address_space:  global
        .offset:         8
        .size:           8
        .value_kind:     global_buffer
      - .actual_access:  read_only
        .address_space:  global
        .offset:         16
        .size:           8
        .value_kind:     global_buffer
      - .offset:         24
        .size:           4
        .value_kind:     by_value
      - .offset:         28
        .size:           4
        .value_kind:     by_value
      - .actual_access:  read_only
        .address_space:  global
        .offset:         32
        .size:           8
        .value_kind:     global_buffer
      - .actual_access:  read_only
        .address_space:  global
        .offset:         40
        .size:           8
        .value_kind:     global_buffer
      - .actual_access:  read_only
        .address_space:  global
        .offset:         48
        .size:           8
        .value_kind:     global_buffer
      - .offset:         56
        .size:           4
        .value_kind:     by_value
      - .actual_access:  read_only
        .address_space:  global
        .offset:         64
        .size:           8
        .value_kind:     global_buffer
      - .offset:         72
        .size:           4
        .value_kind:     by_value
      - .offset:         76
        .size:           4
        .value_kind:     by_value
      - .offset:         80
        .size:           4
        .value_kind:     by_value
      - .actual_access:  read_only
        .address_space:  global
        .offset:         88
        .size:           8
        .value_kind:     global_buffer
      - .actual_access:  read_only
        .address_space:  global
        .offset:         96
        .size:           8
        .value_kind:     global_buffer
      - .actual_access:  read_only
        .address_space:  global
        .offset:         104
        .size:           8
        .value_kind:     global_buffer
      - .actual_access:  read_only
        .address_space:  global
        .offset:         112
        .size:           8
        .value_kind:     global_buffer
      - .offset:         120
        .size:           4
        .value_kind:     by_value
      - .address_space:  global
        .offset:         128
        .size:           8
        .value_kind:     global_buffer
      - .address_space:  global
        .offset:         136
        .size:           8
        .value_kind:     global_buffer
      - .offset:         144
        .size:           4
        .value_kind:     hidden_block_count_x
      - .offset:         148
        .size:           4
        .value_kind:     hidden_block_count_y
      - .offset:         152
        .size:           4
        .value_kind:     hidden_block_count_z
      - .offset:         156
        .size:           2
        .value_kind:     hidden_group_size_x
      - .offset:         158
        .size:           2
        .value_kind:     hidden_group_size_y
      - .offset:         160
        .size:           2
        .value_kind:     hidden_group_size_z
      - .offset:         162
        .size:           2
        .value_kind:     hidden_remainder_x
      - .offset:         164
        .size:           2
        .value_kind:     hidden_remainder_y
      - .offset:         166
        .size:           2
        .value_kind:     hidden_remainder_z
      - .offset:         184
        .size:           8
        .value_kind:     hidden_global_offset_x
      - .offset:         192
        .size:           8
        .value_kind:     hidden_global_offset_y
      - .offset:         200
        .size:           8
        .value_kind:     hidden_global_offset_z
      - .offset:         208
        .size:           2
        .value_kind:     hidden_grid_dims
      - .offset:         224
        .size:           8
        .value_kind:     hidden_hostcall_buffer
    .group_segment_fixed_size: 0
    .kernarg_segment_align: 8
    .kernarg_segment_size: 400
    .language:       OpenCL C
    .language_version:
      - 2
      - 0
    .max_flat_workgroup_size: 256
    .name:           _Z38paged_attention_ll4mi_QKV_mfma4_kernelI14__hip_bfloat16hLN4vllm18Fp8KVCacheDataTypeE1EhLi32ELi64ELi256ELb1ELi4EEvPKT_PKT0_S8_ifPKiSA_SA_iPKfiiiPfSD_PS3_PT2_iSC_SC_
    .private_segment_fixed_size: 64
    .sgpr_count:     36
    .sgpr_spill_count: 0
    .symbol:         _Z38paged_attention_ll4mi_QKV_mfma4_kernelI14__hip_bfloat16hLN4vllm18Fp8KVCacheDataTypeE1EhLi32ELi64ELi256ELb1ELi4EEvPKT_PKT0_S8_ifPKiSA_SA_iPKfiiiPfSD_PS3_PT2_iSC_SC_.kd
    .uniform_work_group_size: 1
    .uses_dynamic_stack: false
    .vgpr_count:     51
    .vgpr_spill_count: 0
    .wavefront_size: 32
  - .args:
      - .actual_access:  read_only
        .address_space:  global
        .offset:         0
        .size:           8
        .value_kind:     global_buffer
      - .actual_access:  read_only
        .address_space:  global
        .offset:         8
        .size:           8
        .value_kind:     global_buffer
      - .actual_access:  read_only
        .address_space:  global
        .offset:         16
        .size:           8
        .value_kind:     global_buffer
      - .offset:         24
        .size:           4
        .value_kind:     by_value
      - .offset:         28
        .size:           4
        .value_kind:     by_value
      - .actual_access:  read_only
        .address_space:  global
        .offset:         32
        .size:           8
        .value_kind:     global_buffer
      - .actual_access:  read_only
        .address_space:  global
        .offset:         40
        .size:           8
        .value_kind:     global_buffer
      - .actual_access:  read_only
        .address_space:  global
        .offset:         48
        .size:           8
        .value_kind:     global_buffer
      - .offset:         56
        .size:           4
        .value_kind:     by_value
      - .actual_access:  read_only
        .address_space:  global
        .offset:         64
        .size:           8
        .value_kind:     global_buffer
      - .offset:         72
        .size:           4
        .value_kind:     by_value
      - .offset:         76
        .size:           4
        .value_kind:     by_value
      - .offset:         80
        .size:           4
        .value_kind:     by_value
      - .actual_access:  read_only
        .address_space:  global
        .offset:         88
        .size:           8
        .value_kind:     global_buffer
      - .actual_access:  read_only
        .address_space:  global
        .offset:         96
        .size:           8
        .value_kind:     global_buffer
      - .actual_access:  read_only
        .address_space:  global
        .offset:         104
        .size:           8
        .value_kind:     global_buffer
      - .actual_access:  read_only
        .address_space:  global
        .offset:         112
        .size:           8
        .value_kind:     global_buffer
      - .offset:         120
        .size:           4
        .value_kind:     by_value
      - .address_space:  global
        .offset:         128
        .size:           8
        .value_kind:     global_buffer
      - .address_space:  global
        .offset:         136
        .size:           8
        .value_kind:     global_buffer
      - .offset:         144
        .size:           4
        .value_kind:     hidden_block_count_x
      - .offset:         148
        .size:           4
        .value_kind:     hidden_block_count_y
      - .offset:         152
        .size:           4
        .value_kind:     hidden_block_count_z
      - .offset:         156
        .size:           2
        .value_kind:     hidden_group_size_x
      - .offset:         158
        .size:           2
        .value_kind:     hidden_group_size_y
      - .offset:         160
        .size:           2
        .value_kind:     hidden_group_size_z
      - .offset:         162
        .size:           2
        .value_kind:     hidden_remainder_x
      - .offset:         164
        .size:           2
        .value_kind:     hidden_remainder_y
      - .offset:         166
        .size:           2
        .value_kind:     hidden_remainder_z
      - .offset:         184
        .size:           8
        .value_kind:     hidden_global_offset_x
      - .offset:         192
        .size:           8
        .value_kind:     hidden_global_offset_y
      - .offset:         200
        .size:           8
        .value_kind:     hidden_global_offset_z
      - .offset:         208
        .size:           2
        .value_kind:     hidden_grid_dims
      - .offset:         224
        .size:           8
        .value_kind:     hidden_hostcall_buffer
    .group_segment_fixed_size: 0
    .kernarg_segment_align: 8
    .kernarg_segment_size: 400
    .language:       OpenCL C
    .language_version:
      - 2
      - 0
    .max_flat_workgroup_size: 256
    .name:           _Z39paged_attention_ll4mi_QKV_mfma16_kernelI14__hip_bfloat16hLN4vllm18Fp8KVCacheDataTypeE1EhLi32ELi64ELi256ELb1ELi5EEvPKT_PKT0_S8_ifPKiSA_SA_iPKfiiiPfSD_PS3_PT2_iSC_SC_
    .private_segment_fixed_size: 64
    .sgpr_count:     36
    .sgpr_spill_count: 0
    .symbol:         _Z39paged_attention_ll4mi_QKV_mfma16_kernelI14__hip_bfloat16hLN4vllm18Fp8KVCacheDataTypeE1EhLi32ELi64ELi256ELb1ELi5EEvPKT_PKT0_S8_ifPKiSA_SA_iPKfiiiPfSD_PS3_PT2_iSC_SC_.kd
    .uniform_work_group_size: 1
    .uses_dynamic_stack: false
    .vgpr_count:     51
    .vgpr_spill_count: 0
    .wavefront_size: 32
  - .args:
      - .actual_access:  read_only
        .address_space:  global
        .offset:         0
        .size:           8
        .value_kind:     global_buffer
      - .actual_access:  read_only
        .address_space:  global
        .offset:         8
        .size:           8
        .value_kind:     global_buffer
      - .actual_access:  read_only
        .address_space:  global
        .offset:         16
        .size:           8
        .value_kind:     global_buffer
      - .offset:         24
        .size:           4
        .value_kind:     by_value
      - .offset:         28
        .size:           4
        .value_kind:     by_value
      - .actual_access:  read_only
        .address_space:  global
        .offset:         32
        .size:           8
        .value_kind:     global_buffer
      - .actual_access:  read_only
        .address_space:  global
        .offset:         40
        .size:           8
        .value_kind:     global_buffer
      - .actual_access:  read_only
        .address_space:  global
        .offset:         48
        .size:           8
        .value_kind:     global_buffer
      - .offset:         56
        .size:           4
        .value_kind:     by_value
      - .actual_access:  read_only
        .address_space:  global
        .offset:         64
        .size:           8
        .value_kind:     global_buffer
      - .offset:         72
        .size:           4
        .value_kind:     by_value
      - .offset:         76
        .size:           4
        .value_kind:     by_value
      - .offset:         80
        .size:           4
        .value_kind:     by_value
      - .actual_access:  read_only
        .address_space:  global
        .offset:         88
        .size:           8
        .value_kind:     global_buffer
      - .actual_access:  read_only
        .address_space:  global
        .offset:         96
        .size:           8
        .value_kind:     global_buffer
      - .actual_access:  read_only
        .address_space:  global
        .offset:         104
        .size:           8
        .value_kind:     global_buffer
      - .actual_access:  read_only
        .address_space:  global
        .offset:         112
        .size:           8
        .value_kind:     global_buffer
      - .offset:         120
        .size:           4
        .value_kind:     by_value
      - .address_space:  global
        .offset:         128
        .size:           8
        .value_kind:     global_buffer
      - .address_space:  global
        .offset:         136
        .size:           8
        .value_kind:     global_buffer
      - .offset:         144
        .size:           4
        .value_kind:     hidden_block_count_x
      - .offset:         148
        .size:           4
        .value_kind:     hidden_block_count_y
      - .offset:         152
        .size:           4
        .value_kind:     hidden_block_count_z
      - .offset:         156
        .size:           2
        .value_kind:     hidden_group_size_x
      - .offset:         158
        .size:           2
        .value_kind:     hidden_group_size_y
      - .offset:         160
        .size:           2
        .value_kind:     hidden_group_size_z
      - .offset:         162
        .size:           2
        .value_kind:     hidden_remainder_x
      - .offset:         164
        .size:           2
        .value_kind:     hidden_remainder_y
      - .offset:         166
        .size:           2
        .value_kind:     hidden_remainder_z
      - .offset:         184
        .size:           8
        .value_kind:     hidden_global_offset_x
      - .offset:         192
        .size:           8
        .value_kind:     hidden_global_offset_y
      - .offset:         200
        .size:           8
        .value_kind:     hidden_global_offset_z
      - .offset:         208
        .size:           2
        .value_kind:     hidden_grid_dims
      - .offset:         224
        .size:           8
        .value_kind:     hidden_hostcall_buffer
    .group_segment_fixed_size: 0
    .kernarg_segment_align: 8
    .kernarg_segment_size: 400
    .language:       OpenCL C
    .language_version:
      - 2
      - 0
    .max_flat_workgroup_size: 256
    .name:           _Z39paged_attention_ll4mi_QKV_mfma16_kernelI14__hip_bfloat16hLN4vllm18Fp8KVCacheDataTypeE1EhLi32ELi64ELi256ELb1ELi6EEvPKT_PKT0_S8_ifPKiSA_SA_iPKfiiiPfSD_PS3_PT2_iSC_SC_
    .private_segment_fixed_size: 64
    .sgpr_count:     36
    .sgpr_spill_count: 0
    .symbol:         _Z39paged_attention_ll4mi_QKV_mfma16_kernelI14__hip_bfloat16hLN4vllm18Fp8KVCacheDataTypeE1EhLi32ELi64ELi256ELb1ELi6EEvPKT_PKT0_S8_ifPKiSA_SA_iPKfiiiPfSD_PS3_PT2_iSC_SC_.kd
    .uniform_work_group_size: 1
    .uses_dynamic_stack: false
    .vgpr_count:     51
    .vgpr_spill_count: 0
    .wavefront_size: 32
  - .args:
      - .actual_access:  read_only
        .address_space:  global
        .offset:         0
        .size:           8
        .value_kind:     global_buffer
      - .actual_access:  read_only
        .address_space:  global
        .offset:         8
        .size:           8
        .value_kind:     global_buffer
      - .actual_access:  read_only
        .address_space:  global
        .offset:         16
        .size:           8
        .value_kind:     global_buffer
      - .offset:         24
        .size:           4
        .value_kind:     by_value
      - .offset:         28
        .size:           4
        .value_kind:     by_value
      - .actual_access:  read_only
        .address_space:  global
        .offset:         32
        .size:           8
        .value_kind:     global_buffer
      - .actual_access:  read_only
        .address_space:  global
        .offset:         40
        .size:           8
        .value_kind:     global_buffer
      - .actual_access:  read_only
        .address_space:  global
        .offset:         48
        .size:           8
        .value_kind:     global_buffer
      - .offset:         56
        .size:           4
        .value_kind:     by_value
      - .actual_access:  read_only
        .address_space:  global
        .offset:         64
        .size:           8
        .value_kind:     global_buffer
      - .offset:         72
        .size:           4
        .value_kind:     by_value
      - .offset:         76
        .size:           4
        .value_kind:     by_value
      - .offset:         80
        .size:           4
        .value_kind:     by_value
      - .actual_access:  read_only
        .address_space:  global
        .offset:         88
        .size:           8
        .value_kind:     global_buffer
      - .actual_access:  read_only
        .address_space:  global
        .offset:         96
        .size:           8
        .value_kind:     global_buffer
      - .actual_access:  read_only
        .address_space:  global
        .offset:         104
        .size:           8
        .value_kind:     global_buffer
      - .actual_access:  read_only
        .address_space:  global
        .offset:         112
        .size:           8
        .value_kind:     global_buffer
      - .offset:         120
        .size:           4
        .value_kind:     by_value
      - .address_space:  global
        .offset:         128
        .size:           8
        .value_kind:     global_buffer
      - .address_space:  global
        .offset:         136
        .size:           8
        .value_kind:     global_buffer
      - .offset:         144
        .size:           4
        .value_kind:     hidden_block_count_x
      - .offset:         148
        .size:           4
        .value_kind:     hidden_block_count_y
      - .offset:         152
        .size:           4
        .value_kind:     hidden_block_count_z
      - .offset:         156
        .size:           2
        .value_kind:     hidden_group_size_x
      - .offset:         158
        .size:           2
        .value_kind:     hidden_group_size_y
      - .offset:         160
        .size:           2
        .value_kind:     hidden_group_size_z
      - .offset:         162
        .size:           2
        .value_kind:     hidden_remainder_x
      - .offset:         164
        .size:           2
        .value_kind:     hidden_remainder_y
      - .offset:         166
        .size:           2
        .value_kind:     hidden_remainder_z
      - .offset:         184
        .size:           8
        .value_kind:     hidden_global_offset_x
      - .offset:         192
        .size:           8
        .value_kind:     hidden_global_offset_y
      - .offset:         200
        .size:           8
        .value_kind:     hidden_global_offset_z
      - .offset:         208
        .size:           2
        .value_kind:     hidden_grid_dims
      - .offset:         224
        .size:           8
        .value_kind:     hidden_hostcall_buffer
    .group_segment_fixed_size: 0
    .kernarg_segment_align: 8
    .kernarg_segment_size: 400
    .language:       OpenCL C
    .language_version:
      - 2
      - 0
    .max_flat_workgroup_size: 256
    .name:           _Z39paged_attention_ll4mi_QKV_mfma16_kernelI14__hip_bfloat16hLN4vllm18Fp8KVCacheDataTypeE1EhLi32ELi64ELi256ELb1ELi7EEvPKT_PKT0_S8_ifPKiSA_SA_iPKfiiiPfSD_PS3_PT2_iSC_SC_
    .private_segment_fixed_size: 64
    .sgpr_count:     36
    .sgpr_spill_count: 0
    .symbol:         _Z39paged_attention_ll4mi_QKV_mfma16_kernelI14__hip_bfloat16hLN4vllm18Fp8KVCacheDataTypeE1EhLi32ELi64ELi256ELb1ELi7EEvPKT_PKT0_S8_ifPKiSA_SA_iPKfiiiPfSD_PS3_PT2_iSC_SC_.kd
    .uniform_work_group_size: 1
    .uses_dynamic_stack: false
    .vgpr_count:     51
    .vgpr_spill_count: 0
    .wavefront_size: 32
  - .args:
      - .actual_access:  read_only
        .address_space:  global
        .offset:         0
        .size:           8
        .value_kind:     global_buffer
      - .actual_access:  read_only
        .address_space:  global
        .offset:         8
        .size:           8
        .value_kind:     global_buffer
      - .actual_access:  read_only
        .address_space:  global
        .offset:         16
        .size:           8
        .value_kind:     global_buffer
      - .offset:         24
        .size:           4
        .value_kind:     by_value
      - .offset:         28
        .size:           4
        .value_kind:     by_value
      - .actual_access:  read_only
        .address_space:  global
        .offset:         32
        .size:           8
        .value_kind:     global_buffer
      - .actual_access:  read_only
        .address_space:  global
        .offset:         40
        .size:           8
        .value_kind:     global_buffer
      - .actual_access:  read_only
        .address_space:  global
        .offset:         48
        .size:           8
        .value_kind:     global_buffer
      - .offset:         56
        .size:           4
        .value_kind:     by_value
      - .actual_access:  read_only
        .address_space:  global
        .offset:         64
        .size:           8
        .value_kind:     global_buffer
      - .offset:         72
        .size:           4
        .value_kind:     by_value
      - .offset:         76
        .size:           4
        .value_kind:     by_value
      - .offset:         80
        .size:           4
        .value_kind:     by_value
      - .actual_access:  read_only
        .address_space:  global
        .offset:         88
        .size:           8
        .value_kind:     global_buffer
      - .actual_access:  read_only
        .address_space:  global
        .offset:         96
        .size:           8
        .value_kind:     global_buffer
      - .actual_access:  read_only
        .address_space:  global
        .offset:         104
        .size:           8
        .value_kind:     global_buffer
      - .actual_access:  read_only
        .address_space:  global
        .offset:         112
        .size:           8
        .value_kind:     global_buffer
      - .offset:         120
        .size:           4
        .value_kind:     by_value
      - .address_space:  global
        .offset:         128
        .size:           8
        .value_kind:     global_buffer
      - .address_space:  global
        .offset:         136
        .size:           8
        .value_kind:     global_buffer
      - .offset:         144
        .size:           4
        .value_kind:     hidden_block_count_x
      - .offset:         148
        .size:           4
        .value_kind:     hidden_block_count_y
      - .offset:         152
        .size:           4
        .value_kind:     hidden_block_count_z
      - .offset:         156
        .size:           2
        .value_kind:     hidden_group_size_x
      - .offset:         158
        .size:           2
        .value_kind:     hidden_group_size_y
      - .offset:         160
        .size:           2
        .value_kind:     hidden_group_size_z
      - .offset:         162
        .size:           2
        .value_kind:     hidden_remainder_x
      - .offset:         164
        .size:           2
        .value_kind:     hidden_remainder_y
      - .offset:         166
        .size:           2
        .value_kind:     hidden_remainder_z
      - .offset:         184
        .size:           8
        .value_kind:     hidden_global_offset_x
      - .offset:         192
        .size:           8
        .value_kind:     hidden_global_offset_y
      - .offset:         200
        .size:           8
        .value_kind:     hidden_global_offset_z
      - .offset:         208
        .size:           2
        .value_kind:     hidden_grid_dims
      - .offset:         224
        .size:           8
        .value_kind:     hidden_hostcall_buffer
    .group_segment_fixed_size: 0
    .kernarg_segment_align: 8
    .kernarg_segment_size: 400
    .language:       OpenCL C
    .language_version:
      - 2
      - 0
    .max_flat_workgroup_size: 256
    .name:           _Z39paged_attention_ll4mi_QKV_mfma16_kernelI14__hip_bfloat16hLN4vllm18Fp8KVCacheDataTypeE1EhLi32ELi64ELi256ELb1ELi8EEvPKT_PKT0_S8_ifPKiSA_SA_iPKfiiiPfSD_PS3_PT2_iSC_SC_
    .private_segment_fixed_size: 64
    .sgpr_count:     36
    .sgpr_spill_count: 0
    .symbol:         _Z39paged_attention_ll4mi_QKV_mfma16_kernelI14__hip_bfloat16hLN4vllm18Fp8KVCacheDataTypeE1EhLi32ELi64ELi256ELb1ELi8EEvPKT_PKT0_S8_ifPKiSA_SA_iPKfiiiPfSD_PS3_PT2_iSC_SC_.kd
    .uniform_work_group_size: 1
    .uses_dynamic_stack: false
    .vgpr_count:     51
    .vgpr_spill_count: 0
    .wavefront_size: 32
  - .args:
      - .actual_access:  read_only
        .address_space:  global
        .offset:         0
        .size:           8
        .value_kind:     global_buffer
      - .actual_access:  read_only
        .address_space:  global
        .offset:         8
        .size:           8
        .value_kind:     global_buffer
      - .actual_access:  read_only
        .address_space:  global
        .offset:         16
        .size:           8
        .value_kind:     global_buffer
      - .offset:         24
        .size:           4
        .value_kind:     by_value
      - .offset:         28
        .size:           4
        .value_kind:     by_value
      - .actual_access:  read_only
        .address_space:  global
        .offset:         32
        .size:           8
        .value_kind:     global_buffer
      - .actual_access:  read_only
        .address_space:  global
        .offset:         40
        .size:           8
        .value_kind:     global_buffer
      - .actual_access:  read_only
        .address_space:  global
        .offset:         48
        .size:           8
        .value_kind:     global_buffer
      - .offset:         56
        .size:           4
        .value_kind:     by_value
      - .actual_access:  read_only
        .address_space:  global
        .offset:         64
        .size:           8
        .value_kind:     global_buffer
      - .offset:         72
        .size:           4
        .value_kind:     by_value
      - .offset:         76
        .size:           4
        .value_kind:     by_value
      - .offset:         80
        .size:           4
        .value_kind:     by_value
      - .actual_access:  read_only
        .address_space:  global
        .offset:         88
        .size:           8
        .value_kind:     global_buffer
      - .actual_access:  read_only
        .address_space:  global
        .offset:         96
        .size:           8
        .value_kind:     global_buffer
      - .actual_access:  read_only
        .address_space:  global
        .offset:         104
        .size:           8
        .value_kind:     global_buffer
      - .actual_access:  read_only
        .address_space:  global
        .offset:         112
        .size:           8
        .value_kind:     global_buffer
      - .offset:         120
        .size:           4
        .value_kind:     by_value
      - .address_space:  global
        .offset:         128
        .size:           8
        .value_kind:     global_buffer
      - .address_space:  global
        .offset:         136
        .size:           8
        .value_kind:     global_buffer
      - .offset:         144
        .size:           4
        .value_kind:     hidden_block_count_x
      - .offset:         148
        .size:           4
        .value_kind:     hidden_block_count_y
      - .offset:         152
        .size:           4
        .value_kind:     hidden_block_count_z
      - .offset:         156
        .size:           2
        .value_kind:     hidden_group_size_x
      - .offset:         158
        .size:           2
        .value_kind:     hidden_group_size_y
      - .offset:         160
        .size:           2
        .value_kind:     hidden_group_size_z
      - .offset:         162
        .size:           2
        .value_kind:     hidden_remainder_x
      - .offset:         164
        .size:           2
        .value_kind:     hidden_remainder_y
      - .offset:         166
        .size:           2
        .value_kind:     hidden_remainder_z
      - .offset:         184
        .size:           8
        .value_kind:     hidden_global_offset_x
      - .offset:         192
        .size:           8
        .value_kind:     hidden_global_offset_y
      - .offset:         200
        .size:           8
        .value_kind:     hidden_global_offset_z
      - .offset:         208
        .size:           2
        .value_kind:     hidden_grid_dims
      - .offset:         224
        .size:           8
        .value_kind:     hidden_hostcall_buffer
    .group_segment_fixed_size: 0
    .kernarg_segment_align: 8
    .kernarg_segment_size: 400
    .language:       OpenCL C
    .language_version:
      - 2
      - 0
    .max_flat_workgroup_size: 256
    .name:           _Z39paged_attention_ll4mi_QKV_mfma16_kernelI14__hip_bfloat16hLN4vllm18Fp8KVCacheDataTypeE1EhLi32ELi64ELi256ELb1ELi9EEvPKT_PKT0_S8_ifPKiSA_SA_iPKfiiiPfSD_PS3_PT2_iSC_SC_
    .private_segment_fixed_size: 64
    .sgpr_count:     36
    .sgpr_spill_count: 0
    .symbol:         _Z39paged_attention_ll4mi_QKV_mfma16_kernelI14__hip_bfloat16hLN4vllm18Fp8KVCacheDataTypeE1EhLi32ELi64ELi256ELb1ELi9EEvPKT_PKT0_S8_ifPKiSA_SA_iPKfiiiPfSD_PS3_PT2_iSC_SC_.kd
    .uniform_work_group_size: 1
    .uses_dynamic_stack: false
    .vgpr_count:     51
    .vgpr_spill_count: 0
    .wavefront_size: 32
  - .args:
      - .actual_access:  read_only
        .address_space:  global
        .offset:         0
        .size:           8
        .value_kind:     global_buffer
      - .actual_access:  read_only
        .address_space:  global
        .offset:         8
        .size:           8
        .value_kind:     global_buffer
      - .actual_access:  read_only
        .address_space:  global
        .offset:         16
        .size:           8
        .value_kind:     global_buffer
      - .offset:         24
        .size:           4
        .value_kind:     by_value
      - .offset:         28
        .size:           4
        .value_kind:     by_value
      - .actual_access:  read_only
        .address_space:  global
        .offset:         32
        .size:           8
        .value_kind:     global_buffer
      - .actual_access:  read_only
        .address_space:  global
        .offset:         40
        .size:           8
        .value_kind:     global_buffer
      - .actual_access:  read_only
        .address_space:  global
        .offset:         48
        .size:           8
        .value_kind:     global_buffer
      - .offset:         56
        .size:           4
        .value_kind:     by_value
      - .actual_access:  read_only
        .address_space:  global
        .offset:         64
        .size:           8
        .value_kind:     global_buffer
      - .offset:         72
        .size:           4
        .value_kind:     by_value
      - .offset:         76
        .size:           4
        .value_kind:     by_value
      - .offset:         80
        .size:           4
        .value_kind:     by_value
      - .actual_access:  read_only
        .address_space:  global
        .offset:         88
        .size:           8
        .value_kind:     global_buffer
      - .actual_access:  read_only
        .address_space:  global
        .offset:         96
        .size:           8
        .value_kind:     global_buffer
      - .actual_access:  read_only
        .address_space:  global
        .offset:         104
        .size:           8
        .value_kind:     global_buffer
      - .actual_access:  read_only
        .address_space:  global
        .offset:         112
        .size:           8
        .value_kind:     global_buffer
      - .offset:         120
        .size:           4
        .value_kind:     by_value
      - .address_space:  global
        .offset:         128
        .size:           8
        .value_kind:     global_buffer
      - .address_space:  global
        .offset:         136
        .size:           8
        .value_kind:     global_buffer
      - .offset:         144
        .size:           4
        .value_kind:     hidden_block_count_x
      - .offset:         148
        .size:           4
        .value_kind:     hidden_block_count_y
      - .offset:         152
        .size:           4
        .value_kind:     hidden_block_count_z
      - .offset:         156
        .size:           2
        .value_kind:     hidden_group_size_x
      - .offset:         158
        .size:           2
        .value_kind:     hidden_group_size_y
      - .offset:         160
        .size:           2
        .value_kind:     hidden_group_size_z
      - .offset:         162
        .size:           2
        .value_kind:     hidden_remainder_x
      - .offset:         164
        .size:           2
        .value_kind:     hidden_remainder_y
      - .offset:         166
        .size:           2
        .value_kind:     hidden_remainder_z
      - .offset:         184
        .size:           8
        .value_kind:     hidden_global_offset_x
      - .offset:         192
        .size:           8
        .value_kind:     hidden_global_offset_y
      - .offset:         200
        .size:           8
        .value_kind:     hidden_global_offset_z
      - .offset:         208
        .size:           2
        .value_kind:     hidden_grid_dims
      - .offset:         224
        .size:           8
        .value_kind:     hidden_hostcall_buffer
    .group_segment_fixed_size: 0
    .kernarg_segment_align: 8
    .kernarg_segment_size: 400
    .language:       OpenCL C
    .language_version:
      - 2
      - 0
    .max_flat_workgroup_size: 256
    .name:           _Z39paged_attention_ll4mi_QKV_mfma16_kernelI14__hip_bfloat16hLN4vllm18Fp8KVCacheDataTypeE1EhLi32ELi64ELi256ELb1ELi10EEvPKT_PKT0_S8_ifPKiSA_SA_iPKfiiiPfSD_PS3_PT2_iSC_SC_
    .private_segment_fixed_size: 64
    .sgpr_count:     36
    .sgpr_spill_count: 0
    .symbol:         _Z39paged_attention_ll4mi_QKV_mfma16_kernelI14__hip_bfloat16hLN4vllm18Fp8KVCacheDataTypeE1EhLi32ELi64ELi256ELb1ELi10EEvPKT_PKT0_S8_ifPKiSA_SA_iPKfiiiPfSD_PS3_PT2_iSC_SC_.kd
    .uniform_work_group_size: 1
    .uses_dynamic_stack: false
    .vgpr_count:     51
    .vgpr_spill_count: 0
    .wavefront_size: 32
  - .args:
      - .actual_access:  read_only
        .address_space:  global
        .offset:         0
        .size:           8
        .value_kind:     global_buffer
      - .actual_access:  read_only
        .address_space:  global
        .offset:         8
        .size:           8
        .value_kind:     global_buffer
      - .actual_access:  read_only
        .address_space:  global
        .offset:         16
        .size:           8
        .value_kind:     global_buffer
      - .offset:         24
        .size:           4
        .value_kind:     by_value
      - .offset:         28
        .size:           4
        .value_kind:     by_value
      - .actual_access:  read_only
        .address_space:  global
        .offset:         32
        .size:           8
        .value_kind:     global_buffer
      - .actual_access:  read_only
        .address_space:  global
        .offset:         40
        .size:           8
        .value_kind:     global_buffer
      - .actual_access:  read_only
        .address_space:  global
        .offset:         48
        .size:           8
        .value_kind:     global_buffer
      - .offset:         56
        .size:           4
        .value_kind:     by_value
      - .actual_access:  read_only
        .address_space:  global
        .offset:         64
        .size:           8
        .value_kind:     global_buffer
      - .offset:         72
        .size:           4
        .value_kind:     by_value
      - .offset:         76
        .size:           4
        .value_kind:     by_value
      - .offset:         80
        .size:           4
        .value_kind:     by_value
      - .actual_access:  read_only
        .address_space:  global
        .offset:         88
        .size:           8
        .value_kind:     global_buffer
      - .actual_access:  read_only
        .address_space:  global
        .offset:         96
        .size:           8
        .value_kind:     global_buffer
      - .actual_access:  read_only
        .address_space:  global
        .offset:         104
        .size:           8
        .value_kind:     global_buffer
      - .actual_access:  read_only
        .address_space:  global
        .offset:         112
        .size:           8
        .value_kind:     global_buffer
      - .offset:         120
        .size:           4
        .value_kind:     by_value
      - .address_space:  global
        .offset:         128
        .size:           8
        .value_kind:     global_buffer
      - .address_space:  global
        .offset:         136
        .size:           8
        .value_kind:     global_buffer
      - .offset:         144
        .size:           4
        .value_kind:     hidden_block_count_x
      - .offset:         148
        .size:           4
        .value_kind:     hidden_block_count_y
      - .offset:         152
        .size:           4
        .value_kind:     hidden_block_count_z
      - .offset:         156
        .size:           2
        .value_kind:     hidden_group_size_x
      - .offset:         158
        .size:           2
        .value_kind:     hidden_group_size_y
      - .offset:         160
        .size:           2
        .value_kind:     hidden_group_size_z
      - .offset:         162
        .size:           2
        .value_kind:     hidden_remainder_x
      - .offset:         164
        .size:           2
        .value_kind:     hidden_remainder_y
      - .offset:         166
        .size:           2
        .value_kind:     hidden_remainder_z
      - .offset:         184
        .size:           8
        .value_kind:     hidden_global_offset_x
      - .offset:         192
        .size:           8
        .value_kind:     hidden_global_offset_y
      - .offset:         200
        .size:           8
        .value_kind:     hidden_global_offset_z
      - .offset:         208
        .size:           2
        .value_kind:     hidden_grid_dims
      - .offset:         224
        .size:           8
        .value_kind:     hidden_hostcall_buffer
    .group_segment_fixed_size: 0
    .kernarg_segment_align: 8
    .kernarg_segment_size: 400
    .language:       OpenCL C
    .language_version:
      - 2
      - 0
    .max_flat_workgroup_size: 256
    .name:           _Z39paged_attention_ll4mi_QKV_mfma16_kernelI14__hip_bfloat16hLN4vllm18Fp8KVCacheDataTypeE1EhLi32ELi64ELi256ELb1ELi11EEvPKT_PKT0_S8_ifPKiSA_SA_iPKfiiiPfSD_PS3_PT2_iSC_SC_
    .private_segment_fixed_size: 64
    .sgpr_count:     36
    .sgpr_spill_count: 0
    .symbol:         _Z39paged_attention_ll4mi_QKV_mfma16_kernelI14__hip_bfloat16hLN4vllm18Fp8KVCacheDataTypeE1EhLi32ELi64ELi256ELb1ELi11EEvPKT_PKT0_S8_ifPKiSA_SA_iPKfiiiPfSD_PS3_PT2_iSC_SC_.kd
    .uniform_work_group_size: 1
    .uses_dynamic_stack: false
    .vgpr_count:     51
    .vgpr_spill_count: 0
    .wavefront_size: 32
  - .args:
      - .actual_access:  read_only
        .address_space:  global
        .offset:         0
        .size:           8
        .value_kind:     global_buffer
      - .actual_access:  read_only
        .address_space:  global
        .offset:         8
        .size:           8
        .value_kind:     global_buffer
      - .actual_access:  read_only
        .address_space:  global
        .offset:         16
        .size:           8
        .value_kind:     global_buffer
      - .offset:         24
        .size:           4
        .value_kind:     by_value
      - .offset:         28
        .size:           4
        .value_kind:     by_value
      - .actual_access:  read_only
        .address_space:  global
        .offset:         32
        .size:           8
        .value_kind:     global_buffer
      - .actual_access:  read_only
        .address_space:  global
        .offset:         40
        .size:           8
        .value_kind:     global_buffer
      - .actual_access:  read_only
        .address_space:  global
        .offset:         48
        .size:           8
        .value_kind:     global_buffer
      - .offset:         56
        .size:           4
        .value_kind:     by_value
      - .actual_access:  read_only
        .address_space:  global
        .offset:         64
        .size:           8
        .value_kind:     global_buffer
      - .offset:         72
        .size:           4
        .value_kind:     by_value
      - .offset:         76
        .size:           4
        .value_kind:     by_value
      - .offset:         80
        .size:           4
        .value_kind:     by_value
      - .actual_access:  read_only
        .address_space:  global
        .offset:         88
        .size:           8
        .value_kind:     global_buffer
      - .actual_access:  read_only
        .address_space:  global
        .offset:         96
        .size:           8
        .value_kind:     global_buffer
      - .actual_access:  read_only
        .address_space:  global
        .offset:         104
        .size:           8
        .value_kind:     global_buffer
      - .actual_access:  read_only
        .address_space:  global
        .offset:         112
        .size:           8
        .value_kind:     global_buffer
      - .offset:         120
        .size:           4
        .value_kind:     by_value
      - .address_space:  global
        .offset:         128
        .size:           8
        .value_kind:     global_buffer
      - .address_space:  global
        .offset:         136
        .size:           8
        .value_kind:     global_buffer
      - .offset:         144
        .size:           4
        .value_kind:     hidden_block_count_x
      - .offset:         148
        .size:           4
        .value_kind:     hidden_block_count_y
      - .offset:         152
        .size:           4
        .value_kind:     hidden_block_count_z
      - .offset:         156
        .size:           2
        .value_kind:     hidden_group_size_x
      - .offset:         158
        .size:           2
        .value_kind:     hidden_group_size_y
      - .offset:         160
        .size:           2
        .value_kind:     hidden_group_size_z
      - .offset:         162
        .size:           2
        .value_kind:     hidden_remainder_x
      - .offset:         164
        .size:           2
        .value_kind:     hidden_remainder_y
      - .offset:         166
        .size:           2
        .value_kind:     hidden_remainder_z
      - .offset:         184
        .size:           8
        .value_kind:     hidden_global_offset_x
      - .offset:         192
        .size:           8
        .value_kind:     hidden_global_offset_y
      - .offset:         200
        .size:           8
        .value_kind:     hidden_global_offset_z
      - .offset:         208
        .size:           2
        .value_kind:     hidden_grid_dims
      - .offset:         224
        .size:           8
        .value_kind:     hidden_hostcall_buffer
    .group_segment_fixed_size: 0
    .kernarg_segment_align: 8
    .kernarg_segment_size: 400
    .language:       OpenCL C
    .language_version:
      - 2
      - 0
    .max_flat_workgroup_size: 256
    .name:           _Z39paged_attention_ll4mi_QKV_mfma16_kernelI14__hip_bfloat16hLN4vllm18Fp8KVCacheDataTypeE1EhLi32ELi64ELi256ELb1ELi12EEvPKT_PKT0_S8_ifPKiSA_SA_iPKfiiiPfSD_PS3_PT2_iSC_SC_
    .private_segment_fixed_size: 64
    .sgpr_count:     36
    .sgpr_spill_count: 0
    .symbol:         _Z39paged_attention_ll4mi_QKV_mfma16_kernelI14__hip_bfloat16hLN4vllm18Fp8KVCacheDataTypeE1EhLi32ELi64ELi256ELb1ELi12EEvPKT_PKT0_S8_ifPKiSA_SA_iPKfiiiPfSD_PS3_PT2_iSC_SC_.kd
    .uniform_work_group_size: 1
    .uses_dynamic_stack: false
    .vgpr_count:     51
    .vgpr_spill_count: 0
    .wavefront_size: 32
  - .args:
      - .actual_access:  read_only
        .address_space:  global
        .offset:         0
        .size:           8
        .value_kind:     global_buffer
      - .actual_access:  read_only
        .address_space:  global
        .offset:         8
        .size:           8
        .value_kind:     global_buffer
      - .actual_access:  read_only
        .address_space:  global
        .offset:         16
        .size:           8
        .value_kind:     global_buffer
      - .offset:         24
        .size:           4
        .value_kind:     by_value
      - .offset:         28
        .size:           4
        .value_kind:     by_value
      - .actual_access:  read_only
        .address_space:  global
        .offset:         32
        .size:           8
        .value_kind:     global_buffer
      - .actual_access:  read_only
        .address_space:  global
        .offset:         40
        .size:           8
        .value_kind:     global_buffer
      - .actual_access:  read_only
        .address_space:  global
        .offset:         48
        .size:           8
        .value_kind:     global_buffer
      - .offset:         56
        .size:           4
        .value_kind:     by_value
      - .actual_access:  read_only
        .address_space:  global
        .offset:         64
        .size:           8
        .value_kind:     global_buffer
      - .offset:         72
        .size:           4
        .value_kind:     by_value
      - .offset:         76
        .size:           4
        .value_kind:     by_value
      - .offset:         80
        .size:           4
        .value_kind:     by_value
      - .actual_access:  read_only
        .address_space:  global
        .offset:         88
        .size:           8
        .value_kind:     global_buffer
      - .actual_access:  read_only
        .address_space:  global
        .offset:         96
        .size:           8
        .value_kind:     global_buffer
      - .actual_access:  read_only
        .address_space:  global
        .offset:         104
        .size:           8
        .value_kind:     global_buffer
      - .actual_access:  read_only
        .address_space:  global
        .offset:         112
        .size:           8
        .value_kind:     global_buffer
      - .offset:         120
        .size:           4
        .value_kind:     by_value
      - .address_space:  global
        .offset:         128
        .size:           8
        .value_kind:     global_buffer
      - .address_space:  global
        .offset:         136
        .size:           8
        .value_kind:     global_buffer
      - .offset:         144
        .size:           4
        .value_kind:     hidden_block_count_x
      - .offset:         148
        .size:           4
        .value_kind:     hidden_block_count_y
      - .offset:         152
        .size:           4
        .value_kind:     hidden_block_count_z
      - .offset:         156
        .size:           2
        .value_kind:     hidden_group_size_x
      - .offset:         158
        .size:           2
        .value_kind:     hidden_group_size_y
      - .offset:         160
        .size:           2
        .value_kind:     hidden_group_size_z
      - .offset:         162
        .size:           2
        .value_kind:     hidden_remainder_x
      - .offset:         164
        .size:           2
        .value_kind:     hidden_remainder_y
      - .offset:         166
        .size:           2
        .value_kind:     hidden_remainder_z
      - .offset:         184
        .size:           8
        .value_kind:     hidden_global_offset_x
      - .offset:         192
        .size:           8
        .value_kind:     hidden_global_offset_y
      - .offset:         200
        .size:           8
        .value_kind:     hidden_global_offset_z
      - .offset:         208
        .size:           2
        .value_kind:     hidden_grid_dims
      - .offset:         224
        .size:           8
        .value_kind:     hidden_hostcall_buffer
    .group_segment_fixed_size: 0
    .kernarg_segment_align: 8
    .kernarg_segment_size: 400
    .language:       OpenCL C
    .language_version:
      - 2
      - 0
    .max_flat_workgroup_size: 256
    .name:           _Z39paged_attention_ll4mi_QKV_mfma16_kernelI14__hip_bfloat16hLN4vllm18Fp8KVCacheDataTypeE1EhLi32ELi64ELi256ELb1ELi13EEvPKT_PKT0_S8_ifPKiSA_SA_iPKfiiiPfSD_PS3_PT2_iSC_SC_
    .private_segment_fixed_size: 64
    .sgpr_count:     36
    .sgpr_spill_count: 0
    .symbol:         _Z39paged_attention_ll4mi_QKV_mfma16_kernelI14__hip_bfloat16hLN4vllm18Fp8KVCacheDataTypeE1EhLi32ELi64ELi256ELb1ELi13EEvPKT_PKT0_S8_ifPKiSA_SA_iPKfiiiPfSD_PS3_PT2_iSC_SC_.kd
    .uniform_work_group_size: 1
    .uses_dynamic_stack: false
    .vgpr_count:     51
    .vgpr_spill_count: 0
    .wavefront_size: 32
  - .args:
      - .actual_access:  read_only
        .address_space:  global
        .offset:         0
        .size:           8
        .value_kind:     global_buffer
      - .actual_access:  read_only
        .address_space:  global
        .offset:         8
        .size:           8
        .value_kind:     global_buffer
      - .actual_access:  read_only
        .address_space:  global
        .offset:         16
        .size:           8
        .value_kind:     global_buffer
      - .offset:         24
        .size:           4
        .value_kind:     by_value
      - .offset:         28
        .size:           4
        .value_kind:     by_value
      - .actual_access:  read_only
        .address_space:  global
        .offset:         32
        .size:           8
        .value_kind:     global_buffer
      - .actual_access:  read_only
        .address_space:  global
        .offset:         40
        .size:           8
        .value_kind:     global_buffer
      - .actual_access:  read_only
        .address_space:  global
        .offset:         48
        .size:           8
        .value_kind:     global_buffer
      - .offset:         56
        .size:           4
        .value_kind:     by_value
      - .actual_access:  read_only
        .address_space:  global
        .offset:         64
        .size:           8
        .value_kind:     global_buffer
      - .offset:         72
        .size:           4
        .value_kind:     by_value
      - .offset:         76
        .size:           4
        .value_kind:     by_value
      - .offset:         80
        .size:           4
        .value_kind:     by_value
      - .actual_access:  read_only
        .address_space:  global
        .offset:         88
        .size:           8
        .value_kind:     global_buffer
      - .actual_access:  read_only
        .address_space:  global
        .offset:         96
        .size:           8
        .value_kind:     global_buffer
      - .actual_access:  read_only
        .address_space:  global
        .offset:         104
        .size:           8
        .value_kind:     global_buffer
      - .actual_access:  read_only
        .address_space:  global
        .offset:         112
        .size:           8
        .value_kind:     global_buffer
      - .offset:         120
        .size:           4
        .value_kind:     by_value
      - .address_space:  global
        .offset:         128
        .size:           8
        .value_kind:     global_buffer
      - .address_space:  global
        .offset:         136
        .size:           8
        .value_kind:     global_buffer
      - .offset:         144
        .size:           4
        .value_kind:     hidden_block_count_x
      - .offset:         148
        .size:           4
        .value_kind:     hidden_block_count_y
      - .offset:         152
        .size:           4
        .value_kind:     hidden_block_count_z
      - .offset:         156
        .size:           2
        .value_kind:     hidden_group_size_x
      - .offset:         158
        .size:           2
        .value_kind:     hidden_group_size_y
      - .offset:         160
        .size:           2
        .value_kind:     hidden_group_size_z
      - .offset:         162
        .size:           2
        .value_kind:     hidden_remainder_x
      - .offset:         164
        .size:           2
        .value_kind:     hidden_remainder_y
      - .offset:         166
        .size:           2
        .value_kind:     hidden_remainder_z
      - .offset:         184
        .size:           8
        .value_kind:     hidden_global_offset_x
      - .offset:         192
        .size:           8
        .value_kind:     hidden_global_offset_y
      - .offset:         200
        .size:           8
        .value_kind:     hidden_global_offset_z
      - .offset:         208
        .size:           2
        .value_kind:     hidden_grid_dims
      - .offset:         224
        .size:           8
        .value_kind:     hidden_hostcall_buffer
    .group_segment_fixed_size: 0
    .kernarg_segment_align: 8
    .kernarg_segment_size: 400
    .language:       OpenCL C
    .language_version:
      - 2
      - 0
    .max_flat_workgroup_size: 256
    .name:           _Z39paged_attention_ll4mi_QKV_mfma16_kernelI14__hip_bfloat16hLN4vllm18Fp8KVCacheDataTypeE1EhLi32ELi64ELi256ELb1ELi14EEvPKT_PKT0_S8_ifPKiSA_SA_iPKfiiiPfSD_PS3_PT2_iSC_SC_
    .private_segment_fixed_size: 64
    .sgpr_count:     36
    .sgpr_spill_count: 0
    .symbol:         _Z39paged_attention_ll4mi_QKV_mfma16_kernelI14__hip_bfloat16hLN4vllm18Fp8KVCacheDataTypeE1EhLi32ELi64ELi256ELb1ELi14EEvPKT_PKT0_S8_ifPKiSA_SA_iPKfiiiPfSD_PS3_PT2_iSC_SC_.kd
    .uniform_work_group_size: 1
    .uses_dynamic_stack: false
    .vgpr_count:     51
    .vgpr_spill_count: 0
    .wavefront_size: 32
  - .args:
      - .actual_access:  read_only
        .address_space:  global
        .offset:         0
        .size:           8
        .value_kind:     global_buffer
      - .actual_access:  read_only
        .address_space:  global
        .offset:         8
        .size:           8
        .value_kind:     global_buffer
      - .actual_access:  read_only
        .address_space:  global
        .offset:         16
        .size:           8
        .value_kind:     global_buffer
      - .offset:         24
        .size:           4
        .value_kind:     by_value
      - .offset:         28
        .size:           4
        .value_kind:     by_value
      - .actual_access:  read_only
        .address_space:  global
        .offset:         32
        .size:           8
        .value_kind:     global_buffer
      - .actual_access:  read_only
        .address_space:  global
        .offset:         40
        .size:           8
        .value_kind:     global_buffer
      - .actual_access:  read_only
        .address_space:  global
        .offset:         48
        .size:           8
        .value_kind:     global_buffer
      - .offset:         56
        .size:           4
        .value_kind:     by_value
      - .actual_access:  read_only
        .address_space:  global
        .offset:         64
        .size:           8
        .value_kind:     global_buffer
      - .offset:         72
        .size:           4
        .value_kind:     by_value
      - .offset:         76
        .size:           4
        .value_kind:     by_value
      - .offset:         80
        .size:           4
        .value_kind:     by_value
      - .actual_access:  read_only
        .address_space:  global
        .offset:         88
        .size:           8
        .value_kind:     global_buffer
      - .actual_access:  read_only
        .address_space:  global
        .offset:         96
        .size:           8
        .value_kind:     global_buffer
      - .actual_access:  read_only
        .address_space:  global
        .offset:         104
        .size:           8
        .value_kind:     global_buffer
      - .actual_access:  read_only
        .address_space:  global
        .offset:         112
        .size:           8
        .value_kind:     global_buffer
      - .offset:         120
        .size:           4
        .value_kind:     by_value
      - .address_space:  global
        .offset:         128
        .size:           8
        .value_kind:     global_buffer
      - .address_space:  global
        .offset:         136
        .size:           8
        .value_kind:     global_buffer
      - .offset:         144
        .size:           4
        .value_kind:     hidden_block_count_x
      - .offset:         148
        .size:           4
        .value_kind:     hidden_block_count_y
      - .offset:         152
        .size:           4
        .value_kind:     hidden_block_count_z
      - .offset:         156
        .size:           2
        .value_kind:     hidden_group_size_x
      - .offset:         158
        .size:           2
        .value_kind:     hidden_group_size_y
      - .offset:         160
        .size:           2
        .value_kind:     hidden_group_size_z
      - .offset:         162
        .size:           2
        .value_kind:     hidden_remainder_x
      - .offset:         164
        .size:           2
        .value_kind:     hidden_remainder_y
      - .offset:         166
        .size:           2
        .value_kind:     hidden_remainder_z
      - .offset:         184
        .size:           8
        .value_kind:     hidden_global_offset_x
      - .offset:         192
        .size:           8
        .value_kind:     hidden_global_offset_y
      - .offset:         200
        .size:           8
        .value_kind:     hidden_global_offset_z
      - .offset:         208
        .size:           2
        .value_kind:     hidden_grid_dims
      - .offset:         224
        .size:           8
        .value_kind:     hidden_hostcall_buffer
    .group_segment_fixed_size: 0
    .kernarg_segment_align: 8
    .kernarg_segment_size: 400
    .language:       OpenCL C
    .language_version:
      - 2
      - 0
    .max_flat_workgroup_size: 256
    .name:           _Z39paged_attention_ll4mi_QKV_mfma16_kernelI14__hip_bfloat16hLN4vllm18Fp8KVCacheDataTypeE1EhLi32ELi64ELi256ELb1ELi15EEvPKT_PKT0_S8_ifPKiSA_SA_iPKfiiiPfSD_PS3_PT2_iSC_SC_
    .private_segment_fixed_size: 64
    .sgpr_count:     36
    .sgpr_spill_count: 0
    .symbol:         _Z39paged_attention_ll4mi_QKV_mfma16_kernelI14__hip_bfloat16hLN4vllm18Fp8KVCacheDataTypeE1EhLi32ELi64ELi256ELb1ELi15EEvPKT_PKT0_S8_ifPKiSA_SA_iPKfiiiPfSD_PS3_PT2_iSC_SC_.kd
    .uniform_work_group_size: 1
    .uses_dynamic_stack: false
    .vgpr_count:     51
    .vgpr_spill_count: 0
    .wavefront_size: 32
  - .args:
      - .actual_access:  read_only
        .address_space:  global
        .offset:         0
        .size:           8
        .value_kind:     global_buffer
      - .actual_access:  read_only
        .address_space:  global
        .offset:         8
        .size:           8
        .value_kind:     global_buffer
      - .actual_access:  read_only
        .address_space:  global
        .offset:         16
        .size:           8
        .value_kind:     global_buffer
      - .offset:         24
        .size:           4
        .value_kind:     by_value
      - .offset:         28
        .size:           4
        .value_kind:     by_value
      - .actual_access:  read_only
        .address_space:  global
        .offset:         32
        .size:           8
        .value_kind:     global_buffer
      - .actual_access:  read_only
        .address_space:  global
        .offset:         40
        .size:           8
        .value_kind:     global_buffer
      - .actual_access:  read_only
        .address_space:  global
        .offset:         48
        .size:           8
        .value_kind:     global_buffer
      - .offset:         56
        .size:           4
        .value_kind:     by_value
      - .actual_access:  read_only
        .address_space:  global
        .offset:         64
        .size:           8
        .value_kind:     global_buffer
      - .offset:         72
        .size:           4
        .value_kind:     by_value
      - .offset:         76
        .size:           4
        .value_kind:     by_value
      - .offset:         80
        .size:           4
        .value_kind:     by_value
      - .actual_access:  read_only
        .address_space:  global
        .offset:         88
        .size:           8
        .value_kind:     global_buffer
      - .actual_access:  read_only
        .address_space:  global
        .offset:         96
        .size:           8
        .value_kind:     global_buffer
      - .actual_access:  read_only
        .address_space:  global
        .offset:         104
        .size:           8
        .value_kind:     global_buffer
      - .actual_access:  read_only
        .address_space:  global
        .offset:         112
        .size:           8
        .value_kind:     global_buffer
      - .offset:         120
        .size:           4
        .value_kind:     by_value
      - .address_space:  global
        .offset:         128
        .size:           8
        .value_kind:     global_buffer
      - .address_space:  global
        .offset:         136
        .size:           8
        .value_kind:     global_buffer
      - .offset:         144
        .size:           4
        .value_kind:     hidden_block_count_x
      - .offset:         148
        .size:           4
        .value_kind:     hidden_block_count_y
      - .offset:         152
        .size:           4
        .value_kind:     hidden_block_count_z
      - .offset:         156
        .size:           2
        .value_kind:     hidden_group_size_x
      - .offset:         158
        .size:           2
        .value_kind:     hidden_group_size_y
      - .offset:         160
        .size:           2
        .value_kind:     hidden_group_size_z
      - .offset:         162
        .size:           2
        .value_kind:     hidden_remainder_x
      - .offset:         164
        .size:           2
        .value_kind:     hidden_remainder_y
      - .offset:         166
        .size:           2
        .value_kind:     hidden_remainder_z
      - .offset:         184
        .size:           8
        .value_kind:     hidden_global_offset_x
      - .offset:         192
        .size:           8
        .value_kind:     hidden_global_offset_y
      - .offset:         200
        .size:           8
        .value_kind:     hidden_global_offset_z
      - .offset:         208
        .size:           2
        .value_kind:     hidden_grid_dims
      - .offset:         224
        .size:           8
        .value_kind:     hidden_hostcall_buffer
    .group_segment_fixed_size: 0
    .kernarg_segment_align: 8
    .kernarg_segment_size: 400
    .language:       OpenCL C
    .language_version:
      - 2
      - 0
    .max_flat_workgroup_size: 256
    .name:           _Z39paged_attention_ll4mi_QKV_mfma16_kernelI14__hip_bfloat16hLN4vllm18Fp8KVCacheDataTypeE1EhLi32ELi64ELi256ELb1ELi16EEvPKT_PKT0_S8_ifPKiSA_SA_iPKfiiiPfSD_PS3_PT2_iSC_SC_
    .private_segment_fixed_size: 64
    .sgpr_count:     36
    .sgpr_spill_count: 0
    .symbol:         _Z39paged_attention_ll4mi_QKV_mfma16_kernelI14__hip_bfloat16hLN4vllm18Fp8KVCacheDataTypeE1EhLi32ELi64ELi256ELb1ELi16EEvPKT_PKT0_S8_ifPKiSA_SA_iPKfiiiPfSD_PS3_PT2_iSC_SC_.kd
    .uniform_work_group_size: 1
    .uses_dynamic_stack: false
    .vgpr_count:     51
    .vgpr_spill_count: 0
    .wavefront_size: 32
  - .args:
      - .actual_access:  read_only
        .address_space:  global
        .offset:         0
        .size:           8
        .value_kind:     global_buffer
      - .actual_access:  read_only
        .address_space:  global
        .offset:         8
        .size:           8
        .value_kind:     global_buffer
      - .actual_access:  read_only
        .address_space:  global
        .offset:         16
        .size:           8
        .value_kind:     global_buffer
      - .offset:         24
        .size:           4
        .value_kind:     by_value
      - .offset:         28
        .size:           4
        .value_kind:     by_value
      - .actual_access:  read_only
        .address_space:  global
        .offset:         32
        .size:           8
        .value_kind:     global_buffer
      - .actual_access:  read_only
        .address_space:  global
        .offset:         40
        .size:           8
        .value_kind:     global_buffer
      - .actual_access:  read_only
        .address_space:  global
        .offset:         48
        .size:           8
        .value_kind:     global_buffer
      - .offset:         56
        .size:           4
        .value_kind:     by_value
      - .actual_access:  read_only
        .address_space:  global
        .offset:         64
        .size:           8
        .value_kind:     global_buffer
      - .offset:         72
        .size:           4
        .value_kind:     by_value
      - .offset:         76
        .size:           4
        .value_kind:     by_value
      - .offset:         80
        .size:           4
        .value_kind:     by_value
      - .actual_access:  read_only
        .address_space:  global
        .offset:         88
        .size:           8
        .value_kind:     global_buffer
      - .actual_access:  read_only
        .address_space:  global
        .offset:         96
        .size:           8
        .value_kind:     global_buffer
      - .actual_access:  read_only
        .address_space:  global
        .offset:         104
        .size:           8
        .value_kind:     global_buffer
      - .actual_access:  read_only
        .address_space:  global
        .offset:         112
        .size:           8
        .value_kind:     global_buffer
      - .offset:         120
        .size:           4
        .value_kind:     by_value
      - .address_space:  global
        .offset:         128
        .size:           8
        .value_kind:     global_buffer
      - .address_space:  global
        .offset:         136
        .size:           8
        .value_kind:     global_buffer
      - .offset:         144
        .size:           4
        .value_kind:     hidden_block_count_x
      - .offset:         148
        .size:           4
        .value_kind:     hidden_block_count_y
      - .offset:         152
        .size:           4
        .value_kind:     hidden_block_count_z
      - .offset:         156
        .size:           2
        .value_kind:     hidden_group_size_x
      - .offset:         158
        .size:           2
        .value_kind:     hidden_group_size_y
      - .offset:         160
        .size:           2
        .value_kind:     hidden_group_size_z
      - .offset:         162
        .size:           2
        .value_kind:     hidden_remainder_x
      - .offset:         164
        .size:           2
        .value_kind:     hidden_remainder_y
      - .offset:         166
        .size:           2
        .value_kind:     hidden_remainder_z
      - .offset:         184
        .size:           8
        .value_kind:     hidden_global_offset_x
      - .offset:         192
        .size:           8
        .value_kind:     hidden_global_offset_y
      - .offset:         200
        .size:           8
        .value_kind:     hidden_global_offset_z
      - .offset:         208
        .size:           2
        .value_kind:     hidden_grid_dims
      - .offset:         224
        .size:           8
        .value_kind:     hidden_hostcall_buffer
    .group_segment_fixed_size: 0
    .kernarg_segment_align: 8
    .kernarg_segment_size: 400
    .language:       OpenCL C
    .language_version:
      - 2
      - 0
    .max_flat_workgroup_size: 256
    .name:           _Z39paged_attention_ll4mi_QKV_mfma16_kernelI14__hip_bfloat16hLN4vllm18Fp8KVCacheDataTypeE1EhLi32ELi64ELi256ELb1ELi1EEvPKT_PKT0_S8_ifPKiSA_SA_iPKfiiiPfSD_PS3_PT2_iSC_SC_
    .private_segment_fixed_size: 64
    .sgpr_count:     36
    .sgpr_spill_count: 0
    .symbol:         _Z39paged_attention_ll4mi_QKV_mfma16_kernelI14__hip_bfloat16hLN4vllm18Fp8KVCacheDataTypeE1EhLi32ELi64ELi256ELb1ELi1EEvPKT_PKT0_S8_ifPKiSA_SA_iPKfiiiPfSD_PS3_PT2_iSC_SC_.kd
    .uniform_work_group_size: 1
    .uses_dynamic_stack: false
    .vgpr_count:     51
    .vgpr_spill_count: 0
    .wavefront_size: 32
  - .args:
      - .actual_access:  read_only
        .address_space:  global
        .offset:         0
        .size:           8
        .value_kind:     global_buffer
      - .actual_access:  read_only
        .address_space:  global
        .offset:         8
        .size:           8
        .value_kind:     global_buffer
      - .actual_access:  read_only
        .address_space:  global
        .offset:         16
        .size:           8
        .value_kind:     global_buffer
      - .offset:         24
        .size:           4
        .value_kind:     by_value
      - .offset:         28
        .size:           4
        .value_kind:     by_value
      - .actual_access:  read_only
        .address_space:  global
        .offset:         32
        .size:           8
        .value_kind:     global_buffer
      - .actual_access:  read_only
        .address_space:  global
        .offset:         40
        .size:           8
        .value_kind:     global_buffer
      - .actual_access:  read_only
        .address_space:  global
        .offset:         48
        .size:           8
        .value_kind:     global_buffer
      - .offset:         56
        .size:           4
        .value_kind:     by_value
      - .actual_access:  read_only
        .address_space:  global
        .offset:         64
        .size:           8
        .value_kind:     global_buffer
      - .offset:         72
        .size:           4
        .value_kind:     by_value
      - .offset:         76
        .size:           4
        .value_kind:     by_value
      - .offset:         80
        .size:           4
        .value_kind:     by_value
      - .actual_access:  read_only
        .address_space:  global
        .offset:         88
        .size:           8
        .value_kind:     global_buffer
      - .actual_access:  read_only
        .address_space:  global
        .offset:         96
        .size:           8
        .value_kind:     global_buffer
      - .actual_access:  read_only
        .address_space:  global
        .offset:         104
        .size:           8
        .value_kind:     global_buffer
      - .actual_access:  read_only
        .address_space:  global
        .offset:         112
        .size:           8
        .value_kind:     global_buffer
      - .offset:         120
        .size:           4
        .value_kind:     by_value
      - .address_space:  global
        .offset:         128
        .size:           8
        .value_kind:     global_buffer
      - .address_space:  global
        .offset:         136
        .size:           8
        .value_kind:     global_buffer
      - .offset:         144
        .size:           4
        .value_kind:     hidden_block_count_x
      - .offset:         148
        .size:           4
        .value_kind:     hidden_block_count_y
      - .offset:         152
        .size:           4
        .value_kind:     hidden_block_count_z
      - .offset:         156
        .size:           2
        .value_kind:     hidden_group_size_x
      - .offset:         158
        .size:           2
        .value_kind:     hidden_group_size_y
      - .offset:         160
        .size:           2
        .value_kind:     hidden_group_size_z
      - .offset:         162
        .size:           2
        .value_kind:     hidden_remainder_x
      - .offset:         164
        .size:           2
        .value_kind:     hidden_remainder_y
      - .offset:         166
        .size:           2
        .value_kind:     hidden_remainder_z
      - .offset:         184
        .size:           8
        .value_kind:     hidden_global_offset_x
      - .offset:         192
        .size:           8
        .value_kind:     hidden_global_offset_y
      - .offset:         200
        .size:           8
        .value_kind:     hidden_global_offset_z
      - .offset:         208
        .size:           2
        .value_kind:     hidden_grid_dims
      - .offset:         224
        .size:           8
        .value_kind:     hidden_hostcall_buffer
    .group_segment_fixed_size: 0
    .kernarg_segment_align: 8
    .kernarg_segment_size: 400
    .language:       OpenCL C
    .language_version:
      - 2
      - 0
    .max_flat_workgroup_size: 256
    .name:           _Z39paged_attention_ll4mi_QKV_mfma16_kernelI14__hip_bfloat16hLN4vllm18Fp8KVCacheDataTypeE1EhLi32ELi64ELi256ELb1ELi2EEvPKT_PKT0_S8_ifPKiSA_SA_iPKfiiiPfSD_PS3_PT2_iSC_SC_
    .private_segment_fixed_size: 64
    .sgpr_count:     36
    .sgpr_spill_count: 0
    .symbol:         _Z39paged_attention_ll4mi_QKV_mfma16_kernelI14__hip_bfloat16hLN4vllm18Fp8KVCacheDataTypeE1EhLi32ELi64ELi256ELb1ELi2EEvPKT_PKT0_S8_ifPKiSA_SA_iPKfiiiPfSD_PS3_PT2_iSC_SC_.kd
    .uniform_work_group_size: 1
    .uses_dynamic_stack: false
    .vgpr_count:     51
    .vgpr_spill_count: 0
    .wavefront_size: 32
  - .args:
      - .actual_access:  read_only
        .address_space:  global
        .offset:         0
        .size:           8
        .value_kind:     global_buffer
      - .actual_access:  read_only
        .address_space:  global
        .offset:         8
        .size:           8
        .value_kind:     global_buffer
      - .actual_access:  read_only
        .address_space:  global
        .offset:         16
        .size:           8
        .value_kind:     global_buffer
      - .offset:         24
        .size:           4
        .value_kind:     by_value
      - .offset:         28
        .size:           4
        .value_kind:     by_value
      - .actual_access:  read_only
        .address_space:  global
        .offset:         32
        .size:           8
        .value_kind:     global_buffer
      - .actual_access:  read_only
        .address_space:  global
        .offset:         40
        .size:           8
        .value_kind:     global_buffer
      - .actual_access:  read_only
        .address_space:  global
        .offset:         48
        .size:           8
        .value_kind:     global_buffer
      - .offset:         56
        .size:           4
        .value_kind:     by_value
      - .actual_access:  read_only
        .address_space:  global
        .offset:         64
        .size:           8
        .value_kind:     global_buffer
      - .offset:         72
        .size:           4
        .value_kind:     by_value
      - .offset:         76
        .size:           4
        .value_kind:     by_value
      - .offset:         80
        .size:           4
        .value_kind:     by_value
      - .actual_access:  read_only
        .address_space:  global
        .offset:         88
        .size:           8
        .value_kind:     global_buffer
      - .actual_access:  read_only
        .address_space:  global
        .offset:         96
        .size:           8
        .value_kind:     global_buffer
      - .actual_access:  read_only
        .address_space:  global
        .offset:         104
        .size:           8
        .value_kind:     global_buffer
      - .actual_access:  read_only
        .address_space:  global
        .offset:         112
        .size:           8
        .value_kind:     global_buffer
      - .offset:         120
        .size:           4
        .value_kind:     by_value
      - .address_space:  global
        .offset:         128
        .size:           8
        .value_kind:     global_buffer
      - .address_space:  global
        .offset:         136
        .size:           8
        .value_kind:     global_buffer
      - .offset:         144
        .size:           4
        .value_kind:     hidden_block_count_x
      - .offset:         148
        .size:           4
        .value_kind:     hidden_block_count_y
      - .offset:         152
        .size:           4
        .value_kind:     hidden_block_count_z
      - .offset:         156
        .size:           2
        .value_kind:     hidden_group_size_x
      - .offset:         158
        .size:           2
        .value_kind:     hidden_group_size_y
      - .offset:         160
        .size:           2
        .value_kind:     hidden_group_size_z
      - .offset:         162
        .size:           2
        .value_kind:     hidden_remainder_x
      - .offset:         164
        .size:           2
        .value_kind:     hidden_remainder_y
      - .offset:         166
        .size:           2
        .value_kind:     hidden_remainder_z
      - .offset:         184
        .size:           8
        .value_kind:     hidden_global_offset_x
      - .offset:         192
        .size:           8
        .value_kind:     hidden_global_offset_y
      - .offset:         200
        .size:           8
        .value_kind:     hidden_global_offset_z
      - .offset:         208
        .size:           2
        .value_kind:     hidden_grid_dims
      - .offset:         224
        .size:           8
        .value_kind:     hidden_hostcall_buffer
    .group_segment_fixed_size: 0
    .kernarg_segment_align: 8
    .kernarg_segment_size: 400
    .language:       OpenCL C
    .language_version:
      - 2
      - 0
    .max_flat_workgroup_size: 256
    .name:           _Z39paged_attention_ll4mi_QKV_mfma16_kernelI14__hip_bfloat16hLN4vllm18Fp8KVCacheDataTypeE1EhLi32ELi64ELi256ELb1ELi3EEvPKT_PKT0_S8_ifPKiSA_SA_iPKfiiiPfSD_PS3_PT2_iSC_SC_
    .private_segment_fixed_size: 64
    .sgpr_count:     36
    .sgpr_spill_count: 0
    .symbol:         _Z39paged_attention_ll4mi_QKV_mfma16_kernelI14__hip_bfloat16hLN4vllm18Fp8KVCacheDataTypeE1EhLi32ELi64ELi256ELb1ELi3EEvPKT_PKT0_S8_ifPKiSA_SA_iPKfiiiPfSD_PS3_PT2_iSC_SC_.kd
    .uniform_work_group_size: 1
    .uses_dynamic_stack: false
    .vgpr_count:     51
    .vgpr_spill_count: 0
    .wavefront_size: 32
  - .args:
      - .actual_access:  read_only
        .address_space:  global
        .offset:         0
        .size:           8
        .value_kind:     global_buffer
      - .actual_access:  read_only
        .address_space:  global
        .offset:         8
        .size:           8
        .value_kind:     global_buffer
      - .actual_access:  read_only
        .address_space:  global
        .offset:         16
        .size:           8
        .value_kind:     global_buffer
      - .offset:         24
        .size:           4
        .value_kind:     by_value
      - .offset:         28
        .size:           4
        .value_kind:     by_value
      - .actual_access:  read_only
        .address_space:  global
        .offset:         32
        .size:           8
        .value_kind:     global_buffer
      - .actual_access:  read_only
        .address_space:  global
        .offset:         40
        .size:           8
        .value_kind:     global_buffer
      - .actual_access:  read_only
        .address_space:  global
        .offset:         48
        .size:           8
        .value_kind:     global_buffer
      - .offset:         56
        .size:           4
        .value_kind:     by_value
      - .actual_access:  read_only
        .address_space:  global
        .offset:         64
        .size:           8
        .value_kind:     global_buffer
      - .offset:         72
        .size:           4
        .value_kind:     by_value
      - .offset:         76
        .size:           4
        .value_kind:     by_value
      - .offset:         80
        .size:           4
        .value_kind:     by_value
      - .actual_access:  read_only
        .address_space:  global
        .offset:         88
        .size:           8
        .value_kind:     global_buffer
      - .actual_access:  read_only
        .address_space:  global
        .offset:         96
        .size:           8
        .value_kind:     global_buffer
      - .actual_access:  read_only
        .address_space:  global
        .offset:         104
        .size:           8
        .value_kind:     global_buffer
      - .actual_access:  read_only
        .address_space:  global
        .offset:         112
        .size:           8
        .value_kind:     global_buffer
      - .offset:         120
        .size:           4
        .value_kind:     by_value
      - .address_space:  global
        .offset:         128
        .size:           8
        .value_kind:     global_buffer
      - .address_space:  global
        .offset:         136
        .size:           8
        .value_kind:     global_buffer
      - .offset:         144
        .size:           4
        .value_kind:     hidden_block_count_x
      - .offset:         148
        .size:           4
        .value_kind:     hidden_block_count_y
      - .offset:         152
        .size:           4
        .value_kind:     hidden_block_count_z
      - .offset:         156
        .size:           2
        .value_kind:     hidden_group_size_x
      - .offset:         158
        .size:           2
        .value_kind:     hidden_group_size_y
      - .offset:         160
        .size:           2
        .value_kind:     hidden_group_size_z
      - .offset:         162
        .size:           2
        .value_kind:     hidden_remainder_x
      - .offset:         164
        .size:           2
        .value_kind:     hidden_remainder_y
      - .offset:         166
        .size:           2
        .value_kind:     hidden_remainder_z
      - .offset:         184
        .size:           8
        .value_kind:     hidden_global_offset_x
      - .offset:         192
        .size:           8
        .value_kind:     hidden_global_offset_y
      - .offset:         200
        .size:           8
        .value_kind:     hidden_global_offset_z
      - .offset:         208
        .size:           2
        .value_kind:     hidden_grid_dims
      - .offset:         224
        .size:           8
        .value_kind:     hidden_hostcall_buffer
    .group_segment_fixed_size: 0
    .kernarg_segment_align: 8
    .kernarg_segment_size: 400
    .language:       OpenCL C
    .language_version:
      - 2
      - 0
    .max_flat_workgroup_size: 256
    .name:           _Z39paged_attention_ll4mi_QKV_mfma16_kernelI14__hip_bfloat16hLN4vllm18Fp8KVCacheDataTypeE1EhLi32ELi64ELi256ELb1ELi4EEvPKT_PKT0_S8_ifPKiSA_SA_iPKfiiiPfSD_PS3_PT2_iSC_SC_
    .private_segment_fixed_size: 64
    .sgpr_count:     36
    .sgpr_spill_count: 0
    .symbol:         _Z39paged_attention_ll4mi_QKV_mfma16_kernelI14__hip_bfloat16hLN4vllm18Fp8KVCacheDataTypeE1EhLi32ELi64ELi256ELb1ELi4EEvPKT_PKT0_S8_ifPKiSA_SA_iPKfiiiPfSD_PS3_PT2_iSC_SC_.kd
    .uniform_work_group_size: 1
    .uses_dynamic_stack: false
    .vgpr_count:     51
    .vgpr_spill_count: 0
    .wavefront_size: 32
  - .args:
      - .actual_access:  read_only
        .address_space:  global
        .offset:         0
        .size:           8
        .value_kind:     global_buffer
      - .actual_access:  read_only
        .address_space:  global
        .offset:         8
        .size:           8
        .value_kind:     global_buffer
      - .actual_access:  read_only
        .address_space:  global
        .offset:         16
        .size:           8
        .value_kind:     global_buffer
      - .offset:         24
        .size:           4
        .value_kind:     by_value
      - .offset:         28
        .size:           4
        .value_kind:     by_value
      - .actual_access:  read_only
        .address_space:  global
        .offset:         32
        .size:           8
        .value_kind:     global_buffer
      - .actual_access:  read_only
        .address_space:  global
        .offset:         40
        .size:           8
        .value_kind:     global_buffer
      - .actual_access:  read_only
        .address_space:  global
        .offset:         48
        .size:           8
        .value_kind:     global_buffer
      - .offset:         56
        .size:           4
        .value_kind:     by_value
      - .actual_access:  read_only
        .address_space:  global
        .offset:         64
        .size:           8
        .value_kind:     global_buffer
      - .offset:         72
        .size:           4
        .value_kind:     by_value
      - .offset:         76
        .size:           4
        .value_kind:     by_value
      - .offset:         80
        .size:           4
        .value_kind:     by_value
      - .actual_access:  read_only
        .address_space:  global
        .offset:         88
        .size:           8
        .value_kind:     global_buffer
      - .actual_access:  read_only
        .address_space:  global
        .offset:         96
        .size:           8
        .value_kind:     global_buffer
      - .actual_access:  read_only
        .address_space:  global
        .offset:         104
        .size:           8
        .value_kind:     global_buffer
      - .actual_access:  read_only
        .address_space:  global
        .offset:         112
        .size:           8
        .value_kind:     global_buffer
      - .offset:         120
        .size:           4
        .value_kind:     by_value
      - .address_space:  global
        .offset:         128
        .size:           8
        .value_kind:     global_buffer
      - .address_space:  global
        .offset:         136
        .size:           8
        .value_kind:     global_buffer
      - .offset:         144
        .size:           4
        .value_kind:     hidden_block_count_x
      - .offset:         148
        .size:           4
        .value_kind:     hidden_block_count_y
      - .offset:         152
        .size:           4
        .value_kind:     hidden_block_count_z
      - .offset:         156
        .size:           2
        .value_kind:     hidden_group_size_x
      - .offset:         158
        .size:           2
        .value_kind:     hidden_group_size_y
      - .offset:         160
        .size:           2
        .value_kind:     hidden_group_size_z
      - .offset:         162
        .size:           2
        .value_kind:     hidden_remainder_x
      - .offset:         164
        .size:           2
        .value_kind:     hidden_remainder_y
      - .offset:         166
        .size:           2
        .value_kind:     hidden_remainder_z
      - .offset:         184
        .size:           8
        .value_kind:     hidden_global_offset_x
      - .offset:         192
        .size:           8
        .value_kind:     hidden_global_offset_y
      - .offset:         200
        .size:           8
        .value_kind:     hidden_global_offset_z
      - .offset:         208
        .size:           2
        .value_kind:     hidden_grid_dims
      - .offset:         224
        .size:           8
        .value_kind:     hidden_hostcall_buffer
    .group_segment_fixed_size: 0
    .kernarg_segment_align: 8
    .kernarg_segment_size: 400
    .language:       OpenCL C
    .language_version:
      - 2
      - 0
    .max_flat_workgroup_size: 256
    .name:           _Z38paged_attention_ll4mi_QKV_mfma4_kernelI14__hip_bfloat16hLN4vllm18Fp8KVCacheDataTypeE1EhLi32ELi64ELi256ELb0ELi1EEvPKT_PKT0_S8_ifPKiSA_SA_iPKfiiiPfSD_PS3_PT2_iSC_SC_
    .private_segment_fixed_size: 64
    .sgpr_count:     36
    .sgpr_spill_count: 0
    .symbol:         _Z38paged_attention_ll4mi_QKV_mfma4_kernelI14__hip_bfloat16hLN4vllm18Fp8KVCacheDataTypeE1EhLi32ELi64ELi256ELb0ELi1EEvPKT_PKT0_S8_ifPKiSA_SA_iPKfiiiPfSD_PS3_PT2_iSC_SC_.kd
    .uniform_work_group_size: 1
    .uses_dynamic_stack: false
    .vgpr_count:     51
    .vgpr_spill_count: 0
    .wavefront_size: 32
  - .args:
      - .actual_access:  read_only
        .address_space:  global
        .offset:         0
        .size:           8
        .value_kind:     global_buffer
      - .actual_access:  read_only
        .address_space:  global
        .offset:         8
        .size:           8
        .value_kind:     global_buffer
      - .actual_access:  read_only
        .address_space:  global
        .offset:         16
        .size:           8
        .value_kind:     global_buffer
      - .offset:         24
        .size:           4
        .value_kind:     by_value
      - .offset:         28
        .size:           4
        .value_kind:     by_value
      - .actual_access:  read_only
        .address_space:  global
        .offset:         32
        .size:           8
        .value_kind:     global_buffer
      - .actual_access:  read_only
        .address_space:  global
        .offset:         40
        .size:           8
        .value_kind:     global_buffer
      - .actual_access:  read_only
        .address_space:  global
        .offset:         48
        .size:           8
        .value_kind:     global_buffer
      - .offset:         56
        .size:           4
        .value_kind:     by_value
      - .actual_access:  read_only
        .address_space:  global
        .offset:         64
        .size:           8
        .value_kind:     global_buffer
      - .offset:         72
        .size:           4
        .value_kind:     by_value
      - .offset:         76
        .size:           4
        .value_kind:     by_value
      - .offset:         80
        .size:           4
        .value_kind:     by_value
      - .actual_access:  read_only
        .address_space:  global
        .offset:         88
        .size:           8
        .value_kind:     global_buffer
      - .actual_access:  read_only
        .address_space:  global
        .offset:         96
        .size:           8
        .value_kind:     global_buffer
      - .actual_access:  read_only
        .address_space:  global
        .offset:         104
        .size:           8
        .value_kind:     global_buffer
      - .actual_access:  read_only
        .address_space:  global
        .offset:         112
        .size:           8
        .value_kind:     global_buffer
      - .offset:         120
        .size:           4
        .value_kind:     by_value
      - .address_space:  global
        .offset:         128
        .size:           8
        .value_kind:     global_buffer
      - .address_space:  global
        .offset:         136
        .size:           8
        .value_kind:     global_buffer
      - .offset:         144
        .size:           4
        .value_kind:     hidden_block_count_x
      - .offset:         148
        .size:           4
        .value_kind:     hidden_block_count_y
      - .offset:         152
        .size:           4
        .value_kind:     hidden_block_count_z
      - .offset:         156
        .size:           2
        .value_kind:     hidden_group_size_x
      - .offset:         158
        .size:           2
        .value_kind:     hidden_group_size_y
      - .offset:         160
        .size:           2
        .value_kind:     hidden_group_size_z
      - .offset:         162
        .size:           2
        .value_kind:     hidden_remainder_x
      - .offset:         164
        .size:           2
        .value_kind:     hidden_remainder_y
      - .offset:         166
        .size:           2
        .value_kind:     hidden_remainder_z
      - .offset:         184
        .size:           8
        .value_kind:     hidden_global_offset_x
      - .offset:         192
        .size:           8
        .value_kind:     hidden_global_offset_y
      - .offset:         200
        .size:           8
        .value_kind:     hidden_global_offset_z
      - .offset:         208
        .size:           2
        .value_kind:     hidden_grid_dims
      - .offset:         224
        .size:           8
        .value_kind:     hidden_hostcall_buffer
    .group_segment_fixed_size: 0
    .kernarg_segment_align: 8
    .kernarg_segment_size: 400
    .language:       OpenCL C
    .language_version:
      - 2
      - 0
    .max_flat_workgroup_size: 256
    .name:           _Z38paged_attention_ll4mi_QKV_mfma4_kernelI14__hip_bfloat16hLN4vllm18Fp8KVCacheDataTypeE1EhLi32ELi64ELi256ELb0ELi2EEvPKT_PKT0_S8_ifPKiSA_SA_iPKfiiiPfSD_PS3_PT2_iSC_SC_
    .private_segment_fixed_size: 64
    .sgpr_count:     36
    .sgpr_spill_count: 0
    .symbol:         _Z38paged_attention_ll4mi_QKV_mfma4_kernelI14__hip_bfloat16hLN4vllm18Fp8KVCacheDataTypeE1EhLi32ELi64ELi256ELb0ELi2EEvPKT_PKT0_S8_ifPKiSA_SA_iPKfiiiPfSD_PS3_PT2_iSC_SC_.kd
    .uniform_work_group_size: 1
    .uses_dynamic_stack: false
    .vgpr_count:     51
    .vgpr_spill_count: 0
    .wavefront_size: 32
  - .args:
      - .actual_access:  read_only
        .address_space:  global
        .offset:         0
        .size:           8
        .value_kind:     global_buffer
      - .actual_access:  read_only
        .address_space:  global
        .offset:         8
        .size:           8
        .value_kind:     global_buffer
      - .actual_access:  read_only
        .address_space:  global
        .offset:         16
        .size:           8
        .value_kind:     global_buffer
      - .offset:         24
        .size:           4
        .value_kind:     by_value
      - .offset:         28
        .size:           4
        .value_kind:     by_value
      - .actual_access:  read_only
        .address_space:  global
        .offset:         32
        .size:           8
        .value_kind:     global_buffer
      - .actual_access:  read_only
        .address_space:  global
        .offset:         40
        .size:           8
        .value_kind:     global_buffer
      - .actual_access:  read_only
        .address_space:  global
        .offset:         48
        .size:           8
        .value_kind:     global_buffer
      - .offset:         56
        .size:           4
        .value_kind:     by_value
      - .actual_access:  read_only
        .address_space:  global
        .offset:         64
        .size:           8
        .value_kind:     global_buffer
      - .offset:         72
        .size:           4
        .value_kind:     by_value
      - .offset:         76
        .size:           4
        .value_kind:     by_value
      - .offset:         80
        .size:           4
        .value_kind:     by_value
      - .actual_access:  read_only
        .address_space:  global
        .offset:         88
        .size:           8
        .value_kind:     global_buffer
      - .actual_access:  read_only
        .address_space:  global
        .offset:         96
        .size:           8
        .value_kind:     global_buffer
      - .actual_access:  read_only
        .address_space:  global
        .offset:         104
        .size:           8
        .value_kind:     global_buffer
      - .actual_access:  read_only
        .address_space:  global
        .offset:         112
        .size:           8
        .value_kind:     global_buffer
      - .offset:         120
        .size:           4
        .value_kind:     by_value
      - .address_space:  global
        .offset:         128
        .size:           8
        .value_kind:     global_buffer
      - .address_space:  global
        .offset:         136
        .size:           8
        .value_kind:     global_buffer
      - .offset:         144
        .size:           4
        .value_kind:     hidden_block_count_x
      - .offset:         148
        .size:           4
        .value_kind:     hidden_block_count_y
      - .offset:         152
        .size:           4
        .value_kind:     hidden_block_count_z
      - .offset:         156
        .size:           2
        .value_kind:     hidden_group_size_x
      - .offset:         158
        .size:           2
        .value_kind:     hidden_group_size_y
      - .offset:         160
        .size:           2
        .value_kind:     hidden_group_size_z
      - .offset:         162
        .size:           2
        .value_kind:     hidden_remainder_x
      - .offset:         164
        .size:           2
        .value_kind:     hidden_remainder_y
      - .offset:         166
        .size:           2
        .value_kind:     hidden_remainder_z
      - .offset:         184
        .size:           8
        .value_kind:     hidden_global_offset_x
      - .offset:         192
        .size:           8
        .value_kind:     hidden_global_offset_y
      - .offset:         200
        .size:           8
        .value_kind:     hidden_global_offset_z
      - .offset:         208
        .size:           2
        .value_kind:     hidden_grid_dims
      - .offset:         224
        .size:           8
        .value_kind:     hidden_hostcall_buffer
    .group_segment_fixed_size: 0
    .kernarg_segment_align: 8
    .kernarg_segment_size: 400
    .language:       OpenCL C
    .language_version:
      - 2
      - 0
    .max_flat_workgroup_size: 256
    .name:           _Z38paged_attention_ll4mi_QKV_mfma4_kernelI14__hip_bfloat16hLN4vllm18Fp8KVCacheDataTypeE1EhLi32ELi64ELi256ELb0ELi3EEvPKT_PKT0_S8_ifPKiSA_SA_iPKfiiiPfSD_PS3_PT2_iSC_SC_
    .private_segment_fixed_size: 64
    .sgpr_count:     36
    .sgpr_spill_count: 0
    .symbol:         _Z38paged_attention_ll4mi_QKV_mfma4_kernelI14__hip_bfloat16hLN4vllm18Fp8KVCacheDataTypeE1EhLi32ELi64ELi256ELb0ELi3EEvPKT_PKT0_S8_ifPKiSA_SA_iPKfiiiPfSD_PS3_PT2_iSC_SC_.kd
    .uniform_work_group_size: 1
    .uses_dynamic_stack: false
    .vgpr_count:     51
    .vgpr_spill_count: 0
    .wavefront_size: 32
  - .args:
      - .actual_access:  read_only
        .address_space:  global
        .offset:         0
        .size:           8
        .value_kind:     global_buffer
      - .actual_access:  read_only
        .address_space:  global
        .offset:         8
        .size:           8
        .value_kind:     global_buffer
      - .actual_access:  read_only
        .address_space:  global
        .offset:         16
        .size:           8
        .value_kind:     global_buffer
      - .offset:         24
        .size:           4
        .value_kind:     by_value
      - .offset:         28
        .size:           4
        .value_kind:     by_value
      - .actual_access:  read_only
        .address_space:  global
        .offset:         32
        .size:           8
        .value_kind:     global_buffer
      - .actual_access:  read_only
        .address_space:  global
        .offset:         40
        .size:           8
        .value_kind:     global_buffer
      - .actual_access:  read_only
        .address_space:  global
        .offset:         48
        .size:           8
        .value_kind:     global_buffer
      - .offset:         56
        .size:           4
        .value_kind:     by_value
      - .actual_access:  read_only
        .address_space:  global
        .offset:         64
        .size:           8
        .value_kind:     global_buffer
      - .offset:         72
        .size:           4
        .value_kind:     by_value
      - .offset:         76
        .size:           4
        .value_kind:     by_value
      - .offset:         80
        .size:           4
        .value_kind:     by_value
      - .actual_access:  read_only
        .address_space:  global
        .offset:         88
        .size:           8
        .value_kind:     global_buffer
      - .actual_access:  read_only
        .address_space:  global
        .offset:         96
        .size:           8
        .value_kind:     global_buffer
      - .actual_access:  read_only
        .address_space:  global
        .offset:         104
        .size:           8
        .value_kind:     global_buffer
      - .actual_access:  read_only
        .address_space:  global
        .offset:         112
        .size:           8
        .value_kind:     global_buffer
      - .offset:         120
        .size:           4
        .value_kind:     by_value
      - .address_space:  global
        .offset:         128
        .size:           8
        .value_kind:     global_buffer
      - .address_space:  global
        .offset:         136
        .size:           8
        .value_kind:     global_buffer
      - .offset:         144
        .size:           4
        .value_kind:     hidden_block_count_x
      - .offset:         148
        .size:           4
        .value_kind:     hidden_block_count_y
      - .offset:         152
        .size:           4
        .value_kind:     hidden_block_count_z
      - .offset:         156
        .size:           2
        .value_kind:     hidden_group_size_x
      - .offset:         158
        .size:           2
        .value_kind:     hidden_group_size_y
      - .offset:         160
        .size:           2
        .value_kind:     hidden_group_size_z
      - .offset:         162
        .size:           2
        .value_kind:     hidden_remainder_x
      - .offset:         164
        .size:           2
        .value_kind:     hidden_remainder_y
      - .offset:         166
        .size:           2
        .value_kind:     hidden_remainder_z
      - .offset:         184
        .size:           8
        .value_kind:     hidden_global_offset_x
      - .offset:         192
        .size:           8
        .value_kind:     hidden_global_offset_y
      - .offset:         200
        .size:           8
        .value_kind:     hidden_global_offset_z
      - .offset:         208
        .size:           2
        .value_kind:     hidden_grid_dims
      - .offset:         224
        .size:           8
        .value_kind:     hidden_hostcall_buffer
    .group_segment_fixed_size: 0
    .kernarg_segment_align: 8
    .kernarg_segment_size: 400
    .language:       OpenCL C
    .language_version:
      - 2
      - 0
    .max_flat_workgroup_size: 256
    .name:           _Z38paged_attention_ll4mi_QKV_mfma4_kernelI14__hip_bfloat16hLN4vllm18Fp8KVCacheDataTypeE1EhLi32ELi64ELi256ELb0ELi4EEvPKT_PKT0_S8_ifPKiSA_SA_iPKfiiiPfSD_PS3_PT2_iSC_SC_
    .private_segment_fixed_size: 64
    .sgpr_count:     36
    .sgpr_spill_count: 0
    .symbol:         _Z38paged_attention_ll4mi_QKV_mfma4_kernelI14__hip_bfloat16hLN4vllm18Fp8KVCacheDataTypeE1EhLi32ELi64ELi256ELb0ELi4EEvPKT_PKT0_S8_ifPKiSA_SA_iPKfiiiPfSD_PS3_PT2_iSC_SC_.kd
    .uniform_work_group_size: 1
    .uses_dynamic_stack: false
    .vgpr_count:     51
    .vgpr_spill_count: 0
    .wavefront_size: 32
  - .args:
      - .actual_access:  read_only
        .address_space:  global
        .offset:         0
        .size:           8
        .value_kind:     global_buffer
      - .actual_access:  read_only
        .address_space:  global
        .offset:         8
        .size:           8
        .value_kind:     global_buffer
      - .actual_access:  read_only
        .address_space:  global
        .offset:         16
        .size:           8
        .value_kind:     global_buffer
      - .offset:         24
        .size:           4
        .value_kind:     by_value
      - .offset:         28
        .size:           4
        .value_kind:     by_value
      - .actual_access:  read_only
        .address_space:  global
        .offset:         32
        .size:           8
        .value_kind:     global_buffer
      - .actual_access:  read_only
        .address_space:  global
        .offset:         40
        .size:           8
        .value_kind:     global_buffer
      - .actual_access:  read_only
        .address_space:  global
        .offset:         48
        .size:           8
        .value_kind:     global_buffer
      - .offset:         56
        .size:           4
        .value_kind:     by_value
      - .actual_access:  read_only
        .address_space:  global
        .offset:         64
        .size:           8
        .value_kind:     global_buffer
      - .offset:         72
        .size:           4
        .value_kind:     by_value
      - .offset:         76
        .size:           4
        .value_kind:     by_value
      - .offset:         80
        .size:           4
        .value_kind:     by_value
      - .actual_access:  read_only
        .address_space:  global
        .offset:         88
        .size:           8
        .value_kind:     global_buffer
      - .actual_access:  read_only
        .address_space:  global
        .offset:         96
        .size:           8
        .value_kind:     global_buffer
      - .actual_access:  read_only
        .address_space:  global
        .offset:         104
        .size:           8
        .value_kind:     global_buffer
      - .actual_access:  read_only
        .address_space:  global
        .offset:         112
        .size:           8
        .value_kind:     global_buffer
      - .offset:         120
        .size:           4
        .value_kind:     by_value
      - .address_space:  global
        .offset:         128
        .size:           8
        .value_kind:     global_buffer
      - .address_space:  global
        .offset:         136
        .size:           8
        .value_kind:     global_buffer
      - .offset:         144
        .size:           4
        .value_kind:     hidden_block_count_x
      - .offset:         148
        .size:           4
        .value_kind:     hidden_block_count_y
      - .offset:         152
        .size:           4
        .value_kind:     hidden_block_count_z
      - .offset:         156
        .size:           2
        .value_kind:     hidden_group_size_x
      - .offset:         158
        .size:           2
        .value_kind:     hidden_group_size_y
      - .offset:         160
        .size:           2
        .value_kind:     hidden_group_size_z
      - .offset:         162
        .size:           2
        .value_kind:     hidden_remainder_x
      - .offset:         164
        .size:           2
        .value_kind:     hidden_remainder_y
      - .offset:         166
        .size:           2
        .value_kind:     hidden_remainder_z
      - .offset:         184
        .size:           8
        .value_kind:     hidden_global_offset_x
      - .offset:         192
        .size:           8
        .value_kind:     hidden_global_offset_y
      - .offset:         200
        .size:           8
        .value_kind:     hidden_global_offset_z
      - .offset:         208
        .size:           2
        .value_kind:     hidden_grid_dims
      - .offset:         224
        .size:           8
        .value_kind:     hidden_hostcall_buffer
    .group_segment_fixed_size: 0
    .kernarg_segment_align: 8
    .kernarg_segment_size: 400
    .language:       OpenCL C
    .language_version:
      - 2
      - 0
    .max_flat_workgroup_size: 256
    .name:           _Z39paged_attention_ll4mi_QKV_mfma16_kernelI14__hip_bfloat16hLN4vllm18Fp8KVCacheDataTypeE1EhLi32ELi64ELi256ELb0ELi5EEvPKT_PKT0_S8_ifPKiSA_SA_iPKfiiiPfSD_PS3_PT2_iSC_SC_
    .private_segment_fixed_size: 64
    .sgpr_count:     36
    .sgpr_spill_count: 0
    .symbol:         _Z39paged_attention_ll4mi_QKV_mfma16_kernelI14__hip_bfloat16hLN4vllm18Fp8KVCacheDataTypeE1EhLi32ELi64ELi256ELb0ELi5EEvPKT_PKT0_S8_ifPKiSA_SA_iPKfiiiPfSD_PS3_PT2_iSC_SC_.kd
    .uniform_work_group_size: 1
    .uses_dynamic_stack: false
    .vgpr_count:     51
    .vgpr_spill_count: 0
    .wavefront_size: 32
  - .args:
      - .actual_access:  read_only
        .address_space:  global
        .offset:         0
        .size:           8
        .value_kind:     global_buffer
      - .actual_access:  read_only
        .address_space:  global
        .offset:         8
        .size:           8
        .value_kind:     global_buffer
      - .actual_access:  read_only
        .address_space:  global
        .offset:         16
        .size:           8
        .value_kind:     global_buffer
      - .offset:         24
        .size:           4
        .value_kind:     by_value
      - .offset:         28
        .size:           4
        .value_kind:     by_value
      - .actual_access:  read_only
        .address_space:  global
        .offset:         32
        .size:           8
        .value_kind:     global_buffer
      - .actual_access:  read_only
        .address_space:  global
        .offset:         40
        .size:           8
        .value_kind:     global_buffer
      - .actual_access:  read_only
        .address_space:  global
        .offset:         48
        .size:           8
        .value_kind:     global_buffer
      - .offset:         56
        .size:           4
        .value_kind:     by_value
      - .actual_access:  read_only
        .address_space:  global
        .offset:         64
        .size:           8
        .value_kind:     global_buffer
      - .offset:         72
        .size:           4
        .value_kind:     by_value
      - .offset:         76
        .size:           4
        .value_kind:     by_value
      - .offset:         80
        .size:           4
        .value_kind:     by_value
      - .actual_access:  read_only
        .address_space:  global
        .offset:         88
        .size:           8
        .value_kind:     global_buffer
      - .actual_access:  read_only
        .address_space:  global
        .offset:         96
        .size:           8
        .value_kind:     global_buffer
      - .actual_access:  read_only
        .address_space:  global
        .offset:         104
        .size:           8
        .value_kind:     global_buffer
      - .actual_access:  read_only
        .address_space:  global
        .offset:         112
        .size:           8
        .value_kind:     global_buffer
      - .offset:         120
        .size:           4
        .value_kind:     by_value
      - .address_space:  global
        .offset:         128
        .size:           8
        .value_kind:     global_buffer
      - .address_space:  global
        .offset:         136
        .size:           8
        .value_kind:     global_buffer
      - .offset:         144
        .size:           4
        .value_kind:     hidden_block_count_x
      - .offset:         148
        .size:           4
        .value_kind:     hidden_block_count_y
      - .offset:         152
        .size:           4
        .value_kind:     hidden_block_count_z
      - .offset:         156
        .size:           2
        .value_kind:     hidden_group_size_x
      - .offset:         158
        .size:           2
        .value_kind:     hidden_group_size_y
      - .offset:         160
        .size:           2
        .value_kind:     hidden_group_size_z
      - .offset:         162
        .size:           2
        .value_kind:     hidden_remainder_x
      - .offset:         164
        .size:           2
        .value_kind:     hidden_remainder_y
      - .offset:         166
        .size:           2
        .value_kind:     hidden_remainder_z
      - .offset:         184
        .size:           8
        .value_kind:     hidden_global_offset_x
      - .offset:         192
        .size:           8
        .value_kind:     hidden_global_offset_y
      - .offset:         200
        .size:           8
        .value_kind:     hidden_global_offset_z
      - .offset:         208
        .size:           2
        .value_kind:     hidden_grid_dims
      - .offset:         224
        .size:           8
        .value_kind:     hidden_hostcall_buffer
    .group_segment_fixed_size: 0
    .kernarg_segment_align: 8
    .kernarg_segment_size: 400
    .language:       OpenCL C
    .language_version:
      - 2
      - 0
    .max_flat_workgroup_size: 256
    .name:           _Z39paged_attention_ll4mi_QKV_mfma16_kernelI14__hip_bfloat16hLN4vllm18Fp8KVCacheDataTypeE1EhLi32ELi64ELi256ELb0ELi6EEvPKT_PKT0_S8_ifPKiSA_SA_iPKfiiiPfSD_PS3_PT2_iSC_SC_
    .private_segment_fixed_size: 64
    .sgpr_count:     36
    .sgpr_spill_count: 0
    .symbol:         _Z39paged_attention_ll4mi_QKV_mfma16_kernelI14__hip_bfloat16hLN4vllm18Fp8KVCacheDataTypeE1EhLi32ELi64ELi256ELb0ELi6EEvPKT_PKT0_S8_ifPKiSA_SA_iPKfiiiPfSD_PS3_PT2_iSC_SC_.kd
    .uniform_work_group_size: 1
    .uses_dynamic_stack: false
    .vgpr_count:     51
    .vgpr_spill_count: 0
    .wavefront_size: 32
  - .args:
      - .actual_access:  read_only
        .address_space:  global
        .offset:         0
        .size:           8
        .value_kind:     global_buffer
      - .actual_access:  read_only
        .address_space:  global
        .offset:         8
        .size:           8
        .value_kind:     global_buffer
      - .actual_access:  read_only
        .address_space:  global
        .offset:         16
        .size:           8
        .value_kind:     global_buffer
      - .offset:         24
        .size:           4
        .value_kind:     by_value
      - .offset:         28
        .size:           4
        .value_kind:     by_value
      - .actual_access:  read_only
        .address_space:  global
        .offset:         32
        .size:           8
        .value_kind:     global_buffer
      - .actual_access:  read_only
        .address_space:  global
        .offset:         40
        .size:           8
        .value_kind:     global_buffer
      - .actual_access:  read_only
        .address_space:  global
        .offset:         48
        .size:           8
        .value_kind:     global_buffer
      - .offset:         56
        .size:           4
        .value_kind:     by_value
      - .actual_access:  read_only
        .address_space:  global
        .offset:         64
        .size:           8
        .value_kind:     global_buffer
      - .offset:         72
        .size:           4
        .value_kind:     by_value
      - .offset:         76
        .size:           4
        .value_kind:     by_value
      - .offset:         80
        .size:           4
        .value_kind:     by_value
      - .actual_access:  read_only
        .address_space:  global
        .offset:         88
        .size:           8
        .value_kind:     global_buffer
      - .actual_access:  read_only
        .address_space:  global
        .offset:         96
        .size:           8
        .value_kind:     global_buffer
      - .actual_access:  read_only
        .address_space:  global
        .offset:         104
        .size:           8
        .value_kind:     global_buffer
      - .actual_access:  read_only
        .address_space:  global
        .offset:         112
        .size:           8
        .value_kind:     global_buffer
      - .offset:         120
        .size:           4
        .value_kind:     by_value
      - .address_space:  global
        .offset:         128
        .size:           8
        .value_kind:     global_buffer
      - .address_space:  global
        .offset:         136
        .size:           8
        .value_kind:     global_buffer
      - .offset:         144
        .size:           4
        .value_kind:     hidden_block_count_x
      - .offset:         148
        .size:           4
        .value_kind:     hidden_block_count_y
      - .offset:         152
        .size:           4
        .value_kind:     hidden_block_count_z
      - .offset:         156
        .size:           2
        .value_kind:     hidden_group_size_x
      - .offset:         158
        .size:           2
        .value_kind:     hidden_group_size_y
      - .offset:         160
        .size:           2
        .value_kind:     hidden_group_size_z
      - .offset:         162
        .size:           2
        .value_kind:     hidden_remainder_x
      - .offset:         164
        .size:           2
        .value_kind:     hidden_remainder_y
      - .offset:         166
        .size:           2
        .value_kind:     hidden_remainder_z
      - .offset:         184
        .size:           8
        .value_kind:     hidden_global_offset_x
      - .offset:         192
        .size:           8
        .value_kind:     hidden_global_offset_y
      - .offset:         200
        .size:           8
        .value_kind:     hidden_global_offset_z
      - .offset:         208
        .size:           2
        .value_kind:     hidden_grid_dims
      - .offset:         224
        .size:           8
        .value_kind:     hidden_hostcall_buffer
    .group_segment_fixed_size: 0
    .kernarg_segment_align: 8
    .kernarg_segment_size: 400
    .language:       OpenCL C
    .language_version:
      - 2
      - 0
    .max_flat_workgroup_size: 256
    .name:           _Z39paged_attention_ll4mi_QKV_mfma16_kernelI14__hip_bfloat16hLN4vllm18Fp8KVCacheDataTypeE1EhLi32ELi64ELi256ELb0ELi7EEvPKT_PKT0_S8_ifPKiSA_SA_iPKfiiiPfSD_PS3_PT2_iSC_SC_
    .private_segment_fixed_size: 64
    .sgpr_count:     36
    .sgpr_spill_count: 0
    .symbol:         _Z39paged_attention_ll4mi_QKV_mfma16_kernelI14__hip_bfloat16hLN4vllm18Fp8KVCacheDataTypeE1EhLi32ELi64ELi256ELb0ELi7EEvPKT_PKT0_S8_ifPKiSA_SA_iPKfiiiPfSD_PS3_PT2_iSC_SC_.kd
    .uniform_work_group_size: 1
    .uses_dynamic_stack: false
    .vgpr_count:     51
    .vgpr_spill_count: 0
    .wavefront_size: 32
  - .args:
      - .actual_access:  read_only
        .address_space:  global
        .offset:         0
        .size:           8
        .value_kind:     global_buffer
      - .actual_access:  read_only
        .address_space:  global
        .offset:         8
        .size:           8
        .value_kind:     global_buffer
      - .actual_access:  read_only
        .address_space:  global
        .offset:         16
        .size:           8
        .value_kind:     global_buffer
      - .offset:         24
        .size:           4
        .value_kind:     by_value
      - .offset:         28
        .size:           4
        .value_kind:     by_value
      - .actual_access:  read_only
        .address_space:  global
        .offset:         32
        .size:           8
        .value_kind:     global_buffer
      - .actual_access:  read_only
        .address_space:  global
        .offset:         40
        .size:           8
        .value_kind:     global_buffer
      - .actual_access:  read_only
        .address_space:  global
        .offset:         48
        .size:           8
        .value_kind:     global_buffer
      - .offset:         56
        .size:           4
        .value_kind:     by_value
      - .actual_access:  read_only
        .address_space:  global
        .offset:         64
        .size:           8
        .value_kind:     global_buffer
      - .offset:         72
        .size:           4
        .value_kind:     by_value
      - .offset:         76
        .size:           4
        .value_kind:     by_value
      - .offset:         80
        .size:           4
        .value_kind:     by_value
      - .actual_access:  read_only
        .address_space:  global
        .offset:         88
        .size:           8
        .value_kind:     global_buffer
      - .actual_access:  read_only
        .address_space:  global
        .offset:         96
        .size:           8
        .value_kind:     global_buffer
      - .actual_access:  read_only
        .address_space:  global
        .offset:         104
        .size:           8
        .value_kind:     global_buffer
      - .actual_access:  read_only
        .address_space:  global
        .offset:         112
        .size:           8
        .value_kind:     global_buffer
      - .offset:         120
        .size:           4
        .value_kind:     by_value
      - .address_space:  global
        .offset:         128
        .size:           8
        .value_kind:     global_buffer
      - .address_space:  global
        .offset:         136
        .size:           8
        .value_kind:     global_buffer
      - .offset:         144
        .size:           4
        .value_kind:     hidden_block_count_x
      - .offset:         148
        .size:           4
        .value_kind:     hidden_block_count_y
      - .offset:         152
        .size:           4
        .value_kind:     hidden_block_count_z
      - .offset:         156
        .size:           2
        .value_kind:     hidden_group_size_x
      - .offset:         158
        .size:           2
        .value_kind:     hidden_group_size_y
      - .offset:         160
        .size:           2
        .value_kind:     hidden_group_size_z
      - .offset:         162
        .size:           2
        .value_kind:     hidden_remainder_x
      - .offset:         164
        .size:           2
        .value_kind:     hidden_remainder_y
      - .offset:         166
        .size:           2
        .value_kind:     hidden_remainder_z
      - .offset:         184
        .size:           8
        .value_kind:     hidden_global_offset_x
      - .offset:         192
        .size:           8
        .value_kind:     hidden_global_offset_y
      - .offset:         200
        .size:           8
        .value_kind:     hidden_global_offset_z
      - .offset:         208
        .size:           2
        .value_kind:     hidden_grid_dims
      - .offset:         224
        .size:           8
        .value_kind:     hidden_hostcall_buffer
    .group_segment_fixed_size: 0
    .kernarg_segment_align: 8
    .kernarg_segment_size: 400
    .language:       OpenCL C
    .language_version:
      - 2
      - 0
    .max_flat_workgroup_size: 256
    .name:           _Z39paged_attention_ll4mi_QKV_mfma16_kernelI14__hip_bfloat16hLN4vllm18Fp8KVCacheDataTypeE1EhLi32ELi64ELi256ELb0ELi8EEvPKT_PKT0_S8_ifPKiSA_SA_iPKfiiiPfSD_PS3_PT2_iSC_SC_
    .private_segment_fixed_size: 64
    .sgpr_count:     36
    .sgpr_spill_count: 0
    .symbol:         _Z39paged_attention_ll4mi_QKV_mfma16_kernelI14__hip_bfloat16hLN4vllm18Fp8KVCacheDataTypeE1EhLi32ELi64ELi256ELb0ELi8EEvPKT_PKT0_S8_ifPKiSA_SA_iPKfiiiPfSD_PS3_PT2_iSC_SC_.kd
    .uniform_work_group_size: 1
    .uses_dynamic_stack: false
    .vgpr_count:     51
    .vgpr_spill_count: 0
    .wavefront_size: 32
  - .args:
      - .actual_access:  read_only
        .address_space:  global
        .offset:         0
        .size:           8
        .value_kind:     global_buffer
      - .actual_access:  read_only
        .address_space:  global
        .offset:         8
        .size:           8
        .value_kind:     global_buffer
      - .actual_access:  read_only
        .address_space:  global
        .offset:         16
        .size:           8
        .value_kind:     global_buffer
      - .offset:         24
        .size:           4
        .value_kind:     by_value
      - .offset:         28
        .size:           4
        .value_kind:     by_value
      - .actual_access:  read_only
        .address_space:  global
        .offset:         32
        .size:           8
        .value_kind:     global_buffer
      - .actual_access:  read_only
        .address_space:  global
        .offset:         40
        .size:           8
        .value_kind:     global_buffer
      - .actual_access:  read_only
        .address_space:  global
        .offset:         48
        .size:           8
        .value_kind:     global_buffer
      - .offset:         56
        .size:           4
        .value_kind:     by_value
      - .actual_access:  read_only
        .address_space:  global
        .offset:         64
        .size:           8
        .value_kind:     global_buffer
      - .offset:         72
        .size:           4
        .value_kind:     by_value
      - .offset:         76
        .size:           4
        .value_kind:     by_value
      - .offset:         80
        .size:           4
        .value_kind:     by_value
      - .actual_access:  read_only
        .address_space:  global
        .offset:         88
        .size:           8
        .value_kind:     global_buffer
      - .actual_access:  read_only
        .address_space:  global
        .offset:         96
        .size:           8
        .value_kind:     global_buffer
      - .actual_access:  read_only
        .address_space:  global
        .offset:         104
        .size:           8
        .value_kind:     global_buffer
      - .actual_access:  read_only
        .address_space:  global
        .offset:         112
        .size:           8
        .value_kind:     global_buffer
      - .offset:         120
        .size:           4
        .value_kind:     by_value
      - .address_space:  global
        .offset:         128
        .size:           8
        .value_kind:     global_buffer
      - .address_space:  global
        .offset:         136
        .size:           8
        .value_kind:     global_buffer
      - .offset:         144
        .size:           4
        .value_kind:     hidden_block_count_x
      - .offset:         148
        .size:           4
        .value_kind:     hidden_block_count_y
      - .offset:         152
        .size:           4
        .value_kind:     hidden_block_count_z
      - .offset:         156
        .size:           2
        .value_kind:     hidden_group_size_x
      - .offset:         158
        .size:           2
        .value_kind:     hidden_group_size_y
      - .offset:         160
        .size:           2
        .value_kind:     hidden_group_size_z
      - .offset:         162
        .size:           2
        .value_kind:     hidden_remainder_x
      - .offset:         164
        .size:           2
        .value_kind:     hidden_remainder_y
      - .offset:         166
        .size:           2
        .value_kind:     hidden_remainder_z
      - .offset:         184
        .size:           8
        .value_kind:     hidden_global_offset_x
      - .offset:         192
        .size:           8
        .value_kind:     hidden_global_offset_y
      - .offset:         200
        .size:           8
        .value_kind:     hidden_global_offset_z
      - .offset:         208
        .size:           2
        .value_kind:     hidden_grid_dims
      - .offset:         224
        .size:           8
        .value_kind:     hidden_hostcall_buffer
    .group_segment_fixed_size: 0
    .kernarg_segment_align: 8
    .kernarg_segment_size: 400
    .language:       OpenCL C
    .language_version:
      - 2
      - 0
    .max_flat_workgroup_size: 256
    .name:           _Z39paged_attention_ll4mi_QKV_mfma16_kernelI14__hip_bfloat16hLN4vllm18Fp8KVCacheDataTypeE1EhLi32ELi64ELi256ELb0ELi9EEvPKT_PKT0_S8_ifPKiSA_SA_iPKfiiiPfSD_PS3_PT2_iSC_SC_
    .private_segment_fixed_size: 64
    .sgpr_count:     36
    .sgpr_spill_count: 0
    .symbol:         _Z39paged_attention_ll4mi_QKV_mfma16_kernelI14__hip_bfloat16hLN4vllm18Fp8KVCacheDataTypeE1EhLi32ELi64ELi256ELb0ELi9EEvPKT_PKT0_S8_ifPKiSA_SA_iPKfiiiPfSD_PS3_PT2_iSC_SC_.kd
    .uniform_work_group_size: 1
    .uses_dynamic_stack: false
    .vgpr_count:     51
    .vgpr_spill_count: 0
    .wavefront_size: 32
  - .args:
      - .actual_access:  read_only
        .address_space:  global
        .offset:         0
        .size:           8
        .value_kind:     global_buffer
      - .actual_access:  read_only
        .address_space:  global
        .offset:         8
        .size:           8
        .value_kind:     global_buffer
      - .actual_access:  read_only
        .address_space:  global
        .offset:         16
        .size:           8
        .value_kind:     global_buffer
      - .offset:         24
        .size:           4
        .value_kind:     by_value
      - .offset:         28
        .size:           4
        .value_kind:     by_value
      - .actual_access:  read_only
        .address_space:  global
        .offset:         32
        .size:           8
        .value_kind:     global_buffer
      - .actual_access:  read_only
        .address_space:  global
        .offset:         40
        .size:           8
        .value_kind:     global_buffer
      - .actual_access:  read_only
        .address_space:  global
        .offset:         48
        .size:           8
        .value_kind:     global_buffer
      - .offset:         56
        .size:           4
        .value_kind:     by_value
      - .actual_access:  read_only
        .address_space:  global
        .offset:         64
        .size:           8
        .value_kind:     global_buffer
      - .offset:         72
        .size:           4
        .value_kind:     by_value
      - .offset:         76
        .size:           4
        .value_kind:     by_value
      - .offset:         80
        .size:           4
        .value_kind:     by_value
      - .actual_access:  read_only
        .address_space:  global
        .offset:         88
        .size:           8
        .value_kind:     global_buffer
      - .actual_access:  read_only
        .address_space:  global
        .offset:         96
        .size:           8
        .value_kind:     global_buffer
      - .actual_access:  read_only
        .address_space:  global
        .offset:         104
        .size:           8
        .value_kind:     global_buffer
      - .actual_access:  read_only
        .address_space:  global
        .offset:         112
        .size:           8
        .value_kind:     global_buffer
      - .offset:         120
        .size:           4
        .value_kind:     by_value
      - .address_space:  global
        .offset:         128
        .size:           8
        .value_kind:     global_buffer
      - .address_space:  global
        .offset:         136
        .size:           8
        .value_kind:     global_buffer
      - .offset:         144
        .size:           4
        .value_kind:     hidden_block_count_x
      - .offset:         148
        .size:           4
        .value_kind:     hidden_block_count_y
      - .offset:         152
        .size:           4
        .value_kind:     hidden_block_count_z
      - .offset:         156
        .size:           2
        .value_kind:     hidden_group_size_x
      - .offset:         158
        .size:           2
        .value_kind:     hidden_group_size_y
      - .offset:         160
        .size:           2
        .value_kind:     hidden_group_size_z
      - .offset:         162
        .size:           2
        .value_kind:     hidden_remainder_x
      - .offset:         164
        .size:           2
        .value_kind:     hidden_remainder_y
      - .offset:         166
        .size:           2
        .value_kind:     hidden_remainder_z
      - .offset:         184
        .size:           8
        .value_kind:     hidden_global_offset_x
      - .offset:         192
        .size:           8
        .value_kind:     hidden_global_offset_y
      - .offset:         200
        .size:           8
        .value_kind:     hidden_global_offset_z
      - .offset:         208
        .size:           2
        .value_kind:     hidden_grid_dims
      - .offset:         224
        .size:           8
        .value_kind:     hidden_hostcall_buffer
    .group_segment_fixed_size: 0
    .kernarg_segment_align: 8
    .kernarg_segment_size: 400
    .language:       OpenCL C
    .language_version:
      - 2
      - 0
    .max_flat_workgroup_size: 256
    .name:           _Z39paged_attention_ll4mi_QKV_mfma16_kernelI14__hip_bfloat16hLN4vllm18Fp8KVCacheDataTypeE1EhLi32ELi64ELi256ELb0ELi10EEvPKT_PKT0_S8_ifPKiSA_SA_iPKfiiiPfSD_PS3_PT2_iSC_SC_
    .private_segment_fixed_size: 64
    .sgpr_count:     36
    .sgpr_spill_count: 0
    .symbol:         _Z39paged_attention_ll4mi_QKV_mfma16_kernelI14__hip_bfloat16hLN4vllm18Fp8KVCacheDataTypeE1EhLi32ELi64ELi256ELb0ELi10EEvPKT_PKT0_S8_ifPKiSA_SA_iPKfiiiPfSD_PS3_PT2_iSC_SC_.kd
    .uniform_work_group_size: 1
    .uses_dynamic_stack: false
    .vgpr_count:     51
    .vgpr_spill_count: 0
    .wavefront_size: 32
  - .args:
      - .actual_access:  read_only
        .address_space:  global
        .offset:         0
        .size:           8
        .value_kind:     global_buffer
      - .actual_access:  read_only
        .address_space:  global
        .offset:         8
        .size:           8
        .value_kind:     global_buffer
      - .actual_access:  read_only
        .address_space:  global
        .offset:         16
        .size:           8
        .value_kind:     global_buffer
      - .offset:         24
        .size:           4
        .value_kind:     by_value
      - .offset:         28
        .size:           4
        .value_kind:     by_value
      - .actual_access:  read_only
        .address_space:  global
        .offset:         32
        .size:           8
        .value_kind:     global_buffer
      - .actual_access:  read_only
        .address_space:  global
        .offset:         40
        .size:           8
        .value_kind:     global_buffer
      - .actual_access:  read_only
        .address_space:  global
        .offset:         48
        .size:           8
        .value_kind:     global_buffer
      - .offset:         56
        .size:           4
        .value_kind:     by_value
      - .actual_access:  read_only
        .address_space:  global
        .offset:         64
        .size:           8
        .value_kind:     global_buffer
      - .offset:         72
        .size:           4
        .value_kind:     by_value
      - .offset:         76
        .size:           4
        .value_kind:     by_value
      - .offset:         80
        .size:           4
        .value_kind:     by_value
      - .actual_access:  read_only
        .address_space:  global
        .offset:         88
        .size:           8
        .value_kind:     global_buffer
      - .actual_access:  read_only
        .address_space:  global
        .offset:         96
        .size:           8
        .value_kind:     global_buffer
      - .actual_access:  read_only
        .address_space:  global
        .offset:         104
        .size:           8
        .value_kind:     global_buffer
      - .actual_access:  read_only
        .address_space:  global
        .offset:         112
        .size:           8
        .value_kind:     global_buffer
      - .offset:         120
        .size:           4
        .value_kind:     by_value
      - .address_space:  global
        .offset:         128
        .size:           8
        .value_kind:     global_buffer
      - .address_space:  global
        .offset:         136
        .size:           8
        .value_kind:     global_buffer
      - .offset:         144
        .size:           4
        .value_kind:     hidden_block_count_x
      - .offset:         148
        .size:           4
        .value_kind:     hidden_block_count_y
      - .offset:         152
        .size:           4
        .value_kind:     hidden_block_count_z
      - .offset:         156
        .size:           2
        .value_kind:     hidden_group_size_x
      - .offset:         158
        .size:           2
        .value_kind:     hidden_group_size_y
      - .offset:         160
        .size:           2
        .value_kind:     hidden_group_size_z
      - .offset:         162
        .size:           2
        .value_kind:     hidden_remainder_x
      - .offset:         164
        .size:           2
        .value_kind:     hidden_remainder_y
      - .offset:         166
        .size:           2
        .value_kind:     hidden_remainder_z
      - .offset:         184
        .size:           8
        .value_kind:     hidden_global_offset_x
      - .offset:         192
        .size:           8
        .value_kind:     hidden_global_offset_y
      - .offset:         200
        .size:           8
        .value_kind:     hidden_global_offset_z
      - .offset:         208
        .size:           2
        .value_kind:     hidden_grid_dims
      - .offset:         224
        .size:           8
        .value_kind:     hidden_hostcall_buffer
    .group_segment_fixed_size: 0
    .kernarg_segment_align: 8
    .kernarg_segment_size: 400
    .language:       OpenCL C
    .language_version:
      - 2
      - 0
    .max_flat_workgroup_size: 256
    .name:           _Z39paged_attention_ll4mi_QKV_mfma16_kernelI14__hip_bfloat16hLN4vllm18Fp8KVCacheDataTypeE1EhLi32ELi64ELi256ELb0ELi11EEvPKT_PKT0_S8_ifPKiSA_SA_iPKfiiiPfSD_PS3_PT2_iSC_SC_
    .private_segment_fixed_size: 64
    .sgpr_count:     36
    .sgpr_spill_count: 0
    .symbol:         _Z39paged_attention_ll4mi_QKV_mfma16_kernelI14__hip_bfloat16hLN4vllm18Fp8KVCacheDataTypeE1EhLi32ELi64ELi256ELb0ELi11EEvPKT_PKT0_S8_ifPKiSA_SA_iPKfiiiPfSD_PS3_PT2_iSC_SC_.kd
    .uniform_work_group_size: 1
    .uses_dynamic_stack: false
    .vgpr_count:     51
    .vgpr_spill_count: 0
    .wavefront_size: 32
  - .args:
      - .actual_access:  read_only
        .address_space:  global
        .offset:         0
        .size:           8
        .value_kind:     global_buffer
      - .actual_access:  read_only
        .address_space:  global
        .offset:         8
        .size:           8
        .value_kind:     global_buffer
      - .actual_access:  read_only
        .address_space:  global
        .offset:         16
        .size:           8
        .value_kind:     global_buffer
      - .offset:         24
        .size:           4
        .value_kind:     by_value
      - .offset:         28
        .size:           4
        .value_kind:     by_value
      - .actual_access:  read_only
        .address_space:  global
        .offset:         32
        .size:           8
        .value_kind:     global_buffer
      - .actual_access:  read_only
        .address_space:  global
        .offset:         40
        .size:           8
        .value_kind:     global_buffer
      - .actual_access:  read_only
        .address_space:  global
        .offset:         48
        .size:           8
        .value_kind:     global_buffer
      - .offset:         56
        .size:           4
        .value_kind:     by_value
      - .actual_access:  read_only
        .address_space:  global
        .offset:         64
        .size:           8
        .value_kind:     global_buffer
      - .offset:         72
        .size:           4
        .value_kind:     by_value
      - .offset:         76
        .size:           4
        .value_kind:     by_value
      - .offset:         80
        .size:           4
        .value_kind:     by_value
      - .actual_access:  read_only
        .address_space:  global
        .offset:         88
        .size:           8
        .value_kind:     global_buffer
      - .actual_access:  read_only
        .address_space:  global
        .offset:         96
        .size:           8
        .value_kind:     global_buffer
      - .actual_access:  read_only
        .address_space:  global
        .offset:         104
        .size:           8
        .value_kind:     global_buffer
      - .actual_access:  read_only
        .address_space:  global
        .offset:         112
        .size:           8
        .value_kind:     global_buffer
      - .offset:         120
        .size:           4
        .value_kind:     by_value
      - .address_space:  global
        .offset:         128
        .size:           8
        .value_kind:     global_buffer
      - .address_space:  global
        .offset:         136
        .size:           8
        .value_kind:     global_buffer
      - .offset:         144
        .size:           4
        .value_kind:     hidden_block_count_x
      - .offset:         148
        .size:           4
        .value_kind:     hidden_block_count_y
      - .offset:         152
        .size:           4
        .value_kind:     hidden_block_count_z
      - .offset:         156
        .size:           2
        .value_kind:     hidden_group_size_x
      - .offset:         158
        .size:           2
        .value_kind:     hidden_group_size_y
      - .offset:         160
        .size:           2
        .value_kind:     hidden_group_size_z
      - .offset:         162
        .size:           2
        .value_kind:     hidden_remainder_x
      - .offset:         164
        .size:           2
        .value_kind:     hidden_remainder_y
      - .offset:         166
        .size:           2
        .value_kind:     hidden_remainder_z
      - .offset:         184
        .size:           8
        .value_kind:     hidden_global_offset_x
      - .offset:         192
        .size:           8
        .value_kind:     hidden_global_offset_y
      - .offset:         200
        .size:           8
        .value_kind:     hidden_global_offset_z
      - .offset:         208
        .size:           2
        .value_kind:     hidden_grid_dims
      - .offset:         224
        .size:           8
        .value_kind:     hidden_hostcall_buffer
    .group_segment_fixed_size: 0
    .kernarg_segment_align: 8
    .kernarg_segment_size: 400
    .language:       OpenCL C
    .language_version:
      - 2
      - 0
    .max_flat_workgroup_size: 256
    .name:           _Z39paged_attention_ll4mi_QKV_mfma16_kernelI14__hip_bfloat16hLN4vllm18Fp8KVCacheDataTypeE1EhLi32ELi64ELi256ELb0ELi12EEvPKT_PKT0_S8_ifPKiSA_SA_iPKfiiiPfSD_PS3_PT2_iSC_SC_
    .private_segment_fixed_size: 64
    .sgpr_count:     36
    .sgpr_spill_count: 0
    .symbol:         _Z39paged_attention_ll4mi_QKV_mfma16_kernelI14__hip_bfloat16hLN4vllm18Fp8KVCacheDataTypeE1EhLi32ELi64ELi256ELb0ELi12EEvPKT_PKT0_S8_ifPKiSA_SA_iPKfiiiPfSD_PS3_PT2_iSC_SC_.kd
    .uniform_work_group_size: 1
    .uses_dynamic_stack: false
    .vgpr_count:     51
    .vgpr_spill_count: 0
    .wavefront_size: 32
  - .args:
      - .actual_access:  read_only
        .address_space:  global
        .offset:         0
        .size:           8
        .value_kind:     global_buffer
      - .actual_access:  read_only
        .address_space:  global
        .offset:         8
        .size:           8
        .value_kind:     global_buffer
      - .actual_access:  read_only
        .address_space:  global
        .offset:         16
        .size:           8
        .value_kind:     global_buffer
      - .offset:         24
        .size:           4
        .value_kind:     by_value
      - .offset:         28
        .size:           4
        .value_kind:     by_value
      - .actual_access:  read_only
        .address_space:  global
        .offset:         32
        .size:           8
        .value_kind:     global_buffer
      - .actual_access:  read_only
        .address_space:  global
        .offset:         40
        .size:           8
        .value_kind:     global_buffer
      - .actual_access:  read_only
        .address_space:  global
        .offset:         48
        .size:           8
        .value_kind:     global_buffer
      - .offset:         56
        .size:           4
        .value_kind:     by_value
      - .actual_access:  read_only
        .address_space:  global
        .offset:         64
        .size:           8
        .value_kind:     global_buffer
      - .offset:         72
        .size:           4
        .value_kind:     by_value
      - .offset:         76
        .size:           4
        .value_kind:     by_value
      - .offset:         80
        .size:           4
        .value_kind:     by_value
      - .actual_access:  read_only
        .address_space:  global
        .offset:         88
        .size:           8
        .value_kind:     global_buffer
      - .actual_access:  read_only
        .address_space:  global
        .offset:         96
        .size:           8
        .value_kind:     global_buffer
      - .actual_access:  read_only
        .address_space:  global
        .offset:         104
        .size:           8
        .value_kind:     global_buffer
      - .actual_access:  read_only
        .address_space:  global
        .offset:         112
        .size:           8
        .value_kind:     global_buffer
      - .offset:         120
        .size:           4
        .value_kind:     by_value
      - .address_space:  global
        .offset:         128
        .size:           8
        .value_kind:     global_buffer
      - .address_space:  global
        .offset:         136
        .size:           8
        .value_kind:     global_buffer
      - .offset:         144
        .size:           4
        .value_kind:     hidden_block_count_x
      - .offset:         148
        .size:           4
        .value_kind:     hidden_block_count_y
      - .offset:         152
        .size:           4
        .value_kind:     hidden_block_count_z
      - .offset:         156
        .size:           2
        .value_kind:     hidden_group_size_x
      - .offset:         158
        .size:           2
        .value_kind:     hidden_group_size_y
      - .offset:         160
        .size:           2
        .value_kind:     hidden_group_size_z
      - .offset:         162
        .size:           2
        .value_kind:     hidden_remainder_x
      - .offset:         164
        .size:           2
        .value_kind:     hidden_remainder_y
      - .offset:         166
        .size:           2
        .value_kind:     hidden_remainder_z
      - .offset:         184
        .size:           8
        .value_kind:     hidden_global_offset_x
      - .offset:         192
        .size:           8
        .value_kind:     hidden_global_offset_y
      - .offset:         200
        .size:           8
        .value_kind:     hidden_global_offset_z
      - .offset:         208
        .size:           2
        .value_kind:     hidden_grid_dims
      - .offset:         224
        .size:           8
        .value_kind:     hidden_hostcall_buffer
    .group_segment_fixed_size: 0
    .kernarg_segment_align: 8
    .kernarg_segment_size: 400
    .language:       OpenCL C
    .language_version:
      - 2
      - 0
    .max_flat_workgroup_size: 256
    .name:           _Z39paged_attention_ll4mi_QKV_mfma16_kernelI14__hip_bfloat16hLN4vllm18Fp8KVCacheDataTypeE1EhLi32ELi64ELi256ELb0ELi13EEvPKT_PKT0_S8_ifPKiSA_SA_iPKfiiiPfSD_PS3_PT2_iSC_SC_
    .private_segment_fixed_size: 64
    .sgpr_count:     36
    .sgpr_spill_count: 0
    .symbol:         _Z39paged_attention_ll4mi_QKV_mfma16_kernelI14__hip_bfloat16hLN4vllm18Fp8KVCacheDataTypeE1EhLi32ELi64ELi256ELb0ELi13EEvPKT_PKT0_S8_ifPKiSA_SA_iPKfiiiPfSD_PS3_PT2_iSC_SC_.kd
    .uniform_work_group_size: 1
    .uses_dynamic_stack: false
    .vgpr_count:     51
    .vgpr_spill_count: 0
    .wavefront_size: 32
  - .args:
      - .actual_access:  read_only
        .address_space:  global
        .offset:         0
        .size:           8
        .value_kind:     global_buffer
      - .actual_access:  read_only
        .address_space:  global
        .offset:         8
        .size:           8
        .value_kind:     global_buffer
      - .actual_access:  read_only
        .address_space:  global
        .offset:         16
        .size:           8
        .value_kind:     global_buffer
      - .offset:         24
        .size:           4
        .value_kind:     by_value
      - .offset:         28
        .size:           4
        .value_kind:     by_value
      - .actual_access:  read_only
        .address_space:  global
        .offset:         32
        .size:           8
        .value_kind:     global_buffer
      - .actual_access:  read_only
        .address_space:  global
        .offset:         40
        .size:           8
        .value_kind:     global_buffer
      - .actual_access:  read_only
        .address_space:  global
        .offset:         48
        .size:           8
        .value_kind:     global_buffer
      - .offset:         56
        .size:           4
        .value_kind:     by_value
      - .actual_access:  read_only
        .address_space:  global
        .offset:         64
        .size:           8
        .value_kind:     global_buffer
      - .offset:         72
        .size:           4
        .value_kind:     by_value
      - .offset:         76
        .size:           4
        .value_kind:     by_value
      - .offset:         80
        .size:           4
        .value_kind:     by_value
      - .actual_access:  read_only
        .address_space:  global
        .offset:         88
        .size:           8
        .value_kind:     global_buffer
      - .actual_access:  read_only
        .address_space:  global
        .offset:         96
        .size:           8
        .value_kind:     global_buffer
      - .actual_access:  read_only
        .address_space:  global
        .offset:         104
        .size:           8
        .value_kind:     global_buffer
      - .actual_access:  read_only
        .address_space:  global
        .offset:         112
        .size:           8
        .value_kind:     global_buffer
      - .offset:         120
        .size:           4
        .value_kind:     by_value
      - .address_space:  global
        .offset:         128
        .size:           8
        .value_kind:     global_buffer
      - .address_space:  global
        .offset:         136
        .size:           8
        .value_kind:     global_buffer
      - .offset:         144
        .size:           4
        .value_kind:     hidden_block_count_x
      - .offset:         148
        .size:           4
        .value_kind:     hidden_block_count_y
      - .offset:         152
        .size:           4
        .value_kind:     hidden_block_count_z
      - .offset:         156
        .size:           2
        .value_kind:     hidden_group_size_x
      - .offset:         158
        .size:           2
        .value_kind:     hidden_group_size_y
      - .offset:         160
        .size:           2
        .value_kind:     hidden_group_size_z
      - .offset:         162
        .size:           2
        .value_kind:     hidden_remainder_x
      - .offset:         164
        .size:           2
        .value_kind:     hidden_remainder_y
      - .offset:         166
        .size:           2
        .value_kind:     hidden_remainder_z
      - .offset:         184
        .size:           8
        .value_kind:     hidden_global_offset_x
      - .offset:         192
        .size:           8
        .value_kind:     hidden_global_offset_y
      - .offset:         200
        .size:           8
        .value_kind:     hidden_global_offset_z
      - .offset:         208
        .size:           2
        .value_kind:     hidden_grid_dims
      - .offset:         224
        .size:           8
        .value_kind:     hidden_hostcall_buffer
    .group_segment_fixed_size: 0
    .kernarg_segment_align: 8
    .kernarg_segment_size: 400
    .language:       OpenCL C
    .language_version:
      - 2
      - 0
    .max_flat_workgroup_size: 256
    .name:           _Z39paged_attention_ll4mi_QKV_mfma16_kernelI14__hip_bfloat16hLN4vllm18Fp8KVCacheDataTypeE1EhLi32ELi64ELi256ELb0ELi14EEvPKT_PKT0_S8_ifPKiSA_SA_iPKfiiiPfSD_PS3_PT2_iSC_SC_
    .private_segment_fixed_size: 64
    .sgpr_count:     36
    .sgpr_spill_count: 0
    .symbol:         _Z39paged_attention_ll4mi_QKV_mfma16_kernelI14__hip_bfloat16hLN4vllm18Fp8KVCacheDataTypeE1EhLi32ELi64ELi256ELb0ELi14EEvPKT_PKT0_S8_ifPKiSA_SA_iPKfiiiPfSD_PS3_PT2_iSC_SC_.kd
    .uniform_work_group_size: 1
    .uses_dynamic_stack: false
    .vgpr_count:     51
    .vgpr_spill_count: 0
    .wavefront_size: 32
  - .args:
      - .actual_access:  read_only
        .address_space:  global
        .offset:         0
        .size:           8
        .value_kind:     global_buffer
      - .actual_access:  read_only
        .address_space:  global
        .offset:         8
        .size:           8
        .value_kind:     global_buffer
      - .actual_access:  read_only
        .address_space:  global
        .offset:         16
        .size:           8
        .value_kind:     global_buffer
      - .offset:         24
        .size:           4
        .value_kind:     by_value
      - .offset:         28
        .size:           4
        .value_kind:     by_value
      - .actual_access:  read_only
        .address_space:  global
        .offset:         32
        .size:           8
        .value_kind:     global_buffer
      - .actual_access:  read_only
        .address_space:  global
        .offset:         40
        .size:           8
        .value_kind:     global_buffer
      - .actual_access:  read_only
        .address_space:  global
        .offset:         48
        .size:           8
        .value_kind:     global_buffer
      - .offset:         56
        .size:           4
        .value_kind:     by_value
      - .actual_access:  read_only
        .address_space:  global
        .offset:         64
        .size:           8
        .value_kind:     global_buffer
      - .offset:         72
        .size:           4
        .value_kind:     by_value
      - .offset:         76
        .size:           4
        .value_kind:     by_value
      - .offset:         80
        .size:           4
        .value_kind:     by_value
      - .actual_access:  read_only
        .address_space:  global
        .offset:         88
        .size:           8
        .value_kind:     global_buffer
      - .actual_access:  read_only
        .address_space:  global
        .offset:         96
        .size:           8
        .value_kind:     global_buffer
      - .actual_access:  read_only
        .address_space:  global
        .offset:         104
        .size:           8
        .value_kind:     global_buffer
      - .actual_access:  read_only
        .address_space:  global
        .offset:         112
        .size:           8
        .value_kind:     global_buffer
      - .offset:         120
        .size:           4
        .value_kind:     by_value
      - .address_space:  global
        .offset:         128
        .size:           8
        .value_kind:     global_buffer
      - .address_space:  global
        .offset:         136
        .size:           8
        .value_kind:     global_buffer
      - .offset:         144
        .size:           4
        .value_kind:     hidden_block_count_x
      - .offset:         148
        .size:           4
        .value_kind:     hidden_block_count_y
      - .offset:         152
        .size:           4
        .value_kind:     hidden_block_count_z
      - .offset:         156
        .size:           2
        .value_kind:     hidden_group_size_x
      - .offset:         158
        .size:           2
        .value_kind:     hidden_group_size_y
      - .offset:         160
        .size:           2
        .value_kind:     hidden_group_size_z
      - .offset:         162
        .size:           2
        .value_kind:     hidden_remainder_x
      - .offset:         164
        .size:           2
        .value_kind:     hidden_remainder_y
      - .offset:         166
        .size:           2
        .value_kind:     hidden_remainder_z
      - .offset:         184
        .size:           8
        .value_kind:     hidden_global_offset_x
      - .offset:         192
        .size:           8
        .value_kind:     hidden_global_offset_y
      - .offset:         200
        .size:           8
        .value_kind:     hidden_global_offset_z
      - .offset:         208
        .size:           2
        .value_kind:     hidden_grid_dims
      - .offset:         224
        .size:           8
        .value_kind:     hidden_hostcall_buffer
    .group_segment_fixed_size: 0
    .kernarg_segment_align: 8
    .kernarg_segment_size: 400
    .language:       OpenCL C
    .language_version:
      - 2
      - 0
    .max_flat_workgroup_size: 256
    .name:           _Z39paged_attention_ll4mi_QKV_mfma16_kernelI14__hip_bfloat16hLN4vllm18Fp8KVCacheDataTypeE1EhLi32ELi64ELi256ELb0ELi15EEvPKT_PKT0_S8_ifPKiSA_SA_iPKfiiiPfSD_PS3_PT2_iSC_SC_
    .private_segment_fixed_size: 64
    .sgpr_count:     36
    .sgpr_spill_count: 0
    .symbol:         _Z39paged_attention_ll4mi_QKV_mfma16_kernelI14__hip_bfloat16hLN4vllm18Fp8KVCacheDataTypeE1EhLi32ELi64ELi256ELb0ELi15EEvPKT_PKT0_S8_ifPKiSA_SA_iPKfiiiPfSD_PS3_PT2_iSC_SC_.kd
    .uniform_work_group_size: 1
    .uses_dynamic_stack: false
    .vgpr_count:     51
    .vgpr_spill_count: 0
    .wavefront_size: 32
  - .args:
      - .actual_access:  read_only
        .address_space:  global
        .offset:         0
        .size:           8
        .value_kind:     global_buffer
      - .actual_access:  read_only
        .address_space:  global
        .offset:         8
        .size:           8
        .value_kind:     global_buffer
      - .actual_access:  read_only
        .address_space:  global
        .offset:         16
        .size:           8
        .value_kind:     global_buffer
      - .offset:         24
        .size:           4
        .value_kind:     by_value
      - .offset:         28
        .size:           4
        .value_kind:     by_value
      - .actual_access:  read_only
        .address_space:  global
        .offset:         32
        .size:           8
        .value_kind:     global_buffer
      - .actual_access:  read_only
        .address_space:  global
        .offset:         40
        .size:           8
        .value_kind:     global_buffer
      - .actual_access:  read_only
        .address_space:  global
        .offset:         48
        .size:           8
        .value_kind:     global_buffer
      - .offset:         56
        .size:           4
        .value_kind:     by_value
      - .actual_access:  read_only
        .address_space:  global
        .offset:         64
        .size:           8
        .value_kind:     global_buffer
      - .offset:         72
        .size:           4
        .value_kind:     by_value
      - .offset:         76
        .size:           4
        .value_kind:     by_value
      - .offset:         80
        .size:           4
        .value_kind:     by_value
      - .actual_access:  read_only
        .address_space:  global
        .offset:         88
        .size:           8
        .value_kind:     global_buffer
      - .actual_access:  read_only
        .address_space:  global
        .offset:         96
        .size:           8
        .value_kind:     global_buffer
      - .actual_access:  read_only
        .address_space:  global
        .offset:         104
        .size:           8
        .value_kind:     global_buffer
      - .actual_access:  read_only
        .address_space:  global
        .offset:         112
        .size:           8
        .value_kind:     global_buffer
      - .offset:         120
        .size:           4
        .value_kind:     by_value
      - .address_space:  global
        .offset:         128
        .size:           8
        .value_kind:     global_buffer
      - .address_space:  global
        .offset:         136
        .size:           8
        .value_kind:     global_buffer
      - .offset:         144
        .size:           4
        .value_kind:     hidden_block_count_x
      - .offset:         148
        .size:           4
        .value_kind:     hidden_block_count_y
      - .offset:         152
        .size:           4
        .value_kind:     hidden_block_count_z
      - .offset:         156
        .size:           2
        .value_kind:     hidden_group_size_x
      - .offset:         158
        .size:           2
        .value_kind:     hidden_group_size_y
      - .offset:         160
        .size:           2
        .value_kind:     hidden_group_size_z
      - .offset:         162
        .size:           2
        .value_kind:     hidden_remainder_x
      - .offset:         164
        .size:           2
        .value_kind:     hidden_remainder_y
      - .offset:         166
        .size:           2
        .value_kind:     hidden_remainder_z
      - .offset:         184
        .size:           8
        .value_kind:     hidden_global_offset_x
      - .offset:         192
        .size:           8
        .value_kind:     hidden_global_offset_y
      - .offset:         200
        .size:           8
        .value_kind:     hidden_global_offset_z
      - .offset:         208
        .size:           2
        .value_kind:     hidden_grid_dims
      - .offset:         224
        .size:           8
        .value_kind:     hidden_hostcall_buffer
    .group_segment_fixed_size: 0
    .kernarg_segment_align: 8
    .kernarg_segment_size: 400
    .language:       OpenCL C
    .language_version:
      - 2
      - 0
    .max_flat_workgroup_size: 256
    .name:           _Z39paged_attention_ll4mi_QKV_mfma16_kernelI14__hip_bfloat16hLN4vllm18Fp8KVCacheDataTypeE1EhLi32ELi64ELi256ELb0ELi16EEvPKT_PKT0_S8_ifPKiSA_SA_iPKfiiiPfSD_PS3_PT2_iSC_SC_
    .private_segment_fixed_size: 64
    .sgpr_count:     36
    .sgpr_spill_count: 0
    .symbol:         _Z39paged_attention_ll4mi_QKV_mfma16_kernelI14__hip_bfloat16hLN4vllm18Fp8KVCacheDataTypeE1EhLi32ELi64ELi256ELb0ELi16EEvPKT_PKT0_S8_ifPKiSA_SA_iPKfiiiPfSD_PS3_PT2_iSC_SC_.kd
    .uniform_work_group_size: 1
    .uses_dynamic_stack: false
    .vgpr_count:     51
    .vgpr_spill_count: 0
    .wavefront_size: 32
  - .args:
      - .actual_access:  read_only
        .address_space:  global
        .offset:         0
        .size:           8
        .value_kind:     global_buffer
      - .actual_access:  read_only
        .address_space:  global
        .offset:         8
        .size:           8
        .value_kind:     global_buffer
      - .actual_access:  read_only
        .address_space:  global
        .offset:         16
        .size:           8
        .value_kind:     global_buffer
      - .offset:         24
        .size:           4
        .value_kind:     by_value
      - .offset:         28
        .size:           4
        .value_kind:     by_value
      - .actual_access:  read_only
        .address_space:  global
        .offset:         32
        .size:           8
        .value_kind:     global_buffer
      - .actual_access:  read_only
        .address_space:  global
        .offset:         40
        .size:           8
        .value_kind:     global_buffer
      - .actual_access:  read_only
        .address_space:  global
        .offset:         48
        .size:           8
        .value_kind:     global_buffer
      - .offset:         56
        .size:           4
        .value_kind:     by_value
      - .actual_access:  read_only
        .address_space:  global
        .offset:         64
        .size:           8
        .value_kind:     global_buffer
      - .offset:         72
        .size:           4
        .value_kind:     by_value
      - .offset:         76
        .size:           4
        .value_kind:     by_value
      - .offset:         80
        .size:           4
        .value_kind:     by_value
      - .actual_access:  read_only
        .address_space:  global
        .offset:         88
        .size:           8
        .value_kind:     global_buffer
      - .actual_access:  read_only
        .address_space:  global
        .offset:         96
        .size:           8
        .value_kind:     global_buffer
      - .actual_access:  read_only
        .address_space:  global
        .offset:         104
        .size:           8
        .value_kind:     global_buffer
      - .actual_access:  read_only
        .address_space:  global
        .offset:         112
        .size:           8
        .value_kind:     global_buffer
      - .offset:         120
        .size:           4
        .value_kind:     by_value
      - .address_space:  global
        .offset:         128
        .size:           8
        .value_kind:     global_buffer
      - .address_space:  global
        .offset:         136
        .size:           8
        .value_kind:     global_buffer
      - .offset:         144
        .size:           4
        .value_kind:     hidden_block_count_x
      - .offset:         148
        .size:           4
        .value_kind:     hidden_block_count_y
      - .offset:         152
        .size:           4
        .value_kind:     hidden_block_count_z
      - .offset:         156
        .size:           2
        .value_kind:     hidden_group_size_x
      - .offset:         158
        .size:           2
        .value_kind:     hidden_group_size_y
      - .offset:         160
        .size:           2
        .value_kind:     hidden_group_size_z
      - .offset:         162
        .size:           2
        .value_kind:     hidden_remainder_x
      - .offset:         164
        .size:           2
        .value_kind:     hidden_remainder_y
      - .offset:         166
        .size:           2
        .value_kind:     hidden_remainder_z
      - .offset:         184
        .size:           8
        .value_kind:     hidden_global_offset_x
      - .offset:         192
        .size:           8
        .value_kind:     hidden_global_offset_y
      - .offset:         200
        .size:           8
        .value_kind:     hidden_global_offset_z
      - .offset:         208
        .size:           2
        .value_kind:     hidden_grid_dims
      - .offset:         224
        .size:           8
        .value_kind:     hidden_hostcall_buffer
    .group_segment_fixed_size: 0
    .kernarg_segment_align: 8
    .kernarg_segment_size: 400
    .language:       OpenCL C
    .language_version:
      - 2
      - 0
    .max_flat_workgroup_size: 256
    .name:           _Z39paged_attention_ll4mi_QKV_mfma16_kernelI14__hip_bfloat16hLN4vllm18Fp8KVCacheDataTypeE1EhLi32ELi64ELi256ELb0ELi1EEvPKT_PKT0_S8_ifPKiSA_SA_iPKfiiiPfSD_PS3_PT2_iSC_SC_
    .private_segment_fixed_size: 64
    .sgpr_count:     36
    .sgpr_spill_count: 0
    .symbol:         _Z39paged_attention_ll4mi_QKV_mfma16_kernelI14__hip_bfloat16hLN4vllm18Fp8KVCacheDataTypeE1EhLi32ELi64ELi256ELb0ELi1EEvPKT_PKT0_S8_ifPKiSA_SA_iPKfiiiPfSD_PS3_PT2_iSC_SC_.kd
    .uniform_work_group_size: 1
    .uses_dynamic_stack: false
    .vgpr_count:     51
    .vgpr_spill_count: 0
    .wavefront_size: 32
  - .args:
      - .actual_access:  read_only
        .address_space:  global
        .offset:         0
        .size:           8
        .value_kind:     global_buffer
      - .actual_access:  read_only
        .address_space:  global
        .offset:         8
        .size:           8
        .value_kind:     global_buffer
      - .actual_access:  read_only
        .address_space:  global
        .offset:         16
        .size:           8
        .value_kind:     global_buffer
      - .offset:         24
        .size:           4
        .value_kind:     by_value
      - .offset:         28
        .size:           4
        .value_kind:     by_value
      - .actual_access:  read_only
        .address_space:  global
        .offset:         32
        .size:           8
        .value_kind:     global_buffer
      - .actual_access:  read_only
        .address_space:  global
        .offset:         40
        .size:           8
        .value_kind:     global_buffer
      - .actual_access:  read_only
        .address_space:  global
        .offset:         48
        .size:           8
        .value_kind:     global_buffer
      - .offset:         56
        .size:           4
        .value_kind:     by_value
      - .actual_access:  read_only
        .address_space:  global
        .offset:         64
        .size:           8
        .value_kind:     global_buffer
      - .offset:         72
        .size:           4
        .value_kind:     by_value
      - .offset:         76
        .size:           4
        .value_kind:     by_value
      - .offset:         80
        .size:           4
        .value_kind:     by_value
      - .actual_access:  read_only
        .address_space:  global
        .offset:         88
        .size:           8
        .value_kind:     global_buffer
      - .actual_access:  read_only
        .address_space:  global
        .offset:         96
        .size:           8
        .value_kind:     global_buffer
      - .actual_access:  read_only
        .address_space:  global
        .offset:         104
        .size:           8
        .value_kind:     global_buffer
      - .actual_access:  read_only
        .address_space:  global
        .offset:         112
        .size:           8
        .value_kind:     global_buffer
      - .offset:         120
        .size:           4
        .value_kind:     by_value
      - .address_space:  global
        .offset:         128
        .size:           8
        .value_kind:     global_buffer
      - .address_space:  global
        .offset:         136
        .size:           8
        .value_kind:     global_buffer
      - .offset:         144
        .size:           4
        .value_kind:     hidden_block_count_x
      - .offset:         148
        .size:           4
        .value_kind:     hidden_block_count_y
      - .offset:         152
        .size:           4
        .value_kind:     hidden_block_count_z
      - .offset:         156
        .size:           2
        .value_kind:     hidden_group_size_x
      - .offset:         158
        .size:           2
        .value_kind:     hidden_group_size_y
      - .offset:         160
        .size:           2
        .value_kind:     hidden_group_size_z
      - .offset:         162
        .size:           2
        .value_kind:     hidden_remainder_x
      - .offset:         164
        .size:           2
        .value_kind:     hidden_remainder_y
      - .offset:         166
        .size:           2
        .value_kind:     hidden_remainder_z
      - .offset:         184
        .size:           8
        .value_kind:     hidden_global_offset_x
      - .offset:         192
        .size:           8
        .value_kind:     hidden_global_offset_y
      - .offset:         200
        .size:           8
        .value_kind:     hidden_global_offset_z
      - .offset:         208
        .size:           2
        .value_kind:     hidden_grid_dims
      - .offset:         224
        .size:           8
        .value_kind:     hidden_hostcall_buffer
    .group_segment_fixed_size: 0
    .kernarg_segment_align: 8
    .kernarg_segment_size: 400
    .language:       OpenCL C
    .language_version:
      - 2
      - 0
    .max_flat_workgroup_size: 256
    .name:           _Z39paged_attention_ll4mi_QKV_mfma16_kernelI14__hip_bfloat16hLN4vllm18Fp8KVCacheDataTypeE1EhLi32ELi64ELi256ELb0ELi2EEvPKT_PKT0_S8_ifPKiSA_SA_iPKfiiiPfSD_PS3_PT2_iSC_SC_
    .private_segment_fixed_size: 64
    .sgpr_count:     36
    .sgpr_spill_count: 0
    .symbol:         _Z39paged_attention_ll4mi_QKV_mfma16_kernelI14__hip_bfloat16hLN4vllm18Fp8KVCacheDataTypeE1EhLi32ELi64ELi256ELb0ELi2EEvPKT_PKT0_S8_ifPKiSA_SA_iPKfiiiPfSD_PS3_PT2_iSC_SC_.kd
    .uniform_work_group_size: 1
    .uses_dynamic_stack: false
    .vgpr_count:     51
    .vgpr_spill_count: 0
    .wavefront_size: 32
  - .args:
      - .actual_access:  read_only
        .address_space:  global
        .offset:         0
        .size:           8
        .value_kind:     global_buffer
      - .actual_access:  read_only
        .address_space:  global
        .offset:         8
        .size:           8
        .value_kind:     global_buffer
      - .actual_access:  read_only
        .address_space:  global
        .offset:         16
        .size:           8
        .value_kind:     global_buffer
      - .offset:         24
        .size:           4
        .value_kind:     by_value
      - .offset:         28
        .size:           4
        .value_kind:     by_value
      - .actual_access:  read_only
        .address_space:  global
        .offset:         32
        .size:           8
        .value_kind:     global_buffer
      - .actual_access:  read_only
        .address_space:  global
        .offset:         40
        .size:           8
        .value_kind:     global_buffer
      - .actual_access:  read_only
        .address_space:  global
        .offset:         48
        .size:           8
        .value_kind:     global_buffer
      - .offset:         56
        .size:           4
        .value_kind:     by_value
      - .actual_access:  read_only
        .address_space:  global
        .offset:         64
        .size:           8
        .value_kind:     global_buffer
      - .offset:         72
        .size:           4
        .value_kind:     by_value
      - .offset:         76
        .size:           4
        .value_kind:     by_value
      - .offset:         80
        .size:           4
        .value_kind:     by_value
      - .actual_access:  read_only
        .address_space:  global
        .offset:         88
        .size:           8
        .value_kind:     global_buffer
      - .actual_access:  read_only
        .address_space:  global
        .offset:         96
        .size:           8
        .value_kind:     global_buffer
      - .actual_access:  read_only
        .address_space:  global
        .offset:         104
        .size:           8
        .value_kind:     global_buffer
      - .actual_access:  read_only
        .address_space:  global
        .offset:         112
        .size:           8
        .value_kind:     global_buffer
      - .offset:         120
        .size:           4
        .value_kind:     by_value
      - .address_space:  global
        .offset:         128
        .size:           8
        .value_kind:     global_buffer
      - .address_space:  global
        .offset:         136
        .size:           8
        .value_kind:     global_buffer
      - .offset:         144
        .size:           4
        .value_kind:     hidden_block_count_x
      - .offset:         148
        .size:           4
        .value_kind:     hidden_block_count_y
      - .offset:         152
        .size:           4
        .value_kind:     hidden_block_count_z
      - .offset:         156
        .size:           2
        .value_kind:     hidden_group_size_x
      - .offset:         158
        .size:           2
        .value_kind:     hidden_group_size_y
      - .offset:         160
        .size:           2
        .value_kind:     hidden_group_size_z
      - .offset:         162
        .size:           2
        .value_kind:     hidden_remainder_x
      - .offset:         164
        .size:           2
        .value_kind:     hidden_remainder_y
      - .offset:         166
        .size:           2
        .value_kind:     hidden_remainder_z
      - .offset:         184
        .size:           8
        .value_kind:     hidden_global_offset_x
      - .offset:         192
        .size:           8
        .value_kind:     hidden_global_offset_y
      - .offset:         200
        .size:           8
        .value_kind:     hidden_global_offset_z
      - .offset:         208
        .size:           2
        .value_kind:     hidden_grid_dims
      - .offset:         224
        .size:           8
        .value_kind:     hidden_hostcall_buffer
    .group_segment_fixed_size: 0
    .kernarg_segment_align: 8
    .kernarg_segment_size: 400
    .language:       OpenCL C
    .language_version:
      - 2
      - 0
    .max_flat_workgroup_size: 256
    .name:           _Z39paged_attention_ll4mi_QKV_mfma16_kernelI14__hip_bfloat16hLN4vllm18Fp8KVCacheDataTypeE1EhLi32ELi64ELi256ELb0ELi3EEvPKT_PKT0_S8_ifPKiSA_SA_iPKfiiiPfSD_PS3_PT2_iSC_SC_
    .private_segment_fixed_size: 64
    .sgpr_count:     36
    .sgpr_spill_count: 0
    .symbol:         _Z39paged_attention_ll4mi_QKV_mfma16_kernelI14__hip_bfloat16hLN4vllm18Fp8KVCacheDataTypeE1EhLi32ELi64ELi256ELb0ELi3EEvPKT_PKT0_S8_ifPKiSA_SA_iPKfiiiPfSD_PS3_PT2_iSC_SC_.kd
    .uniform_work_group_size: 1
    .uses_dynamic_stack: false
    .vgpr_count:     51
    .vgpr_spill_count: 0
    .wavefront_size: 32
  - .args:
      - .actual_access:  read_only
        .address_space:  global
        .offset:         0
        .size:           8
        .value_kind:     global_buffer
      - .actual_access:  read_only
        .address_space:  global
        .offset:         8
        .size:           8
        .value_kind:     global_buffer
      - .actual_access:  read_only
        .address_space:  global
        .offset:         16
        .size:           8
        .value_kind:     global_buffer
      - .offset:         24
        .size:           4
        .value_kind:     by_value
      - .offset:         28
        .size:           4
        .value_kind:     by_value
      - .actual_access:  read_only
        .address_space:  global
        .offset:         32
        .size:           8
        .value_kind:     global_buffer
      - .actual_access:  read_only
        .address_space:  global
        .offset:         40
        .size:           8
        .value_kind:     global_buffer
      - .actual_access:  read_only
        .address_space:  global
        .offset:         48
        .size:           8
        .value_kind:     global_buffer
      - .offset:         56
        .size:           4
        .value_kind:     by_value
      - .actual_access:  read_only
        .address_space:  global
        .offset:         64
        .size:           8
        .value_kind:     global_buffer
      - .offset:         72
        .size:           4
        .value_kind:     by_value
      - .offset:         76
        .size:           4
        .value_kind:     by_value
      - .offset:         80
        .size:           4
        .value_kind:     by_value
      - .actual_access:  read_only
        .address_space:  global
        .offset:         88
        .size:           8
        .value_kind:     global_buffer
      - .actual_access:  read_only
        .address_space:  global
        .offset:         96
        .size:           8
        .value_kind:     global_buffer
      - .actual_access:  read_only
        .address_space:  global
        .offset:         104
        .size:           8
        .value_kind:     global_buffer
      - .actual_access:  read_only
        .address_space:  global
        .offset:         112
        .size:           8
        .value_kind:     global_buffer
      - .offset:         120
        .size:           4
        .value_kind:     by_value
      - .address_space:  global
        .offset:         128
        .size:           8
        .value_kind:     global_buffer
      - .address_space:  global
        .offset:         136
        .size:           8
        .value_kind:     global_buffer
      - .offset:         144
        .size:           4
        .value_kind:     hidden_block_count_x
      - .offset:         148
        .size:           4
        .value_kind:     hidden_block_count_y
      - .offset:         152
        .size:           4
        .value_kind:     hidden_block_count_z
      - .offset:         156
        .size:           2
        .value_kind:     hidden_group_size_x
      - .offset:         158
        .size:           2
        .value_kind:     hidden_group_size_y
      - .offset:         160
        .size:           2
        .value_kind:     hidden_group_size_z
      - .offset:         162
        .size:           2
        .value_kind:     hidden_remainder_x
      - .offset:         164
        .size:           2
        .value_kind:     hidden_remainder_y
      - .offset:         166
        .size:           2
        .value_kind:     hidden_remainder_z
      - .offset:         184
        .size:           8
        .value_kind:     hidden_global_offset_x
      - .offset:         192
        .size:           8
        .value_kind:     hidden_global_offset_y
      - .offset:         200
        .size:           8
        .value_kind:     hidden_global_offset_z
      - .offset:         208
        .size:           2
        .value_kind:     hidden_grid_dims
      - .offset:         224
        .size:           8
        .value_kind:     hidden_hostcall_buffer
    .group_segment_fixed_size: 0
    .kernarg_segment_align: 8
    .kernarg_segment_size: 400
    .language:       OpenCL C
    .language_version:
      - 2
      - 0
    .max_flat_workgroup_size: 256
    .name:           _Z39paged_attention_ll4mi_QKV_mfma16_kernelI14__hip_bfloat16hLN4vllm18Fp8KVCacheDataTypeE1EhLi32ELi64ELi256ELb0ELi4EEvPKT_PKT0_S8_ifPKiSA_SA_iPKfiiiPfSD_PS3_PT2_iSC_SC_
    .private_segment_fixed_size: 64
    .sgpr_count:     36
    .sgpr_spill_count: 0
    .symbol:         _Z39paged_attention_ll4mi_QKV_mfma16_kernelI14__hip_bfloat16hLN4vllm18Fp8KVCacheDataTypeE1EhLi32ELi64ELi256ELb0ELi4EEvPKT_PKT0_S8_ifPKiSA_SA_iPKfiiiPfSD_PS3_PT2_iSC_SC_.kd
    .uniform_work_group_size: 1
    .uses_dynamic_stack: false
    .vgpr_count:     51
    .vgpr_spill_count: 0
    .wavefront_size: 32
  - .args:
      - .actual_access:  read_only
        .address_space:  global
        .offset:         0
        .size:           8
        .value_kind:     global_buffer
      - .actual_access:  read_only
        .address_space:  global
        .offset:         8
        .size:           8
        .value_kind:     global_buffer
      - .actual_access:  read_only
        .address_space:  global
        .offset:         16
        .size:           8
        .value_kind:     global_buffer
      - .offset:         24
        .size:           4
        .value_kind:     by_value
      - .offset:         28
        .size:           4
        .value_kind:     by_value
      - .actual_access:  read_only
        .address_space:  global
        .offset:         32
        .size:           8
        .value_kind:     global_buffer
      - .actual_access:  read_only
        .address_space:  global
        .offset:         40
        .size:           8
        .value_kind:     global_buffer
      - .actual_access:  read_only
        .address_space:  global
        .offset:         48
        .size:           8
        .value_kind:     global_buffer
      - .offset:         56
        .size:           4
        .value_kind:     by_value
      - .actual_access:  read_only
        .address_space:  global
        .offset:         64
        .size:           8
        .value_kind:     global_buffer
      - .offset:         72
        .size:           4
        .value_kind:     by_value
      - .offset:         76
        .size:           4
        .value_kind:     by_value
      - .offset:         80
        .size:           4
        .value_kind:     by_value
      - .actual_access:  read_only
        .address_space:  global
        .offset:         88
        .size:           8
        .value_kind:     global_buffer
      - .actual_access:  read_only
        .address_space:  global
        .offset:         96
        .size:           8
        .value_kind:     global_buffer
      - .actual_access:  read_only
        .address_space:  global
        .offset:         104
        .size:           8
        .value_kind:     global_buffer
      - .actual_access:  read_only
        .address_space:  global
        .offset:         112
        .size:           8
        .value_kind:     global_buffer
      - .offset:         120
        .size:           4
        .value_kind:     by_value
      - .address_space:  global
        .offset:         128
        .size:           8
        .value_kind:     global_buffer
      - .address_space:  global
        .offset:         136
        .size:           8
        .value_kind:     global_buffer
      - .offset:         144
        .size:           4
        .value_kind:     hidden_block_count_x
      - .offset:         148
        .size:           4
        .value_kind:     hidden_block_count_y
      - .offset:         152
        .size:           4
        .value_kind:     hidden_block_count_z
      - .offset:         156
        .size:           2
        .value_kind:     hidden_group_size_x
      - .offset:         158
        .size:           2
        .value_kind:     hidden_group_size_y
      - .offset:         160
        .size:           2
        .value_kind:     hidden_group_size_z
      - .offset:         162
        .size:           2
        .value_kind:     hidden_remainder_x
      - .offset:         164
        .size:           2
        .value_kind:     hidden_remainder_y
      - .offset:         166
        .size:           2
        .value_kind:     hidden_remainder_z
      - .offset:         184
        .size:           8
        .value_kind:     hidden_global_offset_x
      - .offset:         192
        .size:           8
        .value_kind:     hidden_global_offset_y
      - .offset:         200
        .size:           8
        .value_kind:     hidden_global_offset_z
      - .offset:         208
        .size:           2
        .value_kind:     hidden_grid_dims
      - .offset:         224
        .size:           8
        .value_kind:     hidden_hostcall_buffer
    .group_segment_fixed_size: 0
    .kernarg_segment_align: 8
    .kernarg_segment_size: 400
    .language:       OpenCL C
    .language_version:
      - 2
      - 0
    .max_flat_workgroup_size: 256
    .name:           _Z38paged_attention_ll4mi_QKV_mfma4_kernelI14__hip_bfloat16hLN4vllm18Fp8KVCacheDataTypeE1ES0_Li32ELi64ELi256ELb1ELi1EEvPKT_PKT0_S8_ifPKiSA_SA_iPKfiiiPfSD_PS3_PT2_iSC_SC_
    .private_segment_fixed_size: 64
    .sgpr_count:     36
    .sgpr_spill_count: 0
    .symbol:         _Z38paged_attention_ll4mi_QKV_mfma4_kernelI14__hip_bfloat16hLN4vllm18Fp8KVCacheDataTypeE1ES0_Li32ELi64ELi256ELb1ELi1EEvPKT_PKT0_S8_ifPKiSA_SA_iPKfiiiPfSD_PS3_PT2_iSC_SC_.kd
    .uniform_work_group_size: 1
    .uses_dynamic_stack: false
    .vgpr_count:     51
    .vgpr_spill_count: 0
    .wavefront_size: 32
  - .args:
      - .actual_access:  read_only
        .address_space:  global
        .offset:         0
        .size:           8
        .value_kind:     global_buffer
      - .actual_access:  read_only
        .address_space:  global
        .offset:         8
        .size:           8
        .value_kind:     global_buffer
      - .actual_access:  read_only
        .address_space:  global
        .offset:         16
        .size:           8
        .value_kind:     global_buffer
      - .offset:         24
        .size:           4
        .value_kind:     by_value
      - .offset:         28
        .size:           4
        .value_kind:     by_value
      - .actual_access:  read_only
        .address_space:  global
        .offset:         32
        .size:           8
        .value_kind:     global_buffer
      - .actual_access:  read_only
        .address_space:  global
        .offset:         40
        .size:           8
        .value_kind:     global_buffer
      - .actual_access:  read_only
        .address_space:  global
        .offset:         48
        .size:           8
        .value_kind:     global_buffer
      - .offset:         56
        .size:           4
        .value_kind:     by_value
      - .actual_access:  read_only
        .address_space:  global
        .offset:         64
        .size:           8
        .value_kind:     global_buffer
      - .offset:         72
        .size:           4
        .value_kind:     by_value
      - .offset:         76
        .size:           4
        .value_kind:     by_value
      - .offset:         80
        .size:           4
        .value_kind:     by_value
      - .actual_access:  read_only
        .address_space:  global
        .offset:         88
        .size:           8
        .value_kind:     global_buffer
      - .actual_access:  read_only
        .address_space:  global
        .offset:         96
        .size:           8
        .value_kind:     global_buffer
      - .actual_access:  read_only
        .address_space:  global
        .offset:         104
        .size:           8
        .value_kind:     global_buffer
      - .actual_access:  read_only
        .address_space:  global
        .offset:         112
        .size:           8
        .value_kind:     global_buffer
      - .offset:         120
        .size:           4
        .value_kind:     by_value
      - .address_space:  global
        .offset:         128
        .size:           8
        .value_kind:     global_buffer
      - .address_space:  global
        .offset:         136
        .size:           8
        .value_kind:     global_buffer
      - .offset:         144
        .size:           4
        .value_kind:     hidden_block_count_x
      - .offset:         148
        .size:           4
        .value_kind:     hidden_block_count_y
      - .offset:         152
        .size:           4
        .value_kind:     hidden_block_count_z
      - .offset:         156
        .size:           2
        .value_kind:     hidden_group_size_x
      - .offset:         158
        .size:           2
        .value_kind:     hidden_group_size_y
      - .offset:         160
        .size:           2
        .value_kind:     hidden_group_size_z
      - .offset:         162
        .size:           2
        .value_kind:     hidden_remainder_x
      - .offset:         164
        .size:           2
        .value_kind:     hidden_remainder_y
      - .offset:         166
        .size:           2
        .value_kind:     hidden_remainder_z
      - .offset:         184
        .size:           8
        .value_kind:     hidden_global_offset_x
      - .offset:         192
        .size:           8
        .value_kind:     hidden_global_offset_y
      - .offset:         200
        .size:           8
        .value_kind:     hidden_global_offset_z
      - .offset:         208
        .size:           2
        .value_kind:     hidden_grid_dims
      - .offset:         224
        .size:           8
        .value_kind:     hidden_hostcall_buffer
    .group_segment_fixed_size: 0
    .kernarg_segment_align: 8
    .kernarg_segment_size: 400
    .language:       OpenCL C
    .language_version:
      - 2
      - 0
    .max_flat_workgroup_size: 256
    .name:           _Z38paged_attention_ll4mi_QKV_mfma4_kernelI14__hip_bfloat16hLN4vllm18Fp8KVCacheDataTypeE1ES0_Li32ELi64ELi256ELb1ELi2EEvPKT_PKT0_S8_ifPKiSA_SA_iPKfiiiPfSD_PS3_PT2_iSC_SC_
    .private_segment_fixed_size: 64
    .sgpr_count:     36
    .sgpr_spill_count: 0
    .symbol:         _Z38paged_attention_ll4mi_QKV_mfma4_kernelI14__hip_bfloat16hLN4vllm18Fp8KVCacheDataTypeE1ES0_Li32ELi64ELi256ELb1ELi2EEvPKT_PKT0_S8_ifPKiSA_SA_iPKfiiiPfSD_PS3_PT2_iSC_SC_.kd
    .uniform_work_group_size: 1
    .uses_dynamic_stack: false
    .vgpr_count:     51
    .vgpr_spill_count: 0
    .wavefront_size: 32
  - .args:
      - .actual_access:  read_only
        .address_space:  global
        .offset:         0
        .size:           8
        .value_kind:     global_buffer
      - .actual_access:  read_only
        .address_space:  global
        .offset:         8
        .size:           8
        .value_kind:     global_buffer
      - .actual_access:  read_only
        .address_space:  global
        .offset:         16
        .size:           8
        .value_kind:     global_buffer
      - .offset:         24
        .size:           4
        .value_kind:     by_value
      - .offset:         28
        .size:           4
        .value_kind:     by_value
      - .actual_access:  read_only
        .address_space:  global
        .offset:         32
        .size:           8
        .value_kind:     global_buffer
      - .actual_access:  read_only
        .address_space:  global
        .offset:         40
        .size:           8
        .value_kind:     global_buffer
      - .actual_access:  read_only
        .address_space:  global
        .offset:         48
        .size:           8
        .value_kind:     global_buffer
      - .offset:         56
        .size:           4
        .value_kind:     by_value
      - .actual_access:  read_only
        .address_space:  global
        .offset:         64
        .size:           8
        .value_kind:     global_buffer
      - .offset:         72
        .size:           4
        .value_kind:     by_value
      - .offset:         76
        .size:           4
        .value_kind:     by_value
      - .offset:         80
        .size:           4
        .value_kind:     by_value
      - .actual_access:  read_only
        .address_space:  global
        .offset:         88
        .size:           8
        .value_kind:     global_buffer
      - .actual_access:  read_only
        .address_space:  global
        .offset:         96
        .size:           8
        .value_kind:     global_buffer
      - .actual_access:  read_only
        .address_space:  global
        .offset:         104
        .size:           8
        .value_kind:     global_buffer
      - .actual_access:  read_only
        .address_space:  global
        .offset:         112
        .size:           8
        .value_kind:     global_buffer
      - .offset:         120
        .size:           4
        .value_kind:     by_value
      - .address_space:  global
        .offset:         128
        .size:           8
        .value_kind:     global_buffer
      - .address_space:  global
        .offset:         136
        .size:           8
        .value_kind:     global_buffer
      - .offset:         144
        .size:           4
        .value_kind:     hidden_block_count_x
      - .offset:         148
        .size:           4
        .value_kind:     hidden_block_count_y
      - .offset:         152
        .size:           4
        .value_kind:     hidden_block_count_z
      - .offset:         156
        .size:           2
        .value_kind:     hidden_group_size_x
      - .offset:         158
        .size:           2
        .value_kind:     hidden_group_size_y
      - .offset:         160
        .size:           2
        .value_kind:     hidden_group_size_z
      - .offset:         162
        .size:           2
        .value_kind:     hidden_remainder_x
      - .offset:         164
        .size:           2
        .value_kind:     hidden_remainder_y
      - .offset:         166
        .size:           2
        .value_kind:     hidden_remainder_z
      - .offset:         184
        .size:           8
        .value_kind:     hidden_global_offset_x
      - .offset:         192
        .size:           8
        .value_kind:     hidden_global_offset_y
      - .offset:         200
        .size:           8
        .value_kind:     hidden_global_offset_z
      - .offset:         208
        .size:           2
        .value_kind:     hidden_grid_dims
      - .offset:         224
        .size:           8
        .value_kind:     hidden_hostcall_buffer
    .group_segment_fixed_size: 0
    .kernarg_segment_align: 8
    .kernarg_segment_size: 400
    .language:       OpenCL C
    .language_version:
      - 2
      - 0
    .max_flat_workgroup_size: 256
    .name:           _Z38paged_attention_ll4mi_QKV_mfma4_kernelI14__hip_bfloat16hLN4vllm18Fp8KVCacheDataTypeE1ES0_Li32ELi64ELi256ELb1ELi3EEvPKT_PKT0_S8_ifPKiSA_SA_iPKfiiiPfSD_PS3_PT2_iSC_SC_
    .private_segment_fixed_size: 64
    .sgpr_count:     36
    .sgpr_spill_count: 0
    .symbol:         _Z38paged_attention_ll4mi_QKV_mfma4_kernelI14__hip_bfloat16hLN4vllm18Fp8KVCacheDataTypeE1ES0_Li32ELi64ELi256ELb1ELi3EEvPKT_PKT0_S8_ifPKiSA_SA_iPKfiiiPfSD_PS3_PT2_iSC_SC_.kd
    .uniform_work_group_size: 1
    .uses_dynamic_stack: false
    .vgpr_count:     51
    .vgpr_spill_count: 0
    .wavefront_size: 32
  - .args:
      - .actual_access:  read_only
        .address_space:  global
        .offset:         0
        .size:           8
        .value_kind:     global_buffer
      - .actual_access:  read_only
        .address_space:  global
        .offset:         8
        .size:           8
        .value_kind:     global_buffer
      - .actual_access:  read_only
        .address_space:  global
        .offset:         16
        .size:           8
        .value_kind:     global_buffer
      - .offset:         24
        .size:           4
        .value_kind:     by_value
      - .offset:         28
        .size:           4
        .value_kind:     by_value
      - .actual_access:  read_only
        .address_space:  global
        .offset:         32
        .size:           8
        .value_kind:     global_buffer
      - .actual_access:  read_only
        .address_space:  global
        .offset:         40
        .size:           8
        .value_kind:     global_buffer
      - .actual_access:  read_only
        .address_space:  global
        .offset:         48
        .size:           8
        .value_kind:     global_buffer
      - .offset:         56
        .size:           4
        .value_kind:     by_value
      - .actual_access:  read_only
        .address_space:  global
        .offset:         64
        .size:           8
        .value_kind:     global_buffer
      - .offset:         72
        .size:           4
        .value_kind:     by_value
      - .offset:         76
        .size:           4
        .value_kind:     by_value
      - .offset:         80
        .size:           4
        .value_kind:     by_value
      - .actual_access:  read_only
        .address_space:  global
        .offset:         88
        .size:           8
        .value_kind:     global_buffer
      - .actual_access:  read_only
        .address_space:  global
        .offset:         96
        .size:           8
        .value_kind:     global_buffer
      - .actual_access:  read_only
        .address_space:  global
        .offset:         104
        .size:           8
        .value_kind:     global_buffer
      - .actual_access:  read_only
        .address_space:  global
        .offset:         112
        .size:           8
        .value_kind:     global_buffer
      - .offset:         120
        .size:           4
        .value_kind:     by_value
      - .address_space:  global
        .offset:         128
        .size:           8
        .value_kind:     global_buffer
      - .address_space:  global
        .offset:         136
        .size:           8
        .value_kind:     global_buffer
      - .offset:         144
        .size:           4
        .value_kind:     hidden_block_count_x
      - .offset:         148
        .size:           4
        .value_kind:     hidden_block_count_y
      - .offset:         152
        .size:           4
        .value_kind:     hidden_block_count_z
      - .offset:         156
        .size:           2
        .value_kind:     hidden_group_size_x
      - .offset:         158
        .size:           2
        .value_kind:     hidden_group_size_y
      - .offset:         160
        .size:           2
        .value_kind:     hidden_group_size_z
      - .offset:         162
        .size:           2
        .value_kind:     hidden_remainder_x
      - .offset:         164
        .size:           2
        .value_kind:     hidden_remainder_y
      - .offset:         166
        .size:           2
        .value_kind:     hidden_remainder_z
      - .offset:         184
        .size:           8
        .value_kind:     hidden_global_offset_x
      - .offset:         192
        .size:           8
        .value_kind:     hidden_global_offset_y
      - .offset:         200
        .size:           8
        .value_kind:     hidden_global_offset_z
      - .offset:         208
        .size:           2
        .value_kind:     hidden_grid_dims
      - .offset:         224
        .size:           8
        .value_kind:     hidden_hostcall_buffer
    .group_segment_fixed_size: 0
    .kernarg_segment_align: 8
    .kernarg_segment_size: 400
    .language:       OpenCL C
    .language_version:
      - 2
      - 0
    .max_flat_workgroup_size: 256
    .name:           _Z38paged_attention_ll4mi_QKV_mfma4_kernelI14__hip_bfloat16hLN4vllm18Fp8KVCacheDataTypeE1ES0_Li32ELi64ELi256ELb1ELi4EEvPKT_PKT0_S8_ifPKiSA_SA_iPKfiiiPfSD_PS3_PT2_iSC_SC_
    .private_segment_fixed_size: 64
    .sgpr_count:     36
    .sgpr_spill_count: 0
    .symbol:         _Z38paged_attention_ll4mi_QKV_mfma4_kernelI14__hip_bfloat16hLN4vllm18Fp8KVCacheDataTypeE1ES0_Li32ELi64ELi256ELb1ELi4EEvPKT_PKT0_S8_ifPKiSA_SA_iPKfiiiPfSD_PS3_PT2_iSC_SC_.kd
    .uniform_work_group_size: 1
    .uses_dynamic_stack: false
    .vgpr_count:     51
    .vgpr_spill_count: 0
    .wavefront_size: 32
  - .args:
      - .actual_access:  read_only
        .address_space:  global
        .offset:         0
        .size:           8
        .value_kind:     global_buffer
      - .actual_access:  read_only
        .address_space:  global
        .offset:         8
        .size:           8
        .value_kind:     global_buffer
      - .actual_access:  read_only
        .address_space:  global
        .offset:         16
        .size:           8
        .value_kind:     global_buffer
      - .offset:         24
        .size:           4
        .value_kind:     by_value
      - .offset:         28
        .size:           4
        .value_kind:     by_value
      - .actual_access:  read_only
        .address_space:  global
        .offset:         32
        .size:           8
        .value_kind:     global_buffer
      - .actual_access:  read_only
        .address_space:  global
        .offset:         40
        .size:           8
        .value_kind:     global_buffer
      - .actual_access:  read_only
        .address_space:  global
        .offset:         48
        .size:           8
        .value_kind:     global_buffer
      - .offset:         56
        .size:           4
        .value_kind:     by_value
      - .actual_access:  read_only
        .address_space:  global
        .offset:         64
        .size:           8
        .value_kind:     global_buffer
      - .offset:         72
        .size:           4
        .value_kind:     by_value
      - .offset:         76
        .size:           4
        .value_kind:     by_value
      - .offset:         80
        .size:           4
        .value_kind:     by_value
      - .actual_access:  read_only
        .address_space:  global
        .offset:         88
        .size:           8
        .value_kind:     global_buffer
      - .actual_access:  read_only
        .address_space:  global
        .offset:         96
        .size:           8
        .value_kind:     global_buffer
      - .actual_access:  read_only
        .address_space:  global
        .offset:         104
        .size:           8
        .value_kind:     global_buffer
      - .actual_access:  read_only
        .address_space:  global
        .offset:         112
        .size:           8
        .value_kind:     global_buffer
      - .offset:         120
        .size:           4
        .value_kind:     by_value
      - .address_space:  global
        .offset:         128
        .size:           8
        .value_kind:     global_buffer
      - .address_space:  global
        .offset:         136
        .size:           8
        .value_kind:     global_buffer
      - .offset:         144
        .size:           4
        .value_kind:     hidden_block_count_x
      - .offset:         148
        .size:           4
        .value_kind:     hidden_block_count_y
      - .offset:         152
        .size:           4
        .value_kind:     hidden_block_count_z
      - .offset:         156
        .size:           2
        .value_kind:     hidden_group_size_x
      - .offset:         158
        .size:           2
        .value_kind:     hidden_group_size_y
      - .offset:         160
        .size:           2
        .value_kind:     hidden_group_size_z
      - .offset:         162
        .size:           2
        .value_kind:     hidden_remainder_x
      - .offset:         164
        .size:           2
        .value_kind:     hidden_remainder_y
      - .offset:         166
        .size:           2
        .value_kind:     hidden_remainder_z
      - .offset:         184
        .size:           8
        .value_kind:     hidden_global_offset_x
      - .offset:         192
        .size:           8
        .value_kind:     hidden_global_offset_y
      - .offset:         200
        .size:           8
        .value_kind:     hidden_global_offset_z
      - .offset:         208
        .size:           2
        .value_kind:     hidden_grid_dims
      - .offset:         224
        .size:           8
        .value_kind:     hidden_hostcall_buffer
    .group_segment_fixed_size: 0
    .kernarg_segment_align: 8
    .kernarg_segment_size: 400
    .language:       OpenCL C
    .language_version:
      - 2
      - 0
    .max_flat_workgroup_size: 256
    .name:           _Z39paged_attention_ll4mi_QKV_mfma16_kernelI14__hip_bfloat16hLN4vllm18Fp8KVCacheDataTypeE1ES0_Li32ELi64ELi256ELb1ELi5EEvPKT_PKT0_S8_ifPKiSA_SA_iPKfiiiPfSD_PS3_PT2_iSC_SC_
    .private_segment_fixed_size: 64
    .sgpr_count:     36
    .sgpr_spill_count: 0
    .symbol:         _Z39paged_attention_ll4mi_QKV_mfma16_kernelI14__hip_bfloat16hLN4vllm18Fp8KVCacheDataTypeE1ES0_Li32ELi64ELi256ELb1ELi5EEvPKT_PKT0_S8_ifPKiSA_SA_iPKfiiiPfSD_PS3_PT2_iSC_SC_.kd
    .uniform_work_group_size: 1
    .uses_dynamic_stack: false
    .vgpr_count:     51
    .vgpr_spill_count: 0
    .wavefront_size: 32
  - .args:
      - .actual_access:  read_only
        .address_space:  global
        .offset:         0
        .size:           8
        .value_kind:     global_buffer
      - .actual_access:  read_only
        .address_space:  global
        .offset:         8
        .size:           8
        .value_kind:     global_buffer
      - .actual_access:  read_only
        .address_space:  global
        .offset:         16
        .size:           8
        .value_kind:     global_buffer
      - .offset:         24
        .size:           4
        .value_kind:     by_value
      - .offset:         28
        .size:           4
        .value_kind:     by_value
      - .actual_access:  read_only
        .address_space:  global
        .offset:         32
        .size:           8
        .value_kind:     global_buffer
      - .actual_access:  read_only
        .address_space:  global
        .offset:         40
        .size:           8
        .value_kind:     global_buffer
      - .actual_access:  read_only
        .address_space:  global
        .offset:         48
        .size:           8
        .value_kind:     global_buffer
      - .offset:         56
        .size:           4
        .value_kind:     by_value
      - .actual_access:  read_only
        .address_space:  global
        .offset:         64
        .size:           8
        .value_kind:     global_buffer
      - .offset:         72
        .size:           4
        .value_kind:     by_value
      - .offset:         76
        .size:           4
        .value_kind:     by_value
      - .offset:         80
        .size:           4
        .value_kind:     by_value
      - .actual_access:  read_only
        .address_space:  global
        .offset:         88
        .size:           8
        .value_kind:     global_buffer
      - .actual_access:  read_only
        .address_space:  global
        .offset:         96
        .size:           8
        .value_kind:     global_buffer
      - .actual_access:  read_only
        .address_space:  global
        .offset:         104
        .size:           8
        .value_kind:     global_buffer
      - .actual_access:  read_only
        .address_space:  global
        .offset:         112
        .size:           8
        .value_kind:     global_buffer
      - .offset:         120
        .size:           4
        .value_kind:     by_value
      - .address_space:  global
        .offset:         128
        .size:           8
        .value_kind:     global_buffer
      - .address_space:  global
        .offset:         136
        .size:           8
        .value_kind:     global_buffer
      - .offset:         144
        .size:           4
        .value_kind:     hidden_block_count_x
      - .offset:         148
        .size:           4
        .value_kind:     hidden_block_count_y
      - .offset:         152
        .size:           4
        .value_kind:     hidden_block_count_z
      - .offset:         156
        .size:           2
        .value_kind:     hidden_group_size_x
      - .offset:         158
        .size:           2
        .value_kind:     hidden_group_size_y
      - .offset:         160
        .size:           2
        .value_kind:     hidden_group_size_z
      - .offset:         162
        .size:           2
        .value_kind:     hidden_remainder_x
      - .offset:         164
        .size:           2
        .value_kind:     hidden_remainder_y
      - .offset:         166
        .size:           2
        .value_kind:     hidden_remainder_z
      - .offset:         184
        .size:           8
        .value_kind:     hidden_global_offset_x
      - .offset:         192
        .size:           8
        .value_kind:     hidden_global_offset_y
      - .offset:         200
        .size:           8
        .value_kind:     hidden_global_offset_z
      - .offset:         208
        .size:           2
        .value_kind:     hidden_grid_dims
      - .offset:         224
        .size:           8
        .value_kind:     hidden_hostcall_buffer
    .group_segment_fixed_size: 0
    .kernarg_segment_align: 8
    .kernarg_segment_size: 400
    .language:       OpenCL C
    .language_version:
      - 2
      - 0
    .max_flat_workgroup_size: 256
    .name:           _Z39paged_attention_ll4mi_QKV_mfma16_kernelI14__hip_bfloat16hLN4vllm18Fp8KVCacheDataTypeE1ES0_Li32ELi64ELi256ELb1ELi6EEvPKT_PKT0_S8_ifPKiSA_SA_iPKfiiiPfSD_PS3_PT2_iSC_SC_
    .private_segment_fixed_size: 64
    .sgpr_count:     36
    .sgpr_spill_count: 0
    .symbol:         _Z39paged_attention_ll4mi_QKV_mfma16_kernelI14__hip_bfloat16hLN4vllm18Fp8KVCacheDataTypeE1ES0_Li32ELi64ELi256ELb1ELi6EEvPKT_PKT0_S8_ifPKiSA_SA_iPKfiiiPfSD_PS3_PT2_iSC_SC_.kd
    .uniform_work_group_size: 1
    .uses_dynamic_stack: false
    .vgpr_count:     51
    .vgpr_spill_count: 0
    .wavefront_size: 32
  - .args:
      - .actual_access:  read_only
        .address_space:  global
        .offset:         0
        .size:           8
        .value_kind:     global_buffer
      - .actual_access:  read_only
        .address_space:  global
        .offset:         8
        .size:           8
        .value_kind:     global_buffer
      - .actual_access:  read_only
        .address_space:  global
        .offset:         16
        .size:           8
        .value_kind:     global_buffer
      - .offset:         24
        .size:           4
        .value_kind:     by_value
      - .offset:         28
        .size:           4
        .value_kind:     by_value
      - .actual_access:  read_only
        .address_space:  global
        .offset:         32
        .size:           8
        .value_kind:     global_buffer
      - .actual_access:  read_only
        .address_space:  global
        .offset:         40
        .size:           8
        .value_kind:     global_buffer
      - .actual_access:  read_only
        .address_space:  global
        .offset:         48
        .size:           8
        .value_kind:     global_buffer
      - .offset:         56
        .size:           4
        .value_kind:     by_value
      - .actual_access:  read_only
        .address_space:  global
        .offset:         64
        .size:           8
        .value_kind:     global_buffer
      - .offset:         72
        .size:           4
        .value_kind:     by_value
      - .offset:         76
        .size:           4
        .value_kind:     by_value
      - .offset:         80
        .size:           4
        .value_kind:     by_value
      - .actual_access:  read_only
        .address_space:  global
        .offset:         88
        .size:           8
        .value_kind:     global_buffer
      - .actual_access:  read_only
        .address_space:  global
        .offset:         96
        .size:           8
        .value_kind:     global_buffer
      - .actual_access:  read_only
        .address_space:  global
        .offset:         104
        .size:           8
        .value_kind:     global_buffer
      - .actual_access:  read_only
        .address_space:  global
        .offset:         112
        .size:           8
        .value_kind:     global_buffer
      - .offset:         120
        .size:           4
        .value_kind:     by_value
      - .address_space:  global
        .offset:         128
        .size:           8
        .value_kind:     global_buffer
      - .address_space:  global
        .offset:         136
        .size:           8
        .value_kind:     global_buffer
      - .offset:         144
        .size:           4
        .value_kind:     hidden_block_count_x
      - .offset:         148
        .size:           4
        .value_kind:     hidden_block_count_y
      - .offset:         152
        .size:           4
        .value_kind:     hidden_block_count_z
      - .offset:         156
        .size:           2
        .value_kind:     hidden_group_size_x
      - .offset:         158
        .size:           2
        .value_kind:     hidden_group_size_y
      - .offset:         160
        .size:           2
        .value_kind:     hidden_group_size_z
      - .offset:         162
        .size:           2
        .value_kind:     hidden_remainder_x
      - .offset:         164
        .size:           2
        .value_kind:     hidden_remainder_y
      - .offset:         166
        .size:           2
        .value_kind:     hidden_remainder_z
      - .offset:         184
        .size:           8
        .value_kind:     hidden_global_offset_x
      - .offset:         192
        .size:           8
        .value_kind:     hidden_global_offset_y
      - .offset:         200
        .size:           8
        .value_kind:     hidden_global_offset_z
      - .offset:         208
        .size:           2
        .value_kind:     hidden_grid_dims
      - .offset:         224
        .size:           8
        .value_kind:     hidden_hostcall_buffer
    .group_segment_fixed_size: 0
    .kernarg_segment_align: 8
    .kernarg_segment_size: 400
    .language:       OpenCL C
    .language_version:
      - 2
      - 0
    .max_flat_workgroup_size: 256
    .name:           _Z39paged_attention_ll4mi_QKV_mfma16_kernelI14__hip_bfloat16hLN4vllm18Fp8KVCacheDataTypeE1ES0_Li32ELi64ELi256ELb1ELi7EEvPKT_PKT0_S8_ifPKiSA_SA_iPKfiiiPfSD_PS3_PT2_iSC_SC_
    .private_segment_fixed_size: 64
    .sgpr_count:     36
    .sgpr_spill_count: 0
    .symbol:         _Z39paged_attention_ll4mi_QKV_mfma16_kernelI14__hip_bfloat16hLN4vllm18Fp8KVCacheDataTypeE1ES0_Li32ELi64ELi256ELb1ELi7EEvPKT_PKT0_S8_ifPKiSA_SA_iPKfiiiPfSD_PS3_PT2_iSC_SC_.kd
    .uniform_work_group_size: 1
    .uses_dynamic_stack: false
    .vgpr_count:     51
    .vgpr_spill_count: 0
    .wavefront_size: 32
  - .args:
      - .actual_access:  read_only
        .address_space:  global
        .offset:         0
        .size:           8
        .value_kind:     global_buffer
      - .actual_access:  read_only
        .address_space:  global
        .offset:         8
        .size:           8
        .value_kind:     global_buffer
      - .actual_access:  read_only
        .address_space:  global
        .offset:         16
        .size:           8
        .value_kind:     global_buffer
      - .offset:         24
        .size:           4
        .value_kind:     by_value
      - .offset:         28
        .size:           4
        .value_kind:     by_value
      - .actual_access:  read_only
        .address_space:  global
        .offset:         32
        .size:           8
        .value_kind:     global_buffer
      - .actual_access:  read_only
        .address_space:  global
        .offset:         40
        .size:           8
        .value_kind:     global_buffer
      - .actual_access:  read_only
        .address_space:  global
        .offset:         48
        .size:           8
        .value_kind:     global_buffer
      - .offset:         56
        .size:           4
        .value_kind:     by_value
      - .actual_access:  read_only
        .address_space:  global
        .offset:         64
        .size:           8
        .value_kind:     global_buffer
      - .offset:         72
        .size:           4
        .value_kind:     by_value
      - .offset:         76
        .size:           4
        .value_kind:     by_value
      - .offset:         80
        .size:           4
        .value_kind:     by_value
      - .actual_access:  read_only
        .address_space:  global
        .offset:         88
        .size:           8
        .value_kind:     global_buffer
      - .actual_access:  read_only
        .address_space:  global
        .offset:         96
        .size:           8
        .value_kind:     global_buffer
      - .actual_access:  read_only
        .address_space:  global
        .offset:         104
        .size:           8
        .value_kind:     global_buffer
      - .actual_access:  read_only
        .address_space:  global
        .offset:         112
        .size:           8
        .value_kind:     global_buffer
      - .offset:         120
        .size:           4
        .value_kind:     by_value
      - .address_space:  global
        .offset:         128
        .size:           8
        .value_kind:     global_buffer
      - .address_space:  global
        .offset:         136
        .size:           8
        .value_kind:     global_buffer
      - .offset:         144
        .size:           4
        .value_kind:     hidden_block_count_x
      - .offset:         148
        .size:           4
        .value_kind:     hidden_block_count_y
      - .offset:         152
        .size:           4
        .value_kind:     hidden_block_count_z
      - .offset:         156
        .size:           2
        .value_kind:     hidden_group_size_x
      - .offset:         158
        .size:           2
        .value_kind:     hidden_group_size_y
      - .offset:         160
        .size:           2
        .value_kind:     hidden_group_size_z
      - .offset:         162
        .size:           2
        .value_kind:     hidden_remainder_x
      - .offset:         164
        .size:           2
        .value_kind:     hidden_remainder_y
      - .offset:         166
        .size:           2
        .value_kind:     hidden_remainder_z
      - .offset:         184
        .size:           8
        .value_kind:     hidden_global_offset_x
      - .offset:         192
        .size:           8
        .value_kind:     hidden_global_offset_y
      - .offset:         200
        .size:           8
        .value_kind:     hidden_global_offset_z
      - .offset:         208
        .size:           2
        .value_kind:     hidden_grid_dims
      - .offset:         224
        .size:           8
        .value_kind:     hidden_hostcall_buffer
    .group_segment_fixed_size: 0
    .kernarg_segment_align: 8
    .kernarg_segment_size: 400
    .language:       OpenCL C
    .language_version:
      - 2
      - 0
    .max_flat_workgroup_size: 256
    .name:           _Z39paged_attention_ll4mi_QKV_mfma16_kernelI14__hip_bfloat16hLN4vllm18Fp8KVCacheDataTypeE1ES0_Li32ELi64ELi256ELb1ELi8EEvPKT_PKT0_S8_ifPKiSA_SA_iPKfiiiPfSD_PS3_PT2_iSC_SC_
    .private_segment_fixed_size: 64
    .sgpr_count:     36
    .sgpr_spill_count: 0
    .symbol:         _Z39paged_attention_ll4mi_QKV_mfma16_kernelI14__hip_bfloat16hLN4vllm18Fp8KVCacheDataTypeE1ES0_Li32ELi64ELi256ELb1ELi8EEvPKT_PKT0_S8_ifPKiSA_SA_iPKfiiiPfSD_PS3_PT2_iSC_SC_.kd
    .uniform_work_group_size: 1
    .uses_dynamic_stack: false
    .vgpr_count:     51
    .vgpr_spill_count: 0
    .wavefront_size: 32
  - .args:
      - .actual_access:  read_only
        .address_space:  global
        .offset:         0
        .size:           8
        .value_kind:     global_buffer
      - .actual_access:  read_only
        .address_space:  global
        .offset:         8
        .size:           8
        .value_kind:     global_buffer
      - .actual_access:  read_only
        .address_space:  global
        .offset:         16
        .size:           8
        .value_kind:     global_buffer
      - .offset:         24
        .size:           4
        .value_kind:     by_value
      - .offset:         28
        .size:           4
        .value_kind:     by_value
      - .actual_access:  read_only
        .address_space:  global
        .offset:         32
        .size:           8
        .value_kind:     global_buffer
      - .actual_access:  read_only
        .address_space:  global
        .offset:         40
        .size:           8
        .value_kind:     global_buffer
      - .actual_access:  read_only
        .address_space:  global
        .offset:         48
        .size:           8
        .value_kind:     global_buffer
      - .offset:         56
        .size:           4
        .value_kind:     by_value
      - .actual_access:  read_only
        .address_space:  global
        .offset:         64
        .size:           8
        .value_kind:     global_buffer
      - .offset:         72
        .size:           4
        .value_kind:     by_value
      - .offset:         76
        .size:           4
        .value_kind:     by_value
      - .offset:         80
        .size:           4
        .value_kind:     by_value
      - .actual_access:  read_only
        .address_space:  global
        .offset:         88
        .size:           8
        .value_kind:     global_buffer
      - .actual_access:  read_only
        .address_space:  global
        .offset:         96
        .size:           8
        .value_kind:     global_buffer
      - .actual_access:  read_only
        .address_space:  global
        .offset:         104
        .size:           8
        .value_kind:     global_buffer
      - .actual_access:  read_only
        .address_space:  global
        .offset:         112
        .size:           8
        .value_kind:     global_buffer
      - .offset:         120
        .size:           4
        .value_kind:     by_value
      - .address_space:  global
        .offset:         128
        .size:           8
        .value_kind:     global_buffer
      - .address_space:  global
        .offset:         136
        .size:           8
        .value_kind:     global_buffer
      - .offset:         144
        .size:           4
        .value_kind:     hidden_block_count_x
      - .offset:         148
        .size:           4
        .value_kind:     hidden_block_count_y
      - .offset:         152
        .size:           4
        .value_kind:     hidden_block_count_z
      - .offset:         156
        .size:           2
        .value_kind:     hidden_group_size_x
      - .offset:         158
        .size:           2
        .value_kind:     hidden_group_size_y
      - .offset:         160
        .size:           2
        .value_kind:     hidden_group_size_z
      - .offset:         162
        .size:           2
        .value_kind:     hidden_remainder_x
      - .offset:         164
        .size:           2
        .value_kind:     hidden_remainder_y
      - .offset:         166
        .size:           2
        .value_kind:     hidden_remainder_z
      - .offset:         184
        .size:           8
        .value_kind:     hidden_global_offset_x
      - .offset:         192
        .size:           8
        .value_kind:     hidden_global_offset_y
      - .offset:         200
        .size:           8
        .value_kind:     hidden_global_offset_z
      - .offset:         208
        .size:           2
        .value_kind:     hidden_grid_dims
      - .offset:         224
        .size:           8
        .value_kind:     hidden_hostcall_buffer
    .group_segment_fixed_size: 0
    .kernarg_segment_align: 8
    .kernarg_segment_size: 400
    .language:       OpenCL C
    .language_version:
      - 2
      - 0
    .max_flat_workgroup_size: 256
    .name:           _Z39paged_attention_ll4mi_QKV_mfma16_kernelI14__hip_bfloat16hLN4vllm18Fp8KVCacheDataTypeE1ES0_Li32ELi64ELi256ELb1ELi9EEvPKT_PKT0_S8_ifPKiSA_SA_iPKfiiiPfSD_PS3_PT2_iSC_SC_
    .private_segment_fixed_size: 64
    .sgpr_count:     36
    .sgpr_spill_count: 0
    .symbol:         _Z39paged_attention_ll4mi_QKV_mfma16_kernelI14__hip_bfloat16hLN4vllm18Fp8KVCacheDataTypeE1ES0_Li32ELi64ELi256ELb1ELi9EEvPKT_PKT0_S8_ifPKiSA_SA_iPKfiiiPfSD_PS3_PT2_iSC_SC_.kd
    .uniform_work_group_size: 1
    .uses_dynamic_stack: false
    .vgpr_count:     51
    .vgpr_spill_count: 0
    .wavefront_size: 32
  - .args:
      - .actual_access:  read_only
        .address_space:  global
        .offset:         0
        .size:           8
        .value_kind:     global_buffer
      - .actual_access:  read_only
        .address_space:  global
        .offset:         8
        .size:           8
        .value_kind:     global_buffer
      - .actual_access:  read_only
        .address_space:  global
        .offset:         16
        .size:           8
        .value_kind:     global_buffer
      - .offset:         24
        .size:           4
        .value_kind:     by_value
      - .offset:         28
        .size:           4
        .value_kind:     by_value
      - .actual_access:  read_only
        .address_space:  global
        .offset:         32
        .size:           8
        .value_kind:     global_buffer
      - .actual_access:  read_only
        .address_space:  global
        .offset:         40
        .size:           8
        .value_kind:     global_buffer
      - .actual_access:  read_only
        .address_space:  global
        .offset:         48
        .size:           8
        .value_kind:     global_buffer
      - .offset:         56
        .size:           4
        .value_kind:     by_value
      - .actual_access:  read_only
        .address_space:  global
        .offset:         64
        .size:           8
        .value_kind:     global_buffer
      - .offset:         72
        .size:           4
        .value_kind:     by_value
      - .offset:         76
        .size:           4
        .value_kind:     by_value
      - .offset:         80
        .size:           4
        .value_kind:     by_value
      - .actual_access:  read_only
        .address_space:  global
        .offset:         88
        .size:           8
        .value_kind:     global_buffer
      - .actual_access:  read_only
        .address_space:  global
        .offset:         96
        .size:           8
        .value_kind:     global_buffer
      - .actual_access:  read_only
        .address_space:  global
        .offset:         104
        .size:           8
        .value_kind:     global_buffer
      - .actual_access:  read_only
        .address_space:  global
        .offset:         112
        .size:           8
        .value_kind:     global_buffer
      - .offset:         120
        .size:           4
        .value_kind:     by_value
      - .address_space:  global
        .offset:         128
        .size:           8
        .value_kind:     global_buffer
      - .address_space:  global
        .offset:         136
        .size:           8
        .value_kind:     global_buffer
      - .offset:         144
        .size:           4
        .value_kind:     hidden_block_count_x
      - .offset:         148
        .size:           4
        .value_kind:     hidden_block_count_y
      - .offset:         152
        .size:           4
        .value_kind:     hidden_block_count_z
      - .offset:         156
        .size:           2
        .value_kind:     hidden_group_size_x
      - .offset:         158
        .size:           2
        .value_kind:     hidden_group_size_y
      - .offset:         160
        .size:           2
        .value_kind:     hidden_group_size_z
      - .offset:         162
        .size:           2
        .value_kind:     hidden_remainder_x
      - .offset:         164
        .size:           2
        .value_kind:     hidden_remainder_y
      - .offset:         166
        .size:           2
        .value_kind:     hidden_remainder_z
      - .offset:         184
        .size:           8
        .value_kind:     hidden_global_offset_x
      - .offset:         192
        .size:           8
        .value_kind:     hidden_global_offset_y
      - .offset:         200
        .size:           8
        .value_kind:     hidden_global_offset_z
      - .offset:         208
        .size:           2
        .value_kind:     hidden_grid_dims
      - .offset:         224
        .size:           8
        .value_kind:     hidden_hostcall_buffer
    .group_segment_fixed_size: 0
    .kernarg_segment_align: 8
    .kernarg_segment_size: 400
    .language:       OpenCL C
    .language_version:
      - 2
      - 0
    .max_flat_workgroup_size: 256
    .name:           _Z39paged_attention_ll4mi_QKV_mfma16_kernelI14__hip_bfloat16hLN4vllm18Fp8KVCacheDataTypeE1ES0_Li32ELi64ELi256ELb1ELi10EEvPKT_PKT0_S8_ifPKiSA_SA_iPKfiiiPfSD_PS3_PT2_iSC_SC_
    .private_segment_fixed_size: 64
    .sgpr_count:     36
    .sgpr_spill_count: 0
    .symbol:         _Z39paged_attention_ll4mi_QKV_mfma16_kernelI14__hip_bfloat16hLN4vllm18Fp8KVCacheDataTypeE1ES0_Li32ELi64ELi256ELb1ELi10EEvPKT_PKT0_S8_ifPKiSA_SA_iPKfiiiPfSD_PS3_PT2_iSC_SC_.kd
    .uniform_work_group_size: 1
    .uses_dynamic_stack: false
    .vgpr_count:     51
    .vgpr_spill_count: 0
    .wavefront_size: 32
  - .args:
      - .actual_access:  read_only
        .address_space:  global
        .offset:         0
        .size:           8
        .value_kind:     global_buffer
      - .actual_access:  read_only
        .address_space:  global
        .offset:         8
        .size:           8
        .value_kind:     global_buffer
      - .actual_access:  read_only
        .address_space:  global
        .offset:         16
        .size:           8
        .value_kind:     global_buffer
      - .offset:         24
        .size:           4
        .value_kind:     by_value
      - .offset:         28
        .size:           4
        .value_kind:     by_value
      - .actual_access:  read_only
        .address_space:  global
        .offset:         32
        .size:           8
        .value_kind:     global_buffer
      - .actual_access:  read_only
        .address_space:  global
        .offset:         40
        .size:           8
        .value_kind:     global_buffer
      - .actual_access:  read_only
        .address_space:  global
        .offset:         48
        .size:           8
        .value_kind:     global_buffer
      - .offset:         56
        .size:           4
        .value_kind:     by_value
      - .actual_access:  read_only
        .address_space:  global
        .offset:         64
        .size:           8
        .value_kind:     global_buffer
      - .offset:         72
        .size:           4
        .value_kind:     by_value
      - .offset:         76
        .size:           4
        .value_kind:     by_value
      - .offset:         80
        .size:           4
        .value_kind:     by_value
      - .actual_access:  read_only
        .address_space:  global
        .offset:         88
        .size:           8
        .value_kind:     global_buffer
      - .actual_access:  read_only
        .address_space:  global
        .offset:         96
        .size:           8
        .value_kind:     global_buffer
      - .actual_access:  read_only
        .address_space:  global
        .offset:         104
        .size:           8
        .value_kind:     global_buffer
      - .actual_access:  read_only
        .address_space:  global
        .offset:         112
        .size:           8
        .value_kind:     global_buffer
      - .offset:         120
        .size:           4
        .value_kind:     by_value
      - .address_space:  global
        .offset:         128
        .size:           8
        .value_kind:     global_buffer
      - .address_space:  global
        .offset:         136
        .size:           8
        .value_kind:     global_buffer
      - .offset:         144
        .size:           4
        .value_kind:     hidden_block_count_x
      - .offset:         148
        .size:           4
        .value_kind:     hidden_block_count_y
      - .offset:         152
        .size:           4
        .value_kind:     hidden_block_count_z
      - .offset:         156
        .size:           2
        .value_kind:     hidden_group_size_x
      - .offset:         158
        .size:           2
        .value_kind:     hidden_group_size_y
      - .offset:         160
        .size:           2
        .value_kind:     hidden_group_size_z
      - .offset:         162
        .size:           2
        .value_kind:     hidden_remainder_x
      - .offset:         164
        .size:           2
        .value_kind:     hidden_remainder_y
      - .offset:         166
        .size:           2
        .value_kind:     hidden_remainder_z
      - .offset:         184
        .size:           8
        .value_kind:     hidden_global_offset_x
      - .offset:         192
        .size:           8
        .value_kind:     hidden_global_offset_y
      - .offset:         200
        .size:           8
        .value_kind:     hidden_global_offset_z
      - .offset:         208
        .size:           2
        .value_kind:     hidden_grid_dims
      - .offset:         224
        .size:           8
        .value_kind:     hidden_hostcall_buffer
    .group_segment_fixed_size: 0
    .kernarg_segment_align: 8
    .kernarg_segment_size: 400
    .language:       OpenCL C
    .language_version:
      - 2
      - 0
    .max_flat_workgroup_size: 256
    .name:           _Z39paged_attention_ll4mi_QKV_mfma16_kernelI14__hip_bfloat16hLN4vllm18Fp8KVCacheDataTypeE1ES0_Li32ELi64ELi256ELb1ELi11EEvPKT_PKT0_S8_ifPKiSA_SA_iPKfiiiPfSD_PS3_PT2_iSC_SC_
    .private_segment_fixed_size: 64
    .sgpr_count:     36
    .sgpr_spill_count: 0
    .symbol:         _Z39paged_attention_ll4mi_QKV_mfma16_kernelI14__hip_bfloat16hLN4vllm18Fp8KVCacheDataTypeE1ES0_Li32ELi64ELi256ELb1ELi11EEvPKT_PKT0_S8_ifPKiSA_SA_iPKfiiiPfSD_PS3_PT2_iSC_SC_.kd
    .uniform_work_group_size: 1
    .uses_dynamic_stack: false
    .vgpr_count:     51
    .vgpr_spill_count: 0
    .wavefront_size: 32
  - .args:
      - .actual_access:  read_only
        .address_space:  global
        .offset:         0
        .size:           8
        .value_kind:     global_buffer
      - .actual_access:  read_only
        .address_space:  global
        .offset:         8
        .size:           8
        .value_kind:     global_buffer
      - .actual_access:  read_only
        .address_space:  global
        .offset:         16
        .size:           8
        .value_kind:     global_buffer
      - .offset:         24
        .size:           4
        .value_kind:     by_value
      - .offset:         28
        .size:           4
        .value_kind:     by_value
      - .actual_access:  read_only
        .address_space:  global
        .offset:         32
        .size:           8
        .value_kind:     global_buffer
      - .actual_access:  read_only
        .address_space:  global
        .offset:         40
        .size:           8
        .value_kind:     global_buffer
      - .actual_access:  read_only
        .address_space:  global
        .offset:         48
        .size:           8
        .value_kind:     global_buffer
      - .offset:         56
        .size:           4
        .value_kind:     by_value
      - .actual_access:  read_only
        .address_space:  global
        .offset:         64
        .size:           8
        .value_kind:     global_buffer
      - .offset:         72
        .size:           4
        .value_kind:     by_value
      - .offset:         76
        .size:           4
        .value_kind:     by_value
      - .offset:         80
        .size:           4
        .value_kind:     by_value
      - .actual_access:  read_only
        .address_space:  global
        .offset:         88
        .size:           8
        .value_kind:     global_buffer
      - .actual_access:  read_only
        .address_space:  global
        .offset:         96
        .size:           8
        .value_kind:     global_buffer
      - .actual_access:  read_only
        .address_space:  global
        .offset:         104
        .size:           8
        .value_kind:     global_buffer
      - .actual_access:  read_only
        .address_space:  global
        .offset:         112
        .size:           8
        .value_kind:     global_buffer
      - .offset:         120
        .size:           4
        .value_kind:     by_value
      - .address_space:  global
        .offset:         128
        .size:           8
        .value_kind:     global_buffer
      - .address_space:  global
        .offset:         136
        .size:           8
        .value_kind:     global_buffer
      - .offset:         144
        .size:           4
        .value_kind:     hidden_block_count_x
      - .offset:         148
        .size:           4
        .value_kind:     hidden_block_count_y
      - .offset:         152
        .size:           4
        .value_kind:     hidden_block_count_z
      - .offset:         156
        .size:           2
        .value_kind:     hidden_group_size_x
      - .offset:         158
        .size:           2
        .value_kind:     hidden_group_size_y
      - .offset:         160
        .size:           2
        .value_kind:     hidden_group_size_z
      - .offset:         162
        .size:           2
        .value_kind:     hidden_remainder_x
      - .offset:         164
        .size:           2
        .value_kind:     hidden_remainder_y
      - .offset:         166
        .size:           2
        .value_kind:     hidden_remainder_z
      - .offset:         184
        .size:           8
        .value_kind:     hidden_global_offset_x
      - .offset:         192
        .size:           8
        .value_kind:     hidden_global_offset_y
      - .offset:         200
        .size:           8
        .value_kind:     hidden_global_offset_z
      - .offset:         208
        .size:           2
        .value_kind:     hidden_grid_dims
      - .offset:         224
        .size:           8
        .value_kind:     hidden_hostcall_buffer
    .group_segment_fixed_size: 0
    .kernarg_segment_align: 8
    .kernarg_segment_size: 400
    .language:       OpenCL C
    .language_version:
      - 2
      - 0
    .max_flat_workgroup_size: 256
    .name:           _Z39paged_attention_ll4mi_QKV_mfma16_kernelI14__hip_bfloat16hLN4vllm18Fp8KVCacheDataTypeE1ES0_Li32ELi64ELi256ELb1ELi12EEvPKT_PKT0_S8_ifPKiSA_SA_iPKfiiiPfSD_PS3_PT2_iSC_SC_
    .private_segment_fixed_size: 64
    .sgpr_count:     36
    .sgpr_spill_count: 0
    .symbol:         _Z39paged_attention_ll4mi_QKV_mfma16_kernelI14__hip_bfloat16hLN4vllm18Fp8KVCacheDataTypeE1ES0_Li32ELi64ELi256ELb1ELi12EEvPKT_PKT0_S8_ifPKiSA_SA_iPKfiiiPfSD_PS3_PT2_iSC_SC_.kd
    .uniform_work_group_size: 1
    .uses_dynamic_stack: false
    .vgpr_count:     51
    .vgpr_spill_count: 0
    .wavefront_size: 32
  - .args:
      - .actual_access:  read_only
        .address_space:  global
        .offset:         0
        .size:           8
        .value_kind:     global_buffer
      - .actual_access:  read_only
        .address_space:  global
        .offset:         8
        .size:           8
        .value_kind:     global_buffer
      - .actual_access:  read_only
        .address_space:  global
        .offset:         16
        .size:           8
        .value_kind:     global_buffer
      - .offset:         24
        .size:           4
        .value_kind:     by_value
      - .offset:         28
        .size:           4
        .value_kind:     by_value
      - .actual_access:  read_only
        .address_space:  global
        .offset:         32
        .size:           8
        .value_kind:     global_buffer
      - .actual_access:  read_only
        .address_space:  global
        .offset:         40
        .size:           8
        .value_kind:     global_buffer
      - .actual_access:  read_only
        .address_space:  global
        .offset:         48
        .size:           8
        .value_kind:     global_buffer
      - .offset:         56
        .size:           4
        .value_kind:     by_value
      - .actual_access:  read_only
        .address_space:  global
        .offset:         64
        .size:           8
        .value_kind:     global_buffer
      - .offset:         72
        .size:           4
        .value_kind:     by_value
      - .offset:         76
        .size:           4
        .value_kind:     by_value
      - .offset:         80
        .size:           4
        .value_kind:     by_value
      - .actual_access:  read_only
        .address_space:  global
        .offset:         88
        .size:           8
        .value_kind:     global_buffer
      - .actual_access:  read_only
        .address_space:  global
        .offset:         96
        .size:           8
        .value_kind:     global_buffer
      - .actual_access:  read_only
        .address_space:  global
        .offset:         104
        .size:           8
        .value_kind:     global_buffer
      - .actual_access:  read_only
        .address_space:  global
        .offset:         112
        .size:           8
        .value_kind:     global_buffer
      - .offset:         120
        .size:           4
        .value_kind:     by_value
      - .address_space:  global
        .offset:         128
        .size:           8
        .value_kind:     global_buffer
      - .address_space:  global
        .offset:         136
        .size:           8
        .value_kind:     global_buffer
      - .offset:         144
        .size:           4
        .value_kind:     hidden_block_count_x
      - .offset:         148
        .size:           4
        .value_kind:     hidden_block_count_y
      - .offset:         152
        .size:           4
        .value_kind:     hidden_block_count_z
      - .offset:         156
        .size:           2
        .value_kind:     hidden_group_size_x
      - .offset:         158
        .size:           2
        .value_kind:     hidden_group_size_y
      - .offset:         160
        .size:           2
        .value_kind:     hidden_group_size_z
      - .offset:         162
        .size:           2
        .value_kind:     hidden_remainder_x
      - .offset:         164
        .size:           2
        .value_kind:     hidden_remainder_y
      - .offset:         166
        .size:           2
        .value_kind:     hidden_remainder_z
      - .offset:         184
        .size:           8
        .value_kind:     hidden_global_offset_x
      - .offset:         192
        .size:           8
        .value_kind:     hidden_global_offset_y
      - .offset:         200
        .size:           8
        .value_kind:     hidden_global_offset_z
      - .offset:         208
        .size:           2
        .value_kind:     hidden_grid_dims
      - .offset:         224
        .size:           8
        .value_kind:     hidden_hostcall_buffer
    .group_segment_fixed_size: 0
    .kernarg_segment_align: 8
    .kernarg_segment_size: 400
    .language:       OpenCL C
    .language_version:
      - 2
      - 0
    .max_flat_workgroup_size: 256
    .name:           _Z39paged_attention_ll4mi_QKV_mfma16_kernelI14__hip_bfloat16hLN4vllm18Fp8KVCacheDataTypeE1ES0_Li32ELi64ELi256ELb1ELi13EEvPKT_PKT0_S8_ifPKiSA_SA_iPKfiiiPfSD_PS3_PT2_iSC_SC_
    .private_segment_fixed_size: 64
    .sgpr_count:     36
    .sgpr_spill_count: 0
    .symbol:         _Z39paged_attention_ll4mi_QKV_mfma16_kernelI14__hip_bfloat16hLN4vllm18Fp8KVCacheDataTypeE1ES0_Li32ELi64ELi256ELb1ELi13EEvPKT_PKT0_S8_ifPKiSA_SA_iPKfiiiPfSD_PS3_PT2_iSC_SC_.kd
    .uniform_work_group_size: 1
    .uses_dynamic_stack: false
    .vgpr_count:     51
    .vgpr_spill_count: 0
    .wavefront_size: 32
  - .args:
      - .actual_access:  read_only
        .address_space:  global
        .offset:         0
        .size:           8
        .value_kind:     global_buffer
      - .actual_access:  read_only
        .address_space:  global
        .offset:         8
        .size:           8
        .value_kind:     global_buffer
      - .actual_access:  read_only
        .address_space:  global
        .offset:         16
        .size:           8
        .value_kind:     global_buffer
      - .offset:         24
        .size:           4
        .value_kind:     by_value
      - .offset:         28
        .size:           4
        .value_kind:     by_value
      - .actual_access:  read_only
        .address_space:  global
        .offset:         32
        .size:           8
        .value_kind:     global_buffer
      - .actual_access:  read_only
        .address_space:  global
        .offset:         40
        .size:           8
        .value_kind:     global_buffer
      - .actual_access:  read_only
        .address_space:  global
        .offset:         48
        .size:           8
        .value_kind:     global_buffer
      - .offset:         56
        .size:           4
        .value_kind:     by_value
      - .actual_access:  read_only
        .address_space:  global
        .offset:         64
        .size:           8
        .value_kind:     global_buffer
      - .offset:         72
        .size:           4
        .value_kind:     by_value
      - .offset:         76
        .size:           4
        .value_kind:     by_value
      - .offset:         80
        .size:           4
        .value_kind:     by_value
      - .actual_access:  read_only
        .address_space:  global
        .offset:         88
        .size:           8
        .value_kind:     global_buffer
      - .actual_access:  read_only
        .address_space:  global
        .offset:         96
        .size:           8
        .value_kind:     global_buffer
      - .actual_access:  read_only
        .address_space:  global
        .offset:         104
        .size:           8
        .value_kind:     global_buffer
      - .actual_access:  read_only
        .address_space:  global
        .offset:         112
        .size:           8
        .value_kind:     global_buffer
      - .offset:         120
        .size:           4
        .value_kind:     by_value
      - .address_space:  global
        .offset:         128
        .size:           8
        .value_kind:     global_buffer
      - .address_space:  global
        .offset:         136
        .size:           8
        .value_kind:     global_buffer
      - .offset:         144
        .size:           4
        .value_kind:     hidden_block_count_x
      - .offset:         148
        .size:           4
        .value_kind:     hidden_block_count_y
      - .offset:         152
        .size:           4
        .value_kind:     hidden_block_count_z
      - .offset:         156
        .size:           2
        .value_kind:     hidden_group_size_x
      - .offset:         158
        .size:           2
        .value_kind:     hidden_group_size_y
      - .offset:         160
        .size:           2
        .value_kind:     hidden_group_size_z
      - .offset:         162
        .size:           2
        .value_kind:     hidden_remainder_x
      - .offset:         164
        .size:           2
        .value_kind:     hidden_remainder_y
      - .offset:         166
        .size:           2
        .value_kind:     hidden_remainder_z
      - .offset:         184
        .size:           8
        .value_kind:     hidden_global_offset_x
      - .offset:         192
        .size:           8
        .value_kind:     hidden_global_offset_y
      - .offset:         200
        .size:           8
        .value_kind:     hidden_global_offset_z
      - .offset:         208
        .size:           2
        .value_kind:     hidden_grid_dims
      - .offset:         224
        .size:           8
        .value_kind:     hidden_hostcall_buffer
    .group_segment_fixed_size: 0
    .kernarg_segment_align: 8
    .kernarg_segment_size: 400
    .language:       OpenCL C
    .language_version:
      - 2
      - 0
    .max_flat_workgroup_size: 256
    .name:           _Z39paged_attention_ll4mi_QKV_mfma16_kernelI14__hip_bfloat16hLN4vllm18Fp8KVCacheDataTypeE1ES0_Li32ELi64ELi256ELb1ELi14EEvPKT_PKT0_S8_ifPKiSA_SA_iPKfiiiPfSD_PS3_PT2_iSC_SC_
    .private_segment_fixed_size: 64
    .sgpr_count:     36
    .sgpr_spill_count: 0
    .symbol:         _Z39paged_attention_ll4mi_QKV_mfma16_kernelI14__hip_bfloat16hLN4vllm18Fp8KVCacheDataTypeE1ES0_Li32ELi64ELi256ELb1ELi14EEvPKT_PKT0_S8_ifPKiSA_SA_iPKfiiiPfSD_PS3_PT2_iSC_SC_.kd
    .uniform_work_group_size: 1
    .uses_dynamic_stack: false
    .vgpr_count:     51
    .vgpr_spill_count: 0
    .wavefront_size: 32
  - .args:
      - .actual_access:  read_only
        .address_space:  global
        .offset:         0
        .size:           8
        .value_kind:     global_buffer
      - .actual_access:  read_only
        .address_space:  global
        .offset:         8
        .size:           8
        .value_kind:     global_buffer
      - .actual_access:  read_only
        .address_space:  global
        .offset:         16
        .size:           8
        .value_kind:     global_buffer
      - .offset:         24
        .size:           4
        .value_kind:     by_value
      - .offset:         28
        .size:           4
        .value_kind:     by_value
      - .actual_access:  read_only
        .address_space:  global
        .offset:         32
        .size:           8
        .value_kind:     global_buffer
      - .actual_access:  read_only
        .address_space:  global
        .offset:         40
        .size:           8
        .value_kind:     global_buffer
      - .actual_access:  read_only
        .address_space:  global
        .offset:         48
        .size:           8
        .value_kind:     global_buffer
      - .offset:         56
        .size:           4
        .value_kind:     by_value
      - .actual_access:  read_only
        .address_space:  global
        .offset:         64
        .size:           8
        .value_kind:     global_buffer
      - .offset:         72
        .size:           4
        .value_kind:     by_value
      - .offset:         76
        .size:           4
        .value_kind:     by_value
      - .offset:         80
        .size:           4
        .value_kind:     by_value
      - .actual_access:  read_only
        .address_space:  global
        .offset:         88
        .size:           8
        .value_kind:     global_buffer
      - .actual_access:  read_only
        .address_space:  global
        .offset:         96
        .size:           8
        .value_kind:     global_buffer
      - .actual_access:  read_only
        .address_space:  global
        .offset:         104
        .size:           8
        .value_kind:     global_buffer
      - .actual_access:  read_only
        .address_space:  global
        .offset:         112
        .size:           8
        .value_kind:     global_buffer
      - .offset:         120
        .size:           4
        .value_kind:     by_value
      - .address_space:  global
        .offset:         128
        .size:           8
        .value_kind:     global_buffer
      - .address_space:  global
        .offset:         136
        .size:           8
        .value_kind:     global_buffer
      - .offset:         144
        .size:           4
        .value_kind:     hidden_block_count_x
      - .offset:         148
        .size:           4
        .value_kind:     hidden_block_count_y
      - .offset:         152
        .size:           4
        .value_kind:     hidden_block_count_z
      - .offset:         156
        .size:           2
        .value_kind:     hidden_group_size_x
      - .offset:         158
        .size:           2
        .value_kind:     hidden_group_size_y
      - .offset:         160
        .size:           2
        .value_kind:     hidden_group_size_z
      - .offset:         162
        .size:           2
        .value_kind:     hidden_remainder_x
      - .offset:         164
        .size:           2
        .value_kind:     hidden_remainder_y
      - .offset:         166
        .size:           2
        .value_kind:     hidden_remainder_z
      - .offset:         184
        .size:           8
        .value_kind:     hidden_global_offset_x
      - .offset:         192
        .size:           8
        .value_kind:     hidden_global_offset_y
      - .offset:         200
        .size:           8
        .value_kind:     hidden_global_offset_z
      - .offset:         208
        .size:           2
        .value_kind:     hidden_grid_dims
      - .offset:         224
        .size:           8
        .value_kind:     hidden_hostcall_buffer
    .group_segment_fixed_size: 0
    .kernarg_segment_align: 8
    .kernarg_segment_size: 400
    .language:       OpenCL C
    .language_version:
      - 2
      - 0
    .max_flat_workgroup_size: 256
    .name:           _Z39paged_attention_ll4mi_QKV_mfma16_kernelI14__hip_bfloat16hLN4vllm18Fp8KVCacheDataTypeE1ES0_Li32ELi64ELi256ELb1ELi15EEvPKT_PKT0_S8_ifPKiSA_SA_iPKfiiiPfSD_PS3_PT2_iSC_SC_
    .private_segment_fixed_size: 64
    .sgpr_count:     36
    .sgpr_spill_count: 0
    .symbol:         _Z39paged_attention_ll4mi_QKV_mfma16_kernelI14__hip_bfloat16hLN4vllm18Fp8KVCacheDataTypeE1ES0_Li32ELi64ELi256ELb1ELi15EEvPKT_PKT0_S8_ifPKiSA_SA_iPKfiiiPfSD_PS3_PT2_iSC_SC_.kd
    .uniform_work_group_size: 1
    .uses_dynamic_stack: false
    .vgpr_count:     51
    .vgpr_spill_count: 0
    .wavefront_size: 32
  - .args:
      - .actual_access:  read_only
        .address_space:  global
        .offset:         0
        .size:           8
        .value_kind:     global_buffer
      - .actual_access:  read_only
        .address_space:  global
        .offset:         8
        .size:           8
        .value_kind:     global_buffer
      - .actual_access:  read_only
        .address_space:  global
        .offset:         16
        .size:           8
        .value_kind:     global_buffer
      - .offset:         24
        .size:           4
        .value_kind:     by_value
      - .offset:         28
        .size:           4
        .value_kind:     by_value
      - .actual_access:  read_only
        .address_space:  global
        .offset:         32
        .size:           8
        .value_kind:     global_buffer
      - .actual_access:  read_only
        .address_space:  global
        .offset:         40
        .size:           8
        .value_kind:     global_buffer
      - .actual_access:  read_only
        .address_space:  global
        .offset:         48
        .size:           8
        .value_kind:     global_buffer
      - .offset:         56
        .size:           4
        .value_kind:     by_value
      - .actual_access:  read_only
        .address_space:  global
        .offset:         64
        .size:           8
        .value_kind:     global_buffer
      - .offset:         72
        .size:           4
        .value_kind:     by_value
      - .offset:         76
        .size:           4
        .value_kind:     by_value
      - .offset:         80
        .size:           4
        .value_kind:     by_value
      - .actual_access:  read_only
        .address_space:  global
        .offset:         88
        .size:           8
        .value_kind:     global_buffer
      - .actual_access:  read_only
        .address_space:  global
        .offset:         96
        .size:           8
        .value_kind:     global_buffer
      - .actual_access:  read_only
        .address_space:  global
        .offset:         104
        .size:           8
        .value_kind:     global_buffer
      - .actual_access:  read_only
        .address_space:  global
        .offset:         112
        .size:           8
        .value_kind:     global_buffer
      - .offset:         120
        .size:           4
        .value_kind:     by_value
      - .address_space:  global
        .offset:         128
        .size:           8
        .value_kind:     global_buffer
      - .address_space:  global
        .offset:         136
        .size:           8
        .value_kind:     global_buffer
      - .offset:         144
        .size:           4
        .value_kind:     hidden_block_count_x
      - .offset:         148
        .size:           4
        .value_kind:     hidden_block_count_y
      - .offset:         152
        .size:           4
        .value_kind:     hidden_block_count_z
      - .offset:         156
        .size:           2
        .value_kind:     hidden_group_size_x
      - .offset:         158
        .size:           2
        .value_kind:     hidden_group_size_y
      - .offset:         160
        .size:           2
        .value_kind:     hidden_group_size_z
      - .offset:         162
        .size:           2
        .value_kind:     hidden_remainder_x
      - .offset:         164
        .size:           2
        .value_kind:     hidden_remainder_y
      - .offset:         166
        .size:           2
        .value_kind:     hidden_remainder_z
      - .offset:         184
        .size:           8
        .value_kind:     hidden_global_offset_x
      - .offset:         192
        .size:           8
        .value_kind:     hidden_global_offset_y
      - .offset:         200
        .size:           8
        .value_kind:     hidden_global_offset_z
      - .offset:         208
        .size:           2
        .value_kind:     hidden_grid_dims
      - .offset:         224
        .size:           8
        .value_kind:     hidden_hostcall_buffer
    .group_segment_fixed_size: 0
    .kernarg_segment_align: 8
    .kernarg_segment_size: 400
    .language:       OpenCL C
    .language_version:
      - 2
      - 0
    .max_flat_workgroup_size: 256
    .name:           _Z39paged_attention_ll4mi_QKV_mfma16_kernelI14__hip_bfloat16hLN4vllm18Fp8KVCacheDataTypeE1ES0_Li32ELi64ELi256ELb1ELi16EEvPKT_PKT0_S8_ifPKiSA_SA_iPKfiiiPfSD_PS3_PT2_iSC_SC_
    .private_segment_fixed_size: 64
    .sgpr_count:     36
    .sgpr_spill_count: 0
    .symbol:         _Z39paged_attention_ll4mi_QKV_mfma16_kernelI14__hip_bfloat16hLN4vllm18Fp8KVCacheDataTypeE1ES0_Li32ELi64ELi256ELb1ELi16EEvPKT_PKT0_S8_ifPKiSA_SA_iPKfiiiPfSD_PS3_PT2_iSC_SC_.kd
    .uniform_work_group_size: 1
    .uses_dynamic_stack: false
    .vgpr_count:     51
    .vgpr_spill_count: 0
    .wavefront_size: 32
  - .args:
      - .actual_access:  read_only
        .address_space:  global
        .offset:         0
        .size:           8
        .value_kind:     global_buffer
      - .actual_access:  read_only
        .address_space:  global
        .offset:         8
        .size:           8
        .value_kind:     global_buffer
      - .actual_access:  read_only
        .address_space:  global
        .offset:         16
        .size:           8
        .value_kind:     global_buffer
      - .offset:         24
        .size:           4
        .value_kind:     by_value
      - .offset:         28
        .size:           4
        .value_kind:     by_value
      - .actual_access:  read_only
        .address_space:  global
        .offset:         32
        .size:           8
        .value_kind:     global_buffer
      - .actual_access:  read_only
        .address_space:  global
        .offset:         40
        .size:           8
        .value_kind:     global_buffer
      - .actual_access:  read_only
        .address_space:  global
        .offset:         48
        .size:           8
        .value_kind:     global_buffer
      - .offset:         56
        .size:           4
        .value_kind:     by_value
      - .actual_access:  read_only
        .address_space:  global
        .offset:         64
        .size:           8
        .value_kind:     global_buffer
      - .offset:         72
        .size:           4
        .value_kind:     by_value
      - .offset:         76
        .size:           4
        .value_kind:     by_value
      - .offset:         80
        .size:           4
        .value_kind:     by_value
      - .actual_access:  read_only
        .address_space:  global
        .offset:         88
        .size:           8
        .value_kind:     global_buffer
      - .actual_access:  read_only
        .address_space:  global
        .offset:         96
        .size:           8
        .value_kind:     global_buffer
      - .actual_access:  read_only
        .address_space:  global
        .offset:         104
        .size:           8
        .value_kind:     global_buffer
      - .actual_access:  read_only
        .address_space:  global
        .offset:         112
        .size:           8
        .value_kind:     global_buffer
      - .offset:         120
        .size:           4
        .value_kind:     by_value
      - .address_space:  global
        .offset:         128
        .size:           8
        .value_kind:     global_buffer
      - .address_space:  global
        .offset:         136
        .size:           8
        .value_kind:     global_buffer
      - .offset:         144
        .size:           4
        .value_kind:     hidden_block_count_x
      - .offset:         148
        .size:           4
        .value_kind:     hidden_block_count_y
      - .offset:         152
        .size:           4
        .value_kind:     hidden_block_count_z
      - .offset:         156
        .size:           2
        .value_kind:     hidden_group_size_x
      - .offset:         158
        .size:           2
        .value_kind:     hidden_group_size_y
      - .offset:         160
        .size:           2
        .value_kind:     hidden_group_size_z
      - .offset:         162
        .size:           2
        .value_kind:     hidden_remainder_x
      - .offset:         164
        .size:           2
        .value_kind:     hidden_remainder_y
      - .offset:         166
        .size:           2
        .value_kind:     hidden_remainder_z
      - .offset:         184
        .size:           8
        .value_kind:     hidden_global_offset_x
      - .offset:         192
        .size:           8
        .value_kind:     hidden_global_offset_y
      - .offset:         200
        .size:           8
        .value_kind:     hidden_global_offset_z
      - .offset:         208
        .size:           2
        .value_kind:     hidden_grid_dims
      - .offset:         224
        .size:           8
        .value_kind:     hidden_hostcall_buffer
    .group_segment_fixed_size: 0
    .kernarg_segment_align: 8
    .kernarg_segment_size: 400
    .language:       OpenCL C
    .language_version:
      - 2
      - 0
    .max_flat_workgroup_size: 256
    .name:           _Z39paged_attention_ll4mi_QKV_mfma16_kernelI14__hip_bfloat16hLN4vllm18Fp8KVCacheDataTypeE1ES0_Li32ELi64ELi256ELb1ELi1EEvPKT_PKT0_S8_ifPKiSA_SA_iPKfiiiPfSD_PS3_PT2_iSC_SC_
    .private_segment_fixed_size: 64
    .sgpr_count:     36
    .sgpr_spill_count: 0
    .symbol:         _Z39paged_attention_ll4mi_QKV_mfma16_kernelI14__hip_bfloat16hLN4vllm18Fp8KVCacheDataTypeE1ES0_Li32ELi64ELi256ELb1ELi1EEvPKT_PKT0_S8_ifPKiSA_SA_iPKfiiiPfSD_PS3_PT2_iSC_SC_.kd
    .uniform_work_group_size: 1
    .uses_dynamic_stack: false
    .vgpr_count:     51
    .vgpr_spill_count: 0
    .wavefront_size: 32
  - .args:
      - .actual_access:  read_only
        .address_space:  global
        .offset:         0
        .size:           8
        .value_kind:     global_buffer
      - .actual_access:  read_only
        .address_space:  global
        .offset:         8
        .size:           8
        .value_kind:     global_buffer
      - .actual_access:  read_only
        .address_space:  global
        .offset:         16
        .size:           8
        .value_kind:     global_buffer
      - .offset:         24
        .size:           4
        .value_kind:     by_value
      - .offset:         28
        .size:           4
        .value_kind:     by_value
      - .actual_access:  read_only
        .address_space:  global
        .offset:         32
        .size:           8
        .value_kind:     global_buffer
      - .actual_access:  read_only
        .address_space:  global
        .offset:         40
        .size:           8
        .value_kind:     global_buffer
      - .actual_access:  read_only
        .address_space:  global
        .offset:         48
        .size:           8
        .value_kind:     global_buffer
      - .offset:         56
        .size:           4
        .value_kind:     by_value
      - .actual_access:  read_only
        .address_space:  global
        .offset:         64
        .size:           8
        .value_kind:     global_buffer
      - .offset:         72
        .size:           4
        .value_kind:     by_value
      - .offset:         76
        .size:           4
        .value_kind:     by_value
      - .offset:         80
        .size:           4
        .value_kind:     by_value
      - .actual_access:  read_only
        .address_space:  global
        .offset:         88
        .size:           8
        .value_kind:     global_buffer
      - .actual_access:  read_only
        .address_space:  global
        .offset:         96
        .size:           8
        .value_kind:     global_buffer
      - .actual_access:  read_only
        .address_space:  global
        .offset:         104
        .size:           8
        .value_kind:     global_buffer
      - .actual_access:  read_only
        .address_space:  global
        .offset:         112
        .size:           8
        .value_kind:     global_buffer
      - .offset:         120
        .size:           4
        .value_kind:     by_value
      - .address_space:  global
        .offset:         128
        .size:           8
        .value_kind:     global_buffer
      - .address_space:  global
        .offset:         136
        .size:           8
        .value_kind:     global_buffer
      - .offset:         144
        .size:           4
        .value_kind:     hidden_block_count_x
      - .offset:         148
        .size:           4
        .value_kind:     hidden_block_count_y
      - .offset:         152
        .size:           4
        .value_kind:     hidden_block_count_z
      - .offset:         156
        .size:           2
        .value_kind:     hidden_group_size_x
      - .offset:         158
        .size:           2
        .value_kind:     hidden_group_size_y
      - .offset:         160
        .size:           2
        .value_kind:     hidden_group_size_z
      - .offset:         162
        .size:           2
        .value_kind:     hidden_remainder_x
      - .offset:         164
        .size:           2
        .value_kind:     hidden_remainder_y
      - .offset:         166
        .size:           2
        .value_kind:     hidden_remainder_z
      - .offset:         184
        .size:           8
        .value_kind:     hidden_global_offset_x
      - .offset:         192
        .size:           8
        .value_kind:     hidden_global_offset_y
      - .offset:         200
        .size:           8
        .value_kind:     hidden_global_offset_z
      - .offset:         208
        .size:           2
        .value_kind:     hidden_grid_dims
      - .offset:         224
        .size:           8
        .value_kind:     hidden_hostcall_buffer
    .group_segment_fixed_size: 0
    .kernarg_segment_align: 8
    .kernarg_segment_size: 400
    .language:       OpenCL C
    .language_version:
      - 2
      - 0
    .max_flat_workgroup_size: 256
    .name:           _Z39paged_attention_ll4mi_QKV_mfma16_kernelI14__hip_bfloat16hLN4vllm18Fp8KVCacheDataTypeE1ES0_Li32ELi64ELi256ELb1ELi2EEvPKT_PKT0_S8_ifPKiSA_SA_iPKfiiiPfSD_PS3_PT2_iSC_SC_
    .private_segment_fixed_size: 64
    .sgpr_count:     36
    .sgpr_spill_count: 0
    .symbol:         _Z39paged_attention_ll4mi_QKV_mfma16_kernelI14__hip_bfloat16hLN4vllm18Fp8KVCacheDataTypeE1ES0_Li32ELi64ELi256ELb1ELi2EEvPKT_PKT0_S8_ifPKiSA_SA_iPKfiiiPfSD_PS3_PT2_iSC_SC_.kd
    .uniform_work_group_size: 1
    .uses_dynamic_stack: false
    .vgpr_count:     51
    .vgpr_spill_count: 0
    .wavefront_size: 32
  - .args:
      - .actual_access:  read_only
        .address_space:  global
        .offset:         0
        .size:           8
        .value_kind:     global_buffer
      - .actual_access:  read_only
        .address_space:  global
        .offset:         8
        .size:           8
        .value_kind:     global_buffer
      - .actual_access:  read_only
        .address_space:  global
        .offset:         16
        .size:           8
        .value_kind:     global_buffer
      - .offset:         24
        .size:           4
        .value_kind:     by_value
      - .offset:         28
        .size:           4
        .value_kind:     by_value
      - .actual_access:  read_only
        .address_space:  global
        .offset:         32
        .size:           8
        .value_kind:     global_buffer
      - .actual_access:  read_only
        .address_space:  global
        .offset:         40
        .size:           8
        .value_kind:     global_buffer
      - .actual_access:  read_only
        .address_space:  global
        .offset:         48
        .size:           8
        .value_kind:     global_buffer
      - .offset:         56
        .size:           4
        .value_kind:     by_value
      - .actual_access:  read_only
        .address_space:  global
        .offset:         64
        .size:           8
        .value_kind:     global_buffer
      - .offset:         72
        .size:           4
        .value_kind:     by_value
      - .offset:         76
        .size:           4
        .value_kind:     by_value
      - .offset:         80
        .size:           4
        .value_kind:     by_value
      - .actual_access:  read_only
        .address_space:  global
        .offset:         88
        .size:           8
        .value_kind:     global_buffer
      - .actual_access:  read_only
        .address_space:  global
        .offset:         96
        .size:           8
        .value_kind:     global_buffer
      - .actual_access:  read_only
        .address_space:  global
        .offset:         104
        .size:           8
        .value_kind:     global_buffer
      - .actual_access:  read_only
        .address_space:  global
        .offset:         112
        .size:           8
        .value_kind:     global_buffer
      - .offset:         120
        .size:           4
        .value_kind:     by_value
      - .address_space:  global
        .offset:         128
        .size:           8
        .value_kind:     global_buffer
      - .address_space:  global
        .offset:         136
        .size:           8
        .value_kind:     global_buffer
      - .offset:         144
        .size:           4
        .value_kind:     hidden_block_count_x
      - .offset:         148
        .size:           4
        .value_kind:     hidden_block_count_y
      - .offset:         152
        .size:           4
        .value_kind:     hidden_block_count_z
      - .offset:         156
        .size:           2
        .value_kind:     hidden_group_size_x
      - .offset:         158
        .size:           2
        .value_kind:     hidden_group_size_y
      - .offset:         160
        .size:           2
        .value_kind:     hidden_group_size_z
      - .offset:         162
        .size:           2
        .value_kind:     hidden_remainder_x
      - .offset:         164
        .size:           2
        .value_kind:     hidden_remainder_y
      - .offset:         166
        .size:           2
        .value_kind:     hidden_remainder_z
      - .offset:         184
        .size:           8
        .value_kind:     hidden_global_offset_x
      - .offset:         192
        .size:           8
        .value_kind:     hidden_global_offset_y
      - .offset:         200
        .size:           8
        .value_kind:     hidden_global_offset_z
      - .offset:         208
        .size:           2
        .value_kind:     hidden_grid_dims
      - .offset:         224
        .size:           8
        .value_kind:     hidden_hostcall_buffer
    .group_segment_fixed_size: 0
    .kernarg_segment_align: 8
    .kernarg_segment_size: 400
    .language:       OpenCL C
    .language_version:
      - 2
      - 0
    .max_flat_workgroup_size: 256
    .name:           _Z39paged_attention_ll4mi_QKV_mfma16_kernelI14__hip_bfloat16hLN4vllm18Fp8KVCacheDataTypeE1ES0_Li32ELi64ELi256ELb1ELi3EEvPKT_PKT0_S8_ifPKiSA_SA_iPKfiiiPfSD_PS3_PT2_iSC_SC_
    .private_segment_fixed_size: 64
    .sgpr_count:     36
    .sgpr_spill_count: 0
    .symbol:         _Z39paged_attention_ll4mi_QKV_mfma16_kernelI14__hip_bfloat16hLN4vllm18Fp8KVCacheDataTypeE1ES0_Li32ELi64ELi256ELb1ELi3EEvPKT_PKT0_S8_ifPKiSA_SA_iPKfiiiPfSD_PS3_PT2_iSC_SC_.kd
    .uniform_work_group_size: 1
    .uses_dynamic_stack: false
    .vgpr_count:     51
    .vgpr_spill_count: 0
    .wavefront_size: 32
  - .args:
      - .actual_access:  read_only
        .address_space:  global
        .offset:         0
        .size:           8
        .value_kind:     global_buffer
      - .actual_access:  read_only
        .address_space:  global
        .offset:         8
        .size:           8
        .value_kind:     global_buffer
      - .actual_access:  read_only
        .address_space:  global
        .offset:         16
        .size:           8
        .value_kind:     global_buffer
      - .offset:         24
        .size:           4
        .value_kind:     by_value
      - .offset:         28
        .size:           4
        .value_kind:     by_value
      - .actual_access:  read_only
        .address_space:  global
        .offset:         32
        .size:           8
        .value_kind:     global_buffer
      - .actual_access:  read_only
        .address_space:  global
        .offset:         40
        .size:           8
        .value_kind:     global_buffer
      - .actual_access:  read_only
        .address_space:  global
        .offset:         48
        .size:           8
        .value_kind:     global_buffer
      - .offset:         56
        .size:           4
        .value_kind:     by_value
      - .actual_access:  read_only
        .address_space:  global
        .offset:         64
        .size:           8
        .value_kind:     global_buffer
      - .offset:         72
        .size:           4
        .value_kind:     by_value
      - .offset:         76
        .size:           4
        .value_kind:     by_value
      - .offset:         80
        .size:           4
        .value_kind:     by_value
      - .actual_access:  read_only
        .address_space:  global
        .offset:         88
        .size:           8
        .value_kind:     global_buffer
      - .actual_access:  read_only
        .address_space:  global
        .offset:         96
        .size:           8
        .value_kind:     global_buffer
      - .actual_access:  read_only
        .address_space:  global
        .offset:         104
        .size:           8
        .value_kind:     global_buffer
      - .actual_access:  read_only
        .address_space:  global
        .offset:         112
        .size:           8
        .value_kind:     global_buffer
      - .offset:         120
        .size:           4
        .value_kind:     by_value
      - .address_space:  global
        .offset:         128
        .size:           8
        .value_kind:     global_buffer
      - .address_space:  global
        .offset:         136
        .size:           8
        .value_kind:     global_buffer
      - .offset:         144
        .size:           4
        .value_kind:     hidden_block_count_x
      - .offset:         148
        .size:           4
        .value_kind:     hidden_block_count_y
      - .offset:         152
        .size:           4
        .value_kind:     hidden_block_count_z
      - .offset:         156
        .size:           2
        .value_kind:     hidden_group_size_x
      - .offset:         158
        .size:           2
        .value_kind:     hidden_group_size_y
      - .offset:         160
        .size:           2
        .value_kind:     hidden_group_size_z
      - .offset:         162
        .size:           2
        .value_kind:     hidden_remainder_x
      - .offset:         164
        .size:           2
        .value_kind:     hidden_remainder_y
      - .offset:         166
        .size:           2
        .value_kind:     hidden_remainder_z
      - .offset:         184
        .size:           8
        .value_kind:     hidden_global_offset_x
      - .offset:         192
        .size:           8
        .value_kind:     hidden_global_offset_y
      - .offset:         200
        .size:           8
        .value_kind:     hidden_global_offset_z
      - .offset:         208
        .size:           2
        .value_kind:     hidden_grid_dims
      - .offset:         224
        .size:           8
        .value_kind:     hidden_hostcall_buffer
    .group_segment_fixed_size: 0
    .kernarg_segment_align: 8
    .kernarg_segment_size: 400
    .language:       OpenCL C
    .language_version:
      - 2
      - 0
    .max_flat_workgroup_size: 256
    .name:           _Z39paged_attention_ll4mi_QKV_mfma16_kernelI14__hip_bfloat16hLN4vllm18Fp8KVCacheDataTypeE1ES0_Li32ELi64ELi256ELb1ELi4EEvPKT_PKT0_S8_ifPKiSA_SA_iPKfiiiPfSD_PS3_PT2_iSC_SC_
    .private_segment_fixed_size: 64
    .sgpr_count:     36
    .sgpr_spill_count: 0
    .symbol:         _Z39paged_attention_ll4mi_QKV_mfma16_kernelI14__hip_bfloat16hLN4vllm18Fp8KVCacheDataTypeE1ES0_Li32ELi64ELi256ELb1ELi4EEvPKT_PKT0_S8_ifPKiSA_SA_iPKfiiiPfSD_PS3_PT2_iSC_SC_.kd
    .uniform_work_group_size: 1
    .uses_dynamic_stack: false
    .vgpr_count:     51
    .vgpr_spill_count: 0
    .wavefront_size: 32
  - .args:
      - .actual_access:  read_only
        .address_space:  global
        .offset:         0
        .size:           8
        .value_kind:     global_buffer
      - .actual_access:  read_only
        .address_space:  global
        .offset:         8
        .size:           8
        .value_kind:     global_buffer
      - .actual_access:  read_only
        .address_space:  global
        .offset:         16
        .size:           8
        .value_kind:     global_buffer
      - .offset:         24
        .size:           4
        .value_kind:     by_value
      - .offset:         28
        .size:           4
        .value_kind:     by_value
      - .actual_access:  read_only
        .address_space:  global
        .offset:         32
        .size:           8
        .value_kind:     global_buffer
      - .actual_access:  read_only
        .address_space:  global
        .offset:         40
        .size:           8
        .value_kind:     global_buffer
      - .actual_access:  read_only
        .address_space:  global
        .offset:         48
        .size:           8
        .value_kind:     global_buffer
      - .offset:         56
        .size:           4
        .value_kind:     by_value
      - .actual_access:  read_only
        .address_space:  global
        .offset:         64
        .size:           8
        .value_kind:     global_buffer
      - .offset:         72
        .size:           4
        .value_kind:     by_value
      - .offset:         76
        .size:           4
        .value_kind:     by_value
      - .offset:         80
        .size:           4
        .value_kind:     by_value
      - .actual_access:  read_only
        .address_space:  global
        .offset:         88
        .size:           8
        .value_kind:     global_buffer
      - .actual_access:  read_only
        .address_space:  global
        .offset:         96
        .size:           8
        .value_kind:     global_buffer
      - .actual_access:  read_only
        .address_space:  global
        .offset:         104
        .size:           8
        .value_kind:     global_buffer
      - .actual_access:  read_only
        .address_space:  global
        .offset:         112
        .size:           8
        .value_kind:     global_buffer
      - .offset:         120
        .size:           4
        .value_kind:     by_value
      - .address_space:  global
        .offset:         128
        .size:           8
        .value_kind:     global_buffer
      - .address_space:  global
        .offset:         136
        .size:           8
        .value_kind:     global_buffer
      - .offset:         144
        .size:           4
        .value_kind:     hidden_block_count_x
      - .offset:         148
        .size:           4
        .value_kind:     hidden_block_count_y
      - .offset:         152
        .size:           4
        .value_kind:     hidden_block_count_z
      - .offset:         156
        .size:           2
        .value_kind:     hidden_group_size_x
      - .offset:         158
        .size:           2
        .value_kind:     hidden_group_size_y
      - .offset:         160
        .size:           2
        .value_kind:     hidden_group_size_z
      - .offset:         162
        .size:           2
        .value_kind:     hidden_remainder_x
      - .offset:         164
        .size:           2
        .value_kind:     hidden_remainder_y
      - .offset:         166
        .size:           2
        .value_kind:     hidden_remainder_z
      - .offset:         184
        .size:           8
        .value_kind:     hidden_global_offset_x
      - .offset:         192
        .size:           8
        .value_kind:     hidden_global_offset_y
      - .offset:         200
        .size:           8
        .value_kind:     hidden_global_offset_z
      - .offset:         208
        .size:           2
        .value_kind:     hidden_grid_dims
      - .offset:         224
        .size:           8
        .value_kind:     hidden_hostcall_buffer
    .group_segment_fixed_size: 0
    .kernarg_segment_align: 8
    .kernarg_segment_size: 400
    .language:       OpenCL C
    .language_version:
      - 2
      - 0
    .max_flat_workgroup_size: 256
    .name:           _Z38paged_attention_ll4mi_QKV_mfma4_kernelI14__hip_bfloat16hLN4vllm18Fp8KVCacheDataTypeE1ES0_Li32ELi64ELi256ELb0ELi1EEvPKT_PKT0_S8_ifPKiSA_SA_iPKfiiiPfSD_PS3_PT2_iSC_SC_
    .private_segment_fixed_size: 64
    .sgpr_count:     36
    .sgpr_spill_count: 0
    .symbol:         _Z38paged_attention_ll4mi_QKV_mfma4_kernelI14__hip_bfloat16hLN4vllm18Fp8KVCacheDataTypeE1ES0_Li32ELi64ELi256ELb0ELi1EEvPKT_PKT0_S8_ifPKiSA_SA_iPKfiiiPfSD_PS3_PT2_iSC_SC_.kd
    .uniform_work_group_size: 1
    .uses_dynamic_stack: false
    .vgpr_count:     51
    .vgpr_spill_count: 0
    .wavefront_size: 32
  - .args:
      - .actual_access:  read_only
        .address_space:  global
        .offset:         0
        .size:           8
        .value_kind:     global_buffer
      - .actual_access:  read_only
        .address_space:  global
        .offset:         8
        .size:           8
        .value_kind:     global_buffer
      - .actual_access:  read_only
        .address_space:  global
        .offset:         16
        .size:           8
        .value_kind:     global_buffer
      - .offset:         24
        .size:           4
        .value_kind:     by_value
      - .offset:         28
        .size:           4
        .value_kind:     by_value
      - .actual_access:  read_only
        .address_space:  global
        .offset:         32
        .size:           8
        .value_kind:     global_buffer
      - .actual_access:  read_only
        .address_space:  global
        .offset:         40
        .size:           8
        .value_kind:     global_buffer
      - .actual_access:  read_only
        .address_space:  global
        .offset:         48
        .size:           8
        .value_kind:     global_buffer
      - .offset:         56
        .size:           4
        .value_kind:     by_value
      - .actual_access:  read_only
        .address_space:  global
        .offset:         64
        .size:           8
        .value_kind:     global_buffer
      - .offset:         72
        .size:           4
        .value_kind:     by_value
      - .offset:         76
        .size:           4
        .value_kind:     by_value
      - .offset:         80
        .size:           4
        .value_kind:     by_value
      - .actual_access:  read_only
        .address_space:  global
        .offset:         88
        .size:           8
        .value_kind:     global_buffer
      - .actual_access:  read_only
        .address_space:  global
        .offset:         96
        .size:           8
        .value_kind:     global_buffer
      - .actual_access:  read_only
        .address_space:  global
        .offset:         104
        .size:           8
        .value_kind:     global_buffer
      - .actual_access:  read_only
        .address_space:  global
        .offset:         112
        .size:           8
        .value_kind:     global_buffer
      - .offset:         120
        .size:           4
        .value_kind:     by_value
      - .address_space:  global
        .offset:         128
        .size:           8
        .value_kind:     global_buffer
      - .address_space:  global
        .offset:         136
        .size:           8
        .value_kind:     global_buffer
      - .offset:         144
        .size:           4
        .value_kind:     hidden_block_count_x
      - .offset:         148
        .size:           4
        .value_kind:     hidden_block_count_y
      - .offset:         152
        .size:           4
        .value_kind:     hidden_block_count_z
      - .offset:         156
        .size:           2
        .value_kind:     hidden_group_size_x
      - .offset:         158
        .size:           2
        .value_kind:     hidden_group_size_y
      - .offset:         160
        .size:           2
        .value_kind:     hidden_group_size_z
      - .offset:         162
        .size:           2
        .value_kind:     hidden_remainder_x
      - .offset:         164
        .size:           2
        .value_kind:     hidden_remainder_y
      - .offset:         166
        .size:           2
        .value_kind:     hidden_remainder_z
      - .offset:         184
        .size:           8
        .value_kind:     hidden_global_offset_x
      - .offset:         192
        .size:           8
        .value_kind:     hidden_global_offset_y
      - .offset:         200
        .size:           8
        .value_kind:     hidden_global_offset_z
      - .offset:         208
        .size:           2
        .value_kind:     hidden_grid_dims
      - .offset:         224
        .size:           8
        .value_kind:     hidden_hostcall_buffer
    .group_segment_fixed_size: 0
    .kernarg_segment_align: 8
    .kernarg_segment_size: 400
    .language:       OpenCL C
    .language_version:
      - 2
      - 0
    .max_flat_workgroup_size: 256
    .name:           _Z38paged_attention_ll4mi_QKV_mfma4_kernelI14__hip_bfloat16hLN4vllm18Fp8KVCacheDataTypeE1ES0_Li32ELi64ELi256ELb0ELi2EEvPKT_PKT0_S8_ifPKiSA_SA_iPKfiiiPfSD_PS3_PT2_iSC_SC_
    .private_segment_fixed_size: 64
    .sgpr_count:     36
    .sgpr_spill_count: 0
    .symbol:         _Z38paged_attention_ll4mi_QKV_mfma4_kernelI14__hip_bfloat16hLN4vllm18Fp8KVCacheDataTypeE1ES0_Li32ELi64ELi256ELb0ELi2EEvPKT_PKT0_S8_ifPKiSA_SA_iPKfiiiPfSD_PS3_PT2_iSC_SC_.kd
    .uniform_work_group_size: 1
    .uses_dynamic_stack: false
    .vgpr_count:     51
    .vgpr_spill_count: 0
    .wavefront_size: 32
  - .args:
      - .actual_access:  read_only
        .address_space:  global
        .offset:         0
        .size:           8
        .value_kind:     global_buffer
      - .actual_access:  read_only
        .address_space:  global
        .offset:         8
        .size:           8
        .value_kind:     global_buffer
      - .actual_access:  read_only
        .address_space:  global
        .offset:         16
        .size:           8
        .value_kind:     global_buffer
      - .offset:         24
        .size:           4
        .value_kind:     by_value
      - .offset:         28
        .size:           4
        .value_kind:     by_value
      - .actual_access:  read_only
        .address_space:  global
        .offset:         32
        .size:           8
        .value_kind:     global_buffer
      - .actual_access:  read_only
        .address_space:  global
        .offset:         40
        .size:           8
        .value_kind:     global_buffer
      - .actual_access:  read_only
        .address_space:  global
        .offset:         48
        .size:           8
        .value_kind:     global_buffer
      - .offset:         56
        .size:           4
        .value_kind:     by_value
      - .actual_access:  read_only
        .address_space:  global
        .offset:         64
        .size:           8
        .value_kind:     global_buffer
      - .offset:         72
        .size:           4
        .value_kind:     by_value
      - .offset:         76
        .size:           4
        .value_kind:     by_value
      - .offset:         80
        .size:           4
        .value_kind:     by_value
      - .actual_access:  read_only
        .address_space:  global
        .offset:         88
        .size:           8
        .value_kind:     global_buffer
      - .actual_access:  read_only
        .address_space:  global
        .offset:         96
        .size:           8
        .value_kind:     global_buffer
      - .actual_access:  read_only
        .address_space:  global
        .offset:         104
        .size:           8
        .value_kind:     global_buffer
      - .actual_access:  read_only
        .address_space:  global
        .offset:         112
        .size:           8
        .value_kind:     global_buffer
      - .offset:         120
        .size:           4
        .value_kind:     by_value
      - .address_space:  global
        .offset:         128
        .size:           8
        .value_kind:     global_buffer
      - .address_space:  global
        .offset:         136
        .size:           8
        .value_kind:     global_buffer
      - .offset:         144
        .size:           4
        .value_kind:     hidden_block_count_x
      - .offset:         148
        .size:           4
        .value_kind:     hidden_block_count_y
      - .offset:         152
        .size:           4
        .value_kind:     hidden_block_count_z
      - .offset:         156
        .size:           2
        .value_kind:     hidden_group_size_x
      - .offset:         158
        .size:           2
        .value_kind:     hidden_group_size_y
      - .offset:         160
        .size:           2
        .value_kind:     hidden_group_size_z
      - .offset:         162
        .size:           2
        .value_kind:     hidden_remainder_x
      - .offset:         164
        .size:           2
        .value_kind:     hidden_remainder_y
      - .offset:         166
        .size:           2
        .value_kind:     hidden_remainder_z
      - .offset:         184
        .size:           8
        .value_kind:     hidden_global_offset_x
      - .offset:         192
        .size:           8
        .value_kind:     hidden_global_offset_y
      - .offset:         200
        .size:           8
        .value_kind:     hidden_global_offset_z
      - .offset:         208
        .size:           2
        .value_kind:     hidden_grid_dims
      - .offset:         224
        .size:           8
        .value_kind:     hidden_hostcall_buffer
    .group_segment_fixed_size: 0
    .kernarg_segment_align: 8
    .kernarg_segment_size: 400
    .language:       OpenCL C
    .language_version:
      - 2
      - 0
    .max_flat_workgroup_size: 256
    .name:           _Z38paged_attention_ll4mi_QKV_mfma4_kernelI14__hip_bfloat16hLN4vllm18Fp8KVCacheDataTypeE1ES0_Li32ELi64ELi256ELb0ELi3EEvPKT_PKT0_S8_ifPKiSA_SA_iPKfiiiPfSD_PS3_PT2_iSC_SC_
    .private_segment_fixed_size: 64
    .sgpr_count:     36
    .sgpr_spill_count: 0
    .symbol:         _Z38paged_attention_ll4mi_QKV_mfma4_kernelI14__hip_bfloat16hLN4vllm18Fp8KVCacheDataTypeE1ES0_Li32ELi64ELi256ELb0ELi3EEvPKT_PKT0_S8_ifPKiSA_SA_iPKfiiiPfSD_PS3_PT2_iSC_SC_.kd
    .uniform_work_group_size: 1
    .uses_dynamic_stack: false
    .vgpr_count:     51
    .vgpr_spill_count: 0
    .wavefront_size: 32
  - .args:
      - .actual_access:  read_only
        .address_space:  global
        .offset:         0
        .size:           8
        .value_kind:     global_buffer
      - .actual_access:  read_only
        .address_space:  global
        .offset:         8
        .size:           8
        .value_kind:     global_buffer
      - .actual_access:  read_only
        .address_space:  global
        .offset:         16
        .size:           8
        .value_kind:     global_buffer
      - .offset:         24
        .size:           4
        .value_kind:     by_value
      - .offset:         28
        .size:           4
        .value_kind:     by_value
      - .actual_access:  read_only
        .address_space:  global
        .offset:         32
        .size:           8
        .value_kind:     global_buffer
      - .actual_access:  read_only
        .address_space:  global
        .offset:         40
        .size:           8
        .value_kind:     global_buffer
      - .actual_access:  read_only
        .address_space:  global
        .offset:         48
        .size:           8
        .value_kind:     global_buffer
      - .offset:         56
        .size:           4
        .value_kind:     by_value
      - .actual_access:  read_only
        .address_space:  global
        .offset:         64
        .size:           8
        .value_kind:     global_buffer
      - .offset:         72
        .size:           4
        .value_kind:     by_value
      - .offset:         76
        .size:           4
        .value_kind:     by_value
      - .offset:         80
        .size:           4
        .value_kind:     by_value
      - .actual_access:  read_only
        .address_space:  global
        .offset:         88
        .size:           8
        .value_kind:     global_buffer
      - .actual_access:  read_only
        .address_space:  global
        .offset:         96
        .size:           8
        .value_kind:     global_buffer
      - .actual_access:  read_only
        .address_space:  global
        .offset:         104
        .size:           8
        .value_kind:     global_buffer
      - .actual_access:  read_only
        .address_space:  global
        .offset:         112
        .size:           8
        .value_kind:     global_buffer
      - .offset:         120
        .size:           4
        .value_kind:     by_value
      - .address_space:  global
        .offset:         128
        .size:           8
        .value_kind:     global_buffer
      - .address_space:  global
        .offset:         136
        .size:           8
        .value_kind:     global_buffer
      - .offset:         144
        .size:           4
        .value_kind:     hidden_block_count_x
      - .offset:         148
        .size:           4
        .value_kind:     hidden_block_count_y
      - .offset:         152
        .size:           4
        .value_kind:     hidden_block_count_z
      - .offset:         156
        .size:           2
        .value_kind:     hidden_group_size_x
      - .offset:         158
        .size:           2
        .value_kind:     hidden_group_size_y
      - .offset:         160
        .size:           2
        .value_kind:     hidden_group_size_z
      - .offset:         162
        .size:           2
        .value_kind:     hidden_remainder_x
      - .offset:         164
        .size:           2
        .value_kind:     hidden_remainder_y
      - .offset:         166
        .size:           2
        .value_kind:     hidden_remainder_z
      - .offset:         184
        .size:           8
        .value_kind:     hidden_global_offset_x
      - .offset:         192
        .size:           8
        .value_kind:     hidden_global_offset_y
      - .offset:         200
        .size:           8
        .value_kind:     hidden_global_offset_z
      - .offset:         208
        .size:           2
        .value_kind:     hidden_grid_dims
      - .offset:         224
        .size:           8
        .value_kind:     hidden_hostcall_buffer
    .group_segment_fixed_size: 0
    .kernarg_segment_align: 8
    .kernarg_segment_size: 400
    .language:       OpenCL C
    .language_version:
      - 2
      - 0
    .max_flat_workgroup_size: 256
    .name:           _Z38paged_attention_ll4mi_QKV_mfma4_kernelI14__hip_bfloat16hLN4vllm18Fp8KVCacheDataTypeE1ES0_Li32ELi64ELi256ELb0ELi4EEvPKT_PKT0_S8_ifPKiSA_SA_iPKfiiiPfSD_PS3_PT2_iSC_SC_
    .private_segment_fixed_size: 64
    .sgpr_count:     36
    .sgpr_spill_count: 0
    .symbol:         _Z38paged_attention_ll4mi_QKV_mfma4_kernelI14__hip_bfloat16hLN4vllm18Fp8KVCacheDataTypeE1ES0_Li32ELi64ELi256ELb0ELi4EEvPKT_PKT0_S8_ifPKiSA_SA_iPKfiiiPfSD_PS3_PT2_iSC_SC_.kd
    .uniform_work_group_size: 1
    .uses_dynamic_stack: false
    .vgpr_count:     51
    .vgpr_spill_count: 0
    .wavefront_size: 32
  - .args:
      - .actual_access:  read_only
        .address_space:  global
        .offset:         0
        .size:           8
        .value_kind:     global_buffer
      - .actual_access:  read_only
        .address_space:  global
        .offset:         8
        .size:           8
        .value_kind:     global_buffer
      - .actual_access:  read_only
        .address_space:  global
        .offset:         16
        .size:           8
        .value_kind:     global_buffer
      - .offset:         24
        .size:           4
        .value_kind:     by_value
      - .offset:         28
        .size:           4
        .value_kind:     by_value
      - .actual_access:  read_only
        .address_space:  global
        .offset:         32
        .size:           8
        .value_kind:     global_buffer
      - .actual_access:  read_only
        .address_space:  global
        .offset:         40
        .size:           8
        .value_kind:     global_buffer
      - .actual_access:  read_only
        .address_space:  global
        .offset:         48
        .size:           8
        .value_kind:     global_buffer
      - .offset:         56
        .size:           4
        .value_kind:     by_value
      - .actual_access:  read_only
        .address_space:  global
        .offset:         64
        .size:           8
        .value_kind:     global_buffer
      - .offset:         72
        .size:           4
        .value_kind:     by_value
      - .offset:         76
        .size:           4
        .value_kind:     by_value
      - .offset:         80
        .size:           4
        .value_kind:     by_value
      - .actual_access:  read_only
        .address_space:  global
        .offset:         88
        .size:           8
        .value_kind:     global_buffer
      - .actual_access:  read_only
        .address_space:  global
        .offset:         96
        .size:           8
        .value_kind:     global_buffer
      - .actual_access:  read_only
        .address_space:  global
        .offset:         104
        .size:           8
        .value_kind:     global_buffer
      - .actual_access:  read_only
        .address_space:  global
        .offset:         112
        .size:           8
        .value_kind:     global_buffer
      - .offset:         120
        .size:           4
        .value_kind:     by_value
      - .address_space:  global
        .offset:         128
        .size:           8
        .value_kind:     global_buffer
      - .address_space:  global
        .offset:         136
        .size:           8
        .value_kind:     global_buffer
      - .offset:         144
        .size:           4
        .value_kind:     hidden_block_count_x
      - .offset:         148
        .size:           4
        .value_kind:     hidden_block_count_y
      - .offset:         152
        .size:           4
        .value_kind:     hidden_block_count_z
      - .offset:         156
        .size:           2
        .value_kind:     hidden_group_size_x
      - .offset:         158
        .size:           2
        .value_kind:     hidden_group_size_y
      - .offset:         160
        .size:           2
        .value_kind:     hidden_group_size_z
      - .offset:         162
        .size:           2
        .value_kind:     hidden_remainder_x
      - .offset:         164
        .size:           2
        .value_kind:     hidden_remainder_y
      - .offset:         166
        .size:           2
        .value_kind:     hidden_remainder_z
      - .offset:         184
        .size:           8
        .value_kind:     hidden_global_offset_x
      - .offset:         192
        .size:           8
        .value_kind:     hidden_global_offset_y
      - .offset:         200
        .size:           8
        .value_kind:     hidden_global_offset_z
      - .offset:         208
        .size:           2
        .value_kind:     hidden_grid_dims
      - .offset:         224
        .size:           8
        .value_kind:     hidden_hostcall_buffer
    .group_segment_fixed_size: 0
    .kernarg_segment_align: 8
    .kernarg_segment_size: 400
    .language:       OpenCL C
    .language_version:
      - 2
      - 0
    .max_flat_workgroup_size: 256
    .name:           _Z39paged_attention_ll4mi_QKV_mfma16_kernelI14__hip_bfloat16hLN4vllm18Fp8KVCacheDataTypeE1ES0_Li32ELi64ELi256ELb0ELi5EEvPKT_PKT0_S8_ifPKiSA_SA_iPKfiiiPfSD_PS3_PT2_iSC_SC_
    .private_segment_fixed_size: 64
    .sgpr_count:     36
    .sgpr_spill_count: 0
    .symbol:         _Z39paged_attention_ll4mi_QKV_mfma16_kernelI14__hip_bfloat16hLN4vllm18Fp8KVCacheDataTypeE1ES0_Li32ELi64ELi256ELb0ELi5EEvPKT_PKT0_S8_ifPKiSA_SA_iPKfiiiPfSD_PS3_PT2_iSC_SC_.kd
    .uniform_work_group_size: 1
    .uses_dynamic_stack: false
    .vgpr_count:     51
    .vgpr_spill_count: 0
    .wavefront_size: 32
  - .args:
      - .actual_access:  read_only
        .address_space:  global
        .offset:         0
        .size:           8
        .value_kind:     global_buffer
      - .actual_access:  read_only
        .address_space:  global
        .offset:         8
        .size:           8
        .value_kind:     global_buffer
      - .actual_access:  read_only
        .address_space:  global
        .offset:         16
        .size:           8
        .value_kind:     global_buffer
      - .offset:         24
        .size:           4
        .value_kind:     by_value
      - .offset:         28
        .size:           4
        .value_kind:     by_value
      - .actual_access:  read_only
        .address_space:  global
        .offset:         32
        .size:           8
        .value_kind:     global_buffer
      - .actual_access:  read_only
        .address_space:  global
        .offset:         40
        .size:           8
        .value_kind:     global_buffer
      - .actual_access:  read_only
        .address_space:  global
        .offset:         48
        .size:           8
        .value_kind:     global_buffer
      - .offset:         56
        .size:           4
        .value_kind:     by_value
      - .actual_access:  read_only
        .address_space:  global
        .offset:         64
        .size:           8
        .value_kind:     global_buffer
      - .offset:         72
        .size:           4
        .value_kind:     by_value
      - .offset:         76
        .size:           4
        .value_kind:     by_value
      - .offset:         80
        .size:           4
        .value_kind:     by_value
      - .actual_access:  read_only
        .address_space:  global
        .offset:         88
        .size:           8
        .value_kind:     global_buffer
      - .actual_access:  read_only
        .address_space:  global
        .offset:         96
        .size:           8
        .value_kind:     global_buffer
      - .actual_access:  read_only
        .address_space:  global
        .offset:         104
        .size:           8
        .value_kind:     global_buffer
      - .actual_access:  read_only
        .address_space:  global
        .offset:         112
        .size:           8
        .value_kind:     global_buffer
      - .offset:         120
        .size:           4
        .value_kind:     by_value
      - .address_space:  global
        .offset:         128
        .size:           8
        .value_kind:     global_buffer
      - .address_space:  global
        .offset:         136
        .size:           8
        .value_kind:     global_buffer
      - .offset:         144
        .size:           4
        .value_kind:     hidden_block_count_x
      - .offset:         148
        .size:           4
        .value_kind:     hidden_block_count_y
      - .offset:         152
        .size:           4
        .value_kind:     hidden_block_count_z
      - .offset:         156
        .size:           2
        .value_kind:     hidden_group_size_x
      - .offset:         158
        .size:           2
        .value_kind:     hidden_group_size_y
      - .offset:         160
        .size:           2
        .value_kind:     hidden_group_size_z
      - .offset:         162
        .size:           2
        .value_kind:     hidden_remainder_x
      - .offset:         164
        .size:           2
        .value_kind:     hidden_remainder_y
      - .offset:         166
        .size:           2
        .value_kind:     hidden_remainder_z
      - .offset:         184
        .size:           8
        .value_kind:     hidden_global_offset_x
      - .offset:         192
        .size:           8
        .value_kind:     hidden_global_offset_y
      - .offset:         200
        .size:           8
        .value_kind:     hidden_global_offset_z
      - .offset:         208
        .size:           2
        .value_kind:     hidden_grid_dims
      - .offset:         224
        .size:           8
        .value_kind:     hidden_hostcall_buffer
    .group_segment_fixed_size: 0
    .kernarg_segment_align: 8
    .kernarg_segment_size: 400
    .language:       OpenCL C
    .language_version:
      - 2
      - 0
    .max_flat_workgroup_size: 256
    .name:           _Z39paged_attention_ll4mi_QKV_mfma16_kernelI14__hip_bfloat16hLN4vllm18Fp8KVCacheDataTypeE1ES0_Li32ELi64ELi256ELb0ELi6EEvPKT_PKT0_S8_ifPKiSA_SA_iPKfiiiPfSD_PS3_PT2_iSC_SC_
    .private_segment_fixed_size: 64
    .sgpr_count:     36
    .sgpr_spill_count: 0
    .symbol:         _Z39paged_attention_ll4mi_QKV_mfma16_kernelI14__hip_bfloat16hLN4vllm18Fp8KVCacheDataTypeE1ES0_Li32ELi64ELi256ELb0ELi6EEvPKT_PKT0_S8_ifPKiSA_SA_iPKfiiiPfSD_PS3_PT2_iSC_SC_.kd
    .uniform_work_group_size: 1
    .uses_dynamic_stack: false
    .vgpr_count:     51
    .vgpr_spill_count: 0
    .wavefront_size: 32
  - .args:
      - .actual_access:  read_only
        .address_space:  global
        .offset:         0
        .size:           8
        .value_kind:     global_buffer
      - .actual_access:  read_only
        .address_space:  global
        .offset:         8
        .size:           8
        .value_kind:     global_buffer
      - .actual_access:  read_only
        .address_space:  global
        .offset:         16
        .size:           8
        .value_kind:     global_buffer
      - .offset:         24
        .size:           4
        .value_kind:     by_value
      - .offset:         28
        .size:           4
        .value_kind:     by_value
      - .actual_access:  read_only
        .address_space:  global
        .offset:         32
        .size:           8
        .value_kind:     global_buffer
      - .actual_access:  read_only
        .address_space:  global
        .offset:         40
        .size:           8
        .value_kind:     global_buffer
      - .actual_access:  read_only
        .address_space:  global
        .offset:         48
        .size:           8
        .value_kind:     global_buffer
      - .offset:         56
        .size:           4
        .value_kind:     by_value
      - .actual_access:  read_only
        .address_space:  global
        .offset:         64
        .size:           8
        .value_kind:     global_buffer
      - .offset:         72
        .size:           4
        .value_kind:     by_value
      - .offset:         76
        .size:           4
        .value_kind:     by_value
      - .offset:         80
        .size:           4
        .value_kind:     by_value
      - .actual_access:  read_only
        .address_space:  global
        .offset:         88
        .size:           8
        .value_kind:     global_buffer
      - .actual_access:  read_only
        .address_space:  global
        .offset:         96
        .size:           8
        .value_kind:     global_buffer
      - .actual_access:  read_only
        .address_space:  global
        .offset:         104
        .size:           8
        .value_kind:     global_buffer
      - .actual_access:  read_only
        .address_space:  global
        .offset:         112
        .size:           8
        .value_kind:     global_buffer
      - .offset:         120
        .size:           4
        .value_kind:     by_value
      - .address_space:  global
        .offset:         128
        .size:           8
        .value_kind:     global_buffer
      - .address_space:  global
        .offset:         136
        .size:           8
        .value_kind:     global_buffer
      - .offset:         144
        .size:           4
        .value_kind:     hidden_block_count_x
      - .offset:         148
        .size:           4
        .value_kind:     hidden_block_count_y
      - .offset:         152
        .size:           4
        .value_kind:     hidden_block_count_z
      - .offset:         156
        .size:           2
        .value_kind:     hidden_group_size_x
      - .offset:         158
        .size:           2
        .value_kind:     hidden_group_size_y
      - .offset:         160
        .size:           2
        .value_kind:     hidden_group_size_z
      - .offset:         162
        .size:           2
        .value_kind:     hidden_remainder_x
      - .offset:         164
        .size:           2
        .value_kind:     hidden_remainder_y
      - .offset:         166
        .size:           2
        .value_kind:     hidden_remainder_z
      - .offset:         184
        .size:           8
        .value_kind:     hidden_global_offset_x
      - .offset:         192
        .size:           8
        .value_kind:     hidden_global_offset_y
      - .offset:         200
        .size:           8
        .value_kind:     hidden_global_offset_z
      - .offset:         208
        .size:           2
        .value_kind:     hidden_grid_dims
      - .offset:         224
        .size:           8
        .value_kind:     hidden_hostcall_buffer
    .group_segment_fixed_size: 0
    .kernarg_segment_align: 8
    .kernarg_segment_size: 400
    .language:       OpenCL C
    .language_version:
      - 2
      - 0
    .max_flat_workgroup_size: 256
    .name:           _Z39paged_attention_ll4mi_QKV_mfma16_kernelI14__hip_bfloat16hLN4vllm18Fp8KVCacheDataTypeE1ES0_Li32ELi64ELi256ELb0ELi7EEvPKT_PKT0_S8_ifPKiSA_SA_iPKfiiiPfSD_PS3_PT2_iSC_SC_
    .private_segment_fixed_size: 64
    .sgpr_count:     36
    .sgpr_spill_count: 0
    .symbol:         _Z39paged_attention_ll4mi_QKV_mfma16_kernelI14__hip_bfloat16hLN4vllm18Fp8KVCacheDataTypeE1ES0_Li32ELi64ELi256ELb0ELi7EEvPKT_PKT0_S8_ifPKiSA_SA_iPKfiiiPfSD_PS3_PT2_iSC_SC_.kd
    .uniform_work_group_size: 1
    .uses_dynamic_stack: false
    .vgpr_count:     51
    .vgpr_spill_count: 0
    .wavefront_size: 32
  - .args:
      - .actual_access:  read_only
        .address_space:  global
        .offset:         0
        .size:           8
        .value_kind:     global_buffer
      - .actual_access:  read_only
        .address_space:  global
        .offset:         8
        .size:           8
        .value_kind:     global_buffer
      - .actual_access:  read_only
        .address_space:  global
        .offset:         16
        .size:           8
        .value_kind:     global_buffer
      - .offset:         24
        .size:           4
        .value_kind:     by_value
      - .offset:         28
        .size:           4
        .value_kind:     by_value
      - .actual_access:  read_only
        .address_space:  global
        .offset:         32
        .size:           8
        .value_kind:     global_buffer
      - .actual_access:  read_only
        .address_space:  global
        .offset:         40
        .size:           8
        .value_kind:     global_buffer
      - .actual_access:  read_only
        .address_space:  global
        .offset:         48
        .size:           8
        .value_kind:     global_buffer
      - .offset:         56
        .size:           4
        .value_kind:     by_value
      - .actual_access:  read_only
        .address_space:  global
        .offset:         64
        .size:           8
        .value_kind:     global_buffer
      - .offset:         72
        .size:           4
        .value_kind:     by_value
      - .offset:         76
        .size:           4
        .value_kind:     by_value
      - .offset:         80
        .size:           4
        .value_kind:     by_value
      - .actual_access:  read_only
        .address_space:  global
        .offset:         88
        .size:           8
        .value_kind:     global_buffer
      - .actual_access:  read_only
        .address_space:  global
        .offset:         96
        .size:           8
        .value_kind:     global_buffer
      - .actual_access:  read_only
        .address_space:  global
        .offset:         104
        .size:           8
        .value_kind:     global_buffer
      - .actual_access:  read_only
        .address_space:  global
        .offset:         112
        .size:           8
        .value_kind:     global_buffer
      - .offset:         120
        .size:           4
        .value_kind:     by_value
      - .address_space:  global
        .offset:         128
        .size:           8
        .value_kind:     global_buffer
      - .address_space:  global
        .offset:         136
        .size:           8
        .value_kind:     global_buffer
      - .offset:         144
        .size:           4
        .value_kind:     hidden_block_count_x
      - .offset:         148
        .size:           4
        .value_kind:     hidden_block_count_y
      - .offset:         152
        .size:           4
        .value_kind:     hidden_block_count_z
      - .offset:         156
        .size:           2
        .value_kind:     hidden_group_size_x
      - .offset:         158
        .size:           2
        .value_kind:     hidden_group_size_y
      - .offset:         160
        .size:           2
        .value_kind:     hidden_group_size_z
      - .offset:         162
        .size:           2
        .value_kind:     hidden_remainder_x
      - .offset:         164
        .size:           2
        .value_kind:     hidden_remainder_y
      - .offset:         166
        .size:           2
        .value_kind:     hidden_remainder_z
      - .offset:         184
        .size:           8
        .value_kind:     hidden_global_offset_x
      - .offset:         192
        .size:           8
        .value_kind:     hidden_global_offset_y
      - .offset:         200
        .size:           8
        .value_kind:     hidden_global_offset_z
      - .offset:         208
        .size:           2
        .value_kind:     hidden_grid_dims
      - .offset:         224
        .size:           8
        .value_kind:     hidden_hostcall_buffer
    .group_segment_fixed_size: 0
    .kernarg_segment_align: 8
    .kernarg_segment_size: 400
    .language:       OpenCL C
    .language_version:
      - 2
      - 0
    .max_flat_workgroup_size: 256
    .name:           _Z39paged_attention_ll4mi_QKV_mfma16_kernelI14__hip_bfloat16hLN4vllm18Fp8KVCacheDataTypeE1ES0_Li32ELi64ELi256ELb0ELi8EEvPKT_PKT0_S8_ifPKiSA_SA_iPKfiiiPfSD_PS3_PT2_iSC_SC_
    .private_segment_fixed_size: 64
    .sgpr_count:     36
    .sgpr_spill_count: 0
    .symbol:         _Z39paged_attention_ll4mi_QKV_mfma16_kernelI14__hip_bfloat16hLN4vllm18Fp8KVCacheDataTypeE1ES0_Li32ELi64ELi256ELb0ELi8EEvPKT_PKT0_S8_ifPKiSA_SA_iPKfiiiPfSD_PS3_PT2_iSC_SC_.kd
    .uniform_work_group_size: 1
    .uses_dynamic_stack: false
    .vgpr_count:     51
    .vgpr_spill_count: 0
    .wavefront_size: 32
  - .args:
      - .actual_access:  read_only
        .address_space:  global
        .offset:         0
        .size:           8
        .value_kind:     global_buffer
      - .actual_access:  read_only
        .address_space:  global
        .offset:         8
        .size:           8
        .value_kind:     global_buffer
      - .actual_access:  read_only
        .address_space:  global
        .offset:         16
        .size:           8
        .value_kind:     global_buffer
      - .offset:         24
        .size:           4
        .value_kind:     by_value
      - .offset:         28
        .size:           4
        .value_kind:     by_value
      - .actual_access:  read_only
        .address_space:  global
        .offset:         32
        .size:           8
        .value_kind:     global_buffer
      - .actual_access:  read_only
        .address_space:  global
        .offset:         40
        .size:           8
        .value_kind:     global_buffer
      - .actual_access:  read_only
        .address_space:  global
        .offset:         48
        .size:           8
        .value_kind:     global_buffer
      - .offset:         56
        .size:           4
        .value_kind:     by_value
      - .actual_access:  read_only
        .address_space:  global
        .offset:         64
        .size:           8
        .value_kind:     global_buffer
      - .offset:         72
        .size:           4
        .value_kind:     by_value
      - .offset:         76
        .size:           4
        .value_kind:     by_value
      - .offset:         80
        .size:           4
        .value_kind:     by_value
      - .actual_access:  read_only
        .address_space:  global
        .offset:         88
        .size:           8
        .value_kind:     global_buffer
      - .actual_access:  read_only
        .address_space:  global
        .offset:         96
        .size:           8
        .value_kind:     global_buffer
      - .actual_access:  read_only
        .address_space:  global
        .offset:         104
        .size:           8
        .value_kind:     global_buffer
      - .actual_access:  read_only
        .address_space:  global
        .offset:         112
        .size:           8
        .value_kind:     global_buffer
      - .offset:         120
        .size:           4
        .value_kind:     by_value
      - .address_space:  global
        .offset:         128
        .size:           8
        .value_kind:     global_buffer
      - .address_space:  global
        .offset:         136
        .size:           8
        .value_kind:     global_buffer
      - .offset:         144
        .size:           4
        .value_kind:     hidden_block_count_x
      - .offset:         148
        .size:           4
        .value_kind:     hidden_block_count_y
      - .offset:         152
        .size:           4
        .value_kind:     hidden_block_count_z
      - .offset:         156
        .size:           2
        .value_kind:     hidden_group_size_x
      - .offset:         158
        .size:           2
        .value_kind:     hidden_group_size_y
      - .offset:         160
        .size:           2
        .value_kind:     hidden_group_size_z
      - .offset:         162
        .size:           2
        .value_kind:     hidden_remainder_x
      - .offset:         164
        .size:           2
        .value_kind:     hidden_remainder_y
      - .offset:         166
        .size:           2
        .value_kind:     hidden_remainder_z
      - .offset:         184
        .size:           8
        .value_kind:     hidden_global_offset_x
      - .offset:         192
        .size:           8
        .value_kind:     hidden_global_offset_y
      - .offset:         200
        .size:           8
        .value_kind:     hidden_global_offset_z
      - .offset:         208
        .size:           2
        .value_kind:     hidden_grid_dims
      - .offset:         224
        .size:           8
        .value_kind:     hidden_hostcall_buffer
    .group_segment_fixed_size: 0
    .kernarg_segment_align: 8
    .kernarg_segment_size: 400
    .language:       OpenCL C
    .language_version:
      - 2
      - 0
    .max_flat_workgroup_size: 256
    .name:           _Z39paged_attention_ll4mi_QKV_mfma16_kernelI14__hip_bfloat16hLN4vllm18Fp8KVCacheDataTypeE1ES0_Li32ELi64ELi256ELb0ELi9EEvPKT_PKT0_S8_ifPKiSA_SA_iPKfiiiPfSD_PS3_PT2_iSC_SC_
    .private_segment_fixed_size: 64
    .sgpr_count:     36
    .sgpr_spill_count: 0
    .symbol:         _Z39paged_attention_ll4mi_QKV_mfma16_kernelI14__hip_bfloat16hLN4vllm18Fp8KVCacheDataTypeE1ES0_Li32ELi64ELi256ELb0ELi9EEvPKT_PKT0_S8_ifPKiSA_SA_iPKfiiiPfSD_PS3_PT2_iSC_SC_.kd
    .uniform_work_group_size: 1
    .uses_dynamic_stack: false
    .vgpr_count:     51
    .vgpr_spill_count: 0
    .wavefront_size: 32
  - .args:
      - .actual_access:  read_only
        .address_space:  global
        .offset:         0
        .size:           8
        .value_kind:     global_buffer
      - .actual_access:  read_only
        .address_space:  global
        .offset:         8
        .size:           8
        .value_kind:     global_buffer
      - .actual_access:  read_only
        .address_space:  global
        .offset:         16
        .size:           8
        .value_kind:     global_buffer
      - .offset:         24
        .size:           4
        .value_kind:     by_value
      - .offset:         28
        .size:           4
        .value_kind:     by_value
      - .actual_access:  read_only
        .address_space:  global
        .offset:         32
        .size:           8
        .value_kind:     global_buffer
      - .actual_access:  read_only
        .address_space:  global
        .offset:         40
        .size:           8
        .value_kind:     global_buffer
      - .actual_access:  read_only
        .address_space:  global
        .offset:         48
        .size:           8
        .value_kind:     global_buffer
      - .offset:         56
        .size:           4
        .value_kind:     by_value
      - .actual_access:  read_only
        .address_space:  global
        .offset:         64
        .size:           8
        .value_kind:     global_buffer
      - .offset:         72
        .size:           4
        .value_kind:     by_value
      - .offset:         76
        .size:           4
        .value_kind:     by_value
      - .offset:         80
        .size:           4
        .value_kind:     by_value
      - .actual_access:  read_only
        .address_space:  global
        .offset:         88
        .size:           8
        .value_kind:     global_buffer
      - .actual_access:  read_only
        .address_space:  global
        .offset:         96
        .size:           8
        .value_kind:     global_buffer
      - .actual_access:  read_only
        .address_space:  global
        .offset:         104
        .size:           8
        .value_kind:     global_buffer
      - .actual_access:  read_only
        .address_space:  global
        .offset:         112
        .size:           8
        .value_kind:     global_buffer
      - .offset:         120
        .size:           4
        .value_kind:     by_value
      - .address_space:  global
        .offset:         128
        .size:           8
        .value_kind:     global_buffer
      - .address_space:  global
        .offset:         136
        .size:           8
        .value_kind:     global_buffer
      - .offset:         144
        .size:           4
        .value_kind:     hidden_block_count_x
      - .offset:         148
        .size:           4
        .value_kind:     hidden_block_count_y
      - .offset:         152
        .size:           4
        .value_kind:     hidden_block_count_z
      - .offset:         156
        .size:           2
        .value_kind:     hidden_group_size_x
      - .offset:         158
        .size:           2
        .value_kind:     hidden_group_size_y
      - .offset:         160
        .size:           2
        .value_kind:     hidden_group_size_z
      - .offset:         162
        .size:           2
        .value_kind:     hidden_remainder_x
      - .offset:         164
        .size:           2
        .value_kind:     hidden_remainder_y
      - .offset:         166
        .size:           2
        .value_kind:     hidden_remainder_z
      - .offset:         184
        .size:           8
        .value_kind:     hidden_global_offset_x
      - .offset:         192
        .size:           8
        .value_kind:     hidden_global_offset_y
      - .offset:         200
        .size:           8
        .value_kind:     hidden_global_offset_z
      - .offset:         208
        .size:           2
        .value_kind:     hidden_grid_dims
      - .offset:         224
        .size:           8
        .value_kind:     hidden_hostcall_buffer
    .group_segment_fixed_size: 0
    .kernarg_segment_align: 8
    .kernarg_segment_size: 400
    .language:       OpenCL C
    .language_version:
      - 2
      - 0
    .max_flat_workgroup_size: 256
    .name:           _Z39paged_attention_ll4mi_QKV_mfma16_kernelI14__hip_bfloat16hLN4vllm18Fp8KVCacheDataTypeE1ES0_Li32ELi64ELi256ELb0ELi10EEvPKT_PKT0_S8_ifPKiSA_SA_iPKfiiiPfSD_PS3_PT2_iSC_SC_
    .private_segment_fixed_size: 64
    .sgpr_count:     36
    .sgpr_spill_count: 0
    .symbol:         _Z39paged_attention_ll4mi_QKV_mfma16_kernelI14__hip_bfloat16hLN4vllm18Fp8KVCacheDataTypeE1ES0_Li32ELi64ELi256ELb0ELi10EEvPKT_PKT0_S8_ifPKiSA_SA_iPKfiiiPfSD_PS3_PT2_iSC_SC_.kd
    .uniform_work_group_size: 1
    .uses_dynamic_stack: false
    .vgpr_count:     51
    .vgpr_spill_count: 0
    .wavefront_size: 32
  - .args:
      - .actual_access:  read_only
        .address_space:  global
        .offset:         0
        .size:           8
        .value_kind:     global_buffer
      - .actual_access:  read_only
        .address_space:  global
        .offset:         8
        .size:           8
        .value_kind:     global_buffer
      - .actual_access:  read_only
        .address_space:  global
        .offset:         16
        .size:           8
        .value_kind:     global_buffer
      - .offset:         24
        .size:           4
        .value_kind:     by_value
      - .offset:         28
        .size:           4
        .value_kind:     by_value
      - .actual_access:  read_only
        .address_space:  global
        .offset:         32
        .size:           8
        .value_kind:     global_buffer
      - .actual_access:  read_only
        .address_space:  global
        .offset:         40
        .size:           8
        .value_kind:     global_buffer
      - .actual_access:  read_only
        .address_space:  global
        .offset:         48
        .size:           8
        .value_kind:     global_buffer
      - .offset:         56
        .size:           4
        .value_kind:     by_value
      - .actual_access:  read_only
        .address_space:  global
        .offset:         64
        .size:           8
        .value_kind:     global_buffer
      - .offset:         72
        .size:           4
        .value_kind:     by_value
      - .offset:         76
        .size:           4
        .value_kind:     by_value
      - .offset:         80
        .size:           4
        .value_kind:     by_value
      - .actual_access:  read_only
        .address_space:  global
        .offset:         88
        .size:           8
        .value_kind:     global_buffer
      - .actual_access:  read_only
        .address_space:  global
        .offset:         96
        .size:           8
        .value_kind:     global_buffer
      - .actual_access:  read_only
        .address_space:  global
        .offset:         104
        .size:           8
        .value_kind:     global_buffer
      - .actual_access:  read_only
        .address_space:  global
        .offset:         112
        .size:           8
        .value_kind:     global_buffer
      - .offset:         120
        .size:           4
        .value_kind:     by_value
      - .address_space:  global
        .offset:         128
        .size:           8
        .value_kind:     global_buffer
      - .address_space:  global
        .offset:         136
        .size:           8
        .value_kind:     global_buffer
      - .offset:         144
        .size:           4
        .value_kind:     hidden_block_count_x
      - .offset:         148
        .size:           4
        .value_kind:     hidden_block_count_y
      - .offset:         152
        .size:           4
        .value_kind:     hidden_block_count_z
      - .offset:         156
        .size:           2
        .value_kind:     hidden_group_size_x
      - .offset:         158
        .size:           2
        .value_kind:     hidden_group_size_y
      - .offset:         160
        .size:           2
        .value_kind:     hidden_group_size_z
      - .offset:         162
        .size:           2
        .value_kind:     hidden_remainder_x
      - .offset:         164
        .size:           2
        .value_kind:     hidden_remainder_y
      - .offset:         166
        .size:           2
        .value_kind:     hidden_remainder_z
      - .offset:         184
        .size:           8
        .value_kind:     hidden_global_offset_x
      - .offset:         192
        .size:           8
        .value_kind:     hidden_global_offset_y
      - .offset:         200
        .size:           8
        .value_kind:     hidden_global_offset_z
      - .offset:         208
        .size:           2
        .value_kind:     hidden_grid_dims
      - .offset:         224
        .size:           8
        .value_kind:     hidden_hostcall_buffer
    .group_segment_fixed_size: 0
    .kernarg_segment_align: 8
    .kernarg_segment_size: 400
    .language:       OpenCL C
    .language_version:
      - 2
      - 0
    .max_flat_workgroup_size: 256
    .name:           _Z39paged_attention_ll4mi_QKV_mfma16_kernelI14__hip_bfloat16hLN4vllm18Fp8KVCacheDataTypeE1ES0_Li32ELi64ELi256ELb0ELi11EEvPKT_PKT0_S8_ifPKiSA_SA_iPKfiiiPfSD_PS3_PT2_iSC_SC_
    .private_segment_fixed_size: 64
    .sgpr_count:     36
    .sgpr_spill_count: 0
    .symbol:         _Z39paged_attention_ll4mi_QKV_mfma16_kernelI14__hip_bfloat16hLN4vllm18Fp8KVCacheDataTypeE1ES0_Li32ELi64ELi256ELb0ELi11EEvPKT_PKT0_S8_ifPKiSA_SA_iPKfiiiPfSD_PS3_PT2_iSC_SC_.kd
    .uniform_work_group_size: 1
    .uses_dynamic_stack: false
    .vgpr_count:     51
    .vgpr_spill_count: 0
    .wavefront_size: 32
  - .args:
      - .actual_access:  read_only
        .address_space:  global
        .offset:         0
        .size:           8
        .value_kind:     global_buffer
      - .actual_access:  read_only
        .address_space:  global
        .offset:         8
        .size:           8
        .value_kind:     global_buffer
      - .actual_access:  read_only
        .address_space:  global
        .offset:         16
        .size:           8
        .value_kind:     global_buffer
      - .offset:         24
        .size:           4
        .value_kind:     by_value
      - .offset:         28
        .size:           4
        .value_kind:     by_value
      - .actual_access:  read_only
        .address_space:  global
        .offset:         32
        .size:           8
        .value_kind:     global_buffer
      - .actual_access:  read_only
        .address_space:  global
        .offset:         40
        .size:           8
        .value_kind:     global_buffer
      - .actual_access:  read_only
        .address_space:  global
        .offset:         48
        .size:           8
        .value_kind:     global_buffer
      - .offset:         56
        .size:           4
        .value_kind:     by_value
      - .actual_access:  read_only
        .address_space:  global
        .offset:         64
        .size:           8
        .value_kind:     global_buffer
      - .offset:         72
        .size:           4
        .value_kind:     by_value
      - .offset:         76
        .size:           4
        .value_kind:     by_value
      - .offset:         80
        .size:           4
        .value_kind:     by_value
      - .actual_access:  read_only
        .address_space:  global
        .offset:         88
        .size:           8
        .value_kind:     global_buffer
      - .actual_access:  read_only
        .address_space:  global
        .offset:         96
        .size:           8
        .value_kind:     global_buffer
      - .actual_access:  read_only
        .address_space:  global
        .offset:         104
        .size:           8
        .value_kind:     global_buffer
      - .actual_access:  read_only
        .address_space:  global
        .offset:         112
        .size:           8
        .value_kind:     global_buffer
      - .offset:         120
        .size:           4
        .value_kind:     by_value
      - .address_space:  global
        .offset:         128
        .size:           8
        .value_kind:     global_buffer
      - .address_space:  global
        .offset:         136
        .size:           8
        .value_kind:     global_buffer
      - .offset:         144
        .size:           4
        .value_kind:     hidden_block_count_x
      - .offset:         148
        .size:           4
        .value_kind:     hidden_block_count_y
      - .offset:         152
        .size:           4
        .value_kind:     hidden_block_count_z
      - .offset:         156
        .size:           2
        .value_kind:     hidden_group_size_x
      - .offset:         158
        .size:           2
        .value_kind:     hidden_group_size_y
      - .offset:         160
        .size:           2
        .value_kind:     hidden_group_size_z
      - .offset:         162
        .size:           2
        .value_kind:     hidden_remainder_x
      - .offset:         164
        .size:           2
        .value_kind:     hidden_remainder_y
      - .offset:         166
        .size:           2
        .value_kind:     hidden_remainder_z
      - .offset:         184
        .size:           8
        .value_kind:     hidden_global_offset_x
      - .offset:         192
        .size:           8
        .value_kind:     hidden_global_offset_y
      - .offset:         200
        .size:           8
        .value_kind:     hidden_global_offset_z
      - .offset:         208
        .size:           2
        .value_kind:     hidden_grid_dims
      - .offset:         224
        .size:           8
        .value_kind:     hidden_hostcall_buffer
    .group_segment_fixed_size: 0
    .kernarg_segment_align: 8
    .kernarg_segment_size: 400
    .language:       OpenCL C
    .language_version:
      - 2
      - 0
    .max_flat_workgroup_size: 256
    .name:           _Z39paged_attention_ll4mi_QKV_mfma16_kernelI14__hip_bfloat16hLN4vllm18Fp8KVCacheDataTypeE1ES0_Li32ELi64ELi256ELb0ELi12EEvPKT_PKT0_S8_ifPKiSA_SA_iPKfiiiPfSD_PS3_PT2_iSC_SC_
    .private_segment_fixed_size: 64
    .sgpr_count:     36
    .sgpr_spill_count: 0
    .symbol:         _Z39paged_attention_ll4mi_QKV_mfma16_kernelI14__hip_bfloat16hLN4vllm18Fp8KVCacheDataTypeE1ES0_Li32ELi64ELi256ELb0ELi12EEvPKT_PKT0_S8_ifPKiSA_SA_iPKfiiiPfSD_PS3_PT2_iSC_SC_.kd
    .uniform_work_group_size: 1
    .uses_dynamic_stack: false
    .vgpr_count:     51
    .vgpr_spill_count: 0
    .wavefront_size: 32
  - .args:
      - .actual_access:  read_only
        .address_space:  global
        .offset:         0
        .size:           8
        .value_kind:     global_buffer
      - .actual_access:  read_only
        .address_space:  global
        .offset:         8
        .size:           8
        .value_kind:     global_buffer
      - .actual_access:  read_only
        .address_space:  global
        .offset:         16
        .size:           8
        .value_kind:     global_buffer
      - .offset:         24
        .size:           4
        .value_kind:     by_value
      - .offset:         28
        .size:           4
        .value_kind:     by_value
      - .actual_access:  read_only
        .address_space:  global
        .offset:         32
        .size:           8
        .value_kind:     global_buffer
      - .actual_access:  read_only
        .address_space:  global
        .offset:         40
        .size:           8
        .value_kind:     global_buffer
      - .actual_access:  read_only
        .address_space:  global
        .offset:         48
        .size:           8
        .value_kind:     global_buffer
      - .offset:         56
        .size:           4
        .value_kind:     by_value
      - .actual_access:  read_only
        .address_space:  global
        .offset:         64
        .size:           8
        .value_kind:     global_buffer
      - .offset:         72
        .size:           4
        .value_kind:     by_value
      - .offset:         76
        .size:           4
        .value_kind:     by_value
      - .offset:         80
        .size:           4
        .value_kind:     by_value
      - .actual_access:  read_only
        .address_space:  global
        .offset:         88
        .size:           8
        .value_kind:     global_buffer
      - .actual_access:  read_only
        .address_space:  global
        .offset:         96
        .size:           8
        .value_kind:     global_buffer
      - .actual_access:  read_only
        .address_space:  global
        .offset:         104
        .size:           8
        .value_kind:     global_buffer
      - .actual_access:  read_only
        .address_space:  global
        .offset:         112
        .size:           8
        .value_kind:     global_buffer
      - .offset:         120
        .size:           4
        .value_kind:     by_value
      - .address_space:  global
        .offset:         128
        .size:           8
        .value_kind:     global_buffer
      - .address_space:  global
        .offset:         136
        .size:           8
        .value_kind:     global_buffer
      - .offset:         144
        .size:           4
        .value_kind:     hidden_block_count_x
      - .offset:         148
        .size:           4
        .value_kind:     hidden_block_count_y
      - .offset:         152
        .size:           4
        .value_kind:     hidden_block_count_z
      - .offset:         156
        .size:           2
        .value_kind:     hidden_group_size_x
      - .offset:         158
        .size:           2
        .value_kind:     hidden_group_size_y
      - .offset:         160
        .size:           2
        .value_kind:     hidden_group_size_z
      - .offset:         162
        .size:           2
        .value_kind:     hidden_remainder_x
      - .offset:         164
        .size:           2
        .value_kind:     hidden_remainder_y
      - .offset:         166
        .size:           2
        .value_kind:     hidden_remainder_z
      - .offset:         184
        .size:           8
        .value_kind:     hidden_global_offset_x
      - .offset:         192
        .size:           8
        .value_kind:     hidden_global_offset_y
      - .offset:         200
        .size:           8
        .value_kind:     hidden_global_offset_z
      - .offset:         208
        .size:           2
        .value_kind:     hidden_grid_dims
      - .offset:         224
        .size:           8
        .value_kind:     hidden_hostcall_buffer
    .group_segment_fixed_size: 0
    .kernarg_segment_align: 8
    .kernarg_segment_size: 400
    .language:       OpenCL C
    .language_version:
      - 2
      - 0
    .max_flat_workgroup_size: 256
    .name:           _Z39paged_attention_ll4mi_QKV_mfma16_kernelI14__hip_bfloat16hLN4vllm18Fp8KVCacheDataTypeE1ES0_Li32ELi64ELi256ELb0ELi13EEvPKT_PKT0_S8_ifPKiSA_SA_iPKfiiiPfSD_PS3_PT2_iSC_SC_
    .private_segment_fixed_size: 64
    .sgpr_count:     36
    .sgpr_spill_count: 0
    .symbol:         _Z39paged_attention_ll4mi_QKV_mfma16_kernelI14__hip_bfloat16hLN4vllm18Fp8KVCacheDataTypeE1ES0_Li32ELi64ELi256ELb0ELi13EEvPKT_PKT0_S8_ifPKiSA_SA_iPKfiiiPfSD_PS3_PT2_iSC_SC_.kd
    .uniform_work_group_size: 1
    .uses_dynamic_stack: false
    .vgpr_count:     51
    .vgpr_spill_count: 0
    .wavefront_size: 32
  - .args:
      - .actual_access:  read_only
        .address_space:  global
        .offset:         0
        .size:           8
        .value_kind:     global_buffer
      - .actual_access:  read_only
        .address_space:  global
        .offset:         8
        .size:           8
        .value_kind:     global_buffer
      - .actual_access:  read_only
        .address_space:  global
        .offset:         16
        .size:           8
        .value_kind:     global_buffer
      - .offset:         24
        .size:           4
        .value_kind:     by_value
      - .offset:         28
        .size:           4
        .value_kind:     by_value
      - .actual_access:  read_only
        .address_space:  global
        .offset:         32
        .size:           8
        .value_kind:     global_buffer
      - .actual_access:  read_only
        .address_space:  global
        .offset:         40
        .size:           8
        .value_kind:     global_buffer
      - .actual_access:  read_only
        .address_space:  global
        .offset:         48
        .size:           8
        .value_kind:     global_buffer
      - .offset:         56
        .size:           4
        .value_kind:     by_value
      - .actual_access:  read_only
        .address_space:  global
        .offset:         64
        .size:           8
        .value_kind:     global_buffer
      - .offset:         72
        .size:           4
        .value_kind:     by_value
      - .offset:         76
        .size:           4
        .value_kind:     by_value
      - .offset:         80
        .size:           4
        .value_kind:     by_value
      - .actual_access:  read_only
        .address_space:  global
        .offset:         88
        .size:           8
        .value_kind:     global_buffer
      - .actual_access:  read_only
        .address_space:  global
        .offset:         96
        .size:           8
        .value_kind:     global_buffer
      - .actual_access:  read_only
        .address_space:  global
        .offset:         104
        .size:           8
        .value_kind:     global_buffer
      - .actual_access:  read_only
        .address_space:  global
        .offset:         112
        .size:           8
        .value_kind:     global_buffer
      - .offset:         120
        .size:           4
        .value_kind:     by_value
      - .address_space:  global
        .offset:         128
        .size:           8
        .value_kind:     global_buffer
      - .address_space:  global
        .offset:         136
        .size:           8
        .value_kind:     global_buffer
      - .offset:         144
        .size:           4
        .value_kind:     hidden_block_count_x
      - .offset:         148
        .size:           4
        .value_kind:     hidden_block_count_y
      - .offset:         152
        .size:           4
        .value_kind:     hidden_block_count_z
      - .offset:         156
        .size:           2
        .value_kind:     hidden_group_size_x
      - .offset:         158
        .size:           2
        .value_kind:     hidden_group_size_y
      - .offset:         160
        .size:           2
        .value_kind:     hidden_group_size_z
      - .offset:         162
        .size:           2
        .value_kind:     hidden_remainder_x
      - .offset:         164
        .size:           2
        .value_kind:     hidden_remainder_y
      - .offset:         166
        .size:           2
        .value_kind:     hidden_remainder_z
      - .offset:         184
        .size:           8
        .value_kind:     hidden_global_offset_x
      - .offset:         192
        .size:           8
        .value_kind:     hidden_global_offset_y
      - .offset:         200
        .size:           8
        .value_kind:     hidden_global_offset_z
      - .offset:         208
        .size:           2
        .value_kind:     hidden_grid_dims
      - .offset:         224
        .size:           8
        .value_kind:     hidden_hostcall_buffer
    .group_segment_fixed_size: 0
    .kernarg_segment_align: 8
    .kernarg_segment_size: 400
    .language:       OpenCL C
    .language_version:
      - 2
      - 0
    .max_flat_workgroup_size: 256
    .name:           _Z39paged_attention_ll4mi_QKV_mfma16_kernelI14__hip_bfloat16hLN4vllm18Fp8KVCacheDataTypeE1ES0_Li32ELi64ELi256ELb0ELi14EEvPKT_PKT0_S8_ifPKiSA_SA_iPKfiiiPfSD_PS3_PT2_iSC_SC_
    .private_segment_fixed_size: 64
    .sgpr_count:     36
    .sgpr_spill_count: 0
    .symbol:         _Z39paged_attention_ll4mi_QKV_mfma16_kernelI14__hip_bfloat16hLN4vllm18Fp8KVCacheDataTypeE1ES0_Li32ELi64ELi256ELb0ELi14EEvPKT_PKT0_S8_ifPKiSA_SA_iPKfiiiPfSD_PS3_PT2_iSC_SC_.kd
    .uniform_work_group_size: 1
    .uses_dynamic_stack: false
    .vgpr_count:     51
    .vgpr_spill_count: 0
    .wavefront_size: 32
  - .args:
      - .actual_access:  read_only
        .address_space:  global
        .offset:         0
        .size:           8
        .value_kind:     global_buffer
      - .actual_access:  read_only
        .address_space:  global
        .offset:         8
        .size:           8
        .value_kind:     global_buffer
      - .actual_access:  read_only
        .address_space:  global
        .offset:         16
        .size:           8
        .value_kind:     global_buffer
      - .offset:         24
        .size:           4
        .value_kind:     by_value
      - .offset:         28
        .size:           4
        .value_kind:     by_value
      - .actual_access:  read_only
        .address_space:  global
        .offset:         32
        .size:           8
        .value_kind:     global_buffer
      - .actual_access:  read_only
        .address_space:  global
        .offset:         40
        .size:           8
        .value_kind:     global_buffer
      - .actual_access:  read_only
        .address_space:  global
        .offset:         48
        .size:           8
        .value_kind:     global_buffer
      - .offset:         56
        .size:           4
        .value_kind:     by_value
      - .actual_access:  read_only
        .address_space:  global
        .offset:         64
        .size:           8
        .value_kind:     global_buffer
      - .offset:         72
        .size:           4
        .value_kind:     by_value
      - .offset:         76
        .size:           4
        .value_kind:     by_value
      - .offset:         80
        .size:           4
        .value_kind:     by_value
      - .actual_access:  read_only
        .address_space:  global
        .offset:         88
        .size:           8
        .value_kind:     global_buffer
      - .actual_access:  read_only
        .address_space:  global
        .offset:         96
        .size:           8
        .value_kind:     global_buffer
      - .actual_access:  read_only
        .address_space:  global
        .offset:         104
        .size:           8
        .value_kind:     global_buffer
      - .actual_access:  read_only
        .address_space:  global
        .offset:         112
        .size:           8
        .value_kind:     global_buffer
      - .offset:         120
        .size:           4
        .value_kind:     by_value
      - .address_space:  global
        .offset:         128
        .size:           8
        .value_kind:     global_buffer
      - .address_space:  global
        .offset:         136
        .size:           8
        .value_kind:     global_buffer
      - .offset:         144
        .size:           4
        .value_kind:     hidden_block_count_x
      - .offset:         148
        .size:           4
        .value_kind:     hidden_block_count_y
      - .offset:         152
        .size:           4
        .value_kind:     hidden_block_count_z
      - .offset:         156
        .size:           2
        .value_kind:     hidden_group_size_x
      - .offset:         158
        .size:           2
        .value_kind:     hidden_group_size_y
      - .offset:         160
        .size:           2
        .value_kind:     hidden_group_size_z
      - .offset:         162
        .size:           2
        .value_kind:     hidden_remainder_x
      - .offset:         164
        .size:           2
        .value_kind:     hidden_remainder_y
      - .offset:         166
        .size:           2
        .value_kind:     hidden_remainder_z
      - .offset:         184
        .size:           8
        .value_kind:     hidden_global_offset_x
      - .offset:         192
        .size:           8
        .value_kind:     hidden_global_offset_y
      - .offset:         200
        .size:           8
        .value_kind:     hidden_global_offset_z
      - .offset:         208
        .size:           2
        .value_kind:     hidden_grid_dims
      - .offset:         224
        .size:           8
        .value_kind:     hidden_hostcall_buffer
    .group_segment_fixed_size: 0
    .kernarg_segment_align: 8
    .kernarg_segment_size: 400
    .language:       OpenCL C
    .language_version:
      - 2
      - 0
    .max_flat_workgroup_size: 256
    .name:           _Z39paged_attention_ll4mi_QKV_mfma16_kernelI14__hip_bfloat16hLN4vllm18Fp8KVCacheDataTypeE1ES0_Li32ELi64ELi256ELb0ELi15EEvPKT_PKT0_S8_ifPKiSA_SA_iPKfiiiPfSD_PS3_PT2_iSC_SC_
    .private_segment_fixed_size: 64
    .sgpr_count:     36
    .sgpr_spill_count: 0
    .symbol:         _Z39paged_attention_ll4mi_QKV_mfma16_kernelI14__hip_bfloat16hLN4vllm18Fp8KVCacheDataTypeE1ES0_Li32ELi64ELi256ELb0ELi15EEvPKT_PKT0_S8_ifPKiSA_SA_iPKfiiiPfSD_PS3_PT2_iSC_SC_.kd
    .uniform_work_group_size: 1
    .uses_dynamic_stack: false
    .vgpr_count:     51
    .vgpr_spill_count: 0
    .wavefront_size: 32
  - .args:
      - .actual_access:  read_only
        .address_space:  global
        .offset:         0
        .size:           8
        .value_kind:     global_buffer
      - .actual_access:  read_only
        .address_space:  global
        .offset:         8
        .size:           8
        .value_kind:     global_buffer
      - .actual_access:  read_only
        .address_space:  global
        .offset:         16
        .size:           8
        .value_kind:     global_buffer
      - .offset:         24
        .size:           4
        .value_kind:     by_value
      - .offset:         28
        .size:           4
        .value_kind:     by_value
      - .actual_access:  read_only
        .address_space:  global
        .offset:         32
        .size:           8
        .value_kind:     global_buffer
      - .actual_access:  read_only
        .address_space:  global
        .offset:         40
        .size:           8
        .value_kind:     global_buffer
      - .actual_access:  read_only
        .address_space:  global
        .offset:         48
        .size:           8
        .value_kind:     global_buffer
      - .offset:         56
        .size:           4
        .value_kind:     by_value
      - .actual_access:  read_only
        .address_space:  global
        .offset:         64
        .size:           8
        .value_kind:     global_buffer
      - .offset:         72
        .size:           4
        .value_kind:     by_value
      - .offset:         76
        .size:           4
        .value_kind:     by_value
      - .offset:         80
        .size:           4
        .value_kind:     by_value
      - .actual_access:  read_only
        .address_space:  global
        .offset:         88
        .size:           8
        .value_kind:     global_buffer
      - .actual_access:  read_only
        .address_space:  global
        .offset:         96
        .size:           8
        .value_kind:     global_buffer
      - .actual_access:  read_only
        .address_space:  global
        .offset:         104
        .size:           8
        .value_kind:     global_buffer
      - .actual_access:  read_only
        .address_space:  global
        .offset:         112
        .size:           8
        .value_kind:     global_buffer
      - .offset:         120
        .size:           4
        .value_kind:     by_value
      - .address_space:  global
        .offset:         128
        .size:           8
        .value_kind:     global_buffer
      - .address_space:  global
        .offset:         136
        .size:           8
        .value_kind:     global_buffer
      - .offset:         144
        .size:           4
        .value_kind:     hidden_block_count_x
      - .offset:         148
        .size:           4
        .value_kind:     hidden_block_count_y
      - .offset:         152
        .size:           4
        .value_kind:     hidden_block_count_z
      - .offset:         156
        .size:           2
        .value_kind:     hidden_group_size_x
      - .offset:         158
        .size:           2
        .value_kind:     hidden_group_size_y
      - .offset:         160
        .size:           2
        .value_kind:     hidden_group_size_z
      - .offset:         162
        .size:           2
        .value_kind:     hidden_remainder_x
      - .offset:         164
        .size:           2
        .value_kind:     hidden_remainder_y
      - .offset:         166
        .size:           2
        .value_kind:     hidden_remainder_z
      - .offset:         184
        .size:           8
        .value_kind:     hidden_global_offset_x
      - .offset:         192
        .size:           8
        .value_kind:     hidden_global_offset_y
      - .offset:         200
        .size:           8
        .value_kind:     hidden_global_offset_z
      - .offset:         208
        .size:           2
        .value_kind:     hidden_grid_dims
      - .offset:         224
        .size:           8
        .value_kind:     hidden_hostcall_buffer
    .group_segment_fixed_size: 0
    .kernarg_segment_align: 8
    .kernarg_segment_size: 400
    .language:       OpenCL C
    .language_version:
      - 2
      - 0
    .max_flat_workgroup_size: 256
    .name:           _Z39paged_attention_ll4mi_QKV_mfma16_kernelI14__hip_bfloat16hLN4vllm18Fp8KVCacheDataTypeE1ES0_Li32ELi64ELi256ELb0ELi16EEvPKT_PKT0_S8_ifPKiSA_SA_iPKfiiiPfSD_PS3_PT2_iSC_SC_
    .private_segment_fixed_size: 64
    .sgpr_count:     36
    .sgpr_spill_count: 0
    .symbol:         _Z39paged_attention_ll4mi_QKV_mfma16_kernelI14__hip_bfloat16hLN4vllm18Fp8KVCacheDataTypeE1ES0_Li32ELi64ELi256ELb0ELi16EEvPKT_PKT0_S8_ifPKiSA_SA_iPKfiiiPfSD_PS3_PT2_iSC_SC_.kd
    .uniform_work_group_size: 1
    .uses_dynamic_stack: false
    .vgpr_count:     51
    .vgpr_spill_count: 0
    .wavefront_size: 32
  - .args:
      - .actual_access:  read_only
        .address_space:  global
        .offset:         0
        .size:           8
        .value_kind:     global_buffer
      - .actual_access:  read_only
        .address_space:  global
        .offset:         8
        .size:           8
        .value_kind:     global_buffer
      - .actual_access:  read_only
        .address_space:  global
        .offset:         16
        .size:           8
        .value_kind:     global_buffer
      - .offset:         24
        .size:           4
        .value_kind:     by_value
      - .offset:         28
        .size:           4
        .value_kind:     by_value
      - .actual_access:  read_only
        .address_space:  global
        .offset:         32
        .size:           8
        .value_kind:     global_buffer
      - .actual_access:  read_only
        .address_space:  global
        .offset:         40
        .size:           8
        .value_kind:     global_buffer
      - .actual_access:  read_only
        .address_space:  global
        .offset:         48
        .size:           8
        .value_kind:     global_buffer
      - .offset:         56
        .size:           4
        .value_kind:     by_value
      - .actual_access:  read_only
        .address_space:  global
        .offset:         64
        .size:           8
        .value_kind:     global_buffer
      - .offset:         72
        .size:           4
        .value_kind:     by_value
      - .offset:         76
        .size:           4
        .value_kind:     by_value
      - .offset:         80
        .size:           4
        .value_kind:     by_value
      - .actual_access:  read_only
        .address_space:  global
        .offset:         88
        .size:           8
        .value_kind:     global_buffer
      - .actual_access:  read_only
        .address_space:  global
        .offset:         96
        .size:           8
        .value_kind:     global_buffer
      - .actual_access:  read_only
        .address_space:  global
        .offset:         104
        .size:           8
        .value_kind:     global_buffer
      - .actual_access:  read_only
        .address_space:  global
        .offset:         112
        .size:           8
        .value_kind:     global_buffer
      - .offset:         120
        .size:           4
        .value_kind:     by_value
      - .address_space:  global
        .offset:         128
        .size:           8
        .value_kind:     global_buffer
      - .address_space:  global
        .offset:         136
        .size:           8
        .value_kind:     global_buffer
      - .offset:         144
        .size:           4
        .value_kind:     hidden_block_count_x
      - .offset:         148
        .size:           4
        .value_kind:     hidden_block_count_y
      - .offset:         152
        .size:           4
        .value_kind:     hidden_block_count_z
      - .offset:         156
        .size:           2
        .value_kind:     hidden_group_size_x
      - .offset:         158
        .size:           2
        .value_kind:     hidden_group_size_y
      - .offset:         160
        .size:           2
        .value_kind:     hidden_group_size_z
      - .offset:         162
        .size:           2
        .value_kind:     hidden_remainder_x
      - .offset:         164
        .size:           2
        .value_kind:     hidden_remainder_y
      - .offset:         166
        .size:           2
        .value_kind:     hidden_remainder_z
      - .offset:         184
        .size:           8
        .value_kind:     hidden_global_offset_x
      - .offset:         192
        .size:           8
        .value_kind:     hidden_global_offset_y
      - .offset:         200
        .size:           8
        .value_kind:     hidden_global_offset_z
      - .offset:         208
        .size:           2
        .value_kind:     hidden_grid_dims
      - .offset:         224
        .size:           8
        .value_kind:     hidden_hostcall_buffer
    .group_segment_fixed_size: 0
    .kernarg_segment_align: 8
    .kernarg_segment_size: 400
    .language:       OpenCL C
    .language_version:
      - 2
      - 0
    .max_flat_workgroup_size: 256
    .name:           _Z39paged_attention_ll4mi_QKV_mfma16_kernelI14__hip_bfloat16hLN4vllm18Fp8KVCacheDataTypeE1ES0_Li32ELi64ELi256ELb0ELi1EEvPKT_PKT0_S8_ifPKiSA_SA_iPKfiiiPfSD_PS3_PT2_iSC_SC_
    .private_segment_fixed_size: 64
    .sgpr_count:     36
    .sgpr_spill_count: 0
    .symbol:         _Z39paged_attention_ll4mi_QKV_mfma16_kernelI14__hip_bfloat16hLN4vllm18Fp8KVCacheDataTypeE1ES0_Li32ELi64ELi256ELb0ELi1EEvPKT_PKT0_S8_ifPKiSA_SA_iPKfiiiPfSD_PS3_PT2_iSC_SC_.kd
    .uniform_work_group_size: 1
    .uses_dynamic_stack: false
    .vgpr_count:     51
    .vgpr_spill_count: 0
    .wavefront_size: 32
  - .args:
      - .actual_access:  read_only
        .address_space:  global
        .offset:         0
        .size:           8
        .value_kind:     global_buffer
      - .actual_access:  read_only
        .address_space:  global
        .offset:         8
        .size:           8
        .value_kind:     global_buffer
      - .actual_access:  read_only
        .address_space:  global
        .offset:         16
        .size:           8
        .value_kind:     global_buffer
      - .offset:         24
        .size:           4
        .value_kind:     by_value
      - .offset:         28
        .size:           4
        .value_kind:     by_value
      - .actual_access:  read_only
        .address_space:  global
        .offset:         32
        .size:           8
        .value_kind:     global_buffer
      - .actual_access:  read_only
        .address_space:  global
        .offset:         40
        .size:           8
        .value_kind:     global_buffer
      - .actual_access:  read_only
        .address_space:  global
        .offset:         48
        .size:           8
        .value_kind:     global_buffer
      - .offset:         56
        .size:           4
        .value_kind:     by_value
      - .actual_access:  read_only
        .address_space:  global
        .offset:         64
        .size:           8
        .value_kind:     global_buffer
      - .offset:         72
        .size:           4
        .value_kind:     by_value
      - .offset:         76
        .size:           4
        .value_kind:     by_value
      - .offset:         80
        .size:           4
        .value_kind:     by_value
      - .actual_access:  read_only
        .address_space:  global
        .offset:         88
        .size:           8
        .value_kind:     global_buffer
      - .actual_access:  read_only
        .address_space:  global
        .offset:         96
        .size:           8
        .value_kind:     global_buffer
      - .actual_access:  read_only
        .address_space:  global
        .offset:         104
        .size:           8
        .value_kind:     global_buffer
      - .actual_access:  read_only
        .address_space:  global
        .offset:         112
        .size:           8
        .value_kind:     global_buffer
      - .offset:         120
        .size:           4
        .value_kind:     by_value
      - .address_space:  global
        .offset:         128
        .size:           8
        .value_kind:     global_buffer
      - .address_space:  global
        .offset:         136
        .size:           8
        .value_kind:     global_buffer
      - .offset:         144
        .size:           4
        .value_kind:     hidden_block_count_x
      - .offset:         148
        .size:           4
        .value_kind:     hidden_block_count_y
      - .offset:         152
        .size:           4
        .value_kind:     hidden_block_count_z
      - .offset:         156
        .size:           2
        .value_kind:     hidden_group_size_x
      - .offset:         158
        .size:           2
        .value_kind:     hidden_group_size_y
      - .offset:         160
        .size:           2
        .value_kind:     hidden_group_size_z
      - .offset:         162
        .size:           2
        .value_kind:     hidden_remainder_x
      - .offset:         164
        .size:           2
        .value_kind:     hidden_remainder_y
      - .offset:         166
        .size:           2
        .value_kind:     hidden_remainder_z
      - .offset:         184
        .size:           8
        .value_kind:     hidden_global_offset_x
      - .offset:         192
        .size:           8
        .value_kind:     hidden_global_offset_y
      - .offset:         200
        .size:           8
        .value_kind:     hidden_global_offset_z
      - .offset:         208
        .size:           2
        .value_kind:     hidden_grid_dims
      - .offset:         224
        .size:           8
        .value_kind:     hidden_hostcall_buffer
    .group_segment_fixed_size: 0
    .kernarg_segment_align: 8
    .kernarg_segment_size: 400
    .language:       OpenCL C
    .language_version:
      - 2
      - 0
    .max_flat_workgroup_size: 256
    .name:           _Z39paged_attention_ll4mi_QKV_mfma16_kernelI14__hip_bfloat16hLN4vllm18Fp8KVCacheDataTypeE1ES0_Li32ELi64ELi256ELb0ELi2EEvPKT_PKT0_S8_ifPKiSA_SA_iPKfiiiPfSD_PS3_PT2_iSC_SC_
    .private_segment_fixed_size: 64
    .sgpr_count:     36
    .sgpr_spill_count: 0
    .symbol:         _Z39paged_attention_ll4mi_QKV_mfma16_kernelI14__hip_bfloat16hLN4vllm18Fp8KVCacheDataTypeE1ES0_Li32ELi64ELi256ELb0ELi2EEvPKT_PKT0_S8_ifPKiSA_SA_iPKfiiiPfSD_PS3_PT2_iSC_SC_.kd
    .uniform_work_group_size: 1
    .uses_dynamic_stack: false
    .vgpr_count:     51
    .vgpr_spill_count: 0
    .wavefront_size: 32
  - .args:
      - .actual_access:  read_only
        .address_space:  global
        .offset:         0
        .size:           8
        .value_kind:     global_buffer
      - .actual_access:  read_only
        .address_space:  global
        .offset:         8
        .size:           8
        .value_kind:     global_buffer
      - .actual_access:  read_only
        .address_space:  global
        .offset:         16
        .size:           8
        .value_kind:     global_buffer
      - .offset:         24
        .size:           4
        .value_kind:     by_value
      - .offset:         28
        .size:           4
        .value_kind:     by_value
      - .actual_access:  read_only
        .address_space:  global
        .offset:         32
        .size:           8
        .value_kind:     global_buffer
      - .actual_access:  read_only
        .address_space:  global
        .offset:         40
        .size:           8
        .value_kind:     global_buffer
      - .actual_access:  read_only
        .address_space:  global
        .offset:         48
        .size:           8
        .value_kind:     global_buffer
      - .offset:         56
        .size:           4
        .value_kind:     by_value
      - .actual_access:  read_only
        .address_space:  global
        .offset:         64
        .size:           8
        .value_kind:     global_buffer
      - .offset:         72
        .size:           4
        .value_kind:     by_value
      - .offset:         76
        .size:           4
        .value_kind:     by_value
      - .offset:         80
        .size:           4
        .value_kind:     by_value
      - .actual_access:  read_only
        .address_space:  global
        .offset:         88
        .size:           8
        .value_kind:     global_buffer
      - .actual_access:  read_only
        .address_space:  global
        .offset:         96
        .size:           8
        .value_kind:     global_buffer
      - .actual_access:  read_only
        .address_space:  global
        .offset:         104
        .size:           8
        .value_kind:     global_buffer
      - .actual_access:  read_only
        .address_space:  global
        .offset:         112
        .size:           8
        .value_kind:     global_buffer
      - .offset:         120
        .size:           4
        .value_kind:     by_value
      - .address_space:  global
        .offset:         128
        .size:           8
        .value_kind:     global_buffer
      - .address_space:  global
        .offset:         136
        .size:           8
        .value_kind:     global_buffer
      - .offset:         144
        .size:           4
        .value_kind:     hidden_block_count_x
      - .offset:         148
        .size:           4
        .value_kind:     hidden_block_count_y
      - .offset:         152
        .size:           4
        .value_kind:     hidden_block_count_z
      - .offset:         156
        .size:           2
        .value_kind:     hidden_group_size_x
      - .offset:         158
        .size:           2
        .value_kind:     hidden_group_size_y
      - .offset:         160
        .size:           2
        .value_kind:     hidden_group_size_z
      - .offset:         162
        .size:           2
        .value_kind:     hidden_remainder_x
      - .offset:         164
        .size:           2
        .value_kind:     hidden_remainder_y
      - .offset:         166
        .size:           2
        .value_kind:     hidden_remainder_z
      - .offset:         184
        .size:           8
        .value_kind:     hidden_global_offset_x
      - .offset:         192
        .size:           8
        .value_kind:     hidden_global_offset_y
      - .offset:         200
        .size:           8
        .value_kind:     hidden_global_offset_z
      - .offset:         208
        .size:           2
        .value_kind:     hidden_grid_dims
      - .offset:         224
        .size:           8
        .value_kind:     hidden_hostcall_buffer
    .group_segment_fixed_size: 0
    .kernarg_segment_align: 8
    .kernarg_segment_size: 400
    .language:       OpenCL C
    .language_version:
      - 2
      - 0
    .max_flat_workgroup_size: 256
    .name:           _Z39paged_attention_ll4mi_QKV_mfma16_kernelI14__hip_bfloat16hLN4vllm18Fp8KVCacheDataTypeE1ES0_Li32ELi64ELi256ELb0ELi3EEvPKT_PKT0_S8_ifPKiSA_SA_iPKfiiiPfSD_PS3_PT2_iSC_SC_
    .private_segment_fixed_size: 64
    .sgpr_count:     36
    .sgpr_spill_count: 0
    .symbol:         _Z39paged_attention_ll4mi_QKV_mfma16_kernelI14__hip_bfloat16hLN4vllm18Fp8KVCacheDataTypeE1ES0_Li32ELi64ELi256ELb0ELi3EEvPKT_PKT0_S8_ifPKiSA_SA_iPKfiiiPfSD_PS3_PT2_iSC_SC_.kd
    .uniform_work_group_size: 1
    .uses_dynamic_stack: false
    .vgpr_count:     51
    .vgpr_spill_count: 0
    .wavefront_size: 32
  - .args:
      - .actual_access:  read_only
        .address_space:  global
        .offset:         0
        .size:           8
        .value_kind:     global_buffer
      - .actual_access:  read_only
        .address_space:  global
        .offset:         8
        .size:           8
        .value_kind:     global_buffer
      - .actual_access:  read_only
        .address_space:  global
        .offset:         16
        .size:           8
        .value_kind:     global_buffer
      - .offset:         24
        .size:           4
        .value_kind:     by_value
      - .offset:         28
        .size:           4
        .value_kind:     by_value
      - .actual_access:  read_only
        .address_space:  global
        .offset:         32
        .size:           8
        .value_kind:     global_buffer
      - .actual_access:  read_only
        .address_space:  global
        .offset:         40
        .size:           8
        .value_kind:     global_buffer
      - .actual_access:  read_only
        .address_space:  global
        .offset:         48
        .size:           8
        .value_kind:     global_buffer
      - .offset:         56
        .size:           4
        .value_kind:     by_value
      - .actual_access:  read_only
        .address_space:  global
        .offset:         64
        .size:           8
        .value_kind:     global_buffer
      - .offset:         72
        .size:           4
        .value_kind:     by_value
      - .offset:         76
        .size:           4
        .value_kind:     by_value
      - .offset:         80
        .size:           4
        .value_kind:     by_value
      - .actual_access:  read_only
        .address_space:  global
        .offset:         88
        .size:           8
        .value_kind:     global_buffer
      - .actual_access:  read_only
        .address_space:  global
        .offset:         96
        .size:           8
        .value_kind:     global_buffer
      - .actual_access:  read_only
        .address_space:  global
        .offset:         104
        .size:           8
        .value_kind:     global_buffer
      - .actual_access:  read_only
        .address_space:  global
        .offset:         112
        .size:           8
        .value_kind:     global_buffer
      - .offset:         120
        .size:           4
        .value_kind:     by_value
      - .address_space:  global
        .offset:         128
        .size:           8
        .value_kind:     global_buffer
      - .address_space:  global
        .offset:         136
        .size:           8
        .value_kind:     global_buffer
      - .offset:         144
        .size:           4
        .value_kind:     hidden_block_count_x
      - .offset:         148
        .size:           4
        .value_kind:     hidden_block_count_y
      - .offset:         152
        .size:           4
        .value_kind:     hidden_block_count_z
      - .offset:         156
        .size:           2
        .value_kind:     hidden_group_size_x
      - .offset:         158
        .size:           2
        .value_kind:     hidden_group_size_y
      - .offset:         160
        .size:           2
        .value_kind:     hidden_group_size_z
      - .offset:         162
        .size:           2
        .value_kind:     hidden_remainder_x
      - .offset:         164
        .size:           2
        .value_kind:     hidden_remainder_y
      - .offset:         166
        .size:           2
        .value_kind:     hidden_remainder_z
      - .offset:         184
        .size:           8
        .value_kind:     hidden_global_offset_x
      - .offset:         192
        .size:           8
        .value_kind:     hidden_global_offset_y
      - .offset:         200
        .size:           8
        .value_kind:     hidden_global_offset_z
      - .offset:         208
        .size:           2
        .value_kind:     hidden_grid_dims
      - .offset:         224
        .size:           8
        .value_kind:     hidden_hostcall_buffer
    .group_segment_fixed_size: 0
    .kernarg_segment_align: 8
    .kernarg_segment_size: 400
    .language:       OpenCL C
    .language_version:
      - 2
      - 0
    .max_flat_workgroup_size: 256
    .name:           _Z39paged_attention_ll4mi_QKV_mfma16_kernelI14__hip_bfloat16hLN4vllm18Fp8KVCacheDataTypeE1ES0_Li32ELi64ELi256ELb0ELi4EEvPKT_PKT0_S8_ifPKiSA_SA_iPKfiiiPfSD_PS3_PT2_iSC_SC_
    .private_segment_fixed_size: 64
    .sgpr_count:     36
    .sgpr_spill_count: 0
    .symbol:         _Z39paged_attention_ll4mi_QKV_mfma16_kernelI14__hip_bfloat16hLN4vllm18Fp8KVCacheDataTypeE1ES0_Li32ELi64ELi256ELb0ELi4EEvPKT_PKT0_S8_ifPKiSA_SA_iPKfiiiPfSD_PS3_PT2_iSC_SC_.kd
    .uniform_work_group_size: 1
    .uses_dynamic_stack: false
    .vgpr_count:     51
    .vgpr_spill_count: 0
    .wavefront_size: 32
  - .args:
      - .actual_access:  read_only
        .address_space:  global
        .offset:         0
        .size:           8
        .value_kind:     global_buffer
      - .actual_access:  read_only
        .address_space:  global
        .offset:         8
        .size:           8
        .value_kind:     global_buffer
      - .actual_access:  read_only
        .address_space:  global
        .offset:         16
        .size:           8
        .value_kind:     global_buffer
      - .offset:         24
        .size:           4
        .value_kind:     by_value
      - .offset:         28
        .size:           4
        .value_kind:     by_value
      - .actual_access:  read_only
        .address_space:  global
        .offset:         32
        .size:           8
        .value_kind:     global_buffer
      - .actual_access:  read_only
        .address_space:  global
        .offset:         40
        .size:           8
        .value_kind:     global_buffer
      - .actual_access:  read_only
        .address_space:  global
        .offset:         48
        .size:           8
        .value_kind:     global_buffer
      - .offset:         56
        .size:           4
        .value_kind:     by_value
      - .actual_access:  read_only
        .address_space:  global
        .offset:         64
        .size:           8
        .value_kind:     global_buffer
      - .offset:         72
        .size:           4
        .value_kind:     by_value
      - .offset:         76
        .size:           4
        .value_kind:     by_value
      - .offset:         80
        .size:           4
        .value_kind:     by_value
      - .actual_access:  read_only
        .address_space:  global
        .offset:         88
        .size:           8
        .value_kind:     global_buffer
      - .actual_access:  read_only
        .address_space:  global
        .offset:         96
        .size:           8
        .value_kind:     global_buffer
      - .actual_access:  read_only
        .address_space:  global
        .offset:         104
        .size:           8
        .value_kind:     global_buffer
      - .actual_access:  read_only
        .address_space:  global
        .offset:         112
        .size:           8
        .value_kind:     global_buffer
      - .offset:         120
        .size:           4
        .value_kind:     by_value
      - .address_space:  global
        .offset:         128
        .size:           8
        .value_kind:     global_buffer
      - .address_space:  global
        .offset:         136
        .size:           8
        .value_kind:     global_buffer
      - .offset:         144
        .size:           4
        .value_kind:     hidden_block_count_x
      - .offset:         148
        .size:           4
        .value_kind:     hidden_block_count_y
      - .offset:         152
        .size:           4
        .value_kind:     hidden_block_count_z
      - .offset:         156
        .size:           2
        .value_kind:     hidden_group_size_x
      - .offset:         158
        .size:           2
        .value_kind:     hidden_group_size_y
      - .offset:         160
        .size:           2
        .value_kind:     hidden_group_size_z
      - .offset:         162
        .size:           2
        .value_kind:     hidden_remainder_x
      - .offset:         164
        .size:           2
        .value_kind:     hidden_remainder_y
      - .offset:         166
        .size:           2
        .value_kind:     hidden_remainder_z
      - .offset:         184
        .size:           8
        .value_kind:     hidden_global_offset_x
      - .offset:         192
        .size:           8
        .value_kind:     hidden_global_offset_y
      - .offset:         200
        .size:           8
        .value_kind:     hidden_global_offset_z
      - .offset:         208
        .size:           2
        .value_kind:     hidden_grid_dims
      - .offset:         224
        .size:           8
        .value_kind:     hidden_hostcall_buffer
    .group_segment_fixed_size: 0
    .kernarg_segment_align: 8
    .kernarg_segment_size: 400
    .language:       OpenCL C
    .language_version:
      - 2
      - 0
    .max_flat_workgroup_size: 256
    .name:           _Z38paged_attention_ll4mi_QKV_mfma4_kernelI14__hip_bfloat16hLN4vllm18Fp8KVCacheDataTypeE1EhLi16ELi128ELi256ELb1ELi1EEvPKT_PKT0_S8_ifPKiSA_SA_iPKfiiiPfSD_PS3_PT2_iSC_SC_
    .private_segment_fixed_size: 64
    .sgpr_count:     36
    .sgpr_spill_count: 0
    .symbol:         _Z38paged_attention_ll4mi_QKV_mfma4_kernelI14__hip_bfloat16hLN4vllm18Fp8KVCacheDataTypeE1EhLi16ELi128ELi256ELb1ELi1EEvPKT_PKT0_S8_ifPKiSA_SA_iPKfiiiPfSD_PS3_PT2_iSC_SC_.kd
    .uniform_work_group_size: 1
    .uses_dynamic_stack: false
    .vgpr_count:     51
    .vgpr_spill_count: 0
    .wavefront_size: 32
  - .args:
      - .actual_access:  read_only
        .address_space:  global
        .offset:         0
        .size:           8
        .value_kind:     global_buffer
      - .actual_access:  read_only
        .address_space:  global
        .offset:         8
        .size:           8
        .value_kind:     global_buffer
      - .actual_access:  read_only
        .address_space:  global
        .offset:         16
        .size:           8
        .value_kind:     global_buffer
      - .offset:         24
        .size:           4
        .value_kind:     by_value
      - .offset:         28
        .size:           4
        .value_kind:     by_value
      - .actual_access:  read_only
        .address_space:  global
        .offset:         32
        .size:           8
        .value_kind:     global_buffer
      - .actual_access:  read_only
        .address_space:  global
        .offset:         40
        .size:           8
        .value_kind:     global_buffer
      - .actual_access:  read_only
        .address_space:  global
        .offset:         48
        .size:           8
        .value_kind:     global_buffer
      - .offset:         56
        .size:           4
        .value_kind:     by_value
      - .actual_access:  read_only
        .address_space:  global
        .offset:         64
        .size:           8
        .value_kind:     global_buffer
      - .offset:         72
        .size:           4
        .value_kind:     by_value
      - .offset:         76
        .size:           4
        .value_kind:     by_value
      - .offset:         80
        .size:           4
        .value_kind:     by_value
      - .actual_access:  read_only
        .address_space:  global
        .offset:         88
        .size:           8
        .value_kind:     global_buffer
      - .actual_access:  read_only
        .address_space:  global
        .offset:         96
        .size:           8
        .value_kind:     global_buffer
      - .actual_access:  read_only
        .address_space:  global
        .offset:         104
        .size:           8
        .value_kind:     global_buffer
      - .actual_access:  read_only
        .address_space:  global
        .offset:         112
        .size:           8
        .value_kind:     global_buffer
      - .offset:         120
        .size:           4
        .value_kind:     by_value
      - .address_space:  global
        .offset:         128
        .size:           8
        .value_kind:     global_buffer
      - .address_space:  global
        .offset:         136
        .size:           8
        .value_kind:     global_buffer
      - .offset:         144
        .size:           4
        .value_kind:     hidden_block_count_x
      - .offset:         148
        .size:           4
        .value_kind:     hidden_block_count_y
      - .offset:         152
        .size:           4
        .value_kind:     hidden_block_count_z
      - .offset:         156
        .size:           2
        .value_kind:     hidden_group_size_x
      - .offset:         158
        .size:           2
        .value_kind:     hidden_group_size_y
      - .offset:         160
        .size:           2
        .value_kind:     hidden_group_size_z
      - .offset:         162
        .size:           2
        .value_kind:     hidden_remainder_x
      - .offset:         164
        .size:           2
        .value_kind:     hidden_remainder_y
      - .offset:         166
        .size:           2
        .value_kind:     hidden_remainder_z
      - .offset:         184
        .size:           8
        .value_kind:     hidden_global_offset_x
      - .offset:         192
        .size:           8
        .value_kind:     hidden_global_offset_y
      - .offset:         200
        .size:           8
        .value_kind:     hidden_global_offset_z
      - .offset:         208
        .size:           2
        .value_kind:     hidden_grid_dims
      - .offset:         224
        .size:           8
        .value_kind:     hidden_hostcall_buffer
    .group_segment_fixed_size: 0
    .kernarg_segment_align: 8
    .kernarg_segment_size: 400
    .language:       OpenCL C
    .language_version:
      - 2
      - 0
    .max_flat_workgroup_size: 256
    .name:           _Z38paged_attention_ll4mi_QKV_mfma4_kernelI14__hip_bfloat16hLN4vllm18Fp8KVCacheDataTypeE1EhLi16ELi128ELi256ELb1ELi2EEvPKT_PKT0_S8_ifPKiSA_SA_iPKfiiiPfSD_PS3_PT2_iSC_SC_
    .private_segment_fixed_size: 64
    .sgpr_count:     36
    .sgpr_spill_count: 0
    .symbol:         _Z38paged_attention_ll4mi_QKV_mfma4_kernelI14__hip_bfloat16hLN4vllm18Fp8KVCacheDataTypeE1EhLi16ELi128ELi256ELb1ELi2EEvPKT_PKT0_S8_ifPKiSA_SA_iPKfiiiPfSD_PS3_PT2_iSC_SC_.kd
    .uniform_work_group_size: 1
    .uses_dynamic_stack: false
    .vgpr_count:     51
    .vgpr_spill_count: 0
    .wavefront_size: 32
  - .args:
      - .actual_access:  read_only
        .address_space:  global
        .offset:         0
        .size:           8
        .value_kind:     global_buffer
      - .actual_access:  read_only
        .address_space:  global
        .offset:         8
        .size:           8
        .value_kind:     global_buffer
      - .actual_access:  read_only
        .address_space:  global
        .offset:         16
        .size:           8
        .value_kind:     global_buffer
      - .offset:         24
        .size:           4
        .value_kind:     by_value
      - .offset:         28
        .size:           4
        .value_kind:     by_value
      - .actual_access:  read_only
        .address_space:  global
        .offset:         32
        .size:           8
        .value_kind:     global_buffer
      - .actual_access:  read_only
        .address_space:  global
        .offset:         40
        .size:           8
        .value_kind:     global_buffer
      - .actual_access:  read_only
        .address_space:  global
        .offset:         48
        .size:           8
        .value_kind:     global_buffer
      - .offset:         56
        .size:           4
        .value_kind:     by_value
      - .actual_access:  read_only
        .address_space:  global
        .offset:         64
        .size:           8
        .value_kind:     global_buffer
      - .offset:         72
        .size:           4
        .value_kind:     by_value
      - .offset:         76
        .size:           4
        .value_kind:     by_value
      - .offset:         80
        .size:           4
        .value_kind:     by_value
      - .actual_access:  read_only
        .address_space:  global
        .offset:         88
        .size:           8
        .value_kind:     global_buffer
      - .actual_access:  read_only
        .address_space:  global
        .offset:         96
        .size:           8
        .value_kind:     global_buffer
      - .actual_access:  read_only
        .address_space:  global
        .offset:         104
        .size:           8
        .value_kind:     global_buffer
      - .actual_access:  read_only
        .address_space:  global
        .offset:         112
        .size:           8
        .value_kind:     global_buffer
      - .offset:         120
        .size:           4
        .value_kind:     by_value
      - .address_space:  global
        .offset:         128
        .size:           8
        .value_kind:     global_buffer
      - .address_space:  global
        .offset:         136
        .size:           8
        .value_kind:     global_buffer
      - .offset:         144
        .size:           4
        .value_kind:     hidden_block_count_x
      - .offset:         148
        .size:           4
        .value_kind:     hidden_block_count_y
      - .offset:         152
        .size:           4
        .value_kind:     hidden_block_count_z
      - .offset:         156
        .size:           2
        .value_kind:     hidden_group_size_x
      - .offset:         158
        .size:           2
        .value_kind:     hidden_group_size_y
      - .offset:         160
        .size:           2
        .value_kind:     hidden_group_size_z
      - .offset:         162
        .size:           2
        .value_kind:     hidden_remainder_x
      - .offset:         164
        .size:           2
        .value_kind:     hidden_remainder_y
      - .offset:         166
        .size:           2
        .value_kind:     hidden_remainder_z
      - .offset:         184
        .size:           8
        .value_kind:     hidden_global_offset_x
      - .offset:         192
        .size:           8
        .value_kind:     hidden_global_offset_y
      - .offset:         200
        .size:           8
        .value_kind:     hidden_global_offset_z
      - .offset:         208
        .size:           2
        .value_kind:     hidden_grid_dims
      - .offset:         224
        .size:           8
        .value_kind:     hidden_hostcall_buffer
    .group_segment_fixed_size: 0
    .kernarg_segment_align: 8
    .kernarg_segment_size: 400
    .language:       OpenCL C
    .language_version:
      - 2
      - 0
    .max_flat_workgroup_size: 256
    .name:           _Z38paged_attention_ll4mi_QKV_mfma4_kernelI14__hip_bfloat16hLN4vllm18Fp8KVCacheDataTypeE1EhLi16ELi128ELi256ELb1ELi3EEvPKT_PKT0_S8_ifPKiSA_SA_iPKfiiiPfSD_PS3_PT2_iSC_SC_
    .private_segment_fixed_size: 64
    .sgpr_count:     36
    .sgpr_spill_count: 0
    .symbol:         _Z38paged_attention_ll4mi_QKV_mfma4_kernelI14__hip_bfloat16hLN4vllm18Fp8KVCacheDataTypeE1EhLi16ELi128ELi256ELb1ELi3EEvPKT_PKT0_S8_ifPKiSA_SA_iPKfiiiPfSD_PS3_PT2_iSC_SC_.kd
    .uniform_work_group_size: 1
    .uses_dynamic_stack: false
    .vgpr_count:     51
    .vgpr_spill_count: 0
    .wavefront_size: 32
  - .args:
      - .actual_access:  read_only
        .address_space:  global
        .offset:         0
        .size:           8
        .value_kind:     global_buffer
      - .actual_access:  read_only
        .address_space:  global
        .offset:         8
        .size:           8
        .value_kind:     global_buffer
      - .actual_access:  read_only
        .address_space:  global
        .offset:         16
        .size:           8
        .value_kind:     global_buffer
      - .offset:         24
        .size:           4
        .value_kind:     by_value
      - .offset:         28
        .size:           4
        .value_kind:     by_value
      - .actual_access:  read_only
        .address_space:  global
        .offset:         32
        .size:           8
        .value_kind:     global_buffer
      - .actual_access:  read_only
        .address_space:  global
        .offset:         40
        .size:           8
        .value_kind:     global_buffer
      - .actual_access:  read_only
        .address_space:  global
        .offset:         48
        .size:           8
        .value_kind:     global_buffer
      - .offset:         56
        .size:           4
        .value_kind:     by_value
      - .actual_access:  read_only
        .address_space:  global
        .offset:         64
        .size:           8
        .value_kind:     global_buffer
      - .offset:         72
        .size:           4
        .value_kind:     by_value
      - .offset:         76
        .size:           4
        .value_kind:     by_value
      - .offset:         80
        .size:           4
        .value_kind:     by_value
      - .actual_access:  read_only
        .address_space:  global
        .offset:         88
        .size:           8
        .value_kind:     global_buffer
      - .actual_access:  read_only
        .address_space:  global
        .offset:         96
        .size:           8
        .value_kind:     global_buffer
      - .actual_access:  read_only
        .address_space:  global
        .offset:         104
        .size:           8
        .value_kind:     global_buffer
      - .actual_access:  read_only
        .address_space:  global
        .offset:         112
        .size:           8
        .value_kind:     global_buffer
      - .offset:         120
        .size:           4
        .value_kind:     by_value
      - .address_space:  global
        .offset:         128
        .size:           8
        .value_kind:     global_buffer
      - .address_space:  global
        .offset:         136
        .size:           8
        .value_kind:     global_buffer
      - .offset:         144
        .size:           4
        .value_kind:     hidden_block_count_x
      - .offset:         148
        .size:           4
        .value_kind:     hidden_block_count_y
      - .offset:         152
        .size:           4
        .value_kind:     hidden_block_count_z
      - .offset:         156
        .size:           2
        .value_kind:     hidden_group_size_x
      - .offset:         158
        .size:           2
        .value_kind:     hidden_group_size_y
      - .offset:         160
        .size:           2
        .value_kind:     hidden_group_size_z
      - .offset:         162
        .size:           2
        .value_kind:     hidden_remainder_x
      - .offset:         164
        .size:           2
        .value_kind:     hidden_remainder_y
      - .offset:         166
        .size:           2
        .value_kind:     hidden_remainder_z
      - .offset:         184
        .size:           8
        .value_kind:     hidden_global_offset_x
      - .offset:         192
        .size:           8
        .value_kind:     hidden_global_offset_y
      - .offset:         200
        .size:           8
        .value_kind:     hidden_global_offset_z
      - .offset:         208
        .size:           2
        .value_kind:     hidden_grid_dims
      - .offset:         224
        .size:           8
        .value_kind:     hidden_hostcall_buffer
    .group_segment_fixed_size: 0
    .kernarg_segment_align: 8
    .kernarg_segment_size: 400
    .language:       OpenCL C
    .language_version:
      - 2
      - 0
    .max_flat_workgroup_size: 256
    .name:           _Z38paged_attention_ll4mi_QKV_mfma4_kernelI14__hip_bfloat16hLN4vllm18Fp8KVCacheDataTypeE1EhLi16ELi128ELi256ELb1ELi4EEvPKT_PKT0_S8_ifPKiSA_SA_iPKfiiiPfSD_PS3_PT2_iSC_SC_
    .private_segment_fixed_size: 64
    .sgpr_count:     36
    .sgpr_spill_count: 0
    .symbol:         _Z38paged_attention_ll4mi_QKV_mfma4_kernelI14__hip_bfloat16hLN4vllm18Fp8KVCacheDataTypeE1EhLi16ELi128ELi256ELb1ELi4EEvPKT_PKT0_S8_ifPKiSA_SA_iPKfiiiPfSD_PS3_PT2_iSC_SC_.kd
    .uniform_work_group_size: 1
    .uses_dynamic_stack: false
    .vgpr_count:     51
    .vgpr_spill_count: 0
    .wavefront_size: 32
  - .args:
      - .actual_access:  read_only
        .address_space:  global
        .offset:         0
        .size:           8
        .value_kind:     global_buffer
      - .actual_access:  read_only
        .address_space:  global
        .offset:         8
        .size:           8
        .value_kind:     global_buffer
      - .actual_access:  read_only
        .address_space:  global
        .offset:         16
        .size:           8
        .value_kind:     global_buffer
      - .offset:         24
        .size:           4
        .value_kind:     by_value
      - .offset:         28
        .size:           4
        .value_kind:     by_value
      - .actual_access:  read_only
        .address_space:  global
        .offset:         32
        .size:           8
        .value_kind:     global_buffer
      - .actual_access:  read_only
        .address_space:  global
        .offset:         40
        .size:           8
        .value_kind:     global_buffer
      - .actual_access:  read_only
        .address_space:  global
        .offset:         48
        .size:           8
        .value_kind:     global_buffer
      - .offset:         56
        .size:           4
        .value_kind:     by_value
      - .actual_access:  read_only
        .address_space:  global
        .offset:         64
        .size:           8
        .value_kind:     global_buffer
      - .offset:         72
        .size:           4
        .value_kind:     by_value
      - .offset:         76
        .size:           4
        .value_kind:     by_value
      - .offset:         80
        .size:           4
        .value_kind:     by_value
      - .actual_access:  read_only
        .address_space:  global
        .offset:         88
        .size:           8
        .value_kind:     global_buffer
      - .actual_access:  read_only
        .address_space:  global
        .offset:         96
        .size:           8
        .value_kind:     global_buffer
      - .actual_access:  read_only
        .address_space:  global
        .offset:         104
        .size:           8
        .value_kind:     global_buffer
      - .actual_access:  read_only
        .address_space:  global
        .offset:         112
        .size:           8
        .value_kind:     global_buffer
      - .offset:         120
        .size:           4
        .value_kind:     by_value
      - .address_space:  global
        .offset:         128
        .size:           8
        .value_kind:     global_buffer
      - .address_space:  global
        .offset:         136
        .size:           8
        .value_kind:     global_buffer
      - .offset:         144
        .size:           4
        .value_kind:     hidden_block_count_x
      - .offset:         148
        .size:           4
        .value_kind:     hidden_block_count_y
      - .offset:         152
        .size:           4
        .value_kind:     hidden_block_count_z
      - .offset:         156
        .size:           2
        .value_kind:     hidden_group_size_x
      - .offset:         158
        .size:           2
        .value_kind:     hidden_group_size_y
      - .offset:         160
        .size:           2
        .value_kind:     hidden_group_size_z
      - .offset:         162
        .size:           2
        .value_kind:     hidden_remainder_x
      - .offset:         164
        .size:           2
        .value_kind:     hidden_remainder_y
      - .offset:         166
        .size:           2
        .value_kind:     hidden_remainder_z
      - .offset:         184
        .size:           8
        .value_kind:     hidden_global_offset_x
      - .offset:         192
        .size:           8
        .value_kind:     hidden_global_offset_y
      - .offset:         200
        .size:           8
        .value_kind:     hidden_global_offset_z
      - .offset:         208
        .size:           2
        .value_kind:     hidden_grid_dims
      - .offset:         224
        .size:           8
        .value_kind:     hidden_hostcall_buffer
    .group_segment_fixed_size: 0
    .kernarg_segment_align: 8
    .kernarg_segment_size: 400
    .language:       OpenCL C
    .language_version:
      - 2
      - 0
    .max_flat_workgroup_size: 256
    .name:           _Z39paged_attention_ll4mi_QKV_mfma16_kernelI14__hip_bfloat16hLN4vllm18Fp8KVCacheDataTypeE1EhLi16ELi128ELi256ELb1ELi5EEvPKT_PKT0_S8_ifPKiSA_SA_iPKfiiiPfSD_PS3_PT2_iSC_SC_
    .private_segment_fixed_size: 64
    .sgpr_count:     36
    .sgpr_spill_count: 0
    .symbol:         _Z39paged_attention_ll4mi_QKV_mfma16_kernelI14__hip_bfloat16hLN4vllm18Fp8KVCacheDataTypeE1EhLi16ELi128ELi256ELb1ELi5EEvPKT_PKT0_S8_ifPKiSA_SA_iPKfiiiPfSD_PS3_PT2_iSC_SC_.kd
    .uniform_work_group_size: 1
    .uses_dynamic_stack: false
    .vgpr_count:     51
    .vgpr_spill_count: 0
    .wavefront_size: 32
  - .args:
      - .actual_access:  read_only
        .address_space:  global
        .offset:         0
        .size:           8
        .value_kind:     global_buffer
      - .actual_access:  read_only
        .address_space:  global
        .offset:         8
        .size:           8
        .value_kind:     global_buffer
      - .actual_access:  read_only
        .address_space:  global
        .offset:         16
        .size:           8
        .value_kind:     global_buffer
      - .offset:         24
        .size:           4
        .value_kind:     by_value
      - .offset:         28
        .size:           4
        .value_kind:     by_value
      - .actual_access:  read_only
        .address_space:  global
        .offset:         32
        .size:           8
        .value_kind:     global_buffer
      - .actual_access:  read_only
        .address_space:  global
        .offset:         40
        .size:           8
        .value_kind:     global_buffer
      - .actual_access:  read_only
        .address_space:  global
        .offset:         48
        .size:           8
        .value_kind:     global_buffer
      - .offset:         56
        .size:           4
        .value_kind:     by_value
      - .actual_access:  read_only
        .address_space:  global
        .offset:         64
        .size:           8
        .value_kind:     global_buffer
      - .offset:         72
        .size:           4
        .value_kind:     by_value
      - .offset:         76
        .size:           4
        .value_kind:     by_value
      - .offset:         80
        .size:           4
        .value_kind:     by_value
      - .actual_access:  read_only
        .address_space:  global
        .offset:         88
        .size:           8
        .value_kind:     global_buffer
      - .actual_access:  read_only
        .address_space:  global
        .offset:         96
        .size:           8
        .value_kind:     global_buffer
      - .actual_access:  read_only
        .address_space:  global
        .offset:         104
        .size:           8
        .value_kind:     global_buffer
      - .actual_access:  read_only
        .address_space:  global
        .offset:         112
        .size:           8
        .value_kind:     global_buffer
      - .offset:         120
        .size:           4
        .value_kind:     by_value
      - .address_space:  global
        .offset:         128
        .size:           8
        .value_kind:     global_buffer
      - .address_space:  global
        .offset:         136
        .size:           8
        .value_kind:     global_buffer
      - .offset:         144
        .size:           4
        .value_kind:     hidden_block_count_x
      - .offset:         148
        .size:           4
        .value_kind:     hidden_block_count_y
      - .offset:         152
        .size:           4
        .value_kind:     hidden_block_count_z
      - .offset:         156
        .size:           2
        .value_kind:     hidden_group_size_x
      - .offset:         158
        .size:           2
        .value_kind:     hidden_group_size_y
      - .offset:         160
        .size:           2
        .value_kind:     hidden_group_size_z
      - .offset:         162
        .size:           2
        .value_kind:     hidden_remainder_x
      - .offset:         164
        .size:           2
        .value_kind:     hidden_remainder_y
      - .offset:         166
        .size:           2
        .value_kind:     hidden_remainder_z
      - .offset:         184
        .size:           8
        .value_kind:     hidden_global_offset_x
      - .offset:         192
        .size:           8
        .value_kind:     hidden_global_offset_y
      - .offset:         200
        .size:           8
        .value_kind:     hidden_global_offset_z
      - .offset:         208
        .size:           2
        .value_kind:     hidden_grid_dims
      - .offset:         224
        .size:           8
        .value_kind:     hidden_hostcall_buffer
    .group_segment_fixed_size: 0
    .kernarg_segment_align: 8
    .kernarg_segment_size: 400
    .language:       OpenCL C
    .language_version:
      - 2
      - 0
    .max_flat_workgroup_size: 256
    .name:           _Z39paged_attention_ll4mi_QKV_mfma16_kernelI14__hip_bfloat16hLN4vllm18Fp8KVCacheDataTypeE1EhLi16ELi128ELi256ELb1ELi6EEvPKT_PKT0_S8_ifPKiSA_SA_iPKfiiiPfSD_PS3_PT2_iSC_SC_
    .private_segment_fixed_size: 64
    .sgpr_count:     36
    .sgpr_spill_count: 0
    .symbol:         _Z39paged_attention_ll4mi_QKV_mfma16_kernelI14__hip_bfloat16hLN4vllm18Fp8KVCacheDataTypeE1EhLi16ELi128ELi256ELb1ELi6EEvPKT_PKT0_S8_ifPKiSA_SA_iPKfiiiPfSD_PS3_PT2_iSC_SC_.kd
    .uniform_work_group_size: 1
    .uses_dynamic_stack: false
    .vgpr_count:     51
    .vgpr_spill_count: 0
    .wavefront_size: 32
  - .args:
      - .actual_access:  read_only
        .address_space:  global
        .offset:         0
        .size:           8
        .value_kind:     global_buffer
      - .actual_access:  read_only
        .address_space:  global
        .offset:         8
        .size:           8
        .value_kind:     global_buffer
      - .actual_access:  read_only
        .address_space:  global
        .offset:         16
        .size:           8
        .value_kind:     global_buffer
      - .offset:         24
        .size:           4
        .value_kind:     by_value
      - .offset:         28
        .size:           4
        .value_kind:     by_value
      - .actual_access:  read_only
        .address_space:  global
        .offset:         32
        .size:           8
        .value_kind:     global_buffer
      - .actual_access:  read_only
        .address_space:  global
        .offset:         40
        .size:           8
        .value_kind:     global_buffer
      - .actual_access:  read_only
        .address_space:  global
        .offset:         48
        .size:           8
        .value_kind:     global_buffer
      - .offset:         56
        .size:           4
        .value_kind:     by_value
      - .actual_access:  read_only
        .address_space:  global
        .offset:         64
        .size:           8
        .value_kind:     global_buffer
      - .offset:         72
        .size:           4
        .value_kind:     by_value
      - .offset:         76
        .size:           4
        .value_kind:     by_value
      - .offset:         80
        .size:           4
        .value_kind:     by_value
      - .actual_access:  read_only
        .address_space:  global
        .offset:         88
        .size:           8
        .value_kind:     global_buffer
      - .actual_access:  read_only
        .address_space:  global
        .offset:         96
        .size:           8
        .value_kind:     global_buffer
      - .actual_access:  read_only
        .address_space:  global
        .offset:         104
        .size:           8
        .value_kind:     global_buffer
      - .actual_access:  read_only
        .address_space:  global
        .offset:         112
        .size:           8
        .value_kind:     global_buffer
      - .offset:         120
        .size:           4
        .value_kind:     by_value
      - .address_space:  global
        .offset:         128
        .size:           8
        .value_kind:     global_buffer
      - .address_space:  global
        .offset:         136
        .size:           8
        .value_kind:     global_buffer
      - .offset:         144
        .size:           4
        .value_kind:     hidden_block_count_x
      - .offset:         148
        .size:           4
        .value_kind:     hidden_block_count_y
      - .offset:         152
        .size:           4
        .value_kind:     hidden_block_count_z
      - .offset:         156
        .size:           2
        .value_kind:     hidden_group_size_x
      - .offset:         158
        .size:           2
        .value_kind:     hidden_group_size_y
      - .offset:         160
        .size:           2
        .value_kind:     hidden_group_size_z
      - .offset:         162
        .size:           2
        .value_kind:     hidden_remainder_x
      - .offset:         164
        .size:           2
        .value_kind:     hidden_remainder_y
      - .offset:         166
        .size:           2
        .value_kind:     hidden_remainder_z
      - .offset:         184
        .size:           8
        .value_kind:     hidden_global_offset_x
      - .offset:         192
        .size:           8
        .value_kind:     hidden_global_offset_y
      - .offset:         200
        .size:           8
        .value_kind:     hidden_global_offset_z
      - .offset:         208
        .size:           2
        .value_kind:     hidden_grid_dims
      - .offset:         224
        .size:           8
        .value_kind:     hidden_hostcall_buffer
    .group_segment_fixed_size: 0
    .kernarg_segment_align: 8
    .kernarg_segment_size: 400
    .language:       OpenCL C
    .language_version:
      - 2
      - 0
    .max_flat_workgroup_size: 256
    .name:           _Z39paged_attention_ll4mi_QKV_mfma16_kernelI14__hip_bfloat16hLN4vllm18Fp8KVCacheDataTypeE1EhLi16ELi128ELi256ELb1ELi7EEvPKT_PKT0_S8_ifPKiSA_SA_iPKfiiiPfSD_PS3_PT2_iSC_SC_
    .private_segment_fixed_size: 64
    .sgpr_count:     36
    .sgpr_spill_count: 0
    .symbol:         _Z39paged_attention_ll4mi_QKV_mfma16_kernelI14__hip_bfloat16hLN4vllm18Fp8KVCacheDataTypeE1EhLi16ELi128ELi256ELb1ELi7EEvPKT_PKT0_S8_ifPKiSA_SA_iPKfiiiPfSD_PS3_PT2_iSC_SC_.kd
    .uniform_work_group_size: 1
    .uses_dynamic_stack: false
    .vgpr_count:     51
    .vgpr_spill_count: 0
    .wavefront_size: 32
  - .args:
      - .actual_access:  read_only
        .address_space:  global
        .offset:         0
        .size:           8
        .value_kind:     global_buffer
      - .actual_access:  read_only
        .address_space:  global
        .offset:         8
        .size:           8
        .value_kind:     global_buffer
      - .actual_access:  read_only
        .address_space:  global
        .offset:         16
        .size:           8
        .value_kind:     global_buffer
      - .offset:         24
        .size:           4
        .value_kind:     by_value
      - .offset:         28
        .size:           4
        .value_kind:     by_value
      - .actual_access:  read_only
        .address_space:  global
        .offset:         32
        .size:           8
        .value_kind:     global_buffer
      - .actual_access:  read_only
        .address_space:  global
        .offset:         40
        .size:           8
        .value_kind:     global_buffer
      - .actual_access:  read_only
        .address_space:  global
        .offset:         48
        .size:           8
        .value_kind:     global_buffer
      - .offset:         56
        .size:           4
        .value_kind:     by_value
      - .actual_access:  read_only
        .address_space:  global
        .offset:         64
        .size:           8
        .value_kind:     global_buffer
      - .offset:         72
        .size:           4
        .value_kind:     by_value
      - .offset:         76
        .size:           4
        .value_kind:     by_value
      - .offset:         80
        .size:           4
        .value_kind:     by_value
      - .actual_access:  read_only
        .address_space:  global
        .offset:         88
        .size:           8
        .value_kind:     global_buffer
      - .actual_access:  read_only
        .address_space:  global
        .offset:         96
        .size:           8
        .value_kind:     global_buffer
      - .actual_access:  read_only
        .address_space:  global
        .offset:         104
        .size:           8
        .value_kind:     global_buffer
      - .actual_access:  read_only
        .address_space:  global
        .offset:         112
        .size:           8
        .value_kind:     global_buffer
      - .offset:         120
        .size:           4
        .value_kind:     by_value
      - .address_space:  global
        .offset:         128
        .size:           8
        .value_kind:     global_buffer
      - .address_space:  global
        .offset:         136
        .size:           8
        .value_kind:     global_buffer
      - .offset:         144
        .size:           4
        .value_kind:     hidden_block_count_x
      - .offset:         148
        .size:           4
        .value_kind:     hidden_block_count_y
      - .offset:         152
        .size:           4
        .value_kind:     hidden_block_count_z
      - .offset:         156
        .size:           2
        .value_kind:     hidden_group_size_x
      - .offset:         158
        .size:           2
        .value_kind:     hidden_group_size_y
      - .offset:         160
        .size:           2
        .value_kind:     hidden_group_size_z
      - .offset:         162
        .size:           2
        .value_kind:     hidden_remainder_x
      - .offset:         164
        .size:           2
        .value_kind:     hidden_remainder_y
      - .offset:         166
        .size:           2
        .value_kind:     hidden_remainder_z
      - .offset:         184
        .size:           8
        .value_kind:     hidden_global_offset_x
      - .offset:         192
        .size:           8
        .value_kind:     hidden_global_offset_y
      - .offset:         200
        .size:           8
        .value_kind:     hidden_global_offset_z
      - .offset:         208
        .size:           2
        .value_kind:     hidden_grid_dims
      - .offset:         224
        .size:           8
        .value_kind:     hidden_hostcall_buffer
    .group_segment_fixed_size: 0
    .kernarg_segment_align: 8
    .kernarg_segment_size: 400
    .language:       OpenCL C
    .language_version:
      - 2
      - 0
    .max_flat_workgroup_size: 256
    .name:           _Z39paged_attention_ll4mi_QKV_mfma16_kernelI14__hip_bfloat16hLN4vllm18Fp8KVCacheDataTypeE1EhLi16ELi128ELi256ELb1ELi8EEvPKT_PKT0_S8_ifPKiSA_SA_iPKfiiiPfSD_PS3_PT2_iSC_SC_
    .private_segment_fixed_size: 64
    .sgpr_count:     36
    .sgpr_spill_count: 0
    .symbol:         _Z39paged_attention_ll4mi_QKV_mfma16_kernelI14__hip_bfloat16hLN4vllm18Fp8KVCacheDataTypeE1EhLi16ELi128ELi256ELb1ELi8EEvPKT_PKT0_S8_ifPKiSA_SA_iPKfiiiPfSD_PS3_PT2_iSC_SC_.kd
    .uniform_work_group_size: 1
    .uses_dynamic_stack: false
    .vgpr_count:     51
    .vgpr_spill_count: 0
    .wavefront_size: 32
  - .args:
      - .actual_access:  read_only
        .address_space:  global
        .offset:         0
        .size:           8
        .value_kind:     global_buffer
      - .actual_access:  read_only
        .address_space:  global
        .offset:         8
        .size:           8
        .value_kind:     global_buffer
      - .actual_access:  read_only
        .address_space:  global
        .offset:         16
        .size:           8
        .value_kind:     global_buffer
      - .offset:         24
        .size:           4
        .value_kind:     by_value
      - .offset:         28
        .size:           4
        .value_kind:     by_value
      - .actual_access:  read_only
        .address_space:  global
        .offset:         32
        .size:           8
        .value_kind:     global_buffer
      - .actual_access:  read_only
        .address_space:  global
        .offset:         40
        .size:           8
        .value_kind:     global_buffer
      - .actual_access:  read_only
        .address_space:  global
        .offset:         48
        .size:           8
        .value_kind:     global_buffer
      - .offset:         56
        .size:           4
        .value_kind:     by_value
      - .actual_access:  read_only
        .address_space:  global
        .offset:         64
        .size:           8
        .value_kind:     global_buffer
      - .offset:         72
        .size:           4
        .value_kind:     by_value
      - .offset:         76
        .size:           4
        .value_kind:     by_value
      - .offset:         80
        .size:           4
        .value_kind:     by_value
      - .actual_access:  read_only
        .address_space:  global
        .offset:         88
        .size:           8
        .value_kind:     global_buffer
      - .actual_access:  read_only
        .address_space:  global
        .offset:         96
        .size:           8
        .value_kind:     global_buffer
      - .actual_access:  read_only
        .address_space:  global
        .offset:         104
        .size:           8
        .value_kind:     global_buffer
      - .actual_access:  read_only
        .address_space:  global
        .offset:         112
        .size:           8
        .value_kind:     global_buffer
      - .offset:         120
        .size:           4
        .value_kind:     by_value
      - .address_space:  global
        .offset:         128
        .size:           8
        .value_kind:     global_buffer
      - .address_space:  global
        .offset:         136
        .size:           8
        .value_kind:     global_buffer
      - .offset:         144
        .size:           4
        .value_kind:     hidden_block_count_x
      - .offset:         148
        .size:           4
        .value_kind:     hidden_block_count_y
      - .offset:         152
        .size:           4
        .value_kind:     hidden_block_count_z
      - .offset:         156
        .size:           2
        .value_kind:     hidden_group_size_x
      - .offset:         158
        .size:           2
        .value_kind:     hidden_group_size_y
      - .offset:         160
        .size:           2
        .value_kind:     hidden_group_size_z
      - .offset:         162
        .size:           2
        .value_kind:     hidden_remainder_x
      - .offset:         164
        .size:           2
        .value_kind:     hidden_remainder_y
      - .offset:         166
        .size:           2
        .value_kind:     hidden_remainder_z
      - .offset:         184
        .size:           8
        .value_kind:     hidden_global_offset_x
      - .offset:         192
        .size:           8
        .value_kind:     hidden_global_offset_y
      - .offset:         200
        .size:           8
        .value_kind:     hidden_global_offset_z
      - .offset:         208
        .size:           2
        .value_kind:     hidden_grid_dims
      - .offset:         224
        .size:           8
        .value_kind:     hidden_hostcall_buffer
    .group_segment_fixed_size: 0
    .kernarg_segment_align: 8
    .kernarg_segment_size: 400
    .language:       OpenCL C
    .language_version:
      - 2
      - 0
    .max_flat_workgroup_size: 256
    .name:           _Z39paged_attention_ll4mi_QKV_mfma16_kernelI14__hip_bfloat16hLN4vllm18Fp8KVCacheDataTypeE1EhLi16ELi128ELi256ELb1ELi9EEvPKT_PKT0_S8_ifPKiSA_SA_iPKfiiiPfSD_PS3_PT2_iSC_SC_
    .private_segment_fixed_size: 64
    .sgpr_count:     36
    .sgpr_spill_count: 0
    .symbol:         _Z39paged_attention_ll4mi_QKV_mfma16_kernelI14__hip_bfloat16hLN4vllm18Fp8KVCacheDataTypeE1EhLi16ELi128ELi256ELb1ELi9EEvPKT_PKT0_S8_ifPKiSA_SA_iPKfiiiPfSD_PS3_PT2_iSC_SC_.kd
    .uniform_work_group_size: 1
    .uses_dynamic_stack: false
    .vgpr_count:     51
    .vgpr_spill_count: 0
    .wavefront_size: 32
  - .args:
      - .actual_access:  read_only
        .address_space:  global
        .offset:         0
        .size:           8
        .value_kind:     global_buffer
      - .actual_access:  read_only
        .address_space:  global
        .offset:         8
        .size:           8
        .value_kind:     global_buffer
      - .actual_access:  read_only
        .address_space:  global
        .offset:         16
        .size:           8
        .value_kind:     global_buffer
      - .offset:         24
        .size:           4
        .value_kind:     by_value
      - .offset:         28
        .size:           4
        .value_kind:     by_value
      - .actual_access:  read_only
        .address_space:  global
        .offset:         32
        .size:           8
        .value_kind:     global_buffer
      - .actual_access:  read_only
        .address_space:  global
        .offset:         40
        .size:           8
        .value_kind:     global_buffer
      - .actual_access:  read_only
        .address_space:  global
        .offset:         48
        .size:           8
        .value_kind:     global_buffer
      - .offset:         56
        .size:           4
        .value_kind:     by_value
      - .actual_access:  read_only
        .address_space:  global
        .offset:         64
        .size:           8
        .value_kind:     global_buffer
      - .offset:         72
        .size:           4
        .value_kind:     by_value
      - .offset:         76
        .size:           4
        .value_kind:     by_value
      - .offset:         80
        .size:           4
        .value_kind:     by_value
      - .actual_access:  read_only
        .address_space:  global
        .offset:         88
        .size:           8
        .value_kind:     global_buffer
      - .actual_access:  read_only
        .address_space:  global
        .offset:         96
        .size:           8
        .value_kind:     global_buffer
      - .actual_access:  read_only
        .address_space:  global
        .offset:         104
        .size:           8
        .value_kind:     global_buffer
      - .actual_access:  read_only
        .address_space:  global
        .offset:         112
        .size:           8
        .value_kind:     global_buffer
      - .offset:         120
        .size:           4
        .value_kind:     by_value
      - .address_space:  global
        .offset:         128
        .size:           8
        .value_kind:     global_buffer
      - .address_space:  global
        .offset:         136
        .size:           8
        .value_kind:     global_buffer
      - .offset:         144
        .size:           4
        .value_kind:     hidden_block_count_x
      - .offset:         148
        .size:           4
        .value_kind:     hidden_block_count_y
      - .offset:         152
        .size:           4
        .value_kind:     hidden_block_count_z
      - .offset:         156
        .size:           2
        .value_kind:     hidden_group_size_x
      - .offset:         158
        .size:           2
        .value_kind:     hidden_group_size_y
      - .offset:         160
        .size:           2
        .value_kind:     hidden_group_size_z
      - .offset:         162
        .size:           2
        .value_kind:     hidden_remainder_x
      - .offset:         164
        .size:           2
        .value_kind:     hidden_remainder_y
      - .offset:         166
        .size:           2
        .value_kind:     hidden_remainder_z
      - .offset:         184
        .size:           8
        .value_kind:     hidden_global_offset_x
      - .offset:         192
        .size:           8
        .value_kind:     hidden_global_offset_y
      - .offset:         200
        .size:           8
        .value_kind:     hidden_global_offset_z
      - .offset:         208
        .size:           2
        .value_kind:     hidden_grid_dims
      - .offset:         224
        .size:           8
        .value_kind:     hidden_hostcall_buffer
    .group_segment_fixed_size: 0
    .kernarg_segment_align: 8
    .kernarg_segment_size: 400
    .language:       OpenCL C
    .language_version:
      - 2
      - 0
    .max_flat_workgroup_size: 256
    .name:           _Z39paged_attention_ll4mi_QKV_mfma16_kernelI14__hip_bfloat16hLN4vllm18Fp8KVCacheDataTypeE1EhLi16ELi128ELi256ELb1ELi10EEvPKT_PKT0_S8_ifPKiSA_SA_iPKfiiiPfSD_PS3_PT2_iSC_SC_
    .private_segment_fixed_size: 64
    .sgpr_count:     36
    .sgpr_spill_count: 0
    .symbol:         _Z39paged_attention_ll4mi_QKV_mfma16_kernelI14__hip_bfloat16hLN4vllm18Fp8KVCacheDataTypeE1EhLi16ELi128ELi256ELb1ELi10EEvPKT_PKT0_S8_ifPKiSA_SA_iPKfiiiPfSD_PS3_PT2_iSC_SC_.kd
    .uniform_work_group_size: 1
    .uses_dynamic_stack: false
    .vgpr_count:     51
    .vgpr_spill_count: 0
    .wavefront_size: 32
  - .args:
      - .actual_access:  read_only
        .address_space:  global
        .offset:         0
        .size:           8
        .value_kind:     global_buffer
      - .actual_access:  read_only
        .address_space:  global
        .offset:         8
        .size:           8
        .value_kind:     global_buffer
      - .actual_access:  read_only
        .address_space:  global
        .offset:         16
        .size:           8
        .value_kind:     global_buffer
      - .offset:         24
        .size:           4
        .value_kind:     by_value
      - .offset:         28
        .size:           4
        .value_kind:     by_value
      - .actual_access:  read_only
        .address_space:  global
        .offset:         32
        .size:           8
        .value_kind:     global_buffer
      - .actual_access:  read_only
        .address_space:  global
        .offset:         40
        .size:           8
        .value_kind:     global_buffer
      - .actual_access:  read_only
        .address_space:  global
        .offset:         48
        .size:           8
        .value_kind:     global_buffer
      - .offset:         56
        .size:           4
        .value_kind:     by_value
      - .actual_access:  read_only
        .address_space:  global
        .offset:         64
        .size:           8
        .value_kind:     global_buffer
      - .offset:         72
        .size:           4
        .value_kind:     by_value
      - .offset:         76
        .size:           4
        .value_kind:     by_value
      - .offset:         80
        .size:           4
        .value_kind:     by_value
      - .actual_access:  read_only
        .address_space:  global
        .offset:         88
        .size:           8
        .value_kind:     global_buffer
      - .actual_access:  read_only
        .address_space:  global
        .offset:         96
        .size:           8
        .value_kind:     global_buffer
      - .actual_access:  read_only
        .address_space:  global
        .offset:         104
        .size:           8
        .value_kind:     global_buffer
      - .actual_access:  read_only
        .address_space:  global
        .offset:         112
        .size:           8
        .value_kind:     global_buffer
      - .offset:         120
        .size:           4
        .value_kind:     by_value
      - .address_space:  global
        .offset:         128
        .size:           8
        .value_kind:     global_buffer
      - .address_space:  global
        .offset:         136
        .size:           8
        .value_kind:     global_buffer
      - .offset:         144
        .size:           4
        .value_kind:     hidden_block_count_x
      - .offset:         148
        .size:           4
        .value_kind:     hidden_block_count_y
      - .offset:         152
        .size:           4
        .value_kind:     hidden_block_count_z
      - .offset:         156
        .size:           2
        .value_kind:     hidden_group_size_x
      - .offset:         158
        .size:           2
        .value_kind:     hidden_group_size_y
      - .offset:         160
        .size:           2
        .value_kind:     hidden_group_size_z
      - .offset:         162
        .size:           2
        .value_kind:     hidden_remainder_x
      - .offset:         164
        .size:           2
        .value_kind:     hidden_remainder_y
      - .offset:         166
        .size:           2
        .value_kind:     hidden_remainder_z
      - .offset:         184
        .size:           8
        .value_kind:     hidden_global_offset_x
      - .offset:         192
        .size:           8
        .value_kind:     hidden_global_offset_y
      - .offset:         200
        .size:           8
        .value_kind:     hidden_global_offset_z
      - .offset:         208
        .size:           2
        .value_kind:     hidden_grid_dims
      - .offset:         224
        .size:           8
        .value_kind:     hidden_hostcall_buffer
    .group_segment_fixed_size: 0
    .kernarg_segment_align: 8
    .kernarg_segment_size: 400
    .language:       OpenCL C
    .language_version:
      - 2
      - 0
    .max_flat_workgroup_size: 256
    .name:           _Z39paged_attention_ll4mi_QKV_mfma16_kernelI14__hip_bfloat16hLN4vllm18Fp8KVCacheDataTypeE1EhLi16ELi128ELi256ELb1ELi11EEvPKT_PKT0_S8_ifPKiSA_SA_iPKfiiiPfSD_PS3_PT2_iSC_SC_
    .private_segment_fixed_size: 64
    .sgpr_count:     36
    .sgpr_spill_count: 0
    .symbol:         _Z39paged_attention_ll4mi_QKV_mfma16_kernelI14__hip_bfloat16hLN4vllm18Fp8KVCacheDataTypeE1EhLi16ELi128ELi256ELb1ELi11EEvPKT_PKT0_S8_ifPKiSA_SA_iPKfiiiPfSD_PS3_PT2_iSC_SC_.kd
    .uniform_work_group_size: 1
    .uses_dynamic_stack: false
    .vgpr_count:     51
    .vgpr_spill_count: 0
    .wavefront_size: 32
  - .args:
      - .actual_access:  read_only
        .address_space:  global
        .offset:         0
        .size:           8
        .value_kind:     global_buffer
      - .actual_access:  read_only
        .address_space:  global
        .offset:         8
        .size:           8
        .value_kind:     global_buffer
      - .actual_access:  read_only
        .address_space:  global
        .offset:         16
        .size:           8
        .value_kind:     global_buffer
      - .offset:         24
        .size:           4
        .value_kind:     by_value
      - .offset:         28
        .size:           4
        .value_kind:     by_value
      - .actual_access:  read_only
        .address_space:  global
        .offset:         32
        .size:           8
        .value_kind:     global_buffer
      - .actual_access:  read_only
        .address_space:  global
        .offset:         40
        .size:           8
        .value_kind:     global_buffer
      - .actual_access:  read_only
        .address_space:  global
        .offset:         48
        .size:           8
        .value_kind:     global_buffer
      - .offset:         56
        .size:           4
        .value_kind:     by_value
      - .actual_access:  read_only
        .address_space:  global
        .offset:         64
        .size:           8
        .value_kind:     global_buffer
      - .offset:         72
        .size:           4
        .value_kind:     by_value
      - .offset:         76
        .size:           4
        .value_kind:     by_value
      - .offset:         80
        .size:           4
        .value_kind:     by_value
      - .actual_access:  read_only
        .address_space:  global
        .offset:         88
        .size:           8
        .value_kind:     global_buffer
      - .actual_access:  read_only
        .address_space:  global
        .offset:         96
        .size:           8
        .value_kind:     global_buffer
      - .actual_access:  read_only
        .address_space:  global
        .offset:         104
        .size:           8
        .value_kind:     global_buffer
      - .actual_access:  read_only
        .address_space:  global
        .offset:         112
        .size:           8
        .value_kind:     global_buffer
      - .offset:         120
        .size:           4
        .value_kind:     by_value
      - .address_space:  global
        .offset:         128
        .size:           8
        .value_kind:     global_buffer
      - .address_space:  global
        .offset:         136
        .size:           8
        .value_kind:     global_buffer
      - .offset:         144
        .size:           4
        .value_kind:     hidden_block_count_x
      - .offset:         148
        .size:           4
        .value_kind:     hidden_block_count_y
      - .offset:         152
        .size:           4
        .value_kind:     hidden_block_count_z
      - .offset:         156
        .size:           2
        .value_kind:     hidden_group_size_x
      - .offset:         158
        .size:           2
        .value_kind:     hidden_group_size_y
      - .offset:         160
        .size:           2
        .value_kind:     hidden_group_size_z
      - .offset:         162
        .size:           2
        .value_kind:     hidden_remainder_x
      - .offset:         164
        .size:           2
        .value_kind:     hidden_remainder_y
      - .offset:         166
        .size:           2
        .value_kind:     hidden_remainder_z
      - .offset:         184
        .size:           8
        .value_kind:     hidden_global_offset_x
      - .offset:         192
        .size:           8
        .value_kind:     hidden_global_offset_y
      - .offset:         200
        .size:           8
        .value_kind:     hidden_global_offset_z
      - .offset:         208
        .size:           2
        .value_kind:     hidden_grid_dims
      - .offset:         224
        .size:           8
        .value_kind:     hidden_hostcall_buffer
    .group_segment_fixed_size: 0
    .kernarg_segment_align: 8
    .kernarg_segment_size: 400
    .language:       OpenCL C
    .language_version:
      - 2
      - 0
    .max_flat_workgroup_size: 256
    .name:           _Z39paged_attention_ll4mi_QKV_mfma16_kernelI14__hip_bfloat16hLN4vllm18Fp8KVCacheDataTypeE1EhLi16ELi128ELi256ELb1ELi12EEvPKT_PKT0_S8_ifPKiSA_SA_iPKfiiiPfSD_PS3_PT2_iSC_SC_
    .private_segment_fixed_size: 64
    .sgpr_count:     36
    .sgpr_spill_count: 0
    .symbol:         _Z39paged_attention_ll4mi_QKV_mfma16_kernelI14__hip_bfloat16hLN4vllm18Fp8KVCacheDataTypeE1EhLi16ELi128ELi256ELb1ELi12EEvPKT_PKT0_S8_ifPKiSA_SA_iPKfiiiPfSD_PS3_PT2_iSC_SC_.kd
    .uniform_work_group_size: 1
    .uses_dynamic_stack: false
    .vgpr_count:     51
    .vgpr_spill_count: 0
    .wavefront_size: 32
  - .args:
      - .actual_access:  read_only
        .address_space:  global
        .offset:         0
        .size:           8
        .value_kind:     global_buffer
      - .actual_access:  read_only
        .address_space:  global
        .offset:         8
        .size:           8
        .value_kind:     global_buffer
      - .actual_access:  read_only
        .address_space:  global
        .offset:         16
        .size:           8
        .value_kind:     global_buffer
      - .offset:         24
        .size:           4
        .value_kind:     by_value
      - .offset:         28
        .size:           4
        .value_kind:     by_value
      - .actual_access:  read_only
        .address_space:  global
        .offset:         32
        .size:           8
        .value_kind:     global_buffer
      - .actual_access:  read_only
        .address_space:  global
        .offset:         40
        .size:           8
        .value_kind:     global_buffer
      - .actual_access:  read_only
        .address_space:  global
        .offset:         48
        .size:           8
        .value_kind:     global_buffer
      - .offset:         56
        .size:           4
        .value_kind:     by_value
      - .actual_access:  read_only
        .address_space:  global
        .offset:         64
        .size:           8
        .value_kind:     global_buffer
      - .offset:         72
        .size:           4
        .value_kind:     by_value
      - .offset:         76
        .size:           4
        .value_kind:     by_value
      - .offset:         80
        .size:           4
        .value_kind:     by_value
      - .actual_access:  read_only
        .address_space:  global
        .offset:         88
        .size:           8
        .value_kind:     global_buffer
      - .actual_access:  read_only
        .address_space:  global
        .offset:         96
        .size:           8
        .value_kind:     global_buffer
      - .actual_access:  read_only
        .address_space:  global
        .offset:         104
        .size:           8
        .value_kind:     global_buffer
      - .actual_access:  read_only
        .address_space:  global
        .offset:         112
        .size:           8
        .value_kind:     global_buffer
      - .offset:         120
        .size:           4
        .value_kind:     by_value
      - .address_space:  global
        .offset:         128
        .size:           8
        .value_kind:     global_buffer
      - .address_space:  global
        .offset:         136
        .size:           8
        .value_kind:     global_buffer
      - .offset:         144
        .size:           4
        .value_kind:     hidden_block_count_x
      - .offset:         148
        .size:           4
        .value_kind:     hidden_block_count_y
      - .offset:         152
        .size:           4
        .value_kind:     hidden_block_count_z
      - .offset:         156
        .size:           2
        .value_kind:     hidden_group_size_x
      - .offset:         158
        .size:           2
        .value_kind:     hidden_group_size_y
      - .offset:         160
        .size:           2
        .value_kind:     hidden_group_size_z
      - .offset:         162
        .size:           2
        .value_kind:     hidden_remainder_x
      - .offset:         164
        .size:           2
        .value_kind:     hidden_remainder_y
      - .offset:         166
        .size:           2
        .value_kind:     hidden_remainder_z
      - .offset:         184
        .size:           8
        .value_kind:     hidden_global_offset_x
      - .offset:         192
        .size:           8
        .value_kind:     hidden_global_offset_y
      - .offset:         200
        .size:           8
        .value_kind:     hidden_global_offset_z
      - .offset:         208
        .size:           2
        .value_kind:     hidden_grid_dims
      - .offset:         224
        .size:           8
        .value_kind:     hidden_hostcall_buffer
    .group_segment_fixed_size: 0
    .kernarg_segment_align: 8
    .kernarg_segment_size: 400
    .language:       OpenCL C
    .language_version:
      - 2
      - 0
    .max_flat_workgroup_size: 256
    .name:           _Z39paged_attention_ll4mi_QKV_mfma16_kernelI14__hip_bfloat16hLN4vllm18Fp8KVCacheDataTypeE1EhLi16ELi128ELi256ELb1ELi13EEvPKT_PKT0_S8_ifPKiSA_SA_iPKfiiiPfSD_PS3_PT2_iSC_SC_
    .private_segment_fixed_size: 64
    .sgpr_count:     36
    .sgpr_spill_count: 0
    .symbol:         _Z39paged_attention_ll4mi_QKV_mfma16_kernelI14__hip_bfloat16hLN4vllm18Fp8KVCacheDataTypeE1EhLi16ELi128ELi256ELb1ELi13EEvPKT_PKT0_S8_ifPKiSA_SA_iPKfiiiPfSD_PS3_PT2_iSC_SC_.kd
    .uniform_work_group_size: 1
    .uses_dynamic_stack: false
    .vgpr_count:     51
    .vgpr_spill_count: 0
    .wavefront_size: 32
  - .args:
      - .actual_access:  read_only
        .address_space:  global
        .offset:         0
        .size:           8
        .value_kind:     global_buffer
      - .actual_access:  read_only
        .address_space:  global
        .offset:         8
        .size:           8
        .value_kind:     global_buffer
      - .actual_access:  read_only
        .address_space:  global
        .offset:         16
        .size:           8
        .value_kind:     global_buffer
      - .offset:         24
        .size:           4
        .value_kind:     by_value
      - .offset:         28
        .size:           4
        .value_kind:     by_value
      - .actual_access:  read_only
        .address_space:  global
        .offset:         32
        .size:           8
        .value_kind:     global_buffer
      - .actual_access:  read_only
        .address_space:  global
        .offset:         40
        .size:           8
        .value_kind:     global_buffer
      - .actual_access:  read_only
        .address_space:  global
        .offset:         48
        .size:           8
        .value_kind:     global_buffer
      - .offset:         56
        .size:           4
        .value_kind:     by_value
      - .actual_access:  read_only
        .address_space:  global
        .offset:         64
        .size:           8
        .value_kind:     global_buffer
      - .offset:         72
        .size:           4
        .value_kind:     by_value
      - .offset:         76
        .size:           4
        .value_kind:     by_value
      - .offset:         80
        .size:           4
        .value_kind:     by_value
      - .actual_access:  read_only
        .address_space:  global
        .offset:         88
        .size:           8
        .value_kind:     global_buffer
      - .actual_access:  read_only
        .address_space:  global
        .offset:         96
        .size:           8
        .value_kind:     global_buffer
      - .actual_access:  read_only
        .address_space:  global
        .offset:         104
        .size:           8
        .value_kind:     global_buffer
      - .actual_access:  read_only
        .address_space:  global
        .offset:         112
        .size:           8
        .value_kind:     global_buffer
      - .offset:         120
        .size:           4
        .value_kind:     by_value
      - .address_space:  global
        .offset:         128
        .size:           8
        .value_kind:     global_buffer
      - .address_space:  global
        .offset:         136
        .size:           8
        .value_kind:     global_buffer
      - .offset:         144
        .size:           4
        .value_kind:     hidden_block_count_x
      - .offset:         148
        .size:           4
        .value_kind:     hidden_block_count_y
      - .offset:         152
        .size:           4
        .value_kind:     hidden_block_count_z
      - .offset:         156
        .size:           2
        .value_kind:     hidden_group_size_x
      - .offset:         158
        .size:           2
        .value_kind:     hidden_group_size_y
      - .offset:         160
        .size:           2
        .value_kind:     hidden_group_size_z
      - .offset:         162
        .size:           2
        .value_kind:     hidden_remainder_x
      - .offset:         164
        .size:           2
        .value_kind:     hidden_remainder_y
      - .offset:         166
        .size:           2
        .value_kind:     hidden_remainder_z
      - .offset:         184
        .size:           8
        .value_kind:     hidden_global_offset_x
      - .offset:         192
        .size:           8
        .value_kind:     hidden_global_offset_y
      - .offset:         200
        .size:           8
        .value_kind:     hidden_global_offset_z
      - .offset:         208
        .size:           2
        .value_kind:     hidden_grid_dims
      - .offset:         224
        .size:           8
        .value_kind:     hidden_hostcall_buffer
    .group_segment_fixed_size: 0
    .kernarg_segment_align: 8
    .kernarg_segment_size: 400
    .language:       OpenCL C
    .language_version:
      - 2
      - 0
    .max_flat_workgroup_size: 256
    .name:           _Z39paged_attention_ll4mi_QKV_mfma16_kernelI14__hip_bfloat16hLN4vllm18Fp8KVCacheDataTypeE1EhLi16ELi128ELi256ELb1ELi14EEvPKT_PKT0_S8_ifPKiSA_SA_iPKfiiiPfSD_PS3_PT2_iSC_SC_
    .private_segment_fixed_size: 64
    .sgpr_count:     36
    .sgpr_spill_count: 0
    .symbol:         _Z39paged_attention_ll4mi_QKV_mfma16_kernelI14__hip_bfloat16hLN4vllm18Fp8KVCacheDataTypeE1EhLi16ELi128ELi256ELb1ELi14EEvPKT_PKT0_S8_ifPKiSA_SA_iPKfiiiPfSD_PS3_PT2_iSC_SC_.kd
    .uniform_work_group_size: 1
    .uses_dynamic_stack: false
    .vgpr_count:     51
    .vgpr_spill_count: 0
    .wavefront_size: 32
  - .args:
      - .actual_access:  read_only
        .address_space:  global
        .offset:         0
        .size:           8
        .value_kind:     global_buffer
      - .actual_access:  read_only
        .address_space:  global
        .offset:         8
        .size:           8
        .value_kind:     global_buffer
      - .actual_access:  read_only
        .address_space:  global
        .offset:         16
        .size:           8
        .value_kind:     global_buffer
      - .offset:         24
        .size:           4
        .value_kind:     by_value
      - .offset:         28
        .size:           4
        .value_kind:     by_value
      - .actual_access:  read_only
        .address_space:  global
        .offset:         32
        .size:           8
        .value_kind:     global_buffer
      - .actual_access:  read_only
        .address_space:  global
        .offset:         40
        .size:           8
        .value_kind:     global_buffer
      - .actual_access:  read_only
        .address_space:  global
        .offset:         48
        .size:           8
        .value_kind:     global_buffer
      - .offset:         56
        .size:           4
        .value_kind:     by_value
      - .actual_access:  read_only
        .address_space:  global
        .offset:         64
        .size:           8
        .value_kind:     global_buffer
      - .offset:         72
        .size:           4
        .value_kind:     by_value
      - .offset:         76
        .size:           4
        .value_kind:     by_value
      - .offset:         80
        .size:           4
        .value_kind:     by_value
      - .actual_access:  read_only
        .address_space:  global
        .offset:         88
        .size:           8
        .value_kind:     global_buffer
      - .actual_access:  read_only
        .address_space:  global
        .offset:         96
        .size:           8
        .value_kind:     global_buffer
      - .actual_access:  read_only
        .address_space:  global
        .offset:         104
        .size:           8
        .value_kind:     global_buffer
      - .actual_access:  read_only
        .address_space:  global
        .offset:         112
        .size:           8
        .value_kind:     global_buffer
      - .offset:         120
        .size:           4
        .value_kind:     by_value
      - .address_space:  global
        .offset:         128
        .size:           8
        .value_kind:     global_buffer
      - .address_space:  global
        .offset:         136
        .size:           8
        .value_kind:     global_buffer
      - .offset:         144
        .size:           4
        .value_kind:     hidden_block_count_x
      - .offset:         148
        .size:           4
        .value_kind:     hidden_block_count_y
      - .offset:         152
        .size:           4
        .value_kind:     hidden_block_count_z
      - .offset:         156
        .size:           2
        .value_kind:     hidden_group_size_x
      - .offset:         158
        .size:           2
        .value_kind:     hidden_group_size_y
      - .offset:         160
        .size:           2
        .value_kind:     hidden_group_size_z
      - .offset:         162
        .size:           2
        .value_kind:     hidden_remainder_x
      - .offset:         164
        .size:           2
        .value_kind:     hidden_remainder_y
      - .offset:         166
        .size:           2
        .value_kind:     hidden_remainder_z
      - .offset:         184
        .size:           8
        .value_kind:     hidden_global_offset_x
      - .offset:         192
        .size:           8
        .value_kind:     hidden_global_offset_y
      - .offset:         200
        .size:           8
        .value_kind:     hidden_global_offset_z
      - .offset:         208
        .size:           2
        .value_kind:     hidden_grid_dims
      - .offset:         224
        .size:           8
        .value_kind:     hidden_hostcall_buffer
    .group_segment_fixed_size: 0
    .kernarg_segment_align: 8
    .kernarg_segment_size: 400
    .language:       OpenCL C
    .language_version:
      - 2
      - 0
    .max_flat_workgroup_size: 256
    .name:           _Z39paged_attention_ll4mi_QKV_mfma16_kernelI14__hip_bfloat16hLN4vllm18Fp8KVCacheDataTypeE1EhLi16ELi128ELi256ELb1ELi15EEvPKT_PKT0_S8_ifPKiSA_SA_iPKfiiiPfSD_PS3_PT2_iSC_SC_
    .private_segment_fixed_size: 64
    .sgpr_count:     36
    .sgpr_spill_count: 0
    .symbol:         _Z39paged_attention_ll4mi_QKV_mfma16_kernelI14__hip_bfloat16hLN4vllm18Fp8KVCacheDataTypeE1EhLi16ELi128ELi256ELb1ELi15EEvPKT_PKT0_S8_ifPKiSA_SA_iPKfiiiPfSD_PS3_PT2_iSC_SC_.kd
    .uniform_work_group_size: 1
    .uses_dynamic_stack: false
    .vgpr_count:     51
    .vgpr_spill_count: 0
    .wavefront_size: 32
  - .args:
      - .actual_access:  read_only
        .address_space:  global
        .offset:         0
        .size:           8
        .value_kind:     global_buffer
      - .actual_access:  read_only
        .address_space:  global
        .offset:         8
        .size:           8
        .value_kind:     global_buffer
      - .actual_access:  read_only
        .address_space:  global
        .offset:         16
        .size:           8
        .value_kind:     global_buffer
      - .offset:         24
        .size:           4
        .value_kind:     by_value
      - .offset:         28
        .size:           4
        .value_kind:     by_value
      - .actual_access:  read_only
        .address_space:  global
        .offset:         32
        .size:           8
        .value_kind:     global_buffer
      - .actual_access:  read_only
        .address_space:  global
        .offset:         40
        .size:           8
        .value_kind:     global_buffer
      - .actual_access:  read_only
        .address_space:  global
        .offset:         48
        .size:           8
        .value_kind:     global_buffer
      - .offset:         56
        .size:           4
        .value_kind:     by_value
      - .actual_access:  read_only
        .address_space:  global
        .offset:         64
        .size:           8
        .value_kind:     global_buffer
      - .offset:         72
        .size:           4
        .value_kind:     by_value
      - .offset:         76
        .size:           4
        .value_kind:     by_value
      - .offset:         80
        .size:           4
        .value_kind:     by_value
      - .actual_access:  read_only
        .address_space:  global
        .offset:         88
        .size:           8
        .value_kind:     global_buffer
      - .actual_access:  read_only
        .address_space:  global
        .offset:         96
        .size:           8
        .value_kind:     global_buffer
      - .actual_access:  read_only
        .address_space:  global
        .offset:         104
        .size:           8
        .value_kind:     global_buffer
      - .actual_access:  read_only
        .address_space:  global
        .offset:         112
        .size:           8
        .value_kind:     global_buffer
      - .offset:         120
        .size:           4
        .value_kind:     by_value
      - .address_space:  global
        .offset:         128
        .size:           8
        .value_kind:     global_buffer
      - .address_space:  global
        .offset:         136
        .size:           8
        .value_kind:     global_buffer
      - .offset:         144
        .size:           4
        .value_kind:     hidden_block_count_x
      - .offset:         148
        .size:           4
        .value_kind:     hidden_block_count_y
      - .offset:         152
        .size:           4
        .value_kind:     hidden_block_count_z
      - .offset:         156
        .size:           2
        .value_kind:     hidden_group_size_x
      - .offset:         158
        .size:           2
        .value_kind:     hidden_group_size_y
      - .offset:         160
        .size:           2
        .value_kind:     hidden_group_size_z
      - .offset:         162
        .size:           2
        .value_kind:     hidden_remainder_x
      - .offset:         164
        .size:           2
        .value_kind:     hidden_remainder_y
      - .offset:         166
        .size:           2
        .value_kind:     hidden_remainder_z
      - .offset:         184
        .size:           8
        .value_kind:     hidden_global_offset_x
      - .offset:         192
        .size:           8
        .value_kind:     hidden_global_offset_y
      - .offset:         200
        .size:           8
        .value_kind:     hidden_global_offset_z
      - .offset:         208
        .size:           2
        .value_kind:     hidden_grid_dims
      - .offset:         224
        .size:           8
        .value_kind:     hidden_hostcall_buffer
    .group_segment_fixed_size: 0
    .kernarg_segment_align: 8
    .kernarg_segment_size: 400
    .language:       OpenCL C
    .language_version:
      - 2
      - 0
    .max_flat_workgroup_size: 256
    .name:           _Z39paged_attention_ll4mi_QKV_mfma16_kernelI14__hip_bfloat16hLN4vllm18Fp8KVCacheDataTypeE1EhLi16ELi128ELi256ELb1ELi16EEvPKT_PKT0_S8_ifPKiSA_SA_iPKfiiiPfSD_PS3_PT2_iSC_SC_
    .private_segment_fixed_size: 64
    .sgpr_count:     36
    .sgpr_spill_count: 0
    .symbol:         _Z39paged_attention_ll4mi_QKV_mfma16_kernelI14__hip_bfloat16hLN4vllm18Fp8KVCacheDataTypeE1EhLi16ELi128ELi256ELb1ELi16EEvPKT_PKT0_S8_ifPKiSA_SA_iPKfiiiPfSD_PS3_PT2_iSC_SC_.kd
    .uniform_work_group_size: 1
    .uses_dynamic_stack: false
    .vgpr_count:     51
    .vgpr_spill_count: 0
    .wavefront_size: 32
  - .args:
      - .actual_access:  read_only
        .address_space:  global
        .offset:         0
        .size:           8
        .value_kind:     global_buffer
      - .actual_access:  read_only
        .address_space:  global
        .offset:         8
        .size:           8
        .value_kind:     global_buffer
      - .actual_access:  read_only
        .address_space:  global
        .offset:         16
        .size:           8
        .value_kind:     global_buffer
      - .offset:         24
        .size:           4
        .value_kind:     by_value
      - .offset:         28
        .size:           4
        .value_kind:     by_value
      - .actual_access:  read_only
        .address_space:  global
        .offset:         32
        .size:           8
        .value_kind:     global_buffer
      - .actual_access:  read_only
        .address_space:  global
        .offset:         40
        .size:           8
        .value_kind:     global_buffer
      - .actual_access:  read_only
        .address_space:  global
        .offset:         48
        .size:           8
        .value_kind:     global_buffer
      - .offset:         56
        .size:           4
        .value_kind:     by_value
      - .actual_access:  read_only
        .address_space:  global
        .offset:         64
        .size:           8
        .value_kind:     global_buffer
      - .offset:         72
        .size:           4
        .value_kind:     by_value
      - .offset:         76
        .size:           4
        .value_kind:     by_value
      - .offset:         80
        .size:           4
        .value_kind:     by_value
      - .actual_access:  read_only
        .address_space:  global
        .offset:         88
        .size:           8
        .value_kind:     global_buffer
      - .actual_access:  read_only
        .address_space:  global
        .offset:         96
        .size:           8
        .value_kind:     global_buffer
      - .actual_access:  read_only
        .address_space:  global
        .offset:         104
        .size:           8
        .value_kind:     global_buffer
      - .actual_access:  read_only
        .address_space:  global
        .offset:         112
        .size:           8
        .value_kind:     global_buffer
      - .offset:         120
        .size:           4
        .value_kind:     by_value
      - .address_space:  global
        .offset:         128
        .size:           8
        .value_kind:     global_buffer
      - .address_space:  global
        .offset:         136
        .size:           8
        .value_kind:     global_buffer
      - .offset:         144
        .size:           4
        .value_kind:     hidden_block_count_x
      - .offset:         148
        .size:           4
        .value_kind:     hidden_block_count_y
      - .offset:         152
        .size:           4
        .value_kind:     hidden_block_count_z
      - .offset:         156
        .size:           2
        .value_kind:     hidden_group_size_x
      - .offset:         158
        .size:           2
        .value_kind:     hidden_group_size_y
      - .offset:         160
        .size:           2
        .value_kind:     hidden_group_size_z
      - .offset:         162
        .size:           2
        .value_kind:     hidden_remainder_x
      - .offset:         164
        .size:           2
        .value_kind:     hidden_remainder_y
      - .offset:         166
        .size:           2
        .value_kind:     hidden_remainder_z
      - .offset:         184
        .size:           8
        .value_kind:     hidden_global_offset_x
      - .offset:         192
        .size:           8
        .value_kind:     hidden_global_offset_y
      - .offset:         200
        .size:           8
        .value_kind:     hidden_global_offset_z
      - .offset:         208
        .size:           2
        .value_kind:     hidden_grid_dims
      - .offset:         224
        .size:           8
        .value_kind:     hidden_hostcall_buffer
    .group_segment_fixed_size: 0
    .kernarg_segment_align: 8
    .kernarg_segment_size: 400
    .language:       OpenCL C
    .language_version:
      - 2
      - 0
    .max_flat_workgroup_size: 256
    .name:           _Z39paged_attention_ll4mi_QKV_mfma16_kernelI14__hip_bfloat16hLN4vllm18Fp8KVCacheDataTypeE1EhLi16ELi128ELi256ELb1ELi1EEvPKT_PKT0_S8_ifPKiSA_SA_iPKfiiiPfSD_PS3_PT2_iSC_SC_
    .private_segment_fixed_size: 64
    .sgpr_count:     36
    .sgpr_spill_count: 0
    .symbol:         _Z39paged_attention_ll4mi_QKV_mfma16_kernelI14__hip_bfloat16hLN4vllm18Fp8KVCacheDataTypeE1EhLi16ELi128ELi256ELb1ELi1EEvPKT_PKT0_S8_ifPKiSA_SA_iPKfiiiPfSD_PS3_PT2_iSC_SC_.kd
    .uniform_work_group_size: 1
    .uses_dynamic_stack: false
    .vgpr_count:     51
    .vgpr_spill_count: 0
    .wavefront_size: 32
  - .args:
      - .actual_access:  read_only
        .address_space:  global
        .offset:         0
        .size:           8
        .value_kind:     global_buffer
      - .actual_access:  read_only
        .address_space:  global
        .offset:         8
        .size:           8
        .value_kind:     global_buffer
      - .actual_access:  read_only
        .address_space:  global
        .offset:         16
        .size:           8
        .value_kind:     global_buffer
      - .offset:         24
        .size:           4
        .value_kind:     by_value
      - .offset:         28
        .size:           4
        .value_kind:     by_value
      - .actual_access:  read_only
        .address_space:  global
        .offset:         32
        .size:           8
        .value_kind:     global_buffer
      - .actual_access:  read_only
        .address_space:  global
        .offset:         40
        .size:           8
        .value_kind:     global_buffer
      - .actual_access:  read_only
        .address_space:  global
        .offset:         48
        .size:           8
        .value_kind:     global_buffer
      - .offset:         56
        .size:           4
        .value_kind:     by_value
      - .actual_access:  read_only
        .address_space:  global
        .offset:         64
        .size:           8
        .value_kind:     global_buffer
      - .offset:         72
        .size:           4
        .value_kind:     by_value
      - .offset:         76
        .size:           4
        .value_kind:     by_value
      - .offset:         80
        .size:           4
        .value_kind:     by_value
      - .actual_access:  read_only
        .address_space:  global
        .offset:         88
        .size:           8
        .value_kind:     global_buffer
      - .actual_access:  read_only
        .address_space:  global
        .offset:         96
        .size:           8
        .value_kind:     global_buffer
      - .actual_access:  read_only
        .address_space:  global
        .offset:         104
        .size:           8
        .value_kind:     global_buffer
      - .actual_access:  read_only
        .address_space:  global
        .offset:         112
        .size:           8
        .value_kind:     global_buffer
      - .offset:         120
        .size:           4
        .value_kind:     by_value
      - .address_space:  global
        .offset:         128
        .size:           8
        .value_kind:     global_buffer
      - .address_space:  global
        .offset:         136
        .size:           8
        .value_kind:     global_buffer
      - .offset:         144
        .size:           4
        .value_kind:     hidden_block_count_x
      - .offset:         148
        .size:           4
        .value_kind:     hidden_block_count_y
      - .offset:         152
        .size:           4
        .value_kind:     hidden_block_count_z
      - .offset:         156
        .size:           2
        .value_kind:     hidden_group_size_x
      - .offset:         158
        .size:           2
        .value_kind:     hidden_group_size_y
      - .offset:         160
        .size:           2
        .value_kind:     hidden_group_size_z
      - .offset:         162
        .size:           2
        .value_kind:     hidden_remainder_x
      - .offset:         164
        .size:           2
        .value_kind:     hidden_remainder_y
      - .offset:         166
        .size:           2
        .value_kind:     hidden_remainder_z
      - .offset:         184
        .size:           8
        .value_kind:     hidden_global_offset_x
      - .offset:         192
        .size:           8
        .value_kind:     hidden_global_offset_y
      - .offset:         200
        .size:           8
        .value_kind:     hidden_global_offset_z
      - .offset:         208
        .size:           2
        .value_kind:     hidden_grid_dims
      - .offset:         224
        .size:           8
        .value_kind:     hidden_hostcall_buffer
    .group_segment_fixed_size: 0
    .kernarg_segment_align: 8
    .kernarg_segment_size: 400
    .language:       OpenCL C
    .language_version:
      - 2
      - 0
    .max_flat_workgroup_size: 256
    .name:           _Z39paged_attention_ll4mi_QKV_mfma16_kernelI14__hip_bfloat16hLN4vllm18Fp8KVCacheDataTypeE1EhLi16ELi128ELi256ELb1ELi2EEvPKT_PKT0_S8_ifPKiSA_SA_iPKfiiiPfSD_PS3_PT2_iSC_SC_
    .private_segment_fixed_size: 64
    .sgpr_count:     36
    .sgpr_spill_count: 0
    .symbol:         _Z39paged_attention_ll4mi_QKV_mfma16_kernelI14__hip_bfloat16hLN4vllm18Fp8KVCacheDataTypeE1EhLi16ELi128ELi256ELb1ELi2EEvPKT_PKT0_S8_ifPKiSA_SA_iPKfiiiPfSD_PS3_PT2_iSC_SC_.kd
    .uniform_work_group_size: 1
    .uses_dynamic_stack: false
    .vgpr_count:     51
    .vgpr_spill_count: 0
    .wavefront_size: 32
  - .args:
      - .actual_access:  read_only
        .address_space:  global
        .offset:         0
        .size:           8
        .value_kind:     global_buffer
      - .actual_access:  read_only
        .address_space:  global
        .offset:         8
        .size:           8
        .value_kind:     global_buffer
      - .actual_access:  read_only
        .address_space:  global
        .offset:         16
        .size:           8
        .value_kind:     global_buffer
      - .offset:         24
        .size:           4
        .value_kind:     by_value
      - .offset:         28
        .size:           4
        .value_kind:     by_value
      - .actual_access:  read_only
        .address_space:  global
        .offset:         32
        .size:           8
        .value_kind:     global_buffer
      - .actual_access:  read_only
        .address_space:  global
        .offset:         40
        .size:           8
        .value_kind:     global_buffer
      - .actual_access:  read_only
        .address_space:  global
        .offset:         48
        .size:           8
        .value_kind:     global_buffer
      - .offset:         56
        .size:           4
        .value_kind:     by_value
      - .actual_access:  read_only
        .address_space:  global
        .offset:         64
        .size:           8
        .value_kind:     global_buffer
      - .offset:         72
        .size:           4
        .value_kind:     by_value
      - .offset:         76
        .size:           4
        .value_kind:     by_value
      - .offset:         80
        .size:           4
        .value_kind:     by_value
      - .actual_access:  read_only
        .address_space:  global
        .offset:         88
        .size:           8
        .value_kind:     global_buffer
      - .actual_access:  read_only
        .address_space:  global
        .offset:         96
        .size:           8
        .value_kind:     global_buffer
      - .actual_access:  read_only
        .address_space:  global
        .offset:         104
        .size:           8
        .value_kind:     global_buffer
      - .actual_access:  read_only
        .address_space:  global
        .offset:         112
        .size:           8
        .value_kind:     global_buffer
      - .offset:         120
        .size:           4
        .value_kind:     by_value
      - .address_space:  global
        .offset:         128
        .size:           8
        .value_kind:     global_buffer
      - .address_space:  global
        .offset:         136
        .size:           8
        .value_kind:     global_buffer
      - .offset:         144
        .size:           4
        .value_kind:     hidden_block_count_x
      - .offset:         148
        .size:           4
        .value_kind:     hidden_block_count_y
      - .offset:         152
        .size:           4
        .value_kind:     hidden_block_count_z
      - .offset:         156
        .size:           2
        .value_kind:     hidden_group_size_x
      - .offset:         158
        .size:           2
        .value_kind:     hidden_group_size_y
      - .offset:         160
        .size:           2
        .value_kind:     hidden_group_size_z
      - .offset:         162
        .size:           2
        .value_kind:     hidden_remainder_x
      - .offset:         164
        .size:           2
        .value_kind:     hidden_remainder_y
      - .offset:         166
        .size:           2
        .value_kind:     hidden_remainder_z
      - .offset:         184
        .size:           8
        .value_kind:     hidden_global_offset_x
      - .offset:         192
        .size:           8
        .value_kind:     hidden_global_offset_y
      - .offset:         200
        .size:           8
        .value_kind:     hidden_global_offset_z
      - .offset:         208
        .size:           2
        .value_kind:     hidden_grid_dims
      - .offset:         224
        .size:           8
        .value_kind:     hidden_hostcall_buffer
    .group_segment_fixed_size: 0
    .kernarg_segment_align: 8
    .kernarg_segment_size: 400
    .language:       OpenCL C
    .language_version:
      - 2
      - 0
    .max_flat_workgroup_size: 256
    .name:           _Z39paged_attention_ll4mi_QKV_mfma16_kernelI14__hip_bfloat16hLN4vllm18Fp8KVCacheDataTypeE1EhLi16ELi128ELi256ELb1ELi3EEvPKT_PKT0_S8_ifPKiSA_SA_iPKfiiiPfSD_PS3_PT2_iSC_SC_
    .private_segment_fixed_size: 64
    .sgpr_count:     36
    .sgpr_spill_count: 0
    .symbol:         _Z39paged_attention_ll4mi_QKV_mfma16_kernelI14__hip_bfloat16hLN4vllm18Fp8KVCacheDataTypeE1EhLi16ELi128ELi256ELb1ELi3EEvPKT_PKT0_S8_ifPKiSA_SA_iPKfiiiPfSD_PS3_PT2_iSC_SC_.kd
    .uniform_work_group_size: 1
    .uses_dynamic_stack: false
    .vgpr_count:     51
    .vgpr_spill_count: 0
    .wavefront_size: 32
  - .args:
      - .actual_access:  read_only
        .address_space:  global
        .offset:         0
        .size:           8
        .value_kind:     global_buffer
      - .actual_access:  read_only
        .address_space:  global
        .offset:         8
        .size:           8
        .value_kind:     global_buffer
      - .actual_access:  read_only
        .address_space:  global
        .offset:         16
        .size:           8
        .value_kind:     global_buffer
      - .offset:         24
        .size:           4
        .value_kind:     by_value
      - .offset:         28
        .size:           4
        .value_kind:     by_value
      - .actual_access:  read_only
        .address_space:  global
        .offset:         32
        .size:           8
        .value_kind:     global_buffer
      - .actual_access:  read_only
        .address_space:  global
        .offset:         40
        .size:           8
        .value_kind:     global_buffer
      - .actual_access:  read_only
        .address_space:  global
        .offset:         48
        .size:           8
        .value_kind:     global_buffer
      - .offset:         56
        .size:           4
        .value_kind:     by_value
      - .actual_access:  read_only
        .address_space:  global
        .offset:         64
        .size:           8
        .value_kind:     global_buffer
      - .offset:         72
        .size:           4
        .value_kind:     by_value
      - .offset:         76
        .size:           4
        .value_kind:     by_value
      - .offset:         80
        .size:           4
        .value_kind:     by_value
      - .actual_access:  read_only
        .address_space:  global
        .offset:         88
        .size:           8
        .value_kind:     global_buffer
      - .actual_access:  read_only
        .address_space:  global
        .offset:         96
        .size:           8
        .value_kind:     global_buffer
      - .actual_access:  read_only
        .address_space:  global
        .offset:         104
        .size:           8
        .value_kind:     global_buffer
      - .actual_access:  read_only
        .address_space:  global
        .offset:         112
        .size:           8
        .value_kind:     global_buffer
      - .offset:         120
        .size:           4
        .value_kind:     by_value
      - .address_space:  global
        .offset:         128
        .size:           8
        .value_kind:     global_buffer
      - .address_space:  global
        .offset:         136
        .size:           8
        .value_kind:     global_buffer
      - .offset:         144
        .size:           4
        .value_kind:     hidden_block_count_x
      - .offset:         148
        .size:           4
        .value_kind:     hidden_block_count_y
      - .offset:         152
        .size:           4
        .value_kind:     hidden_block_count_z
      - .offset:         156
        .size:           2
        .value_kind:     hidden_group_size_x
      - .offset:         158
        .size:           2
        .value_kind:     hidden_group_size_y
      - .offset:         160
        .size:           2
        .value_kind:     hidden_group_size_z
      - .offset:         162
        .size:           2
        .value_kind:     hidden_remainder_x
      - .offset:         164
        .size:           2
        .value_kind:     hidden_remainder_y
      - .offset:         166
        .size:           2
        .value_kind:     hidden_remainder_z
      - .offset:         184
        .size:           8
        .value_kind:     hidden_global_offset_x
      - .offset:         192
        .size:           8
        .value_kind:     hidden_global_offset_y
      - .offset:         200
        .size:           8
        .value_kind:     hidden_global_offset_z
      - .offset:         208
        .size:           2
        .value_kind:     hidden_grid_dims
      - .offset:         224
        .size:           8
        .value_kind:     hidden_hostcall_buffer
    .group_segment_fixed_size: 0
    .kernarg_segment_align: 8
    .kernarg_segment_size: 400
    .language:       OpenCL C
    .language_version:
      - 2
      - 0
    .max_flat_workgroup_size: 256
    .name:           _Z39paged_attention_ll4mi_QKV_mfma16_kernelI14__hip_bfloat16hLN4vllm18Fp8KVCacheDataTypeE1EhLi16ELi128ELi256ELb1ELi4EEvPKT_PKT0_S8_ifPKiSA_SA_iPKfiiiPfSD_PS3_PT2_iSC_SC_
    .private_segment_fixed_size: 64
    .sgpr_count:     36
    .sgpr_spill_count: 0
    .symbol:         _Z39paged_attention_ll4mi_QKV_mfma16_kernelI14__hip_bfloat16hLN4vllm18Fp8KVCacheDataTypeE1EhLi16ELi128ELi256ELb1ELi4EEvPKT_PKT0_S8_ifPKiSA_SA_iPKfiiiPfSD_PS3_PT2_iSC_SC_.kd
    .uniform_work_group_size: 1
    .uses_dynamic_stack: false
    .vgpr_count:     51
    .vgpr_spill_count: 0
    .wavefront_size: 32
  - .args:
      - .actual_access:  read_only
        .address_space:  global
        .offset:         0
        .size:           8
        .value_kind:     global_buffer
      - .actual_access:  read_only
        .address_space:  global
        .offset:         8
        .size:           8
        .value_kind:     global_buffer
      - .actual_access:  read_only
        .address_space:  global
        .offset:         16
        .size:           8
        .value_kind:     global_buffer
      - .offset:         24
        .size:           4
        .value_kind:     by_value
      - .offset:         28
        .size:           4
        .value_kind:     by_value
      - .actual_access:  read_only
        .address_space:  global
        .offset:         32
        .size:           8
        .value_kind:     global_buffer
      - .actual_access:  read_only
        .address_space:  global
        .offset:         40
        .size:           8
        .value_kind:     global_buffer
      - .actual_access:  read_only
        .address_space:  global
        .offset:         48
        .size:           8
        .value_kind:     global_buffer
      - .offset:         56
        .size:           4
        .value_kind:     by_value
      - .actual_access:  read_only
        .address_space:  global
        .offset:         64
        .size:           8
        .value_kind:     global_buffer
      - .offset:         72
        .size:           4
        .value_kind:     by_value
      - .offset:         76
        .size:           4
        .value_kind:     by_value
      - .offset:         80
        .size:           4
        .value_kind:     by_value
      - .actual_access:  read_only
        .address_space:  global
        .offset:         88
        .size:           8
        .value_kind:     global_buffer
      - .actual_access:  read_only
        .address_space:  global
        .offset:         96
        .size:           8
        .value_kind:     global_buffer
      - .actual_access:  read_only
        .address_space:  global
        .offset:         104
        .size:           8
        .value_kind:     global_buffer
      - .actual_access:  read_only
        .address_space:  global
        .offset:         112
        .size:           8
        .value_kind:     global_buffer
      - .offset:         120
        .size:           4
        .value_kind:     by_value
      - .address_space:  global
        .offset:         128
        .size:           8
        .value_kind:     global_buffer
      - .address_space:  global
        .offset:         136
        .size:           8
        .value_kind:     global_buffer
      - .offset:         144
        .size:           4
        .value_kind:     hidden_block_count_x
      - .offset:         148
        .size:           4
        .value_kind:     hidden_block_count_y
      - .offset:         152
        .size:           4
        .value_kind:     hidden_block_count_z
      - .offset:         156
        .size:           2
        .value_kind:     hidden_group_size_x
      - .offset:         158
        .size:           2
        .value_kind:     hidden_group_size_y
      - .offset:         160
        .size:           2
        .value_kind:     hidden_group_size_z
      - .offset:         162
        .size:           2
        .value_kind:     hidden_remainder_x
      - .offset:         164
        .size:           2
        .value_kind:     hidden_remainder_y
      - .offset:         166
        .size:           2
        .value_kind:     hidden_remainder_z
      - .offset:         184
        .size:           8
        .value_kind:     hidden_global_offset_x
      - .offset:         192
        .size:           8
        .value_kind:     hidden_global_offset_y
      - .offset:         200
        .size:           8
        .value_kind:     hidden_global_offset_z
      - .offset:         208
        .size:           2
        .value_kind:     hidden_grid_dims
      - .offset:         224
        .size:           8
        .value_kind:     hidden_hostcall_buffer
    .group_segment_fixed_size: 0
    .kernarg_segment_align: 8
    .kernarg_segment_size: 400
    .language:       OpenCL C
    .language_version:
      - 2
      - 0
    .max_flat_workgroup_size: 256
    .name:           _Z38paged_attention_ll4mi_QKV_mfma4_kernelI14__hip_bfloat16hLN4vllm18Fp8KVCacheDataTypeE1EhLi16ELi128ELi256ELb0ELi1EEvPKT_PKT0_S8_ifPKiSA_SA_iPKfiiiPfSD_PS3_PT2_iSC_SC_
    .private_segment_fixed_size: 64
    .sgpr_count:     36
    .sgpr_spill_count: 0
    .symbol:         _Z38paged_attention_ll4mi_QKV_mfma4_kernelI14__hip_bfloat16hLN4vllm18Fp8KVCacheDataTypeE1EhLi16ELi128ELi256ELb0ELi1EEvPKT_PKT0_S8_ifPKiSA_SA_iPKfiiiPfSD_PS3_PT2_iSC_SC_.kd
    .uniform_work_group_size: 1
    .uses_dynamic_stack: false
    .vgpr_count:     51
    .vgpr_spill_count: 0
    .wavefront_size: 32
  - .args:
      - .actual_access:  read_only
        .address_space:  global
        .offset:         0
        .size:           8
        .value_kind:     global_buffer
      - .actual_access:  read_only
        .address_space:  global
        .offset:         8
        .size:           8
        .value_kind:     global_buffer
      - .actual_access:  read_only
        .address_space:  global
        .offset:         16
        .size:           8
        .value_kind:     global_buffer
      - .offset:         24
        .size:           4
        .value_kind:     by_value
      - .offset:         28
        .size:           4
        .value_kind:     by_value
      - .actual_access:  read_only
        .address_space:  global
        .offset:         32
        .size:           8
        .value_kind:     global_buffer
      - .actual_access:  read_only
        .address_space:  global
        .offset:         40
        .size:           8
        .value_kind:     global_buffer
      - .actual_access:  read_only
        .address_space:  global
        .offset:         48
        .size:           8
        .value_kind:     global_buffer
      - .offset:         56
        .size:           4
        .value_kind:     by_value
      - .actual_access:  read_only
        .address_space:  global
        .offset:         64
        .size:           8
        .value_kind:     global_buffer
      - .offset:         72
        .size:           4
        .value_kind:     by_value
      - .offset:         76
        .size:           4
        .value_kind:     by_value
      - .offset:         80
        .size:           4
        .value_kind:     by_value
      - .actual_access:  read_only
        .address_space:  global
        .offset:         88
        .size:           8
        .value_kind:     global_buffer
      - .actual_access:  read_only
        .address_space:  global
        .offset:         96
        .size:           8
        .value_kind:     global_buffer
      - .actual_access:  read_only
        .address_space:  global
        .offset:         104
        .size:           8
        .value_kind:     global_buffer
      - .actual_access:  read_only
        .address_space:  global
        .offset:         112
        .size:           8
        .value_kind:     global_buffer
      - .offset:         120
        .size:           4
        .value_kind:     by_value
      - .address_space:  global
        .offset:         128
        .size:           8
        .value_kind:     global_buffer
      - .address_space:  global
        .offset:         136
        .size:           8
        .value_kind:     global_buffer
      - .offset:         144
        .size:           4
        .value_kind:     hidden_block_count_x
      - .offset:         148
        .size:           4
        .value_kind:     hidden_block_count_y
      - .offset:         152
        .size:           4
        .value_kind:     hidden_block_count_z
      - .offset:         156
        .size:           2
        .value_kind:     hidden_group_size_x
      - .offset:         158
        .size:           2
        .value_kind:     hidden_group_size_y
      - .offset:         160
        .size:           2
        .value_kind:     hidden_group_size_z
      - .offset:         162
        .size:           2
        .value_kind:     hidden_remainder_x
      - .offset:         164
        .size:           2
        .value_kind:     hidden_remainder_y
      - .offset:         166
        .size:           2
        .value_kind:     hidden_remainder_z
      - .offset:         184
        .size:           8
        .value_kind:     hidden_global_offset_x
      - .offset:         192
        .size:           8
        .value_kind:     hidden_global_offset_y
      - .offset:         200
        .size:           8
        .value_kind:     hidden_global_offset_z
      - .offset:         208
        .size:           2
        .value_kind:     hidden_grid_dims
      - .offset:         224
        .size:           8
        .value_kind:     hidden_hostcall_buffer
    .group_segment_fixed_size: 0
    .kernarg_segment_align: 8
    .kernarg_segment_size: 400
    .language:       OpenCL C
    .language_version:
      - 2
      - 0
    .max_flat_workgroup_size: 256
    .name:           _Z38paged_attention_ll4mi_QKV_mfma4_kernelI14__hip_bfloat16hLN4vllm18Fp8KVCacheDataTypeE1EhLi16ELi128ELi256ELb0ELi2EEvPKT_PKT0_S8_ifPKiSA_SA_iPKfiiiPfSD_PS3_PT2_iSC_SC_
    .private_segment_fixed_size: 64
    .sgpr_count:     36
    .sgpr_spill_count: 0
    .symbol:         _Z38paged_attention_ll4mi_QKV_mfma4_kernelI14__hip_bfloat16hLN4vllm18Fp8KVCacheDataTypeE1EhLi16ELi128ELi256ELb0ELi2EEvPKT_PKT0_S8_ifPKiSA_SA_iPKfiiiPfSD_PS3_PT2_iSC_SC_.kd
    .uniform_work_group_size: 1
    .uses_dynamic_stack: false
    .vgpr_count:     51
    .vgpr_spill_count: 0
    .wavefront_size: 32
  - .args:
      - .actual_access:  read_only
        .address_space:  global
        .offset:         0
        .size:           8
        .value_kind:     global_buffer
      - .actual_access:  read_only
        .address_space:  global
        .offset:         8
        .size:           8
        .value_kind:     global_buffer
      - .actual_access:  read_only
        .address_space:  global
        .offset:         16
        .size:           8
        .value_kind:     global_buffer
      - .offset:         24
        .size:           4
        .value_kind:     by_value
      - .offset:         28
        .size:           4
        .value_kind:     by_value
      - .actual_access:  read_only
        .address_space:  global
        .offset:         32
        .size:           8
        .value_kind:     global_buffer
      - .actual_access:  read_only
        .address_space:  global
        .offset:         40
        .size:           8
        .value_kind:     global_buffer
      - .actual_access:  read_only
        .address_space:  global
        .offset:         48
        .size:           8
        .value_kind:     global_buffer
      - .offset:         56
        .size:           4
        .value_kind:     by_value
      - .actual_access:  read_only
        .address_space:  global
        .offset:         64
        .size:           8
        .value_kind:     global_buffer
      - .offset:         72
        .size:           4
        .value_kind:     by_value
      - .offset:         76
        .size:           4
        .value_kind:     by_value
      - .offset:         80
        .size:           4
        .value_kind:     by_value
      - .actual_access:  read_only
        .address_space:  global
        .offset:         88
        .size:           8
        .value_kind:     global_buffer
      - .actual_access:  read_only
        .address_space:  global
        .offset:         96
        .size:           8
        .value_kind:     global_buffer
      - .actual_access:  read_only
        .address_space:  global
        .offset:         104
        .size:           8
        .value_kind:     global_buffer
      - .actual_access:  read_only
        .address_space:  global
        .offset:         112
        .size:           8
        .value_kind:     global_buffer
      - .offset:         120
        .size:           4
        .value_kind:     by_value
      - .address_space:  global
        .offset:         128
        .size:           8
        .value_kind:     global_buffer
      - .address_space:  global
        .offset:         136
        .size:           8
        .value_kind:     global_buffer
      - .offset:         144
        .size:           4
        .value_kind:     hidden_block_count_x
      - .offset:         148
        .size:           4
        .value_kind:     hidden_block_count_y
      - .offset:         152
        .size:           4
        .value_kind:     hidden_block_count_z
      - .offset:         156
        .size:           2
        .value_kind:     hidden_group_size_x
      - .offset:         158
        .size:           2
        .value_kind:     hidden_group_size_y
      - .offset:         160
        .size:           2
        .value_kind:     hidden_group_size_z
      - .offset:         162
        .size:           2
        .value_kind:     hidden_remainder_x
      - .offset:         164
        .size:           2
        .value_kind:     hidden_remainder_y
      - .offset:         166
        .size:           2
        .value_kind:     hidden_remainder_z
      - .offset:         184
        .size:           8
        .value_kind:     hidden_global_offset_x
      - .offset:         192
        .size:           8
        .value_kind:     hidden_global_offset_y
      - .offset:         200
        .size:           8
        .value_kind:     hidden_global_offset_z
      - .offset:         208
        .size:           2
        .value_kind:     hidden_grid_dims
      - .offset:         224
        .size:           8
        .value_kind:     hidden_hostcall_buffer
    .group_segment_fixed_size: 0
    .kernarg_segment_align: 8
    .kernarg_segment_size: 400
    .language:       OpenCL C
    .language_version:
      - 2
      - 0
    .max_flat_workgroup_size: 256
    .name:           _Z38paged_attention_ll4mi_QKV_mfma4_kernelI14__hip_bfloat16hLN4vllm18Fp8KVCacheDataTypeE1EhLi16ELi128ELi256ELb0ELi3EEvPKT_PKT0_S8_ifPKiSA_SA_iPKfiiiPfSD_PS3_PT2_iSC_SC_
    .private_segment_fixed_size: 64
    .sgpr_count:     36
    .sgpr_spill_count: 0
    .symbol:         _Z38paged_attention_ll4mi_QKV_mfma4_kernelI14__hip_bfloat16hLN4vllm18Fp8KVCacheDataTypeE1EhLi16ELi128ELi256ELb0ELi3EEvPKT_PKT0_S8_ifPKiSA_SA_iPKfiiiPfSD_PS3_PT2_iSC_SC_.kd
    .uniform_work_group_size: 1
    .uses_dynamic_stack: false
    .vgpr_count:     51
    .vgpr_spill_count: 0
    .wavefront_size: 32
  - .args:
      - .actual_access:  read_only
        .address_space:  global
        .offset:         0
        .size:           8
        .value_kind:     global_buffer
      - .actual_access:  read_only
        .address_space:  global
        .offset:         8
        .size:           8
        .value_kind:     global_buffer
      - .actual_access:  read_only
        .address_space:  global
        .offset:         16
        .size:           8
        .value_kind:     global_buffer
      - .offset:         24
        .size:           4
        .value_kind:     by_value
      - .offset:         28
        .size:           4
        .value_kind:     by_value
      - .actual_access:  read_only
        .address_space:  global
        .offset:         32
        .size:           8
        .value_kind:     global_buffer
      - .actual_access:  read_only
        .address_space:  global
        .offset:         40
        .size:           8
        .value_kind:     global_buffer
      - .actual_access:  read_only
        .address_space:  global
        .offset:         48
        .size:           8
        .value_kind:     global_buffer
      - .offset:         56
        .size:           4
        .value_kind:     by_value
      - .actual_access:  read_only
        .address_space:  global
        .offset:         64
        .size:           8
        .value_kind:     global_buffer
      - .offset:         72
        .size:           4
        .value_kind:     by_value
      - .offset:         76
        .size:           4
        .value_kind:     by_value
      - .offset:         80
        .size:           4
        .value_kind:     by_value
      - .actual_access:  read_only
        .address_space:  global
        .offset:         88
        .size:           8
        .value_kind:     global_buffer
      - .actual_access:  read_only
        .address_space:  global
        .offset:         96
        .size:           8
        .value_kind:     global_buffer
      - .actual_access:  read_only
        .address_space:  global
        .offset:         104
        .size:           8
        .value_kind:     global_buffer
      - .actual_access:  read_only
        .address_space:  global
        .offset:         112
        .size:           8
        .value_kind:     global_buffer
      - .offset:         120
        .size:           4
        .value_kind:     by_value
      - .address_space:  global
        .offset:         128
        .size:           8
        .value_kind:     global_buffer
      - .address_space:  global
        .offset:         136
        .size:           8
        .value_kind:     global_buffer
      - .offset:         144
        .size:           4
        .value_kind:     hidden_block_count_x
      - .offset:         148
        .size:           4
        .value_kind:     hidden_block_count_y
      - .offset:         152
        .size:           4
        .value_kind:     hidden_block_count_z
      - .offset:         156
        .size:           2
        .value_kind:     hidden_group_size_x
      - .offset:         158
        .size:           2
        .value_kind:     hidden_group_size_y
      - .offset:         160
        .size:           2
        .value_kind:     hidden_group_size_z
      - .offset:         162
        .size:           2
        .value_kind:     hidden_remainder_x
      - .offset:         164
        .size:           2
        .value_kind:     hidden_remainder_y
      - .offset:         166
        .size:           2
        .value_kind:     hidden_remainder_z
      - .offset:         184
        .size:           8
        .value_kind:     hidden_global_offset_x
      - .offset:         192
        .size:           8
        .value_kind:     hidden_global_offset_y
      - .offset:         200
        .size:           8
        .value_kind:     hidden_global_offset_z
      - .offset:         208
        .size:           2
        .value_kind:     hidden_grid_dims
      - .offset:         224
        .size:           8
        .value_kind:     hidden_hostcall_buffer
    .group_segment_fixed_size: 0
    .kernarg_segment_align: 8
    .kernarg_segment_size: 400
    .language:       OpenCL C
    .language_version:
      - 2
      - 0
    .max_flat_workgroup_size: 256
    .name:           _Z38paged_attention_ll4mi_QKV_mfma4_kernelI14__hip_bfloat16hLN4vllm18Fp8KVCacheDataTypeE1EhLi16ELi128ELi256ELb0ELi4EEvPKT_PKT0_S8_ifPKiSA_SA_iPKfiiiPfSD_PS3_PT2_iSC_SC_
    .private_segment_fixed_size: 64
    .sgpr_count:     36
    .sgpr_spill_count: 0
    .symbol:         _Z38paged_attention_ll4mi_QKV_mfma4_kernelI14__hip_bfloat16hLN4vllm18Fp8KVCacheDataTypeE1EhLi16ELi128ELi256ELb0ELi4EEvPKT_PKT0_S8_ifPKiSA_SA_iPKfiiiPfSD_PS3_PT2_iSC_SC_.kd
    .uniform_work_group_size: 1
    .uses_dynamic_stack: false
    .vgpr_count:     51
    .vgpr_spill_count: 0
    .wavefront_size: 32
  - .args:
      - .actual_access:  read_only
        .address_space:  global
        .offset:         0
        .size:           8
        .value_kind:     global_buffer
      - .actual_access:  read_only
        .address_space:  global
        .offset:         8
        .size:           8
        .value_kind:     global_buffer
      - .actual_access:  read_only
        .address_space:  global
        .offset:         16
        .size:           8
        .value_kind:     global_buffer
      - .offset:         24
        .size:           4
        .value_kind:     by_value
      - .offset:         28
        .size:           4
        .value_kind:     by_value
      - .actual_access:  read_only
        .address_space:  global
        .offset:         32
        .size:           8
        .value_kind:     global_buffer
      - .actual_access:  read_only
        .address_space:  global
        .offset:         40
        .size:           8
        .value_kind:     global_buffer
      - .actual_access:  read_only
        .address_space:  global
        .offset:         48
        .size:           8
        .value_kind:     global_buffer
      - .offset:         56
        .size:           4
        .value_kind:     by_value
      - .actual_access:  read_only
        .address_space:  global
        .offset:         64
        .size:           8
        .value_kind:     global_buffer
      - .offset:         72
        .size:           4
        .value_kind:     by_value
      - .offset:         76
        .size:           4
        .value_kind:     by_value
      - .offset:         80
        .size:           4
        .value_kind:     by_value
      - .actual_access:  read_only
        .address_space:  global
        .offset:         88
        .size:           8
        .value_kind:     global_buffer
      - .actual_access:  read_only
        .address_space:  global
        .offset:         96
        .size:           8
        .value_kind:     global_buffer
      - .actual_access:  read_only
        .address_space:  global
        .offset:         104
        .size:           8
        .value_kind:     global_buffer
      - .actual_access:  read_only
        .address_space:  global
        .offset:         112
        .size:           8
        .value_kind:     global_buffer
      - .offset:         120
        .size:           4
        .value_kind:     by_value
      - .address_space:  global
        .offset:         128
        .size:           8
        .value_kind:     global_buffer
      - .address_space:  global
        .offset:         136
        .size:           8
        .value_kind:     global_buffer
      - .offset:         144
        .size:           4
        .value_kind:     hidden_block_count_x
      - .offset:         148
        .size:           4
        .value_kind:     hidden_block_count_y
      - .offset:         152
        .size:           4
        .value_kind:     hidden_block_count_z
      - .offset:         156
        .size:           2
        .value_kind:     hidden_group_size_x
      - .offset:         158
        .size:           2
        .value_kind:     hidden_group_size_y
      - .offset:         160
        .size:           2
        .value_kind:     hidden_group_size_z
      - .offset:         162
        .size:           2
        .value_kind:     hidden_remainder_x
      - .offset:         164
        .size:           2
        .value_kind:     hidden_remainder_y
      - .offset:         166
        .size:           2
        .value_kind:     hidden_remainder_z
      - .offset:         184
        .size:           8
        .value_kind:     hidden_global_offset_x
      - .offset:         192
        .size:           8
        .value_kind:     hidden_global_offset_y
      - .offset:         200
        .size:           8
        .value_kind:     hidden_global_offset_z
      - .offset:         208
        .size:           2
        .value_kind:     hidden_grid_dims
      - .offset:         224
        .size:           8
        .value_kind:     hidden_hostcall_buffer
    .group_segment_fixed_size: 0
    .kernarg_segment_align: 8
    .kernarg_segment_size: 400
    .language:       OpenCL C
    .language_version:
      - 2
      - 0
    .max_flat_workgroup_size: 256
    .name:           _Z39paged_attention_ll4mi_QKV_mfma16_kernelI14__hip_bfloat16hLN4vllm18Fp8KVCacheDataTypeE1EhLi16ELi128ELi256ELb0ELi5EEvPKT_PKT0_S8_ifPKiSA_SA_iPKfiiiPfSD_PS3_PT2_iSC_SC_
    .private_segment_fixed_size: 64
    .sgpr_count:     36
    .sgpr_spill_count: 0
    .symbol:         _Z39paged_attention_ll4mi_QKV_mfma16_kernelI14__hip_bfloat16hLN4vllm18Fp8KVCacheDataTypeE1EhLi16ELi128ELi256ELb0ELi5EEvPKT_PKT0_S8_ifPKiSA_SA_iPKfiiiPfSD_PS3_PT2_iSC_SC_.kd
    .uniform_work_group_size: 1
    .uses_dynamic_stack: false
    .vgpr_count:     51
    .vgpr_spill_count: 0
    .wavefront_size: 32
  - .args:
      - .actual_access:  read_only
        .address_space:  global
        .offset:         0
        .size:           8
        .value_kind:     global_buffer
      - .actual_access:  read_only
        .address_space:  global
        .offset:         8
        .size:           8
        .value_kind:     global_buffer
      - .actual_access:  read_only
        .address_space:  global
        .offset:         16
        .size:           8
        .value_kind:     global_buffer
      - .offset:         24
        .size:           4
        .value_kind:     by_value
      - .offset:         28
        .size:           4
        .value_kind:     by_value
      - .actual_access:  read_only
        .address_space:  global
        .offset:         32
        .size:           8
        .value_kind:     global_buffer
      - .actual_access:  read_only
        .address_space:  global
        .offset:         40
        .size:           8
        .value_kind:     global_buffer
      - .actual_access:  read_only
        .address_space:  global
        .offset:         48
        .size:           8
        .value_kind:     global_buffer
      - .offset:         56
        .size:           4
        .value_kind:     by_value
      - .actual_access:  read_only
        .address_space:  global
        .offset:         64
        .size:           8
        .value_kind:     global_buffer
      - .offset:         72
        .size:           4
        .value_kind:     by_value
      - .offset:         76
        .size:           4
        .value_kind:     by_value
      - .offset:         80
        .size:           4
        .value_kind:     by_value
      - .actual_access:  read_only
        .address_space:  global
        .offset:         88
        .size:           8
        .value_kind:     global_buffer
      - .actual_access:  read_only
        .address_space:  global
        .offset:         96
        .size:           8
        .value_kind:     global_buffer
      - .actual_access:  read_only
        .address_space:  global
        .offset:         104
        .size:           8
        .value_kind:     global_buffer
      - .actual_access:  read_only
        .address_space:  global
        .offset:         112
        .size:           8
        .value_kind:     global_buffer
      - .offset:         120
        .size:           4
        .value_kind:     by_value
      - .address_space:  global
        .offset:         128
        .size:           8
        .value_kind:     global_buffer
      - .address_space:  global
        .offset:         136
        .size:           8
        .value_kind:     global_buffer
      - .offset:         144
        .size:           4
        .value_kind:     hidden_block_count_x
      - .offset:         148
        .size:           4
        .value_kind:     hidden_block_count_y
      - .offset:         152
        .size:           4
        .value_kind:     hidden_block_count_z
      - .offset:         156
        .size:           2
        .value_kind:     hidden_group_size_x
      - .offset:         158
        .size:           2
        .value_kind:     hidden_group_size_y
      - .offset:         160
        .size:           2
        .value_kind:     hidden_group_size_z
      - .offset:         162
        .size:           2
        .value_kind:     hidden_remainder_x
      - .offset:         164
        .size:           2
        .value_kind:     hidden_remainder_y
      - .offset:         166
        .size:           2
        .value_kind:     hidden_remainder_z
      - .offset:         184
        .size:           8
        .value_kind:     hidden_global_offset_x
      - .offset:         192
        .size:           8
        .value_kind:     hidden_global_offset_y
      - .offset:         200
        .size:           8
        .value_kind:     hidden_global_offset_z
      - .offset:         208
        .size:           2
        .value_kind:     hidden_grid_dims
      - .offset:         224
        .size:           8
        .value_kind:     hidden_hostcall_buffer
    .group_segment_fixed_size: 0
    .kernarg_segment_align: 8
    .kernarg_segment_size: 400
    .language:       OpenCL C
    .language_version:
      - 2
      - 0
    .max_flat_workgroup_size: 256
    .name:           _Z39paged_attention_ll4mi_QKV_mfma16_kernelI14__hip_bfloat16hLN4vllm18Fp8KVCacheDataTypeE1EhLi16ELi128ELi256ELb0ELi6EEvPKT_PKT0_S8_ifPKiSA_SA_iPKfiiiPfSD_PS3_PT2_iSC_SC_
    .private_segment_fixed_size: 64
    .sgpr_count:     36
    .sgpr_spill_count: 0
    .symbol:         _Z39paged_attention_ll4mi_QKV_mfma16_kernelI14__hip_bfloat16hLN4vllm18Fp8KVCacheDataTypeE1EhLi16ELi128ELi256ELb0ELi6EEvPKT_PKT0_S8_ifPKiSA_SA_iPKfiiiPfSD_PS3_PT2_iSC_SC_.kd
    .uniform_work_group_size: 1
    .uses_dynamic_stack: false
    .vgpr_count:     51
    .vgpr_spill_count: 0
    .wavefront_size: 32
  - .args:
      - .actual_access:  read_only
        .address_space:  global
        .offset:         0
        .size:           8
        .value_kind:     global_buffer
      - .actual_access:  read_only
        .address_space:  global
        .offset:         8
        .size:           8
        .value_kind:     global_buffer
      - .actual_access:  read_only
        .address_space:  global
        .offset:         16
        .size:           8
        .value_kind:     global_buffer
      - .offset:         24
        .size:           4
        .value_kind:     by_value
      - .offset:         28
        .size:           4
        .value_kind:     by_value
      - .actual_access:  read_only
        .address_space:  global
        .offset:         32
        .size:           8
        .value_kind:     global_buffer
      - .actual_access:  read_only
        .address_space:  global
        .offset:         40
        .size:           8
        .value_kind:     global_buffer
      - .actual_access:  read_only
        .address_space:  global
        .offset:         48
        .size:           8
        .value_kind:     global_buffer
      - .offset:         56
        .size:           4
        .value_kind:     by_value
      - .actual_access:  read_only
        .address_space:  global
        .offset:         64
        .size:           8
        .value_kind:     global_buffer
      - .offset:         72
        .size:           4
        .value_kind:     by_value
      - .offset:         76
        .size:           4
        .value_kind:     by_value
      - .offset:         80
        .size:           4
        .value_kind:     by_value
      - .actual_access:  read_only
        .address_space:  global
        .offset:         88
        .size:           8
        .value_kind:     global_buffer
      - .actual_access:  read_only
        .address_space:  global
        .offset:         96
        .size:           8
        .value_kind:     global_buffer
      - .actual_access:  read_only
        .address_space:  global
        .offset:         104
        .size:           8
        .value_kind:     global_buffer
      - .actual_access:  read_only
        .address_space:  global
        .offset:         112
        .size:           8
        .value_kind:     global_buffer
      - .offset:         120
        .size:           4
        .value_kind:     by_value
      - .address_space:  global
        .offset:         128
        .size:           8
        .value_kind:     global_buffer
      - .address_space:  global
        .offset:         136
        .size:           8
        .value_kind:     global_buffer
      - .offset:         144
        .size:           4
        .value_kind:     hidden_block_count_x
      - .offset:         148
        .size:           4
        .value_kind:     hidden_block_count_y
      - .offset:         152
        .size:           4
        .value_kind:     hidden_block_count_z
      - .offset:         156
        .size:           2
        .value_kind:     hidden_group_size_x
      - .offset:         158
        .size:           2
        .value_kind:     hidden_group_size_y
      - .offset:         160
        .size:           2
        .value_kind:     hidden_group_size_z
      - .offset:         162
        .size:           2
        .value_kind:     hidden_remainder_x
      - .offset:         164
        .size:           2
        .value_kind:     hidden_remainder_y
      - .offset:         166
        .size:           2
        .value_kind:     hidden_remainder_z
      - .offset:         184
        .size:           8
        .value_kind:     hidden_global_offset_x
      - .offset:         192
        .size:           8
        .value_kind:     hidden_global_offset_y
      - .offset:         200
        .size:           8
        .value_kind:     hidden_global_offset_z
      - .offset:         208
        .size:           2
        .value_kind:     hidden_grid_dims
      - .offset:         224
        .size:           8
        .value_kind:     hidden_hostcall_buffer
    .group_segment_fixed_size: 0
    .kernarg_segment_align: 8
    .kernarg_segment_size: 400
    .language:       OpenCL C
    .language_version:
      - 2
      - 0
    .max_flat_workgroup_size: 256
    .name:           _Z39paged_attention_ll4mi_QKV_mfma16_kernelI14__hip_bfloat16hLN4vllm18Fp8KVCacheDataTypeE1EhLi16ELi128ELi256ELb0ELi7EEvPKT_PKT0_S8_ifPKiSA_SA_iPKfiiiPfSD_PS3_PT2_iSC_SC_
    .private_segment_fixed_size: 64
    .sgpr_count:     36
    .sgpr_spill_count: 0
    .symbol:         _Z39paged_attention_ll4mi_QKV_mfma16_kernelI14__hip_bfloat16hLN4vllm18Fp8KVCacheDataTypeE1EhLi16ELi128ELi256ELb0ELi7EEvPKT_PKT0_S8_ifPKiSA_SA_iPKfiiiPfSD_PS3_PT2_iSC_SC_.kd
    .uniform_work_group_size: 1
    .uses_dynamic_stack: false
    .vgpr_count:     51
    .vgpr_spill_count: 0
    .wavefront_size: 32
  - .args:
      - .actual_access:  read_only
        .address_space:  global
        .offset:         0
        .size:           8
        .value_kind:     global_buffer
      - .actual_access:  read_only
        .address_space:  global
        .offset:         8
        .size:           8
        .value_kind:     global_buffer
      - .actual_access:  read_only
        .address_space:  global
        .offset:         16
        .size:           8
        .value_kind:     global_buffer
      - .offset:         24
        .size:           4
        .value_kind:     by_value
      - .offset:         28
        .size:           4
        .value_kind:     by_value
      - .actual_access:  read_only
        .address_space:  global
        .offset:         32
        .size:           8
        .value_kind:     global_buffer
      - .actual_access:  read_only
        .address_space:  global
        .offset:         40
        .size:           8
        .value_kind:     global_buffer
      - .actual_access:  read_only
        .address_space:  global
        .offset:         48
        .size:           8
        .value_kind:     global_buffer
      - .offset:         56
        .size:           4
        .value_kind:     by_value
      - .actual_access:  read_only
        .address_space:  global
        .offset:         64
        .size:           8
        .value_kind:     global_buffer
      - .offset:         72
        .size:           4
        .value_kind:     by_value
      - .offset:         76
        .size:           4
        .value_kind:     by_value
      - .offset:         80
        .size:           4
        .value_kind:     by_value
      - .actual_access:  read_only
        .address_space:  global
        .offset:         88
        .size:           8
        .value_kind:     global_buffer
      - .actual_access:  read_only
        .address_space:  global
        .offset:         96
        .size:           8
        .value_kind:     global_buffer
      - .actual_access:  read_only
        .address_space:  global
        .offset:         104
        .size:           8
        .value_kind:     global_buffer
      - .actual_access:  read_only
        .address_space:  global
        .offset:         112
        .size:           8
        .value_kind:     global_buffer
      - .offset:         120
        .size:           4
        .value_kind:     by_value
      - .address_space:  global
        .offset:         128
        .size:           8
        .value_kind:     global_buffer
      - .address_space:  global
        .offset:         136
        .size:           8
        .value_kind:     global_buffer
      - .offset:         144
        .size:           4
        .value_kind:     hidden_block_count_x
      - .offset:         148
        .size:           4
        .value_kind:     hidden_block_count_y
      - .offset:         152
        .size:           4
        .value_kind:     hidden_block_count_z
      - .offset:         156
        .size:           2
        .value_kind:     hidden_group_size_x
      - .offset:         158
        .size:           2
        .value_kind:     hidden_group_size_y
      - .offset:         160
        .size:           2
        .value_kind:     hidden_group_size_z
      - .offset:         162
        .size:           2
        .value_kind:     hidden_remainder_x
      - .offset:         164
        .size:           2
        .value_kind:     hidden_remainder_y
      - .offset:         166
        .size:           2
        .value_kind:     hidden_remainder_z
      - .offset:         184
        .size:           8
        .value_kind:     hidden_global_offset_x
      - .offset:         192
        .size:           8
        .value_kind:     hidden_global_offset_y
      - .offset:         200
        .size:           8
        .value_kind:     hidden_global_offset_z
      - .offset:         208
        .size:           2
        .value_kind:     hidden_grid_dims
      - .offset:         224
        .size:           8
        .value_kind:     hidden_hostcall_buffer
    .group_segment_fixed_size: 0
    .kernarg_segment_align: 8
    .kernarg_segment_size: 400
    .language:       OpenCL C
    .language_version:
      - 2
      - 0
    .max_flat_workgroup_size: 256
    .name:           _Z39paged_attention_ll4mi_QKV_mfma16_kernelI14__hip_bfloat16hLN4vllm18Fp8KVCacheDataTypeE1EhLi16ELi128ELi256ELb0ELi8EEvPKT_PKT0_S8_ifPKiSA_SA_iPKfiiiPfSD_PS3_PT2_iSC_SC_
    .private_segment_fixed_size: 64
    .sgpr_count:     36
    .sgpr_spill_count: 0
    .symbol:         _Z39paged_attention_ll4mi_QKV_mfma16_kernelI14__hip_bfloat16hLN4vllm18Fp8KVCacheDataTypeE1EhLi16ELi128ELi256ELb0ELi8EEvPKT_PKT0_S8_ifPKiSA_SA_iPKfiiiPfSD_PS3_PT2_iSC_SC_.kd
    .uniform_work_group_size: 1
    .uses_dynamic_stack: false
    .vgpr_count:     51
    .vgpr_spill_count: 0
    .wavefront_size: 32
  - .args:
      - .actual_access:  read_only
        .address_space:  global
        .offset:         0
        .size:           8
        .value_kind:     global_buffer
      - .actual_access:  read_only
        .address_space:  global
        .offset:         8
        .size:           8
        .value_kind:     global_buffer
      - .actual_access:  read_only
        .address_space:  global
        .offset:         16
        .size:           8
        .value_kind:     global_buffer
      - .offset:         24
        .size:           4
        .value_kind:     by_value
      - .offset:         28
        .size:           4
        .value_kind:     by_value
      - .actual_access:  read_only
        .address_space:  global
        .offset:         32
        .size:           8
        .value_kind:     global_buffer
      - .actual_access:  read_only
        .address_space:  global
        .offset:         40
        .size:           8
        .value_kind:     global_buffer
      - .actual_access:  read_only
        .address_space:  global
        .offset:         48
        .size:           8
        .value_kind:     global_buffer
      - .offset:         56
        .size:           4
        .value_kind:     by_value
      - .actual_access:  read_only
        .address_space:  global
        .offset:         64
        .size:           8
        .value_kind:     global_buffer
      - .offset:         72
        .size:           4
        .value_kind:     by_value
      - .offset:         76
        .size:           4
        .value_kind:     by_value
      - .offset:         80
        .size:           4
        .value_kind:     by_value
      - .actual_access:  read_only
        .address_space:  global
        .offset:         88
        .size:           8
        .value_kind:     global_buffer
      - .actual_access:  read_only
        .address_space:  global
        .offset:         96
        .size:           8
        .value_kind:     global_buffer
      - .actual_access:  read_only
        .address_space:  global
        .offset:         104
        .size:           8
        .value_kind:     global_buffer
      - .actual_access:  read_only
        .address_space:  global
        .offset:         112
        .size:           8
        .value_kind:     global_buffer
      - .offset:         120
        .size:           4
        .value_kind:     by_value
      - .address_space:  global
        .offset:         128
        .size:           8
        .value_kind:     global_buffer
      - .address_space:  global
        .offset:         136
        .size:           8
        .value_kind:     global_buffer
      - .offset:         144
        .size:           4
        .value_kind:     hidden_block_count_x
      - .offset:         148
        .size:           4
        .value_kind:     hidden_block_count_y
      - .offset:         152
        .size:           4
        .value_kind:     hidden_block_count_z
      - .offset:         156
        .size:           2
        .value_kind:     hidden_group_size_x
      - .offset:         158
        .size:           2
        .value_kind:     hidden_group_size_y
      - .offset:         160
        .size:           2
        .value_kind:     hidden_group_size_z
      - .offset:         162
        .size:           2
        .value_kind:     hidden_remainder_x
      - .offset:         164
        .size:           2
        .value_kind:     hidden_remainder_y
      - .offset:         166
        .size:           2
        .value_kind:     hidden_remainder_z
      - .offset:         184
        .size:           8
        .value_kind:     hidden_global_offset_x
      - .offset:         192
        .size:           8
        .value_kind:     hidden_global_offset_y
      - .offset:         200
        .size:           8
        .value_kind:     hidden_global_offset_z
      - .offset:         208
        .size:           2
        .value_kind:     hidden_grid_dims
      - .offset:         224
        .size:           8
        .value_kind:     hidden_hostcall_buffer
    .group_segment_fixed_size: 0
    .kernarg_segment_align: 8
    .kernarg_segment_size: 400
    .language:       OpenCL C
    .language_version:
      - 2
      - 0
    .max_flat_workgroup_size: 256
    .name:           _Z39paged_attention_ll4mi_QKV_mfma16_kernelI14__hip_bfloat16hLN4vllm18Fp8KVCacheDataTypeE1EhLi16ELi128ELi256ELb0ELi9EEvPKT_PKT0_S8_ifPKiSA_SA_iPKfiiiPfSD_PS3_PT2_iSC_SC_
    .private_segment_fixed_size: 64
    .sgpr_count:     36
    .sgpr_spill_count: 0
    .symbol:         _Z39paged_attention_ll4mi_QKV_mfma16_kernelI14__hip_bfloat16hLN4vllm18Fp8KVCacheDataTypeE1EhLi16ELi128ELi256ELb0ELi9EEvPKT_PKT0_S8_ifPKiSA_SA_iPKfiiiPfSD_PS3_PT2_iSC_SC_.kd
    .uniform_work_group_size: 1
    .uses_dynamic_stack: false
    .vgpr_count:     51
    .vgpr_spill_count: 0
    .wavefront_size: 32
  - .args:
      - .actual_access:  read_only
        .address_space:  global
        .offset:         0
        .size:           8
        .value_kind:     global_buffer
      - .actual_access:  read_only
        .address_space:  global
        .offset:         8
        .size:           8
        .value_kind:     global_buffer
      - .actual_access:  read_only
        .address_space:  global
        .offset:         16
        .size:           8
        .value_kind:     global_buffer
      - .offset:         24
        .size:           4
        .value_kind:     by_value
      - .offset:         28
        .size:           4
        .value_kind:     by_value
      - .actual_access:  read_only
        .address_space:  global
        .offset:         32
        .size:           8
        .value_kind:     global_buffer
      - .actual_access:  read_only
        .address_space:  global
        .offset:         40
        .size:           8
        .value_kind:     global_buffer
      - .actual_access:  read_only
        .address_space:  global
        .offset:         48
        .size:           8
        .value_kind:     global_buffer
      - .offset:         56
        .size:           4
        .value_kind:     by_value
      - .actual_access:  read_only
        .address_space:  global
        .offset:         64
        .size:           8
        .value_kind:     global_buffer
      - .offset:         72
        .size:           4
        .value_kind:     by_value
      - .offset:         76
        .size:           4
        .value_kind:     by_value
      - .offset:         80
        .size:           4
        .value_kind:     by_value
      - .actual_access:  read_only
        .address_space:  global
        .offset:         88
        .size:           8
        .value_kind:     global_buffer
      - .actual_access:  read_only
        .address_space:  global
        .offset:         96
        .size:           8
        .value_kind:     global_buffer
      - .actual_access:  read_only
        .address_space:  global
        .offset:         104
        .size:           8
        .value_kind:     global_buffer
      - .actual_access:  read_only
        .address_space:  global
        .offset:         112
        .size:           8
        .value_kind:     global_buffer
      - .offset:         120
        .size:           4
        .value_kind:     by_value
      - .address_space:  global
        .offset:         128
        .size:           8
        .value_kind:     global_buffer
      - .address_space:  global
        .offset:         136
        .size:           8
        .value_kind:     global_buffer
      - .offset:         144
        .size:           4
        .value_kind:     hidden_block_count_x
      - .offset:         148
        .size:           4
        .value_kind:     hidden_block_count_y
      - .offset:         152
        .size:           4
        .value_kind:     hidden_block_count_z
      - .offset:         156
        .size:           2
        .value_kind:     hidden_group_size_x
      - .offset:         158
        .size:           2
        .value_kind:     hidden_group_size_y
      - .offset:         160
        .size:           2
        .value_kind:     hidden_group_size_z
      - .offset:         162
        .size:           2
        .value_kind:     hidden_remainder_x
      - .offset:         164
        .size:           2
        .value_kind:     hidden_remainder_y
      - .offset:         166
        .size:           2
        .value_kind:     hidden_remainder_z
      - .offset:         184
        .size:           8
        .value_kind:     hidden_global_offset_x
      - .offset:         192
        .size:           8
        .value_kind:     hidden_global_offset_y
      - .offset:         200
        .size:           8
        .value_kind:     hidden_global_offset_z
      - .offset:         208
        .size:           2
        .value_kind:     hidden_grid_dims
      - .offset:         224
        .size:           8
        .value_kind:     hidden_hostcall_buffer
    .group_segment_fixed_size: 0
    .kernarg_segment_align: 8
    .kernarg_segment_size: 400
    .language:       OpenCL C
    .language_version:
      - 2
      - 0
    .max_flat_workgroup_size: 256
    .name:           _Z39paged_attention_ll4mi_QKV_mfma16_kernelI14__hip_bfloat16hLN4vllm18Fp8KVCacheDataTypeE1EhLi16ELi128ELi256ELb0ELi10EEvPKT_PKT0_S8_ifPKiSA_SA_iPKfiiiPfSD_PS3_PT2_iSC_SC_
    .private_segment_fixed_size: 64
    .sgpr_count:     36
    .sgpr_spill_count: 0
    .symbol:         _Z39paged_attention_ll4mi_QKV_mfma16_kernelI14__hip_bfloat16hLN4vllm18Fp8KVCacheDataTypeE1EhLi16ELi128ELi256ELb0ELi10EEvPKT_PKT0_S8_ifPKiSA_SA_iPKfiiiPfSD_PS3_PT2_iSC_SC_.kd
    .uniform_work_group_size: 1
    .uses_dynamic_stack: false
    .vgpr_count:     51
    .vgpr_spill_count: 0
    .wavefront_size: 32
  - .args:
      - .actual_access:  read_only
        .address_space:  global
        .offset:         0
        .size:           8
        .value_kind:     global_buffer
      - .actual_access:  read_only
        .address_space:  global
        .offset:         8
        .size:           8
        .value_kind:     global_buffer
      - .actual_access:  read_only
        .address_space:  global
        .offset:         16
        .size:           8
        .value_kind:     global_buffer
      - .offset:         24
        .size:           4
        .value_kind:     by_value
      - .offset:         28
        .size:           4
        .value_kind:     by_value
      - .actual_access:  read_only
        .address_space:  global
        .offset:         32
        .size:           8
        .value_kind:     global_buffer
      - .actual_access:  read_only
        .address_space:  global
        .offset:         40
        .size:           8
        .value_kind:     global_buffer
      - .actual_access:  read_only
        .address_space:  global
        .offset:         48
        .size:           8
        .value_kind:     global_buffer
      - .offset:         56
        .size:           4
        .value_kind:     by_value
      - .actual_access:  read_only
        .address_space:  global
        .offset:         64
        .size:           8
        .value_kind:     global_buffer
      - .offset:         72
        .size:           4
        .value_kind:     by_value
      - .offset:         76
        .size:           4
        .value_kind:     by_value
      - .offset:         80
        .size:           4
        .value_kind:     by_value
      - .actual_access:  read_only
        .address_space:  global
        .offset:         88
        .size:           8
        .value_kind:     global_buffer
      - .actual_access:  read_only
        .address_space:  global
        .offset:         96
        .size:           8
        .value_kind:     global_buffer
      - .actual_access:  read_only
        .address_space:  global
        .offset:         104
        .size:           8
        .value_kind:     global_buffer
      - .actual_access:  read_only
        .address_space:  global
        .offset:         112
        .size:           8
        .value_kind:     global_buffer
      - .offset:         120
        .size:           4
        .value_kind:     by_value
      - .address_space:  global
        .offset:         128
        .size:           8
        .value_kind:     global_buffer
      - .address_space:  global
        .offset:         136
        .size:           8
        .value_kind:     global_buffer
      - .offset:         144
        .size:           4
        .value_kind:     hidden_block_count_x
      - .offset:         148
        .size:           4
        .value_kind:     hidden_block_count_y
      - .offset:         152
        .size:           4
        .value_kind:     hidden_block_count_z
      - .offset:         156
        .size:           2
        .value_kind:     hidden_group_size_x
      - .offset:         158
        .size:           2
        .value_kind:     hidden_group_size_y
      - .offset:         160
        .size:           2
        .value_kind:     hidden_group_size_z
      - .offset:         162
        .size:           2
        .value_kind:     hidden_remainder_x
      - .offset:         164
        .size:           2
        .value_kind:     hidden_remainder_y
      - .offset:         166
        .size:           2
        .value_kind:     hidden_remainder_z
      - .offset:         184
        .size:           8
        .value_kind:     hidden_global_offset_x
      - .offset:         192
        .size:           8
        .value_kind:     hidden_global_offset_y
      - .offset:         200
        .size:           8
        .value_kind:     hidden_global_offset_z
      - .offset:         208
        .size:           2
        .value_kind:     hidden_grid_dims
      - .offset:         224
        .size:           8
        .value_kind:     hidden_hostcall_buffer
    .group_segment_fixed_size: 0
    .kernarg_segment_align: 8
    .kernarg_segment_size: 400
    .language:       OpenCL C
    .language_version:
      - 2
      - 0
    .max_flat_workgroup_size: 256
    .name:           _Z39paged_attention_ll4mi_QKV_mfma16_kernelI14__hip_bfloat16hLN4vllm18Fp8KVCacheDataTypeE1EhLi16ELi128ELi256ELb0ELi11EEvPKT_PKT0_S8_ifPKiSA_SA_iPKfiiiPfSD_PS3_PT2_iSC_SC_
    .private_segment_fixed_size: 64
    .sgpr_count:     36
    .sgpr_spill_count: 0
    .symbol:         _Z39paged_attention_ll4mi_QKV_mfma16_kernelI14__hip_bfloat16hLN4vllm18Fp8KVCacheDataTypeE1EhLi16ELi128ELi256ELb0ELi11EEvPKT_PKT0_S8_ifPKiSA_SA_iPKfiiiPfSD_PS3_PT2_iSC_SC_.kd
    .uniform_work_group_size: 1
    .uses_dynamic_stack: false
    .vgpr_count:     51
    .vgpr_spill_count: 0
    .wavefront_size: 32
  - .args:
      - .actual_access:  read_only
        .address_space:  global
        .offset:         0
        .size:           8
        .value_kind:     global_buffer
      - .actual_access:  read_only
        .address_space:  global
        .offset:         8
        .size:           8
        .value_kind:     global_buffer
      - .actual_access:  read_only
        .address_space:  global
        .offset:         16
        .size:           8
        .value_kind:     global_buffer
      - .offset:         24
        .size:           4
        .value_kind:     by_value
      - .offset:         28
        .size:           4
        .value_kind:     by_value
      - .actual_access:  read_only
        .address_space:  global
        .offset:         32
        .size:           8
        .value_kind:     global_buffer
      - .actual_access:  read_only
        .address_space:  global
        .offset:         40
        .size:           8
        .value_kind:     global_buffer
      - .actual_access:  read_only
        .address_space:  global
        .offset:         48
        .size:           8
        .value_kind:     global_buffer
      - .offset:         56
        .size:           4
        .value_kind:     by_value
      - .actual_access:  read_only
        .address_space:  global
        .offset:         64
        .size:           8
        .value_kind:     global_buffer
      - .offset:         72
        .size:           4
        .value_kind:     by_value
      - .offset:         76
        .size:           4
        .value_kind:     by_value
      - .offset:         80
        .size:           4
        .value_kind:     by_value
      - .actual_access:  read_only
        .address_space:  global
        .offset:         88
        .size:           8
        .value_kind:     global_buffer
      - .actual_access:  read_only
        .address_space:  global
        .offset:         96
        .size:           8
        .value_kind:     global_buffer
      - .actual_access:  read_only
        .address_space:  global
        .offset:         104
        .size:           8
        .value_kind:     global_buffer
      - .actual_access:  read_only
        .address_space:  global
        .offset:         112
        .size:           8
        .value_kind:     global_buffer
      - .offset:         120
        .size:           4
        .value_kind:     by_value
      - .address_space:  global
        .offset:         128
        .size:           8
        .value_kind:     global_buffer
      - .address_space:  global
        .offset:         136
        .size:           8
        .value_kind:     global_buffer
      - .offset:         144
        .size:           4
        .value_kind:     hidden_block_count_x
      - .offset:         148
        .size:           4
        .value_kind:     hidden_block_count_y
      - .offset:         152
        .size:           4
        .value_kind:     hidden_block_count_z
      - .offset:         156
        .size:           2
        .value_kind:     hidden_group_size_x
      - .offset:         158
        .size:           2
        .value_kind:     hidden_group_size_y
      - .offset:         160
        .size:           2
        .value_kind:     hidden_group_size_z
      - .offset:         162
        .size:           2
        .value_kind:     hidden_remainder_x
      - .offset:         164
        .size:           2
        .value_kind:     hidden_remainder_y
      - .offset:         166
        .size:           2
        .value_kind:     hidden_remainder_z
      - .offset:         184
        .size:           8
        .value_kind:     hidden_global_offset_x
      - .offset:         192
        .size:           8
        .value_kind:     hidden_global_offset_y
      - .offset:         200
        .size:           8
        .value_kind:     hidden_global_offset_z
      - .offset:         208
        .size:           2
        .value_kind:     hidden_grid_dims
      - .offset:         224
        .size:           8
        .value_kind:     hidden_hostcall_buffer
    .group_segment_fixed_size: 0
    .kernarg_segment_align: 8
    .kernarg_segment_size: 400
    .language:       OpenCL C
    .language_version:
      - 2
      - 0
    .max_flat_workgroup_size: 256
    .name:           _Z39paged_attention_ll4mi_QKV_mfma16_kernelI14__hip_bfloat16hLN4vllm18Fp8KVCacheDataTypeE1EhLi16ELi128ELi256ELb0ELi12EEvPKT_PKT0_S8_ifPKiSA_SA_iPKfiiiPfSD_PS3_PT2_iSC_SC_
    .private_segment_fixed_size: 64
    .sgpr_count:     36
    .sgpr_spill_count: 0
    .symbol:         _Z39paged_attention_ll4mi_QKV_mfma16_kernelI14__hip_bfloat16hLN4vllm18Fp8KVCacheDataTypeE1EhLi16ELi128ELi256ELb0ELi12EEvPKT_PKT0_S8_ifPKiSA_SA_iPKfiiiPfSD_PS3_PT2_iSC_SC_.kd
    .uniform_work_group_size: 1
    .uses_dynamic_stack: false
    .vgpr_count:     51
    .vgpr_spill_count: 0
    .wavefront_size: 32
  - .args:
      - .actual_access:  read_only
        .address_space:  global
        .offset:         0
        .size:           8
        .value_kind:     global_buffer
      - .actual_access:  read_only
        .address_space:  global
        .offset:         8
        .size:           8
        .value_kind:     global_buffer
      - .actual_access:  read_only
        .address_space:  global
        .offset:         16
        .size:           8
        .value_kind:     global_buffer
      - .offset:         24
        .size:           4
        .value_kind:     by_value
      - .offset:         28
        .size:           4
        .value_kind:     by_value
      - .actual_access:  read_only
        .address_space:  global
        .offset:         32
        .size:           8
        .value_kind:     global_buffer
      - .actual_access:  read_only
        .address_space:  global
        .offset:         40
        .size:           8
        .value_kind:     global_buffer
      - .actual_access:  read_only
        .address_space:  global
        .offset:         48
        .size:           8
        .value_kind:     global_buffer
      - .offset:         56
        .size:           4
        .value_kind:     by_value
      - .actual_access:  read_only
        .address_space:  global
        .offset:         64
        .size:           8
        .value_kind:     global_buffer
      - .offset:         72
        .size:           4
        .value_kind:     by_value
      - .offset:         76
        .size:           4
        .value_kind:     by_value
      - .offset:         80
        .size:           4
        .value_kind:     by_value
      - .actual_access:  read_only
        .address_space:  global
        .offset:         88
        .size:           8
        .value_kind:     global_buffer
      - .actual_access:  read_only
        .address_space:  global
        .offset:         96
        .size:           8
        .value_kind:     global_buffer
      - .actual_access:  read_only
        .address_space:  global
        .offset:         104
        .size:           8
        .value_kind:     global_buffer
      - .actual_access:  read_only
        .address_space:  global
        .offset:         112
        .size:           8
        .value_kind:     global_buffer
      - .offset:         120
        .size:           4
        .value_kind:     by_value
      - .address_space:  global
        .offset:         128
        .size:           8
        .value_kind:     global_buffer
      - .address_space:  global
        .offset:         136
        .size:           8
        .value_kind:     global_buffer
      - .offset:         144
        .size:           4
        .value_kind:     hidden_block_count_x
      - .offset:         148
        .size:           4
        .value_kind:     hidden_block_count_y
      - .offset:         152
        .size:           4
        .value_kind:     hidden_block_count_z
      - .offset:         156
        .size:           2
        .value_kind:     hidden_group_size_x
      - .offset:         158
        .size:           2
        .value_kind:     hidden_group_size_y
      - .offset:         160
        .size:           2
        .value_kind:     hidden_group_size_z
      - .offset:         162
        .size:           2
        .value_kind:     hidden_remainder_x
      - .offset:         164
        .size:           2
        .value_kind:     hidden_remainder_y
      - .offset:         166
        .size:           2
        .value_kind:     hidden_remainder_z
      - .offset:         184
        .size:           8
        .value_kind:     hidden_global_offset_x
      - .offset:         192
        .size:           8
        .value_kind:     hidden_global_offset_y
      - .offset:         200
        .size:           8
        .value_kind:     hidden_global_offset_z
      - .offset:         208
        .size:           2
        .value_kind:     hidden_grid_dims
      - .offset:         224
        .size:           8
        .value_kind:     hidden_hostcall_buffer
    .group_segment_fixed_size: 0
    .kernarg_segment_align: 8
    .kernarg_segment_size: 400
    .language:       OpenCL C
    .language_version:
      - 2
      - 0
    .max_flat_workgroup_size: 256
    .name:           _Z39paged_attention_ll4mi_QKV_mfma16_kernelI14__hip_bfloat16hLN4vllm18Fp8KVCacheDataTypeE1EhLi16ELi128ELi256ELb0ELi13EEvPKT_PKT0_S8_ifPKiSA_SA_iPKfiiiPfSD_PS3_PT2_iSC_SC_
    .private_segment_fixed_size: 64
    .sgpr_count:     36
    .sgpr_spill_count: 0
    .symbol:         _Z39paged_attention_ll4mi_QKV_mfma16_kernelI14__hip_bfloat16hLN4vllm18Fp8KVCacheDataTypeE1EhLi16ELi128ELi256ELb0ELi13EEvPKT_PKT0_S8_ifPKiSA_SA_iPKfiiiPfSD_PS3_PT2_iSC_SC_.kd
    .uniform_work_group_size: 1
    .uses_dynamic_stack: false
    .vgpr_count:     51
    .vgpr_spill_count: 0
    .wavefront_size: 32
  - .args:
      - .actual_access:  read_only
        .address_space:  global
        .offset:         0
        .size:           8
        .value_kind:     global_buffer
      - .actual_access:  read_only
        .address_space:  global
        .offset:         8
        .size:           8
        .value_kind:     global_buffer
      - .actual_access:  read_only
        .address_space:  global
        .offset:         16
        .size:           8
        .value_kind:     global_buffer
      - .offset:         24
        .size:           4
        .value_kind:     by_value
      - .offset:         28
        .size:           4
        .value_kind:     by_value
      - .actual_access:  read_only
        .address_space:  global
        .offset:         32
        .size:           8
        .value_kind:     global_buffer
      - .actual_access:  read_only
        .address_space:  global
        .offset:         40
        .size:           8
        .value_kind:     global_buffer
      - .actual_access:  read_only
        .address_space:  global
        .offset:         48
        .size:           8
        .value_kind:     global_buffer
      - .offset:         56
        .size:           4
        .value_kind:     by_value
      - .actual_access:  read_only
        .address_space:  global
        .offset:         64
        .size:           8
        .value_kind:     global_buffer
      - .offset:         72
        .size:           4
        .value_kind:     by_value
      - .offset:         76
        .size:           4
        .value_kind:     by_value
      - .offset:         80
        .size:           4
        .value_kind:     by_value
      - .actual_access:  read_only
        .address_space:  global
        .offset:         88
        .size:           8
        .value_kind:     global_buffer
      - .actual_access:  read_only
        .address_space:  global
        .offset:         96
        .size:           8
        .value_kind:     global_buffer
      - .actual_access:  read_only
        .address_space:  global
        .offset:         104
        .size:           8
        .value_kind:     global_buffer
      - .actual_access:  read_only
        .address_space:  global
        .offset:         112
        .size:           8
        .value_kind:     global_buffer
      - .offset:         120
        .size:           4
        .value_kind:     by_value
      - .address_space:  global
        .offset:         128
        .size:           8
        .value_kind:     global_buffer
      - .address_space:  global
        .offset:         136
        .size:           8
        .value_kind:     global_buffer
      - .offset:         144
        .size:           4
        .value_kind:     hidden_block_count_x
      - .offset:         148
        .size:           4
        .value_kind:     hidden_block_count_y
      - .offset:         152
        .size:           4
        .value_kind:     hidden_block_count_z
      - .offset:         156
        .size:           2
        .value_kind:     hidden_group_size_x
      - .offset:         158
        .size:           2
        .value_kind:     hidden_group_size_y
      - .offset:         160
        .size:           2
        .value_kind:     hidden_group_size_z
      - .offset:         162
        .size:           2
        .value_kind:     hidden_remainder_x
      - .offset:         164
        .size:           2
        .value_kind:     hidden_remainder_y
      - .offset:         166
        .size:           2
        .value_kind:     hidden_remainder_z
      - .offset:         184
        .size:           8
        .value_kind:     hidden_global_offset_x
      - .offset:         192
        .size:           8
        .value_kind:     hidden_global_offset_y
      - .offset:         200
        .size:           8
        .value_kind:     hidden_global_offset_z
      - .offset:         208
        .size:           2
        .value_kind:     hidden_grid_dims
      - .offset:         224
        .size:           8
        .value_kind:     hidden_hostcall_buffer
    .group_segment_fixed_size: 0
    .kernarg_segment_align: 8
    .kernarg_segment_size: 400
    .language:       OpenCL C
    .language_version:
      - 2
      - 0
    .max_flat_workgroup_size: 256
    .name:           _Z39paged_attention_ll4mi_QKV_mfma16_kernelI14__hip_bfloat16hLN4vllm18Fp8KVCacheDataTypeE1EhLi16ELi128ELi256ELb0ELi14EEvPKT_PKT0_S8_ifPKiSA_SA_iPKfiiiPfSD_PS3_PT2_iSC_SC_
    .private_segment_fixed_size: 64
    .sgpr_count:     36
    .sgpr_spill_count: 0
    .symbol:         _Z39paged_attention_ll4mi_QKV_mfma16_kernelI14__hip_bfloat16hLN4vllm18Fp8KVCacheDataTypeE1EhLi16ELi128ELi256ELb0ELi14EEvPKT_PKT0_S8_ifPKiSA_SA_iPKfiiiPfSD_PS3_PT2_iSC_SC_.kd
    .uniform_work_group_size: 1
    .uses_dynamic_stack: false
    .vgpr_count:     51
    .vgpr_spill_count: 0
    .wavefront_size: 32
  - .args:
      - .actual_access:  read_only
        .address_space:  global
        .offset:         0
        .size:           8
        .value_kind:     global_buffer
      - .actual_access:  read_only
        .address_space:  global
        .offset:         8
        .size:           8
        .value_kind:     global_buffer
      - .actual_access:  read_only
        .address_space:  global
        .offset:         16
        .size:           8
        .value_kind:     global_buffer
      - .offset:         24
        .size:           4
        .value_kind:     by_value
      - .offset:         28
        .size:           4
        .value_kind:     by_value
      - .actual_access:  read_only
        .address_space:  global
        .offset:         32
        .size:           8
        .value_kind:     global_buffer
      - .actual_access:  read_only
        .address_space:  global
        .offset:         40
        .size:           8
        .value_kind:     global_buffer
      - .actual_access:  read_only
        .address_space:  global
        .offset:         48
        .size:           8
        .value_kind:     global_buffer
      - .offset:         56
        .size:           4
        .value_kind:     by_value
      - .actual_access:  read_only
        .address_space:  global
        .offset:         64
        .size:           8
        .value_kind:     global_buffer
      - .offset:         72
        .size:           4
        .value_kind:     by_value
      - .offset:         76
        .size:           4
        .value_kind:     by_value
      - .offset:         80
        .size:           4
        .value_kind:     by_value
      - .actual_access:  read_only
        .address_space:  global
        .offset:         88
        .size:           8
        .value_kind:     global_buffer
      - .actual_access:  read_only
        .address_space:  global
        .offset:         96
        .size:           8
        .value_kind:     global_buffer
      - .actual_access:  read_only
        .address_space:  global
        .offset:         104
        .size:           8
        .value_kind:     global_buffer
      - .actual_access:  read_only
        .address_space:  global
        .offset:         112
        .size:           8
        .value_kind:     global_buffer
      - .offset:         120
        .size:           4
        .value_kind:     by_value
      - .address_space:  global
        .offset:         128
        .size:           8
        .value_kind:     global_buffer
      - .address_space:  global
        .offset:         136
        .size:           8
        .value_kind:     global_buffer
      - .offset:         144
        .size:           4
        .value_kind:     hidden_block_count_x
      - .offset:         148
        .size:           4
        .value_kind:     hidden_block_count_y
      - .offset:         152
        .size:           4
        .value_kind:     hidden_block_count_z
      - .offset:         156
        .size:           2
        .value_kind:     hidden_group_size_x
      - .offset:         158
        .size:           2
        .value_kind:     hidden_group_size_y
      - .offset:         160
        .size:           2
        .value_kind:     hidden_group_size_z
      - .offset:         162
        .size:           2
        .value_kind:     hidden_remainder_x
      - .offset:         164
        .size:           2
        .value_kind:     hidden_remainder_y
      - .offset:         166
        .size:           2
        .value_kind:     hidden_remainder_z
      - .offset:         184
        .size:           8
        .value_kind:     hidden_global_offset_x
      - .offset:         192
        .size:           8
        .value_kind:     hidden_global_offset_y
      - .offset:         200
        .size:           8
        .value_kind:     hidden_global_offset_z
      - .offset:         208
        .size:           2
        .value_kind:     hidden_grid_dims
      - .offset:         224
        .size:           8
        .value_kind:     hidden_hostcall_buffer
    .group_segment_fixed_size: 0
    .kernarg_segment_align: 8
    .kernarg_segment_size: 400
    .language:       OpenCL C
    .language_version:
      - 2
      - 0
    .max_flat_workgroup_size: 256
    .name:           _Z39paged_attention_ll4mi_QKV_mfma16_kernelI14__hip_bfloat16hLN4vllm18Fp8KVCacheDataTypeE1EhLi16ELi128ELi256ELb0ELi15EEvPKT_PKT0_S8_ifPKiSA_SA_iPKfiiiPfSD_PS3_PT2_iSC_SC_
    .private_segment_fixed_size: 64
    .sgpr_count:     36
    .sgpr_spill_count: 0
    .symbol:         _Z39paged_attention_ll4mi_QKV_mfma16_kernelI14__hip_bfloat16hLN4vllm18Fp8KVCacheDataTypeE1EhLi16ELi128ELi256ELb0ELi15EEvPKT_PKT0_S8_ifPKiSA_SA_iPKfiiiPfSD_PS3_PT2_iSC_SC_.kd
    .uniform_work_group_size: 1
    .uses_dynamic_stack: false
    .vgpr_count:     51
    .vgpr_spill_count: 0
    .wavefront_size: 32
  - .args:
      - .actual_access:  read_only
        .address_space:  global
        .offset:         0
        .size:           8
        .value_kind:     global_buffer
      - .actual_access:  read_only
        .address_space:  global
        .offset:         8
        .size:           8
        .value_kind:     global_buffer
      - .actual_access:  read_only
        .address_space:  global
        .offset:         16
        .size:           8
        .value_kind:     global_buffer
      - .offset:         24
        .size:           4
        .value_kind:     by_value
      - .offset:         28
        .size:           4
        .value_kind:     by_value
      - .actual_access:  read_only
        .address_space:  global
        .offset:         32
        .size:           8
        .value_kind:     global_buffer
      - .actual_access:  read_only
        .address_space:  global
        .offset:         40
        .size:           8
        .value_kind:     global_buffer
      - .actual_access:  read_only
        .address_space:  global
        .offset:         48
        .size:           8
        .value_kind:     global_buffer
      - .offset:         56
        .size:           4
        .value_kind:     by_value
      - .actual_access:  read_only
        .address_space:  global
        .offset:         64
        .size:           8
        .value_kind:     global_buffer
      - .offset:         72
        .size:           4
        .value_kind:     by_value
      - .offset:         76
        .size:           4
        .value_kind:     by_value
      - .offset:         80
        .size:           4
        .value_kind:     by_value
      - .actual_access:  read_only
        .address_space:  global
        .offset:         88
        .size:           8
        .value_kind:     global_buffer
      - .actual_access:  read_only
        .address_space:  global
        .offset:         96
        .size:           8
        .value_kind:     global_buffer
      - .actual_access:  read_only
        .address_space:  global
        .offset:         104
        .size:           8
        .value_kind:     global_buffer
      - .actual_access:  read_only
        .address_space:  global
        .offset:         112
        .size:           8
        .value_kind:     global_buffer
      - .offset:         120
        .size:           4
        .value_kind:     by_value
      - .address_space:  global
        .offset:         128
        .size:           8
        .value_kind:     global_buffer
      - .address_space:  global
        .offset:         136
        .size:           8
        .value_kind:     global_buffer
      - .offset:         144
        .size:           4
        .value_kind:     hidden_block_count_x
      - .offset:         148
        .size:           4
        .value_kind:     hidden_block_count_y
      - .offset:         152
        .size:           4
        .value_kind:     hidden_block_count_z
      - .offset:         156
        .size:           2
        .value_kind:     hidden_group_size_x
      - .offset:         158
        .size:           2
        .value_kind:     hidden_group_size_y
      - .offset:         160
        .size:           2
        .value_kind:     hidden_group_size_z
      - .offset:         162
        .size:           2
        .value_kind:     hidden_remainder_x
      - .offset:         164
        .size:           2
        .value_kind:     hidden_remainder_y
      - .offset:         166
        .size:           2
        .value_kind:     hidden_remainder_z
      - .offset:         184
        .size:           8
        .value_kind:     hidden_global_offset_x
      - .offset:         192
        .size:           8
        .value_kind:     hidden_global_offset_y
      - .offset:         200
        .size:           8
        .value_kind:     hidden_global_offset_z
      - .offset:         208
        .size:           2
        .value_kind:     hidden_grid_dims
      - .offset:         224
        .size:           8
        .value_kind:     hidden_hostcall_buffer
    .group_segment_fixed_size: 0
    .kernarg_segment_align: 8
    .kernarg_segment_size: 400
    .language:       OpenCL C
    .language_version:
      - 2
      - 0
    .max_flat_workgroup_size: 256
    .name:           _Z39paged_attention_ll4mi_QKV_mfma16_kernelI14__hip_bfloat16hLN4vllm18Fp8KVCacheDataTypeE1EhLi16ELi128ELi256ELb0ELi16EEvPKT_PKT0_S8_ifPKiSA_SA_iPKfiiiPfSD_PS3_PT2_iSC_SC_
    .private_segment_fixed_size: 64
    .sgpr_count:     36
    .sgpr_spill_count: 0
    .symbol:         _Z39paged_attention_ll4mi_QKV_mfma16_kernelI14__hip_bfloat16hLN4vllm18Fp8KVCacheDataTypeE1EhLi16ELi128ELi256ELb0ELi16EEvPKT_PKT0_S8_ifPKiSA_SA_iPKfiiiPfSD_PS3_PT2_iSC_SC_.kd
    .uniform_work_group_size: 1
    .uses_dynamic_stack: false
    .vgpr_count:     51
    .vgpr_spill_count: 0
    .wavefront_size: 32
  - .args:
      - .actual_access:  read_only
        .address_space:  global
        .offset:         0
        .size:           8
        .value_kind:     global_buffer
      - .actual_access:  read_only
        .address_space:  global
        .offset:         8
        .size:           8
        .value_kind:     global_buffer
      - .actual_access:  read_only
        .address_space:  global
        .offset:         16
        .size:           8
        .value_kind:     global_buffer
      - .offset:         24
        .size:           4
        .value_kind:     by_value
      - .offset:         28
        .size:           4
        .value_kind:     by_value
      - .actual_access:  read_only
        .address_space:  global
        .offset:         32
        .size:           8
        .value_kind:     global_buffer
      - .actual_access:  read_only
        .address_space:  global
        .offset:         40
        .size:           8
        .value_kind:     global_buffer
      - .actual_access:  read_only
        .address_space:  global
        .offset:         48
        .size:           8
        .value_kind:     global_buffer
      - .offset:         56
        .size:           4
        .value_kind:     by_value
      - .actual_access:  read_only
        .address_space:  global
        .offset:         64
        .size:           8
        .value_kind:     global_buffer
      - .offset:         72
        .size:           4
        .value_kind:     by_value
      - .offset:         76
        .size:           4
        .value_kind:     by_value
      - .offset:         80
        .size:           4
        .value_kind:     by_value
      - .actual_access:  read_only
        .address_space:  global
        .offset:         88
        .size:           8
        .value_kind:     global_buffer
      - .actual_access:  read_only
        .address_space:  global
        .offset:         96
        .size:           8
        .value_kind:     global_buffer
      - .actual_access:  read_only
        .address_space:  global
        .offset:         104
        .size:           8
        .value_kind:     global_buffer
      - .actual_access:  read_only
        .address_space:  global
        .offset:         112
        .size:           8
        .value_kind:     global_buffer
      - .offset:         120
        .size:           4
        .value_kind:     by_value
      - .address_space:  global
        .offset:         128
        .size:           8
        .value_kind:     global_buffer
      - .address_space:  global
        .offset:         136
        .size:           8
        .value_kind:     global_buffer
      - .offset:         144
        .size:           4
        .value_kind:     hidden_block_count_x
      - .offset:         148
        .size:           4
        .value_kind:     hidden_block_count_y
      - .offset:         152
        .size:           4
        .value_kind:     hidden_block_count_z
      - .offset:         156
        .size:           2
        .value_kind:     hidden_group_size_x
      - .offset:         158
        .size:           2
        .value_kind:     hidden_group_size_y
      - .offset:         160
        .size:           2
        .value_kind:     hidden_group_size_z
      - .offset:         162
        .size:           2
        .value_kind:     hidden_remainder_x
      - .offset:         164
        .size:           2
        .value_kind:     hidden_remainder_y
      - .offset:         166
        .size:           2
        .value_kind:     hidden_remainder_z
      - .offset:         184
        .size:           8
        .value_kind:     hidden_global_offset_x
      - .offset:         192
        .size:           8
        .value_kind:     hidden_global_offset_y
      - .offset:         200
        .size:           8
        .value_kind:     hidden_global_offset_z
      - .offset:         208
        .size:           2
        .value_kind:     hidden_grid_dims
      - .offset:         224
        .size:           8
        .value_kind:     hidden_hostcall_buffer
    .group_segment_fixed_size: 0
    .kernarg_segment_align: 8
    .kernarg_segment_size: 400
    .language:       OpenCL C
    .language_version:
      - 2
      - 0
    .max_flat_workgroup_size: 256
    .name:           _Z39paged_attention_ll4mi_QKV_mfma16_kernelI14__hip_bfloat16hLN4vllm18Fp8KVCacheDataTypeE1EhLi16ELi128ELi256ELb0ELi1EEvPKT_PKT0_S8_ifPKiSA_SA_iPKfiiiPfSD_PS3_PT2_iSC_SC_
    .private_segment_fixed_size: 64
    .sgpr_count:     36
    .sgpr_spill_count: 0
    .symbol:         _Z39paged_attention_ll4mi_QKV_mfma16_kernelI14__hip_bfloat16hLN4vllm18Fp8KVCacheDataTypeE1EhLi16ELi128ELi256ELb0ELi1EEvPKT_PKT0_S8_ifPKiSA_SA_iPKfiiiPfSD_PS3_PT2_iSC_SC_.kd
    .uniform_work_group_size: 1
    .uses_dynamic_stack: false
    .vgpr_count:     51
    .vgpr_spill_count: 0
    .wavefront_size: 32
  - .args:
      - .actual_access:  read_only
        .address_space:  global
        .offset:         0
        .size:           8
        .value_kind:     global_buffer
      - .actual_access:  read_only
        .address_space:  global
        .offset:         8
        .size:           8
        .value_kind:     global_buffer
      - .actual_access:  read_only
        .address_space:  global
        .offset:         16
        .size:           8
        .value_kind:     global_buffer
      - .offset:         24
        .size:           4
        .value_kind:     by_value
      - .offset:         28
        .size:           4
        .value_kind:     by_value
      - .actual_access:  read_only
        .address_space:  global
        .offset:         32
        .size:           8
        .value_kind:     global_buffer
      - .actual_access:  read_only
        .address_space:  global
        .offset:         40
        .size:           8
        .value_kind:     global_buffer
      - .actual_access:  read_only
        .address_space:  global
        .offset:         48
        .size:           8
        .value_kind:     global_buffer
      - .offset:         56
        .size:           4
        .value_kind:     by_value
      - .actual_access:  read_only
        .address_space:  global
        .offset:         64
        .size:           8
        .value_kind:     global_buffer
      - .offset:         72
        .size:           4
        .value_kind:     by_value
      - .offset:         76
        .size:           4
        .value_kind:     by_value
      - .offset:         80
        .size:           4
        .value_kind:     by_value
      - .actual_access:  read_only
        .address_space:  global
        .offset:         88
        .size:           8
        .value_kind:     global_buffer
      - .actual_access:  read_only
        .address_space:  global
        .offset:         96
        .size:           8
        .value_kind:     global_buffer
      - .actual_access:  read_only
        .address_space:  global
        .offset:         104
        .size:           8
        .value_kind:     global_buffer
      - .actual_access:  read_only
        .address_space:  global
        .offset:         112
        .size:           8
        .value_kind:     global_buffer
      - .offset:         120
        .size:           4
        .value_kind:     by_value
      - .address_space:  global
        .offset:         128
        .size:           8
        .value_kind:     global_buffer
      - .address_space:  global
        .offset:         136
        .size:           8
        .value_kind:     global_buffer
      - .offset:         144
        .size:           4
        .value_kind:     hidden_block_count_x
      - .offset:         148
        .size:           4
        .value_kind:     hidden_block_count_y
      - .offset:         152
        .size:           4
        .value_kind:     hidden_block_count_z
      - .offset:         156
        .size:           2
        .value_kind:     hidden_group_size_x
      - .offset:         158
        .size:           2
        .value_kind:     hidden_group_size_y
      - .offset:         160
        .size:           2
        .value_kind:     hidden_group_size_z
      - .offset:         162
        .size:           2
        .value_kind:     hidden_remainder_x
      - .offset:         164
        .size:           2
        .value_kind:     hidden_remainder_y
      - .offset:         166
        .size:           2
        .value_kind:     hidden_remainder_z
      - .offset:         184
        .size:           8
        .value_kind:     hidden_global_offset_x
      - .offset:         192
        .size:           8
        .value_kind:     hidden_global_offset_y
      - .offset:         200
        .size:           8
        .value_kind:     hidden_global_offset_z
      - .offset:         208
        .size:           2
        .value_kind:     hidden_grid_dims
      - .offset:         224
        .size:           8
        .value_kind:     hidden_hostcall_buffer
    .group_segment_fixed_size: 0
    .kernarg_segment_align: 8
    .kernarg_segment_size: 400
    .language:       OpenCL C
    .language_version:
      - 2
      - 0
    .max_flat_workgroup_size: 256
    .name:           _Z39paged_attention_ll4mi_QKV_mfma16_kernelI14__hip_bfloat16hLN4vllm18Fp8KVCacheDataTypeE1EhLi16ELi128ELi256ELb0ELi2EEvPKT_PKT0_S8_ifPKiSA_SA_iPKfiiiPfSD_PS3_PT2_iSC_SC_
    .private_segment_fixed_size: 64
    .sgpr_count:     36
    .sgpr_spill_count: 0
    .symbol:         _Z39paged_attention_ll4mi_QKV_mfma16_kernelI14__hip_bfloat16hLN4vllm18Fp8KVCacheDataTypeE1EhLi16ELi128ELi256ELb0ELi2EEvPKT_PKT0_S8_ifPKiSA_SA_iPKfiiiPfSD_PS3_PT2_iSC_SC_.kd
    .uniform_work_group_size: 1
    .uses_dynamic_stack: false
    .vgpr_count:     51
    .vgpr_spill_count: 0
    .wavefront_size: 32
  - .args:
      - .actual_access:  read_only
        .address_space:  global
        .offset:         0
        .size:           8
        .value_kind:     global_buffer
      - .actual_access:  read_only
        .address_space:  global
        .offset:         8
        .size:           8
        .value_kind:     global_buffer
      - .actual_access:  read_only
        .address_space:  global
        .offset:         16
        .size:           8
        .value_kind:     global_buffer
      - .offset:         24
        .size:           4
        .value_kind:     by_value
      - .offset:         28
        .size:           4
        .value_kind:     by_value
      - .actual_access:  read_only
        .address_space:  global
        .offset:         32
        .size:           8
        .value_kind:     global_buffer
      - .actual_access:  read_only
        .address_space:  global
        .offset:         40
        .size:           8
        .value_kind:     global_buffer
      - .actual_access:  read_only
        .address_space:  global
        .offset:         48
        .size:           8
        .value_kind:     global_buffer
      - .offset:         56
        .size:           4
        .value_kind:     by_value
      - .actual_access:  read_only
        .address_space:  global
        .offset:         64
        .size:           8
        .value_kind:     global_buffer
      - .offset:         72
        .size:           4
        .value_kind:     by_value
      - .offset:         76
        .size:           4
        .value_kind:     by_value
      - .offset:         80
        .size:           4
        .value_kind:     by_value
      - .actual_access:  read_only
        .address_space:  global
        .offset:         88
        .size:           8
        .value_kind:     global_buffer
      - .actual_access:  read_only
        .address_space:  global
        .offset:         96
        .size:           8
        .value_kind:     global_buffer
      - .actual_access:  read_only
        .address_space:  global
        .offset:         104
        .size:           8
        .value_kind:     global_buffer
      - .actual_access:  read_only
        .address_space:  global
        .offset:         112
        .size:           8
        .value_kind:     global_buffer
      - .offset:         120
        .size:           4
        .value_kind:     by_value
      - .address_space:  global
        .offset:         128
        .size:           8
        .value_kind:     global_buffer
      - .address_space:  global
        .offset:         136
        .size:           8
        .value_kind:     global_buffer
      - .offset:         144
        .size:           4
        .value_kind:     hidden_block_count_x
      - .offset:         148
        .size:           4
        .value_kind:     hidden_block_count_y
      - .offset:         152
        .size:           4
        .value_kind:     hidden_block_count_z
      - .offset:         156
        .size:           2
        .value_kind:     hidden_group_size_x
      - .offset:         158
        .size:           2
        .value_kind:     hidden_group_size_y
      - .offset:         160
        .size:           2
        .value_kind:     hidden_group_size_z
      - .offset:         162
        .size:           2
        .value_kind:     hidden_remainder_x
      - .offset:         164
        .size:           2
        .value_kind:     hidden_remainder_y
      - .offset:         166
        .size:           2
        .value_kind:     hidden_remainder_z
      - .offset:         184
        .size:           8
        .value_kind:     hidden_global_offset_x
      - .offset:         192
        .size:           8
        .value_kind:     hidden_global_offset_y
      - .offset:         200
        .size:           8
        .value_kind:     hidden_global_offset_z
      - .offset:         208
        .size:           2
        .value_kind:     hidden_grid_dims
      - .offset:         224
        .size:           8
        .value_kind:     hidden_hostcall_buffer
    .group_segment_fixed_size: 0
    .kernarg_segment_align: 8
    .kernarg_segment_size: 400
    .language:       OpenCL C
    .language_version:
      - 2
      - 0
    .max_flat_workgroup_size: 256
    .name:           _Z39paged_attention_ll4mi_QKV_mfma16_kernelI14__hip_bfloat16hLN4vllm18Fp8KVCacheDataTypeE1EhLi16ELi128ELi256ELb0ELi3EEvPKT_PKT0_S8_ifPKiSA_SA_iPKfiiiPfSD_PS3_PT2_iSC_SC_
    .private_segment_fixed_size: 64
    .sgpr_count:     36
    .sgpr_spill_count: 0
    .symbol:         _Z39paged_attention_ll4mi_QKV_mfma16_kernelI14__hip_bfloat16hLN4vllm18Fp8KVCacheDataTypeE1EhLi16ELi128ELi256ELb0ELi3EEvPKT_PKT0_S8_ifPKiSA_SA_iPKfiiiPfSD_PS3_PT2_iSC_SC_.kd
    .uniform_work_group_size: 1
    .uses_dynamic_stack: false
    .vgpr_count:     51
    .vgpr_spill_count: 0
    .wavefront_size: 32
  - .args:
      - .actual_access:  read_only
        .address_space:  global
        .offset:         0
        .size:           8
        .value_kind:     global_buffer
      - .actual_access:  read_only
        .address_space:  global
        .offset:         8
        .size:           8
        .value_kind:     global_buffer
      - .actual_access:  read_only
        .address_space:  global
        .offset:         16
        .size:           8
        .value_kind:     global_buffer
      - .offset:         24
        .size:           4
        .value_kind:     by_value
      - .offset:         28
        .size:           4
        .value_kind:     by_value
      - .actual_access:  read_only
        .address_space:  global
        .offset:         32
        .size:           8
        .value_kind:     global_buffer
      - .actual_access:  read_only
        .address_space:  global
        .offset:         40
        .size:           8
        .value_kind:     global_buffer
      - .actual_access:  read_only
        .address_space:  global
        .offset:         48
        .size:           8
        .value_kind:     global_buffer
      - .offset:         56
        .size:           4
        .value_kind:     by_value
      - .actual_access:  read_only
        .address_space:  global
        .offset:         64
        .size:           8
        .value_kind:     global_buffer
      - .offset:         72
        .size:           4
        .value_kind:     by_value
      - .offset:         76
        .size:           4
        .value_kind:     by_value
      - .offset:         80
        .size:           4
        .value_kind:     by_value
      - .actual_access:  read_only
        .address_space:  global
        .offset:         88
        .size:           8
        .value_kind:     global_buffer
      - .actual_access:  read_only
        .address_space:  global
        .offset:         96
        .size:           8
        .value_kind:     global_buffer
      - .actual_access:  read_only
        .address_space:  global
        .offset:         104
        .size:           8
        .value_kind:     global_buffer
      - .actual_access:  read_only
        .address_space:  global
        .offset:         112
        .size:           8
        .value_kind:     global_buffer
      - .offset:         120
        .size:           4
        .value_kind:     by_value
      - .address_space:  global
        .offset:         128
        .size:           8
        .value_kind:     global_buffer
      - .address_space:  global
        .offset:         136
        .size:           8
        .value_kind:     global_buffer
      - .offset:         144
        .size:           4
        .value_kind:     hidden_block_count_x
      - .offset:         148
        .size:           4
        .value_kind:     hidden_block_count_y
      - .offset:         152
        .size:           4
        .value_kind:     hidden_block_count_z
      - .offset:         156
        .size:           2
        .value_kind:     hidden_group_size_x
      - .offset:         158
        .size:           2
        .value_kind:     hidden_group_size_y
      - .offset:         160
        .size:           2
        .value_kind:     hidden_group_size_z
      - .offset:         162
        .size:           2
        .value_kind:     hidden_remainder_x
      - .offset:         164
        .size:           2
        .value_kind:     hidden_remainder_y
      - .offset:         166
        .size:           2
        .value_kind:     hidden_remainder_z
      - .offset:         184
        .size:           8
        .value_kind:     hidden_global_offset_x
      - .offset:         192
        .size:           8
        .value_kind:     hidden_global_offset_y
      - .offset:         200
        .size:           8
        .value_kind:     hidden_global_offset_z
      - .offset:         208
        .size:           2
        .value_kind:     hidden_grid_dims
      - .offset:         224
        .size:           8
        .value_kind:     hidden_hostcall_buffer
    .group_segment_fixed_size: 0
    .kernarg_segment_align: 8
    .kernarg_segment_size: 400
    .language:       OpenCL C
    .language_version:
      - 2
      - 0
    .max_flat_workgroup_size: 256
    .name:           _Z39paged_attention_ll4mi_QKV_mfma16_kernelI14__hip_bfloat16hLN4vllm18Fp8KVCacheDataTypeE1EhLi16ELi128ELi256ELb0ELi4EEvPKT_PKT0_S8_ifPKiSA_SA_iPKfiiiPfSD_PS3_PT2_iSC_SC_
    .private_segment_fixed_size: 64
    .sgpr_count:     36
    .sgpr_spill_count: 0
    .symbol:         _Z39paged_attention_ll4mi_QKV_mfma16_kernelI14__hip_bfloat16hLN4vllm18Fp8KVCacheDataTypeE1EhLi16ELi128ELi256ELb0ELi4EEvPKT_PKT0_S8_ifPKiSA_SA_iPKfiiiPfSD_PS3_PT2_iSC_SC_.kd
    .uniform_work_group_size: 1
    .uses_dynamic_stack: false
    .vgpr_count:     51
    .vgpr_spill_count: 0
    .wavefront_size: 32
  - .args:
      - .actual_access:  read_only
        .address_space:  global
        .offset:         0
        .size:           8
        .value_kind:     global_buffer
      - .actual_access:  read_only
        .address_space:  global
        .offset:         8
        .size:           8
        .value_kind:     global_buffer
      - .actual_access:  read_only
        .address_space:  global
        .offset:         16
        .size:           8
        .value_kind:     global_buffer
      - .offset:         24
        .size:           4
        .value_kind:     by_value
      - .offset:         28
        .size:           4
        .value_kind:     by_value
      - .actual_access:  read_only
        .address_space:  global
        .offset:         32
        .size:           8
        .value_kind:     global_buffer
      - .actual_access:  read_only
        .address_space:  global
        .offset:         40
        .size:           8
        .value_kind:     global_buffer
      - .actual_access:  read_only
        .address_space:  global
        .offset:         48
        .size:           8
        .value_kind:     global_buffer
      - .offset:         56
        .size:           4
        .value_kind:     by_value
      - .actual_access:  read_only
        .address_space:  global
        .offset:         64
        .size:           8
        .value_kind:     global_buffer
      - .offset:         72
        .size:           4
        .value_kind:     by_value
      - .offset:         76
        .size:           4
        .value_kind:     by_value
      - .offset:         80
        .size:           4
        .value_kind:     by_value
      - .actual_access:  read_only
        .address_space:  global
        .offset:         88
        .size:           8
        .value_kind:     global_buffer
      - .actual_access:  read_only
        .address_space:  global
        .offset:         96
        .size:           8
        .value_kind:     global_buffer
      - .actual_access:  read_only
        .address_space:  global
        .offset:         104
        .size:           8
        .value_kind:     global_buffer
      - .actual_access:  read_only
        .address_space:  global
        .offset:         112
        .size:           8
        .value_kind:     global_buffer
      - .offset:         120
        .size:           4
        .value_kind:     by_value
      - .address_space:  global
        .offset:         128
        .size:           8
        .value_kind:     global_buffer
      - .address_space:  global
        .offset:         136
        .size:           8
        .value_kind:     global_buffer
      - .offset:         144
        .size:           4
        .value_kind:     hidden_block_count_x
      - .offset:         148
        .size:           4
        .value_kind:     hidden_block_count_y
      - .offset:         152
        .size:           4
        .value_kind:     hidden_block_count_z
      - .offset:         156
        .size:           2
        .value_kind:     hidden_group_size_x
      - .offset:         158
        .size:           2
        .value_kind:     hidden_group_size_y
      - .offset:         160
        .size:           2
        .value_kind:     hidden_group_size_z
      - .offset:         162
        .size:           2
        .value_kind:     hidden_remainder_x
      - .offset:         164
        .size:           2
        .value_kind:     hidden_remainder_y
      - .offset:         166
        .size:           2
        .value_kind:     hidden_remainder_z
      - .offset:         184
        .size:           8
        .value_kind:     hidden_global_offset_x
      - .offset:         192
        .size:           8
        .value_kind:     hidden_global_offset_y
      - .offset:         200
        .size:           8
        .value_kind:     hidden_global_offset_z
      - .offset:         208
        .size:           2
        .value_kind:     hidden_grid_dims
      - .offset:         224
        .size:           8
        .value_kind:     hidden_hostcall_buffer
    .group_segment_fixed_size: 0
    .kernarg_segment_align: 8
    .kernarg_segment_size: 400
    .language:       OpenCL C
    .language_version:
      - 2
      - 0
    .max_flat_workgroup_size: 256
    .name:           _Z38paged_attention_ll4mi_QKV_mfma4_kernelI14__hip_bfloat16hLN4vllm18Fp8KVCacheDataTypeE1ES0_Li16ELi128ELi256ELb1ELi1EEvPKT_PKT0_S8_ifPKiSA_SA_iPKfiiiPfSD_PS3_PT2_iSC_SC_
    .private_segment_fixed_size: 64
    .sgpr_count:     36
    .sgpr_spill_count: 0
    .symbol:         _Z38paged_attention_ll4mi_QKV_mfma4_kernelI14__hip_bfloat16hLN4vllm18Fp8KVCacheDataTypeE1ES0_Li16ELi128ELi256ELb1ELi1EEvPKT_PKT0_S8_ifPKiSA_SA_iPKfiiiPfSD_PS3_PT2_iSC_SC_.kd
    .uniform_work_group_size: 1
    .uses_dynamic_stack: false
    .vgpr_count:     51
    .vgpr_spill_count: 0
    .wavefront_size: 32
  - .args:
      - .actual_access:  read_only
        .address_space:  global
        .offset:         0
        .size:           8
        .value_kind:     global_buffer
      - .actual_access:  read_only
        .address_space:  global
        .offset:         8
        .size:           8
        .value_kind:     global_buffer
      - .actual_access:  read_only
        .address_space:  global
        .offset:         16
        .size:           8
        .value_kind:     global_buffer
      - .offset:         24
        .size:           4
        .value_kind:     by_value
      - .offset:         28
        .size:           4
        .value_kind:     by_value
      - .actual_access:  read_only
        .address_space:  global
        .offset:         32
        .size:           8
        .value_kind:     global_buffer
      - .actual_access:  read_only
        .address_space:  global
        .offset:         40
        .size:           8
        .value_kind:     global_buffer
      - .actual_access:  read_only
        .address_space:  global
        .offset:         48
        .size:           8
        .value_kind:     global_buffer
      - .offset:         56
        .size:           4
        .value_kind:     by_value
      - .actual_access:  read_only
        .address_space:  global
        .offset:         64
        .size:           8
        .value_kind:     global_buffer
      - .offset:         72
        .size:           4
        .value_kind:     by_value
      - .offset:         76
        .size:           4
        .value_kind:     by_value
      - .offset:         80
        .size:           4
        .value_kind:     by_value
      - .actual_access:  read_only
        .address_space:  global
        .offset:         88
        .size:           8
        .value_kind:     global_buffer
      - .actual_access:  read_only
        .address_space:  global
        .offset:         96
        .size:           8
        .value_kind:     global_buffer
      - .actual_access:  read_only
        .address_space:  global
        .offset:         104
        .size:           8
        .value_kind:     global_buffer
      - .actual_access:  read_only
        .address_space:  global
        .offset:         112
        .size:           8
        .value_kind:     global_buffer
      - .offset:         120
        .size:           4
        .value_kind:     by_value
      - .address_space:  global
        .offset:         128
        .size:           8
        .value_kind:     global_buffer
      - .address_space:  global
        .offset:         136
        .size:           8
        .value_kind:     global_buffer
      - .offset:         144
        .size:           4
        .value_kind:     hidden_block_count_x
      - .offset:         148
        .size:           4
        .value_kind:     hidden_block_count_y
      - .offset:         152
        .size:           4
        .value_kind:     hidden_block_count_z
      - .offset:         156
        .size:           2
        .value_kind:     hidden_group_size_x
      - .offset:         158
        .size:           2
        .value_kind:     hidden_group_size_y
      - .offset:         160
        .size:           2
        .value_kind:     hidden_group_size_z
      - .offset:         162
        .size:           2
        .value_kind:     hidden_remainder_x
      - .offset:         164
        .size:           2
        .value_kind:     hidden_remainder_y
      - .offset:         166
        .size:           2
        .value_kind:     hidden_remainder_z
      - .offset:         184
        .size:           8
        .value_kind:     hidden_global_offset_x
      - .offset:         192
        .size:           8
        .value_kind:     hidden_global_offset_y
      - .offset:         200
        .size:           8
        .value_kind:     hidden_global_offset_z
      - .offset:         208
        .size:           2
        .value_kind:     hidden_grid_dims
      - .offset:         224
        .size:           8
        .value_kind:     hidden_hostcall_buffer
    .group_segment_fixed_size: 0
    .kernarg_segment_align: 8
    .kernarg_segment_size: 400
    .language:       OpenCL C
    .language_version:
      - 2
      - 0
    .max_flat_workgroup_size: 256
    .name:           _Z38paged_attention_ll4mi_QKV_mfma4_kernelI14__hip_bfloat16hLN4vllm18Fp8KVCacheDataTypeE1ES0_Li16ELi128ELi256ELb1ELi2EEvPKT_PKT0_S8_ifPKiSA_SA_iPKfiiiPfSD_PS3_PT2_iSC_SC_
    .private_segment_fixed_size: 64
    .sgpr_count:     36
    .sgpr_spill_count: 0
    .symbol:         _Z38paged_attention_ll4mi_QKV_mfma4_kernelI14__hip_bfloat16hLN4vllm18Fp8KVCacheDataTypeE1ES0_Li16ELi128ELi256ELb1ELi2EEvPKT_PKT0_S8_ifPKiSA_SA_iPKfiiiPfSD_PS3_PT2_iSC_SC_.kd
    .uniform_work_group_size: 1
    .uses_dynamic_stack: false
    .vgpr_count:     51
    .vgpr_spill_count: 0
    .wavefront_size: 32
  - .args:
      - .actual_access:  read_only
        .address_space:  global
        .offset:         0
        .size:           8
        .value_kind:     global_buffer
      - .actual_access:  read_only
        .address_space:  global
        .offset:         8
        .size:           8
        .value_kind:     global_buffer
      - .actual_access:  read_only
        .address_space:  global
        .offset:         16
        .size:           8
        .value_kind:     global_buffer
      - .offset:         24
        .size:           4
        .value_kind:     by_value
      - .offset:         28
        .size:           4
        .value_kind:     by_value
      - .actual_access:  read_only
        .address_space:  global
        .offset:         32
        .size:           8
        .value_kind:     global_buffer
      - .actual_access:  read_only
        .address_space:  global
        .offset:         40
        .size:           8
        .value_kind:     global_buffer
      - .actual_access:  read_only
        .address_space:  global
        .offset:         48
        .size:           8
        .value_kind:     global_buffer
      - .offset:         56
        .size:           4
        .value_kind:     by_value
      - .actual_access:  read_only
        .address_space:  global
        .offset:         64
        .size:           8
        .value_kind:     global_buffer
      - .offset:         72
        .size:           4
        .value_kind:     by_value
      - .offset:         76
        .size:           4
        .value_kind:     by_value
      - .offset:         80
        .size:           4
        .value_kind:     by_value
      - .actual_access:  read_only
        .address_space:  global
        .offset:         88
        .size:           8
        .value_kind:     global_buffer
      - .actual_access:  read_only
        .address_space:  global
        .offset:         96
        .size:           8
        .value_kind:     global_buffer
      - .actual_access:  read_only
        .address_space:  global
        .offset:         104
        .size:           8
        .value_kind:     global_buffer
      - .actual_access:  read_only
        .address_space:  global
        .offset:         112
        .size:           8
        .value_kind:     global_buffer
      - .offset:         120
        .size:           4
        .value_kind:     by_value
      - .address_space:  global
        .offset:         128
        .size:           8
        .value_kind:     global_buffer
      - .address_space:  global
        .offset:         136
        .size:           8
        .value_kind:     global_buffer
      - .offset:         144
        .size:           4
        .value_kind:     hidden_block_count_x
      - .offset:         148
        .size:           4
        .value_kind:     hidden_block_count_y
      - .offset:         152
        .size:           4
        .value_kind:     hidden_block_count_z
      - .offset:         156
        .size:           2
        .value_kind:     hidden_group_size_x
      - .offset:         158
        .size:           2
        .value_kind:     hidden_group_size_y
      - .offset:         160
        .size:           2
        .value_kind:     hidden_group_size_z
      - .offset:         162
        .size:           2
        .value_kind:     hidden_remainder_x
      - .offset:         164
        .size:           2
        .value_kind:     hidden_remainder_y
      - .offset:         166
        .size:           2
        .value_kind:     hidden_remainder_z
      - .offset:         184
        .size:           8
        .value_kind:     hidden_global_offset_x
      - .offset:         192
        .size:           8
        .value_kind:     hidden_global_offset_y
      - .offset:         200
        .size:           8
        .value_kind:     hidden_global_offset_z
      - .offset:         208
        .size:           2
        .value_kind:     hidden_grid_dims
      - .offset:         224
        .size:           8
        .value_kind:     hidden_hostcall_buffer
    .group_segment_fixed_size: 0
    .kernarg_segment_align: 8
    .kernarg_segment_size: 400
    .language:       OpenCL C
    .language_version:
      - 2
      - 0
    .max_flat_workgroup_size: 256
    .name:           _Z38paged_attention_ll4mi_QKV_mfma4_kernelI14__hip_bfloat16hLN4vllm18Fp8KVCacheDataTypeE1ES0_Li16ELi128ELi256ELb1ELi3EEvPKT_PKT0_S8_ifPKiSA_SA_iPKfiiiPfSD_PS3_PT2_iSC_SC_
    .private_segment_fixed_size: 64
    .sgpr_count:     36
    .sgpr_spill_count: 0
    .symbol:         _Z38paged_attention_ll4mi_QKV_mfma4_kernelI14__hip_bfloat16hLN4vllm18Fp8KVCacheDataTypeE1ES0_Li16ELi128ELi256ELb1ELi3EEvPKT_PKT0_S8_ifPKiSA_SA_iPKfiiiPfSD_PS3_PT2_iSC_SC_.kd
    .uniform_work_group_size: 1
    .uses_dynamic_stack: false
    .vgpr_count:     51
    .vgpr_spill_count: 0
    .wavefront_size: 32
  - .args:
      - .actual_access:  read_only
        .address_space:  global
        .offset:         0
        .size:           8
        .value_kind:     global_buffer
      - .actual_access:  read_only
        .address_space:  global
        .offset:         8
        .size:           8
        .value_kind:     global_buffer
      - .actual_access:  read_only
        .address_space:  global
        .offset:         16
        .size:           8
        .value_kind:     global_buffer
      - .offset:         24
        .size:           4
        .value_kind:     by_value
      - .offset:         28
        .size:           4
        .value_kind:     by_value
      - .actual_access:  read_only
        .address_space:  global
        .offset:         32
        .size:           8
        .value_kind:     global_buffer
      - .actual_access:  read_only
        .address_space:  global
        .offset:         40
        .size:           8
        .value_kind:     global_buffer
      - .actual_access:  read_only
        .address_space:  global
        .offset:         48
        .size:           8
        .value_kind:     global_buffer
      - .offset:         56
        .size:           4
        .value_kind:     by_value
      - .actual_access:  read_only
        .address_space:  global
        .offset:         64
        .size:           8
        .value_kind:     global_buffer
      - .offset:         72
        .size:           4
        .value_kind:     by_value
      - .offset:         76
        .size:           4
        .value_kind:     by_value
      - .offset:         80
        .size:           4
        .value_kind:     by_value
      - .actual_access:  read_only
        .address_space:  global
        .offset:         88
        .size:           8
        .value_kind:     global_buffer
      - .actual_access:  read_only
        .address_space:  global
        .offset:         96
        .size:           8
        .value_kind:     global_buffer
      - .actual_access:  read_only
        .address_space:  global
        .offset:         104
        .size:           8
        .value_kind:     global_buffer
      - .actual_access:  read_only
        .address_space:  global
        .offset:         112
        .size:           8
        .value_kind:     global_buffer
      - .offset:         120
        .size:           4
        .value_kind:     by_value
      - .address_space:  global
        .offset:         128
        .size:           8
        .value_kind:     global_buffer
      - .address_space:  global
        .offset:         136
        .size:           8
        .value_kind:     global_buffer
      - .offset:         144
        .size:           4
        .value_kind:     hidden_block_count_x
      - .offset:         148
        .size:           4
        .value_kind:     hidden_block_count_y
      - .offset:         152
        .size:           4
        .value_kind:     hidden_block_count_z
      - .offset:         156
        .size:           2
        .value_kind:     hidden_group_size_x
      - .offset:         158
        .size:           2
        .value_kind:     hidden_group_size_y
      - .offset:         160
        .size:           2
        .value_kind:     hidden_group_size_z
      - .offset:         162
        .size:           2
        .value_kind:     hidden_remainder_x
      - .offset:         164
        .size:           2
        .value_kind:     hidden_remainder_y
      - .offset:         166
        .size:           2
        .value_kind:     hidden_remainder_z
      - .offset:         184
        .size:           8
        .value_kind:     hidden_global_offset_x
      - .offset:         192
        .size:           8
        .value_kind:     hidden_global_offset_y
      - .offset:         200
        .size:           8
        .value_kind:     hidden_global_offset_z
      - .offset:         208
        .size:           2
        .value_kind:     hidden_grid_dims
      - .offset:         224
        .size:           8
        .value_kind:     hidden_hostcall_buffer
    .group_segment_fixed_size: 0
    .kernarg_segment_align: 8
    .kernarg_segment_size: 400
    .language:       OpenCL C
    .language_version:
      - 2
      - 0
    .max_flat_workgroup_size: 256
    .name:           _Z38paged_attention_ll4mi_QKV_mfma4_kernelI14__hip_bfloat16hLN4vllm18Fp8KVCacheDataTypeE1ES0_Li16ELi128ELi256ELb1ELi4EEvPKT_PKT0_S8_ifPKiSA_SA_iPKfiiiPfSD_PS3_PT2_iSC_SC_
    .private_segment_fixed_size: 64
    .sgpr_count:     36
    .sgpr_spill_count: 0
    .symbol:         _Z38paged_attention_ll4mi_QKV_mfma4_kernelI14__hip_bfloat16hLN4vllm18Fp8KVCacheDataTypeE1ES0_Li16ELi128ELi256ELb1ELi4EEvPKT_PKT0_S8_ifPKiSA_SA_iPKfiiiPfSD_PS3_PT2_iSC_SC_.kd
    .uniform_work_group_size: 1
    .uses_dynamic_stack: false
    .vgpr_count:     51
    .vgpr_spill_count: 0
    .wavefront_size: 32
  - .args:
      - .actual_access:  read_only
        .address_space:  global
        .offset:         0
        .size:           8
        .value_kind:     global_buffer
      - .actual_access:  read_only
        .address_space:  global
        .offset:         8
        .size:           8
        .value_kind:     global_buffer
      - .actual_access:  read_only
        .address_space:  global
        .offset:         16
        .size:           8
        .value_kind:     global_buffer
      - .offset:         24
        .size:           4
        .value_kind:     by_value
      - .offset:         28
        .size:           4
        .value_kind:     by_value
      - .actual_access:  read_only
        .address_space:  global
        .offset:         32
        .size:           8
        .value_kind:     global_buffer
      - .actual_access:  read_only
        .address_space:  global
        .offset:         40
        .size:           8
        .value_kind:     global_buffer
      - .actual_access:  read_only
        .address_space:  global
        .offset:         48
        .size:           8
        .value_kind:     global_buffer
      - .offset:         56
        .size:           4
        .value_kind:     by_value
      - .actual_access:  read_only
        .address_space:  global
        .offset:         64
        .size:           8
        .value_kind:     global_buffer
      - .offset:         72
        .size:           4
        .value_kind:     by_value
      - .offset:         76
        .size:           4
        .value_kind:     by_value
      - .offset:         80
        .size:           4
        .value_kind:     by_value
      - .actual_access:  read_only
        .address_space:  global
        .offset:         88
        .size:           8
        .value_kind:     global_buffer
      - .actual_access:  read_only
        .address_space:  global
        .offset:         96
        .size:           8
        .value_kind:     global_buffer
      - .actual_access:  read_only
        .address_space:  global
        .offset:         104
        .size:           8
        .value_kind:     global_buffer
      - .actual_access:  read_only
        .address_space:  global
        .offset:         112
        .size:           8
        .value_kind:     global_buffer
      - .offset:         120
        .size:           4
        .value_kind:     by_value
      - .address_space:  global
        .offset:         128
        .size:           8
        .value_kind:     global_buffer
      - .address_space:  global
        .offset:         136
        .size:           8
        .value_kind:     global_buffer
      - .offset:         144
        .size:           4
        .value_kind:     hidden_block_count_x
      - .offset:         148
        .size:           4
        .value_kind:     hidden_block_count_y
      - .offset:         152
        .size:           4
        .value_kind:     hidden_block_count_z
      - .offset:         156
        .size:           2
        .value_kind:     hidden_group_size_x
      - .offset:         158
        .size:           2
        .value_kind:     hidden_group_size_y
      - .offset:         160
        .size:           2
        .value_kind:     hidden_group_size_z
      - .offset:         162
        .size:           2
        .value_kind:     hidden_remainder_x
      - .offset:         164
        .size:           2
        .value_kind:     hidden_remainder_y
      - .offset:         166
        .size:           2
        .value_kind:     hidden_remainder_z
      - .offset:         184
        .size:           8
        .value_kind:     hidden_global_offset_x
      - .offset:         192
        .size:           8
        .value_kind:     hidden_global_offset_y
      - .offset:         200
        .size:           8
        .value_kind:     hidden_global_offset_z
      - .offset:         208
        .size:           2
        .value_kind:     hidden_grid_dims
      - .offset:         224
        .size:           8
        .value_kind:     hidden_hostcall_buffer
    .group_segment_fixed_size: 0
    .kernarg_segment_align: 8
    .kernarg_segment_size: 400
    .language:       OpenCL C
    .language_version:
      - 2
      - 0
    .max_flat_workgroup_size: 256
    .name:           _Z39paged_attention_ll4mi_QKV_mfma16_kernelI14__hip_bfloat16hLN4vllm18Fp8KVCacheDataTypeE1ES0_Li16ELi128ELi256ELb1ELi5EEvPKT_PKT0_S8_ifPKiSA_SA_iPKfiiiPfSD_PS3_PT2_iSC_SC_
    .private_segment_fixed_size: 64
    .sgpr_count:     36
    .sgpr_spill_count: 0
    .symbol:         _Z39paged_attention_ll4mi_QKV_mfma16_kernelI14__hip_bfloat16hLN4vllm18Fp8KVCacheDataTypeE1ES0_Li16ELi128ELi256ELb1ELi5EEvPKT_PKT0_S8_ifPKiSA_SA_iPKfiiiPfSD_PS3_PT2_iSC_SC_.kd
    .uniform_work_group_size: 1
    .uses_dynamic_stack: false
    .vgpr_count:     51
    .vgpr_spill_count: 0
    .wavefront_size: 32
  - .args:
      - .actual_access:  read_only
        .address_space:  global
        .offset:         0
        .size:           8
        .value_kind:     global_buffer
      - .actual_access:  read_only
        .address_space:  global
        .offset:         8
        .size:           8
        .value_kind:     global_buffer
      - .actual_access:  read_only
        .address_space:  global
        .offset:         16
        .size:           8
        .value_kind:     global_buffer
      - .offset:         24
        .size:           4
        .value_kind:     by_value
      - .offset:         28
        .size:           4
        .value_kind:     by_value
      - .actual_access:  read_only
        .address_space:  global
        .offset:         32
        .size:           8
        .value_kind:     global_buffer
      - .actual_access:  read_only
        .address_space:  global
        .offset:         40
        .size:           8
        .value_kind:     global_buffer
      - .actual_access:  read_only
        .address_space:  global
        .offset:         48
        .size:           8
        .value_kind:     global_buffer
      - .offset:         56
        .size:           4
        .value_kind:     by_value
      - .actual_access:  read_only
        .address_space:  global
        .offset:         64
        .size:           8
        .value_kind:     global_buffer
      - .offset:         72
        .size:           4
        .value_kind:     by_value
      - .offset:         76
        .size:           4
        .value_kind:     by_value
      - .offset:         80
        .size:           4
        .value_kind:     by_value
      - .actual_access:  read_only
        .address_space:  global
        .offset:         88
        .size:           8
        .value_kind:     global_buffer
      - .actual_access:  read_only
        .address_space:  global
        .offset:         96
        .size:           8
        .value_kind:     global_buffer
      - .actual_access:  read_only
        .address_space:  global
        .offset:         104
        .size:           8
        .value_kind:     global_buffer
      - .actual_access:  read_only
        .address_space:  global
        .offset:         112
        .size:           8
        .value_kind:     global_buffer
      - .offset:         120
        .size:           4
        .value_kind:     by_value
      - .address_space:  global
        .offset:         128
        .size:           8
        .value_kind:     global_buffer
      - .address_space:  global
        .offset:         136
        .size:           8
        .value_kind:     global_buffer
      - .offset:         144
        .size:           4
        .value_kind:     hidden_block_count_x
      - .offset:         148
        .size:           4
        .value_kind:     hidden_block_count_y
      - .offset:         152
        .size:           4
        .value_kind:     hidden_block_count_z
      - .offset:         156
        .size:           2
        .value_kind:     hidden_group_size_x
      - .offset:         158
        .size:           2
        .value_kind:     hidden_group_size_y
      - .offset:         160
        .size:           2
        .value_kind:     hidden_group_size_z
      - .offset:         162
        .size:           2
        .value_kind:     hidden_remainder_x
      - .offset:         164
        .size:           2
        .value_kind:     hidden_remainder_y
      - .offset:         166
        .size:           2
        .value_kind:     hidden_remainder_z
      - .offset:         184
        .size:           8
        .value_kind:     hidden_global_offset_x
      - .offset:         192
        .size:           8
        .value_kind:     hidden_global_offset_y
      - .offset:         200
        .size:           8
        .value_kind:     hidden_global_offset_z
      - .offset:         208
        .size:           2
        .value_kind:     hidden_grid_dims
      - .offset:         224
        .size:           8
        .value_kind:     hidden_hostcall_buffer
    .group_segment_fixed_size: 0
    .kernarg_segment_align: 8
    .kernarg_segment_size: 400
    .language:       OpenCL C
    .language_version:
      - 2
      - 0
    .max_flat_workgroup_size: 256
    .name:           _Z39paged_attention_ll4mi_QKV_mfma16_kernelI14__hip_bfloat16hLN4vllm18Fp8KVCacheDataTypeE1ES0_Li16ELi128ELi256ELb1ELi6EEvPKT_PKT0_S8_ifPKiSA_SA_iPKfiiiPfSD_PS3_PT2_iSC_SC_
    .private_segment_fixed_size: 64
    .sgpr_count:     36
    .sgpr_spill_count: 0
    .symbol:         _Z39paged_attention_ll4mi_QKV_mfma16_kernelI14__hip_bfloat16hLN4vllm18Fp8KVCacheDataTypeE1ES0_Li16ELi128ELi256ELb1ELi6EEvPKT_PKT0_S8_ifPKiSA_SA_iPKfiiiPfSD_PS3_PT2_iSC_SC_.kd
    .uniform_work_group_size: 1
    .uses_dynamic_stack: false
    .vgpr_count:     51
    .vgpr_spill_count: 0
    .wavefront_size: 32
  - .args:
      - .actual_access:  read_only
        .address_space:  global
        .offset:         0
        .size:           8
        .value_kind:     global_buffer
      - .actual_access:  read_only
        .address_space:  global
        .offset:         8
        .size:           8
        .value_kind:     global_buffer
      - .actual_access:  read_only
        .address_space:  global
        .offset:         16
        .size:           8
        .value_kind:     global_buffer
      - .offset:         24
        .size:           4
        .value_kind:     by_value
      - .offset:         28
        .size:           4
        .value_kind:     by_value
      - .actual_access:  read_only
        .address_space:  global
        .offset:         32
        .size:           8
        .value_kind:     global_buffer
      - .actual_access:  read_only
        .address_space:  global
        .offset:         40
        .size:           8
        .value_kind:     global_buffer
      - .actual_access:  read_only
        .address_space:  global
        .offset:         48
        .size:           8
        .value_kind:     global_buffer
      - .offset:         56
        .size:           4
        .value_kind:     by_value
      - .actual_access:  read_only
        .address_space:  global
        .offset:         64
        .size:           8
        .value_kind:     global_buffer
      - .offset:         72
        .size:           4
        .value_kind:     by_value
      - .offset:         76
        .size:           4
        .value_kind:     by_value
      - .offset:         80
        .size:           4
        .value_kind:     by_value
      - .actual_access:  read_only
        .address_space:  global
        .offset:         88
        .size:           8
        .value_kind:     global_buffer
      - .actual_access:  read_only
        .address_space:  global
        .offset:         96
        .size:           8
        .value_kind:     global_buffer
      - .actual_access:  read_only
        .address_space:  global
        .offset:         104
        .size:           8
        .value_kind:     global_buffer
      - .actual_access:  read_only
        .address_space:  global
        .offset:         112
        .size:           8
        .value_kind:     global_buffer
      - .offset:         120
        .size:           4
        .value_kind:     by_value
      - .address_space:  global
        .offset:         128
        .size:           8
        .value_kind:     global_buffer
      - .address_space:  global
        .offset:         136
        .size:           8
        .value_kind:     global_buffer
      - .offset:         144
        .size:           4
        .value_kind:     hidden_block_count_x
      - .offset:         148
        .size:           4
        .value_kind:     hidden_block_count_y
      - .offset:         152
        .size:           4
        .value_kind:     hidden_block_count_z
      - .offset:         156
        .size:           2
        .value_kind:     hidden_group_size_x
      - .offset:         158
        .size:           2
        .value_kind:     hidden_group_size_y
      - .offset:         160
        .size:           2
        .value_kind:     hidden_group_size_z
      - .offset:         162
        .size:           2
        .value_kind:     hidden_remainder_x
      - .offset:         164
        .size:           2
        .value_kind:     hidden_remainder_y
      - .offset:         166
        .size:           2
        .value_kind:     hidden_remainder_z
      - .offset:         184
        .size:           8
        .value_kind:     hidden_global_offset_x
      - .offset:         192
        .size:           8
        .value_kind:     hidden_global_offset_y
      - .offset:         200
        .size:           8
        .value_kind:     hidden_global_offset_z
      - .offset:         208
        .size:           2
        .value_kind:     hidden_grid_dims
      - .offset:         224
        .size:           8
        .value_kind:     hidden_hostcall_buffer
    .group_segment_fixed_size: 0
    .kernarg_segment_align: 8
    .kernarg_segment_size: 400
    .language:       OpenCL C
    .language_version:
      - 2
      - 0
    .max_flat_workgroup_size: 256
    .name:           _Z39paged_attention_ll4mi_QKV_mfma16_kernelI14__hip_bfloat16hLN4vllm18Fp8KVCacheDataTypeE1ES0_Li16ELi128ELi256ELb1ELi7EEvPKT_PKT0_S8_ifPKiSA_SA_iPKfiiiPfSD_PS3_PT2_iSC_SC_
    .private_segment_fixed_size: 64
    .sgpr_count:     36
    .sgpr_spill_count: 0
    .symbol:         _Z39paged_attention_ll4mi_QKV_mfma16_kernelI14__hip_bfloat16hLN4vllm18Fp8KVCacheDataTypeE1ES0_Li16ELi128ELi256ELb1ELi7EEvPKT_PKT0_S8_ifPKiSA_SA_iPKfiiiPfSD_PS3_PT2_iSC_SC_.kd
    .uniform_work_group_size: 1
    .uses_dynamic_stack: false
    .vgpr_count:     51
    .vgpr_spill_count: 0
    .wavefront_size: 32
  - .args:
      - .actual_access:  read_only
        .address_space:  global
        .offset:         0
        .size:           8
        .value_kind:     global_buffer
      - .actual_access:  read_only
        .address_space:  global
        .offset:         8
        .size:           8
        .value_kind:     global_buffer
      - .actual_access:  read_only
        .address_space:  global
        .offset:         16
        .size:           8
        .value_kind:     global_buffer
      - .offset:         24
        .size:           4
        .value_kind:     by_value
      - .offset:         28
        .size:           4
        .value_kind:     by_value
      - .actual_access:  read_only
        .address_space:  global
        .offset:         32
        .size:           8
        .value_kind:     global_buffer
      - .actual_access:  read_only
        .address_space:  global
        .offset:         40
        .size:           8
        .value_kind:     global_buffer
      - .actual_access:  read_only
        .address_space:  global
        .offset:         48
        .size:           8
        .value_kind:     global_buffer
      - .offset:         56
        .size:           4
        .value_kind:     by_value
      - .actual_access:  read_only
        .address_space:  global
        .offset:         64
        .size:           8
        .value_kind:     global_buffer
      - .offset:         72
        .size:           4
        .value_kind:     by_value
      - .offset:         76
        .size:           4
        .value_kind:     by_value
      - .offset:         80
        .size:           4
        .value_kind:     by_value
      - .actual_access:  read_only
        .address_space:  global
        .offset:         88
        .size:           8
        .value_kind:     global_buffer
      - .actual_access:  read_only
        .address_space:  global
        .offset:         96
        .size:           8
        .value_kind:     global_buffer
      - .actual_access:  read_only
        .address_space:  global
        .offset:         104
        .size:           8
        .value_kind:     global_buffer
      - .actual_access:  read_only
        .address_space:  global
        .offset:         112
        .size:           8
        .value_kind:     global_buffer
      - .offset:         120
        .size:           4
        .value_kind:     by_value
      - .address_space:  global
        .offset:         128
        .size:           8
        .value_kind:     global_buffer
      - .address_space:  global
        .offset:         136
        .size:           8
        .value_kind:     global_buffer
      - .offset:         144
        .size:           4
        .value_kind:     hidden_block_count_x
      - .offset:         148
        .size:           4
        .value_kind:     hidden_block_count_y
      - .offset:         152
        .size:           4
        .value_kind:     hidden_block_count_z
      - .offset:         156
        .size:           2
        .value_kind:     hidden_group_size_x
      - .offset:         158
        .size:           2
        .value_kind:     hidden_group_size_y
      - .offset:         160
        .size:           2
        .value_kind:     hidden_group_size_z
      - .offset:         162
        .size:           2
        .value_kind:     hidden_remainder_x
      - .offset:         164
        .size:           2
        .value_kind:     hidden_remainder_y
      - .offset:         166
        .size:           2
        .value_kind:     hidden_remainder_z
      - .offset:         184
        .size:           8
        .value_kind:     hidden_global_offset_x
      - .offset:         192
        .size:           8
        .value_kind:     hidden_global_offset_y
      - .offset:         200
        .size:           8
        .value_kind:     hidden_global_offset_z
      - .offset:         208
        .size:           2
        .value_kind:     hidden_grid_dims
      - .offset:         224
        .size:           8
        .value_kind:     hidden_hostcall_buffer
    .group_segment_fixed_size: 0
    .kernarg_segment_align: 8
    .kernarg_segment_size: 400
    .language:       OpenCL C
    .language_version:
      - 2
      - 0
    .max_flat_workgroup_size: 256
    .name:           _Z39paged_attention_ll4mi_QKV_mfma16_kernelI14__hip_bfloat16hLN4vllm18Fp8KVCacheDataTypeE1ES0_Li16ELi128ELi256ELb1ELi8EEvPKT_PKT0_S8_ifPKiSA_SA_iPKfiiiPfSD_PS3_PT2_iSC_SC_
    .private_segment_fixed_size: 64
    .sgpr_count:     36
    .sgpr_spill_count: 0
    .symbol:         _Z39paged_attention_ll4mi_QKV_mfma16_kernelI14__hip_bfloat16hLN4vllm18Fp8KVCacheDataTypeE1ES0_Li16ELi128ELi256ELb1ELi8EEvPKT_PKT0_S8_ifPKiSA_SA_iPKfiiiPfSD_PS3_PT2_iSC_SC_.kd
    .uniform_work_group_size: 1
    .uses_dynamic_stack: false
    .vgpr_count:     51
    .vgpr_spill_count: 0
    .wavefront_size: 32
  - .args:
      - .actual_access:  read_only
        .address_space:  global
        .offset:         0
        .size:           8
        .value_kind:     global_buffer
      - .actual_access:  read_only
        .address_space:  global
        .offset:         8
        .size:           8
        .value_kind:     global_buffer
      - .actual_access:  read_only
        .address_space:  global
        .offset:         16
        .size:           8
        .value_kind:     global_buffer
      - .offset:         24
        .size:           4
        .value_kind:     by_value
      - .offset:         28
        .size:           4
        .value_kind:     by_value
      - .actual_access:  read_only
        .address_space:  global
        .offset:         32
        .size:           8
        .value_kind:     global_buffer
      - .actual_access:  read_only
        .address_space:  global
        .offset:         40
        .size:           8
        .value_kind:     global_buffer
      - .actual_access:  read_only
        .address_space:  global
        .offset:         48
        .size:           8
        .value_kind:     global_buffer
      - .offset:         56
        .size:           4
        .value_kind:     by_value
      - .actual_access:  read_only
        .address_space:  global
        .offset:         64
        .size:           8
        .value_kind:     global_buffer
      - .offset:         72
        .size:           4
        .value_kind:     by_value
      - .offset:         76
        .size:           4
        .value_kind:     by_value
      - .offset:         80
        .size:           4
        .value_kind:     by_value
      - .actual_access:  read_only
        .address_space:  global
        .offset:         88
        .size:           8
        .value_kind:     global_buffer
      - .actual_access:  read_only
        .address_space:  global
        .offset:         96
        .size:           8
        .value_kind:     global_buffer
      - .actual_access:  read_only
        .address_space:  global
        .offset:         104
        .size:           8
        .value_kind:     global_buffer
      - .actual_access:  read_only
        .address_space:  global
        .offset:         112
        .size:           8
        .value_kind:     global_buffer
      - .offset:         120
        .size:           4
        .value_kind:     by_value
      - .address_space:  global
        .offset:         128
        .size:           8
        .value_kind:     global_buffer
      - .address_space:  global
        .offset:         136
        .size:           8
        .value_kind:     global_buffer
      - .offset:         144
        .size:           4
        .value_kind:     hidden_block_count_x
      - .offset:         148
        .size:           4
        .value_kind:     hidden_block_count_y
      - .offset:         152
        .size:           4
        .value_kind:     hidden_block_count_z
      - .offset:         156
        .size:           2
        .value_kind:     hidden_group_size_x
      - .offset:         158
        .size:           2
        .value_kind:     hidden_group_size_y
      - .offset:         160
        .size:           2
        .value_kind:     hidden_group_size_z
      - .offset:         162
        .size:           2
        .value_kind:     hidden_remainder_x
      - .offset:         164
        .size:           2
        .value_kind:     hidden_remainder_y
      - .offset:         166
        .size:           2
        .value_kind:     hidden_remainder_z
      - .offset:         184
        .size:           8
        .value_kind:     hidden_global_offset_x
      - .offset:         192
        .size:           8
        .value_kind:     hidden_global_offset_y
      - .offset:         200
        .size:           8
        .value_kind:     hidden_global_offset_z
      - .offset:         208
        .size:           2
        .value_kind:     hidden_grid_dims
      - .offset:         224
        .size:           8
        .value_kind:     hidden_hostcall_buffer
    .group_segment_fixed_size: 0
    .kernarg_segment_align: 8
    .kernarg_segment_size: 400
    .language:       OpenCL C
    .language_version:
      - 2
      - 0
    .max_flat_workgroup_size: 256
    .name:           _Z39paged_attention_ll4mi_QKV_mfma16_kernelI14__hip_bfloat16hLN4vllm18Fp8KVCacheDataTypeE1ES0_Li16ELi128ELi256ELb1ELi9EEvPKT_PKT0_S8_ifPKiSA_SA_iPKfiiiPfSD_PS3_PT2_iSC_SC_
    .private_segment_fixed_size: 64
    .sgpr_count:     36
    .sgpr_spill_count: 0
    .symbol:         _Z39paged_attention_ll4mi_QKV_mfma16_kernelI14__hip_bfloat16hLN4vllm18Fp8KVCacheDataTypeE1ES0_Li16ELi128ELi256ELb1ELi9EEvPKT_PKT0_S8_ifPKiSA_SA_iPKfiiiPfSD_PS3_PT2_iSC_SC_.kd
    .uniform_work_group_size: 1
    .uses_dynamic_stack: false
    .vgpr_count:     51
    .vgpr_spill_count: 0
    .wavefront_size: 32
  - .args:
      - .actual_access:  read_only
        .address_space:  global
        .offset:         0
        .size:           8
        .value_kind:     global_buffer
      - .actual_access:  read_only
        .address_space:  global
        .offset:         8
        .size:           8
        .value_kind:     global_buffer
      - .actual_access:  read_only
        .address_space:  global
        .offset:         16
        .size:           8
        .value_kind:     global_buffer
      - .offset:         24
        .size:           4
        .value_kind:     by_value
      - .offset:         28
        .size:           4
        .value_kind:     by_value
      - .actual_access:  read_only
        .address_space:  global
        .offset:         32
        .size:           8
        .value_kind:     global_buffer
      - .actual_access:  read_only
        .address_space:  global
        .offset:         40
        .size:           8
        .value_kind:     global_buffer
      - .actual_access:  read_only
        .address_space:  global
        .offset:         48
        .size:           8
        .value_kind:     global_buffer
      - .offset:         56
        .size:           4
        .value_kind:     by_value
      - .actual_access:  read_only
        .address_space:  global
        .offset:         64
        .size:           8
        .value_kind:     global_buffer
      - .offset:         72
        .size:           4
        .value_kind:     by_value
      - .offset:         76
        .size:           4
        .value_kind:     by_value
      - .offset:         80
        .size:           4
        .value_kind:     by_value
      - .actual_access:  read_only
        .address_space:  global
        .offset:         88
        .size:           8
        .value_kind:     global_buffer
      - .actual_access:  read_only
        .address_space:  global
        .offset:         96
        .size:           8
        .value_kind:     global_buffer
      - .actual_access:  read_only
        .address_space:  global
        .offset:         104
        .size:           8
        .value_kind:     global_buffer
      - .actual_access:  read_only
        .address_space:  global
        .offset:         112
        .size:           8
        .value_kind:     global_buffer
      - .offset:         120
        .size:           4
        .value_kind:     by_value
      - .address_space:  global
        .offset:         128
        .size:           8
        .value_kind:     global_buffer
      - .address_space:  global
        .offset:         136
        .size:           8
        .value_kind:     global_buffer
      - .offset:         144
        .size:           4
        .value_kind:     hidden_block_count_x
      - .offset:         148
        .size:           4
        .value_kind:     hidden_block_count_y
      - .offset:         152
        .size:           4
        .value_kind:     hidden_block_count_z
      - .offset:         156
        .size:           2
        .value_kind:     hidden_group_size_x
      - .offset:         158
        .size:           2
        .value_kind:     hidden_group_size_y
      - .offset:         160
        .size:           2
        .value_kind:     hidden_group_size_z
      - .offset:         162
        .size:           2
        .value_kind:     hidden_remainder_x
      - .offset:         164
        .size:           2
        .value_kind:     hidden_remainder_y
      - .offset:         166
        .size:           2
        .value_kind:     hidden_remainder_z
      - .offset:         184
        .size:           8
        .value_kind:     hidden_global_offset_x
      - .offset:         192
        .size:           8
        .value_kind:     hidden_global_offset_y
      - .offset:         200
        .size:           8
        .value_kind:     hidden_global_offset_z
      - .offset:         208
        .size:           2
        .value_kind:     hidden_grid_dims
      - .offset:         224
        .size:           8
        .value_kind:     hidden_hostcall_buffer
    .group_segment_fixed_size: 0
    .kernarg_segment_align: 8
    .kernarg_segment_size: 400
    .language:       OpenCL C
    .language_version:
      - 2
      - 0
    .max_flat_workgroup_size: 256
    .name:           _Z39paged_attention_ll4mi_QKV_mfma16_kernelI14__hip_bfloat16hLN4vllm18Fp8KVCacheDataTypeE1ES0_Li16ELi128ELi256ELb1ELi10EEvPKT_PKT0_S8_ifPKiSA_SA_iPKfiiiPfSD_PS3_PT2_iSC_SC_
    .private_segment_fixed_size: 64
    .sgpr_count:     36
    .sgpr_spill_count: 0
    .symbol:         _Z39paged_attention_ll4mi_QKV_mfma16_kernelI14__hip_bfloat16hLN4vllm18Fp8KVCacheDataTypeE1ES0_Li16ELi128ELi256ELb1ELi10EEvPKT_PKT0_S8_ifPKiSA_SA_iPKfiiiPfSD_PS3_PT2_iSC_SC_.kd
    .uniform_work_group_size: 1
    .uses_dynamic_stack: false
    .vgpr_count:     51
    .vgpr_spill_count: 0
    .wavefront_size: 32
  - .args:
      - .actual_access:  read_only
        .address_space:  global
        .offset:         0
        .size:           8
        .value_kind:     global_buffer
      - .actual_access:  read_only
        .address_space:  global
        .offset:         8
        .size:           8
        .value_kind:     global_buffer
      - .actual_access:  read_only
        .address_space:  global
        .offset:         16
        .size:           8
        .value_kind:     global_buffer
      - .offset:         24
        .size:           4
        .value_kind:     by_value
      - .offset:         28
        .size:           4
        .value_kind:     by_value
      - .actual_access:  read_only
        .address_space:  global
        .offset:         32
        .size:           8
        .value_kind:     global_buffer
      - .actual_access:  read_only
        .address_space:  global
        .offset:         40
        .size:           8
        .value_kind:     global_buffer
      - .actual_access:  read_only
        .address_space:  global
        .offset:         48
        .size:           8
        .value_kind:     global_buffer
      - .offset:         56
        .size:           4
        .value_kind:     by_value
      - .actual_access:  read_only
        .address_space:  global
        .offset:         64
        .size:           8
        .value_kind:     global_buffer
      - .offset:         72
        .size:           4
        .value_kind:     by_value
      - .offset:         76
        .size:           4
        .value_kind:     by_value
      - .offset:         80
        .size:           4
        .value_kind:     by_value
      - .actual_access:  read_only
        .address_space:  global
        .offset:         88
        .size:           8
        .value_kind:     global_buffer
      - .actual_access:  read_only
        .address_space:  global
        .offset:         96
        .size:           8
        .value_kind:     global_buffer
      - .actual_access:  read_only
        .address_space:  global
        .offset:         104
        .size:           8
        .value_kind:     global_buffer
      - .actual_access:  read_only
        .address_space:  global
        .offset:         112
        .size:           8
        .value_kind:     global_buffer
      - .offset:         120
        .size:           4
        .value_kind:     by_value
      - .address_space:  global
        .offset:         128
        .size:           8
        .value_kind:     global_buffer
      - .address_space:  global
        .offset:         136
        .size:           8
        .value_kind:     global_buffer
      - .offset:         144
        .size:           4
        .value_kind:     hidden_block_count_x
      - .offset:         148
        .size:           4
        .value_kind:     hidden_block_count_y
      - .offset:         152
        .size:           4
        .value_kind:     hidden_block_count_z
      - .offset:         156
        .size:           2
        .value_kind:     hidden_group_size_x
      - .offset:         158
        .size:           2
        .value_kind:     hidden_group_size_y
      - .offset:         160
        .size:           2
        .value_kind:     hidden_group_size_z
      - .offset:         162
        .size:           2
        .value_kind:     hidden_remainder_x
      - .offset:         164
        .size:           2
        .value_kind:     hidden_remainder_y
      - .offset:         166
        .size:           2
        .value_kind:     hidden_remainder_z
      - .offset:         184
        .size:           8
        .value_kind:     hidden_global_offset_x
      - .offset:         192
        .size:           8
        .value_kind:     hidden_global_offset_y
      - .offset:         200
        .size:           8
        .value_kind:     hidden_global_offset_z
      - .offset:         208
        .size:           2
        .value_kind:     hidden_grid_dims
      - .offset:         224
        .size:           8
        .value_kind:     hidden_hostcall_buffer
    .group_segment_fixed_size: 0
    .kernarg_segment_align: 8
    .kernarg_segment_size: 400
    .language:       OpenCL C
    .language_version:
      - 2
      - 0
    .max_flat_workgroup_size: 256
    .name:           _Z39paged_attention_ll4mi_QKV_mfma16_kernelI14__hip_bfloat16hLN4vllm18Fp8KVCacheDataTypeE1ES0_Li16ELi128ELi256ELb1ELi11EEvPKT_PKT0_S8_ifPKiSA_SA_iPKfiiiPfSD_PS3_PT2_iSC_SC_
    .private_segment_fixed_size: 64
    .sgpr_count:     36
    .sgpr_spill_count: 0
    .symbol:         _Z39paged_attention_ll4mi_QKV_mfma16_kernelI14__hip_bfloat16hLN4vllm18Fp8KVCacheDataTypeE1ES0_Li16ELi128ELi256ELb1ELi11EEvPKT_PKT0_S8_ifPKiSA_SA_iPKfiiiPfSD_PS3_PT2_iSC_SC_.kd
    .uniform_work_group_size: 1
    .uses_dynamic_stack: false
    .vgpr_count:     51
    .vgpr_spill_count: 0
    .wavefront_size: 32
  - .args:
      - .actual_access:  read_only
        .address_space:  global
        .offset:         0
        .size:           8
        .value_kind:     global_buffer
      - .actual_access:  read_only
        .address_space:  global
        .offset:         8
        .size:           8
        .value_kind:     global_buffer
      - .actual_access:  read_only
        .address_space:  global
        .offset:         16
        .size:           8
        .value_kind:     global_buffer
      - .offset:         24
        .size:           4
        .value_kind:     by_value
      - .offset:         28
        .size:           4
        .value_kind:     by_value
      - .actual_access:  read_only
        .address_space:  global
        .offset:         32
        .size:           8
        .value_kind:     global_buffer
      - .actual_access:  read_only
        .address_space:  global
        .offset:         40
        .size:           8
        .value_kind:     global_buffer
      - .actual_access:  read_only
        .address_space:  global
        .offset:         48
        .size:           8
        .value_kind:     global_buffer
      - .offset:         56
        .size:           4
        .value_kind:     by_value
      - .actual_access:  read_only
        .address_space:  global
        .offset:         64
        .size:           8
        .value_kind:     global_buffer
      - .offset:         72
        .size:           4
        .value_kind:     by_value
      - .offset:         76
        .size:           4
        .value_kind:     by_value
      - .offset:         80
        .size:           4
        .value_kind:     by_value
      - .actual_access:  read_only
        .address_space:  global
        .offset:         88
        .size:           8
        .value_kind:     global_buffer
      - .actual_access:  read_only
        .address_space:  global
        .offset:         96
        .size:           8
        .value_kind:     global_buffer
      - .actual_access:  read_only
        .address_space:  global
        .offset:         104
        .size:           8
        .value_kind:     global_buffer
      - .actual_access:  read_only
        .address_space:  global
        .offset:         112
        .size:           8
        .value_kind:     global_buffer
      - .offset:         120
        .size:           4
        .value_kind:     by_value
      - .address_space:  global
        .offset:         128
        .size:           8
        .value_kind:     global_buffer
      - .address_space:  global
        .offset:         136
        .size:           8
        .value_kind:     global_buffer
      - .offset:         144
        .size:           4
        .value_kind:     hidden_block_count_x
      - .offset:         148
        .size:           4
        .value_kind:     hidden_block_count_y
      - .offset:         152
        .size:           4
        .value_kind:     hidden_block_count_z
      - .offset:         156
        .size:           2
        .value_kind:     hidden_group_size_x
      - .offset:         158
        .size:           2
        .value_kind:     hidden_group_size_y
      - .offset:         160
        .size:           2
        .value_kind:     hidden_group_size_z
      - .offset:         162
        .size:           2
        .value_kind:     hidden_remainder_x
      - .offset:         164
        .size:           2
        .value_kind:     hidden_remainder_y
      - .offset:         166
        .size:           2
        .value_kind:     hidden_remainder_z
      - .offset:         184
        .size:           8
        .value_kind:     hidden_global_offset_x
      - .offset:         192
        .size:           8
        .value_kind:     hidden_global_offset_y
      - .offset:         200
        .size:           8
        .value_kind:     hidden_global_offset_z
      - .offset:         208
        .size:           2
        .value_kind:     hidden_grid_dims
      - .offset:         224
        .size:           8
        .value_kind:     hidden_hostcall_buffer
    .group_segment_fixed_size: 0
    .kernarg_segment_align: 8
    .kernarg_segment_size: 400
    .language:       OpenCL C
    .language_version:
      - 2
      - 0
    .max_flat_workgroup_size: 256
    .name:           _Z39paged_attention_ll4mi_QKV_mfma16_kernelI14__hip_bfloat16hLN4vllm18Fp8KVCacheDataTypeE1ES0_Li16ELi128ELi256ELb1ELi12EEvPKT_PKT0_S8_ifPKiSA_SA_iPKfiiiPfSD_PS3_PT2_iSC_SC_
    .private_segment_fixed_size: 64
    .sgpr_count:     36
    .sgpr_spill_count: 0
    .symbol:         _Z39paged_attention_ll4mi_QKV_mfma16_kernelI14__hip_bfloat16hLN4vllm18Fp8KVCacheDataTypeE1ES0_Li16ELi128ELi256ELb1ELi12EEvPKT_PKT0_S8_ifPKiSA_SA_iPKfiiiPfSD_PS3_PT2_iSC_SC_.kd
    .uniform_work_group_size: 1
    .uses_dynamic_stack: false
    .vgpr_count:     51
    .vgpr_spill_count: 0
    .wavefront_size: 32
  - .args:
      - .actual_access:  read_only
        .address_space:  global
        .offset:         0
        .size:           8
        .value_kind:     global_buffer
      - .actual_access:  read_only
        .address_space:  global
        .offset:         8
        .size:           8
        .value_kind:     global_buffer
      - .actual_access:  read_only
        .address_space:  global
        .offset:         16
        .size:           8
        .value_kind:     global_buffer
      - .offset:         24
        .size:           4
        .value_kind:     by_value
      - .offset:         28
        .size:           4
        .value_kind:     by_value
      - .actual_access:  read_only
        .address_space:  global
        .offset:         32
        .size:           8
        .value_kind:     global_buffer
      - .actual_access:  read_only
        .address_space:  global
        .offset:         40
        .size:           8
        .value_kind:     global_buffer
      - .actual_access:  read_only
        .address_space:  global
        .offset:         48
        .size:           8
        .value_kind:     global_buffer
      - .offset:         56
        .size:           4
        .value_kind:     by_value
      - .actual_access:  read_only
        .address_space:  global
        .offset:         64
        .size:           8
        .value_kind:     global_buffer
      - .offset:         72
        .size:           4
        .value_kind:     by_value
      - .offset:         76
        .size:           4
        .value_kind:     by_value
      - .offset:         80
        .size:           4
        .value_kind:     by_value
      - .actual_access:  read_only
        .address_space:  global
        .offset:         88
        .size:           8
        .value_kind:     global_buffer
      - .actual_access:  read_only
        .address_space:  global
        .offset:         96
        .size:           8
        .value_kind:     global_buffer
      - .actual_access:  read_only
        .address_space:  global
        .offset:         104
        .size:           8
        .value_kind:     global_buffer
      - .actual_access:  read_only
        .address_space:  global
        .offset:         112
        .size:           8
        .value_kind:     global_buffer
      - .offset:         120
        .size:           4
        .value_kind:     by_value
      - .address_space:  global
        .offset:         128
        .size:           8
        .value_kind:     global_buffer
      - .address_space:  global
        .offset:         136
        .size:           8
        .value_kind:     global_buffer
      - .offset:         144
        .size:           4
        .value_kind:     hidden_block_count_x
      - .offset:         148
        .size:           4
        .value_kind:     hidden_block_count_y
      - .offset:         152
        .size:           4
        .value_kind:     hidden_block_count_z
      - .offset:         156
        .size:           2
        .value_kind:     hidden_group_size_x
      - .offset:         158
        .size:           2
        .value_kind:     hidden_group_size_y
      - .offset:         160
        .size:           2
        .value_kind:     hidden_group_size_z
      - .offset:         162
        .size:           2
        .value_kind:     hidden_remainder_x
      - .offset:         164
        .size:           2
        .value_kind:     hidden_remainder_y
      - .offset:         166
        .size:           2
        .value_kind:     hidden_remainder_z
      - .offset:         184
        .size:           8
        .value_kind:     hidden_global_offset_x
      - .offset:         192
        .size:           8
        .value_kind:     hidden_global_offset_y
      - .offset:         200
        .size:           8
        .value_kind:     hidden_global_offset_z
      - .offset:         208
        .size:           2
        .value_kind:     hidden_grid_dims
      - .offset:         224
        .size:           8
        .value_kind:     hidden_hostcall_buffer
    .group_segment_fixed_size: 0
    .kernarg_segment_align: 8
    .kernarg_segment_size: 400
    .language:       OpenCL C
    .language_version:
      - 2
      - 0
    .max_flat_workgroup_size: 256
    .name:           _Z39paged_attention_ll4mi_QKV_mfma16_kernelI14__hip_bfloat16hLN4vllm18Fp8KVCacheDataTypeE1ES0_Li16ELi128ELi256ELb1ELi13EEvPKT_PKT0_S8_ifPKiSA_SA_iPKfiiiPfSD_PS3_PT2_iSC_SC_
    .private_segment_fixed_size: 64
    .sgpr_count:     36
    .sgpr_spill_count: 0
    .symbol:         _Z39paged_attention_ll4mi_QKV_mfma16_kernelI14__hip_bfloat16hLN4vllm18Fp8KVCacheDataTypeE1ES0_Li16ELi128ELi256ELb1ELi13EEvPKT_PKT0_S8_ifPKiSA_SA_iPKfiiiPfSD_PS3_PT2_iSC_SC_.kd
    .uniform_work_group_size: 1
    .uses_dynamic_stack: false
    .vgpr_count:     51
    .vgpr_spill_count: 0
    .wavefront_size: 32
  - .args:
      - .actual_access:  read_only
        .address_space:  global
        .offset:         0
        .size:           8
        .value_kind:     global_buffer
      - .actual_access:  read_only
        .address_space:  global
        .offset:         8
        .size:           8
        .value_kind:     global_buffer
      - .actual_access:  read_only
        .address_space:  global
        .offset:         16
        .size:           8
        .value_kind:     global_buffer
      - .offset:         24
        .size:           4
        .value_kind:     by_value
      - .offset:         28
        .size:           4
        .value_kind:     by_value
      - .actual_access:  read_only
        .address_space:  global
        .offset:         32
        .size:           8
        .value_kind:     global_buffer
      - .actual_access:  read_only
        .address_space:  global
        .offset:         40
        .size:           8
        .value_kind:     global_buffer
      - .actual_access:  read_only
        .address_space:  global
        .offset:         48
        .size:           8
        .value_kind:     global_buffer
      - .offset:         56
        .size:           4
        .value_kind:     by_value
      - .actual_access:  read_only
        .address_space:  global
        .offset:         64
        .size:           8
        .value_kind:     global_buffer
      - .offset:         72
        .size:           4
        .value_kind:     by_value
      - .offset:         76
        .size:           4
        .value_kind:     by_value
      - .offset:         80
        .size:           4
        .value_kind:     by_value
      - .actual_access:  read_only
        .address_space:  global
        .offset:         88
        .size:           8
        .value_kind:     global_buffer
      - .actual_access:  read_only
        .address_space:  global
        .offset:         96
        .size:           8
        .value_kind:     global_buffer
      - .actual_access:  read_only
        .address_space:  global
        .offset:         104
        .size:           8
        .value_kind:     global_buffer
      - .actual_access:  read_only
        .address_space:  global
        .offset:         112
        .size:           8
        .value_kind:     global_buffer
      - .offset:         120
        .size:           4
        .value_kind:     by_value
      - .address_space:  global
        .offset:         128
        .size:           8
        .value_kind:     global_buffer
      - .address_space:  global
        .offset:         136
        .size:           8
        .value_kind:     global_buffer
      - .offset:         144
        .size:           4
        .value_kind:     hidden_block_count_x
      - .offset:         148
        .size:           4
        .value_kind:     hidden_block_count_y
      - .offset:         152
        .size:           4
        .value_kind:     hidden_block_count_z
      - .offset:         156
        .size:           2
        .value_kind:     hidden_group_size_x
      - .offset:         158
        .size:           2
        .value_kind:     hidden_group_size_y
      - .offset:         160
        .size:           2
        .value_kind:     hidden_group_size_z
      - .offset:         162
        .size:           2
        .value_kind:     hidden_remainder_x
      - .offset:         164
        .size:           2
        .value_kind:     hidden_remainder_y
      - .offset:         166
        .size:           2
        .value_kind:     hidden_remainder_z
      - .offset:         184
        .size:           8
        .value_kind:     hidden_global_offset_x
      - .offset:         192
        .size:           8
        .value_kind:     hidden_global_offset_y
      - .offset:         200
        .size:           8
        .value_kind:     hidden_global_offset_z
      - .offset:         208
        .size:           2
        .value_kind:     hidden_grid_dims
      - .offset:         224
        .size:           8
        .value_kind:     hidden_hostcall_buffer
    .group_segment_fixed_size: 0
    .kernarg_segment_align: 8
    .kernarg_segment_size: 400
    .language:       OpenCL C
    .language_version:
      - 2
      - 0
    .max_flat_workgroup_size: 256
    .name:           _Z39paged_attention_ll4mi_QKV_mfma16_kernelI14__hip_bfloat16hLN4vllm18Fp8KVCacheDataTypeE1ES0_Li16ELi128ELi256ELb1ELi14EEvPKT_PKT0_S8_ifPKiSA_SA_iPKfiiiPfSD_PS3_PT2_iSC_SC_
    .private_segment_fixed_size: 64
    .sgpr_count:     36
    .sgpr_spill_count: 0
    .symbol:         _Z39paged_attention_ll4mi_QKV_mfma16_kernelI14__hip_bfloat16hLN4vllm18Fp8KVCacheDataTypeE1ES0_Li16ELi128ELi256ELb1ELi14EEvPKT_PKT0_S8_ifPKiSA_SA_iPKfiiiPfSD_PS3_PT2_iSC_SC_.kd
    .uniform_work_group_size: 1
    .uses_dynamic_stack: false
    .vgpr_count:     51
    .vgpr_spill_count: 0
    .wavefront_size: 32
  - .args:
      - .actual_access:  read_only
        .address_space:  global
        .offset:         0
        .size:           8
        .value_kind:     global_buffer
      - .actual_access:  read_only
        .address_space:  global
        .offset:         8
        .size:           8
        .value_kind:     global_buffer
      - .actual_access:  read_only
        .address_space:  global
        .offset:         16
        .size:           8
        .value_kind:     global_buffer
      - .offset:         24
        .size:           4
        .value_kind:     by_value
      - .offset:         28
        .size:           4
        .value_kind:     by_value
      - .actual_access:  read_only
        .address_space:  global
        .offset:         32
        .size:           8
        .value_kind:     global_buffer
      - .actual_access:  read_only
        .address_space:  global
        .offset:         40
        .size:           8
        .value_kind:     global_buffer
      - .actual_access:  read_only
        .address_space:  global
        .offset:         48
        .size:           8
        .value_kind:     global_buffer
      - .offset:         56
        .size:           4
        .value_kind:     by_value
      - .actual_access:  read_only
        .address_space:  global
        .offset:         64
        .size:           8
        .value_kind:     global_buffer
      - .offset:         72
        .size:           4
        .value_kind:     by_value
      - .offset:         76
        .size:           4
        .value_kind:     by_value
      - .offset:         80
        .size:           4
        .value_kind:     by_value
      - .actual_access:  read_only
        .address_space:  global
        .offset:         88
        .size:           8
        .value_kind:     global_buffer
      - .actual_access:  read_only
        .address_space:  global
        .offset:         96
        .size:           8
        .value_kind:     global_buffer
      - .actual_access:  read_only
        .address_space:  global
        .offset:         104
        .size:           8
        .value_kind:     global_buffer
      - .actual_access:  read_only
        .address_space:  global
        .offset:         112
        .size:           8
        .value_kind:     global_buffer
      - .offset:         120
        .size:           4
        .value_kind:     by_value
      - .address_space:  global
        .offset:         128
        .size:           8
        .value_kind:     global_buffer
      - .address_space:  global
        .offset:         136
        .size:           8
        .value_kind:     global_buffer
      - .offset:         144
        .size:           4
        .value_kind:     hidden_block_count_x
      - .offset:         148
        .size:           4
        .value_kind:     hidden_block_count_y
      - .offset:         152
        .size:           4
        .value_kind:     hidden_block_count_z
      - .offset:         156
        .size:           2
        .value_kind:     hidden_group_size_x
      - .offset:         158
        .size:           2
        .value_kind:     hidden_group_size_y
      - .offset:         160
        .size:           2
        .value_kind:     hidden_group_size_z
      - .offset:         162
        .size:           2
        .value_kind:     hidden_remainder_x
      - .offset:         164
        .size:           2
        .value_kind:     hidden_remainder_y
      - .offset:         166
        .size:           2
        .value_kind:     hidden_remainder_z
      - .offset:         184
        .size:           8
        .value_kind:     hidden_global_offset_x
      - .offset:         192
        .size:           8
        .value_kind:     hidden_global_offset_y
      - .offset:         200
        .size:           8
        .value_kind:     hidden_global_offset_z
      - .offset:         208
        .size:           2
        .value_kind:     hidden_grid_dims
      - .offset:         224
        .size:           8
        .value_kind:     hidden_hostcall_buffer
    .group_segment_fixed_size: 0
    .kernarg_segment_align: 8
    .kernarg_segment_size: 400
    .language:       OpenCL C
    .language_version:
      - 2
      - 0
    .max_flat_workgroup_size: 256
    .name:           _Z39paged_attention_ll4mi_QKV_mfma16_kernelI14__hip_bfloat16hLN4vllm18Fp8KVCacheDataTypeE1ES0_Li16ELi128ELi256ELb1ELi15EEvPKT_PKT0_S8_ifPKiSA_SA_iPKfiiiPfSD_PS3_PT2_iSC_SC_
    .private_segment_fixed_size: 64
    .sgpr_count:     36
    .sgpr_spill_count: 0
    .symbol:         _Z39paged_attention_ll4mi_QKV_mfma16_kernelI14__hip_bfloat16hLN4vllm18Fp8KVCacheDataTypeE1ES0_Li16ELi128ELi256ELb1ELi15EEvPKT_PKT0_S8_ifPKiSA_SA_iPKfiiiPfSD_PS3_PT2_iSC_SC_.kd
    .uniform_work_group_size: 1
    .uses_dynamic_stack: false
    .vgpr_count:     51
    .vgpr_spill_count: 0
    .wavefront_size: 32
  - .args:
      - .actual_access:  read_only
        .address_space:  global
        .offset:         0
        .size:           8
        .value_kind:     global_buffer
      - .actual_access:  read_only
        .address_space:  global
        .offset:         8
        .size:           8
        .value_kind:     global_buffer
      - .actual_access:  read_only
        .address_space:  global
        .offset:         16
        .size:           8
        .value_kind:     global_buffer
      - .offset:         24
        .size:           4
        .value_kind:     by_value
      - .offset:         28
        .size:           4
        .value_kind:     by_value
      - .actual_access:  read_only
        .address_space:  global
        .offset:         32
        .size:           8
        .value_kind:     global_buffer
      - .actual_access:  read_only
        .address_space:  global
        .offset:         40
        .size:           8
        .value_kind:     global_buffer
      - .actual_access:  read_only
        .address_space:  global
        .offset:         48
        .size:           8
        .value_kind:     global_buffer
      - .offset:         56
        .size:           4
        .value_kind:     by_value
      - .actual_access:  read_only
        .address_space:  global
        .offset:         64
        .size:           8
        .value_kind:     global_buffer
      - .offset:         72
        .size:           4
        .value_kind:     by_value
      - .offset:         76
        .size:           4
        .value_kind:     by_value
      - .offset:         80
        .size:           4
        .value_kind:     by_value
      - .actual_access:  read_only
        .address_space:  global
        .offset:         88
        .size:           8
        .value_kind:     global_buffer
      - .actual_access:  read_only
        .address_space:  global
        .offset:         96
        .size:           8
        .value_kind:     global_buffer
      - .actual_access:  read_only
        .address_space:  global
        .offset:         104
        .size:           8
        .value_kind:     global_buffer
      - .actual_access:  read_only
        .address_space:  global
        .offset:         112
        .size:           8
        .value_kind:     global_buffer
      - .offset:         120
        .size:           4
        .value_kind:     by_value
      - .address_space:  global
        .offset:         128
        .size:           8
        .value_kind:     global_buffer
      - .address_space:  global
        .offset:         136
        .size:           8
        .value_kind:     global_buffer
      - .offset:         144
        .size:           4
        .value_kind:     hidden_block_count_x
      - .offset:         148
        .size:           4
        .value_kind:     hidden_block_count_y
      - .offset:         152
        .size:           4
        .value_kind:     hidden_block_count_z
      - .offset:         156
        .size:           2
        .value_kind:     hidden_group_size_x
      - .offset:         158
        .size:           2
        .value_kind:     hidden_group_size_y
      - .offset:         160
        .size:           2
        .value_kind:     hidden_group_size_z
      - .offset:         162
        .size:           2
        .value_kind:     hidden_remainder_x
      - .offset:         164
        .size:           2
        .value_kind:     hidden_remainder_y
      - .offset:         166
        .size:           2
        .value_kind:     hidden_remainder_z
      - .offset:         184
        .size:           8
        .value_kind:     hidden_global_offset_x
      - .offset:         192
        .size:           8
        .value_kind:     hidden_global_offset_y
      - .offset:         200
        .size:           8
        .value_kind:     hidden_global_offset_z
      - .offset:         208
        .size:           2
        .value_kind:     hidden_grid_dims
      - .offset:         224
        .size:           8
        .value_kind:     hidden_hostcall_buffer
    .group_segment_fixed_size: 0
    .kernarg_segment_align: 8
    .kernarg_segment_size: 400
    .language:       OpenCL C
    .language_version:
      - 2
      - 0
    .max_flat_workgroup_size: 256
    .name:           _Z39paged_attention_ll4mi_QKV_mfma16_kernelI14__hip_bfloat16hLN4vllm18Fp8KVCacheDataTypeE1ES0_Li16ELi128ELi256ELb1ELi16EEvPKT_PKT0_S8_ifPKiSA_SA_iPKfiiiPfSD_PS3_PT2_iSC_SC_
    .private_segment_fixed_size: 64
    .sgpr_count:     36
    .sgpr_spill_count: 0
    .symbol:         _Z39paged_attention_ll4mi_QKV_mfma16_kernelI14__hip_bfloat16hLN4vllm18Fp8KVCacheDataTypeE1ES0_Li16ELi128ELi256ELb1ELi16EEvPKT_PKT0_S8_ifPKiSA_SA_iPKfiiiPfSD_PS3_PT2_iSC_SC_.kd
    .uniform_work_group_size: 1
    .uses_dynamic_stack: false
    .vgpr_count:     51
    .vgpr_spill_count: 0
    .wavefront_size: 32
  - .args:
      - .actual_access:  read_only
        .address_space:  global
        .offset:         0
        .size:           8
        .value_kind:     global_buffer
      - .actual_access:  read_only
        .address_space:  global
        .offset:         8
        .size:           8
        .value_kind:     global_buffer
      - .actual_access:  read_only
        .address_space:  global
        .offset:         16
        .size:           8
        .value_kind:     global_buffer
      - .offset:         24
        .size:           4
        .value_kind:     by_value
      - .offset:         28
        .size:           4
        .value_kind:     by_value
      - .actual_access:  read_only
        .address_space:  global
        .offset:         32
        .size:           8
        .value_kind:     global_buffer
      - .actual_access:  read_only
        .address_space:  global
        .offset:         40
        .size:           8
        .value_kind:     global_buffer
      - .actual_access:  read_only
        .address_space:  global
        .offset:         48
        .size:           8
        .value_kind:     global_buffer
      - .offset:         56
        .size:           4
        .value_kind:     by_value
      - .actual_access:  read_only
        .address_space:  global
        .offset:         64
        .size:           8
        .value_kind:     global_buffer
      - .offset:         72
        .size:           4
        .value_kind:     by_value
      - .offset:         76
        .size:           4
        .value_kind:     by_value
      - .offset:         80
        .size:           4
        .value_kind:     by_value
      - .actual_access:  read_only
        .address_space:  global
        .offset:         88
        .size:           8
        .value_kind:     global_buffer
      - .actual_access:  read_only
        .address_space:  global
        .offset:         96
        .size:           8
        .value_kind:     global_buffer
      - .actual_access:  read_only
        .address_space:  global
        .offset:         104
        .size:           8
        .value_kind:     global_buffer
      - .actual_access:  read_only
        .address_space:  global
        .offset:         112
        .size:           8
        .value_kind:     global_buffer
      - .offset:         120
        .size:           4
        .value_kind:     by_value
      - .address_space:  global
        .offset:         128
        .size:           8
        .value_kind:     global_buffer
      - .address_space:  global
        .offset:         136
        .size:           8
        .value_kind:     global_buffer
      - .offset:         144
        .size:           4
        .value_kind:     hidden_block_count_x
      - .offset:         148
        .size:           4
        .value_kind:     hidden_block_count_y
      - .offset:         152
        .size:           4
        .value_kind:     hidden_block_count_z
      - .offset:         156
        .size:           2
        .value_kind:     hidden_group_size_x
      - .offset:         158
        .size:           2
        .value_kind:     hidden_group_size_y
      - .offset:         160
        .size:           2
        .value_kind:     hidden_group_size_z
      - .offset:         162
        .size:           2
        .value_kind:     hidden_remainder_x
      - .offset:         164
        .size:           2
        .value_kind:     hidden_remainder_y
      - .offset:         166
        .size:           2
        .value_kind:     hidden_remainder_z
      - .offset:         184
        .size:           8
        .value_kind:     hidden_global_offset_x
      - .offset:         192
        .size:           8
        .value_kind:     hidden_global_offset_y
      - .offset:         200
        .size:           8
        .value_kind:     hidden_global_offset_z
      - .offset:         208
        .size:           2
        .value_kind:     hidden_grid_dims
      - .offset:         224
        .size:           8
        .value_kind:     hidden_hostcall_buffer
    .group_segment_fixed_size: 0
    .kernarg_segment_align: 8
    .kernarg_segment_size: 400
    .language:       OpenCL C
    .language_version:
      - 2
      - 0
    .max_flat_workgroup_size: 256
    .name:           _Z39paged_attention_ll4mi_QKV_mfma16_kernelI14__hip_bfloat16hLN4vllm18Fp8KVCacheDataTypeE1ES0_Li16ELi128ELi256ELb1ELi1EEvPKT_PKT0_S8_ifPKiSA_SA_iPKfiiiPfSD_PS3_PT2_iSC_SC_
    .private_segment_fixed_size: 64
    .sgpr_count:     36
    .sgpr_spill_count: 0
    .symbol:         _Z39paged_attention_ll4mi_QKV_mfma16_kernelI14__hip_bfloat16hLN4vllm18Fp8KVCacheDataTypeE1ES0_Li16ELi128ELi256ELb1ELi1EEvPKT_PKT0_S8_ifPKiSA_SA_iPKfiiiPfSD_PS3_PT2_iSC_SC_.kd
    .uniform_work_group_size: 1
    .uses_dynamic_stack: false
    .vgpr_count:     51
    .vgpr_spill_count: 0
    .wavefront_size: 32
  - .args:
      - .actual_access:  read_only
        .address_space:  global
        .offset:         0
        .size:           8
        .value_kind:     global_buffer
      - .actual_access:  read_only
        .address_space:  global
        .offset:         8
        .size:           8
        .value_kind:     global_buffer
      - .actual_access:  read_only
        .address_space:  global
        .offset:         16
        .size:           8
        .value_kind:     global_buffer
      - .offset:         24
        .size:           4
        .value_kind:     by_value
      - .offset:         28
        .size:           4
        .value_kind:     by_value
      - .actual_access:  read_only
        .address_space:  global
        .offset:         32
        .size:           8
        .value_kind:     global_buffer
      - .actual_access:  read_only
        .address_space:  global
        .offset:         40
        .size:           8
        .value_kind:     global_buffer
      - .actual_access:  read_only
        .address_space:  global
        .offset:         48
        .size:           8
        .value_kind:     global_buffer
      - .offset:         56
        .size:           4
        .value_kind:     by_value
      - .actual_access:  read_only
        .address_space:  global
        .offset:         64
        .size:           8
        .value_kind:     global_buffer
      - .offset:         72
        .size:           4
        .value_kind:     by_value
      - .offset:         76
        .size:           4
        .value_kind:     by_value
      - .offset:         80
        .size:           4
        .value_kind:     by_value
      - .actual_access:  read_only
        .address_space:  global
        .offset:         88
        .size:           8
        .value_kind:     global_buffer
      - .actual_access:  read_only
        .address_space:  global
        .offset:         96
        .size:           8
        .value_kind:     global_buffer
      - .actual_access:  read_only
        .address_space:  global
        .offset:         104
        .size:           8
        .value_kind:     global_buffer
      - .actual_access:  read_only
        .address_space:  global
        .offset:         112
        .size:           8
        .value_kind:     global_buffer
      - .offset:         120
        .size:           4
        .value_kind:     by_value
      - .address_space:  global
        .offset:         128
        .size:           8
        .value_kind:     global_buffer
      - .address_space:  global
        .offset:         136
        .size:           8
        .value_kind:     global_buffer
      - .offset:         144
        .size:           4
        .value_kind:     hidden_block_count_x
      - .offset:         148
        .size:           4
        .value_kind:     hidden_block_count_y
      - .offset:         152
        .size:           4
        .value_kind:     hidden_block_count_z
      - .offset:         156
        .size:           2
        .value_kind:     hidden_group_size_x
      - .offset:         158
        .size:           2
        .value_kind:     hidden_group_size_y
      - .offset:         160
        .size:           2
        .value_kind:     hidden_group_size_z
      - .offset:         162
        .size:           2
        .value_kind:     hidden_remainder_x
      - .offset:         164
        .size:           2
        .value_kind:     hidden_remainder_y
      - .offset:         166
        .size:           2
        .value_kind:     hidden_remainder_z
      - .offset:         184
        .size:           8
        .value_kind:     hidden_global_offset_x
      - .offset:         192
        .size:           8
        .value_kind:     hidden_global_offset_y
      - .offset:         200
        .size:           8
        .value_kind:     hidden_global_offset_z
      - .offset:         208
        .size:           2
        .value_kind:     hidden_grid_dims
      - .offset:         224
        .size:           8
        .value_kind:     hidden_hostcall_buffer
    .group_segment_fixed_size: 0
    .kernarg_segment_align: 8
    .kernarg_segment_size: 400
    .language:       OpenCL C
    .language_version:
      - 2
      - 0
    .max_flat_workgroup_size: 256
    .name:           _Z39paged_attention_ll4mi_QKV_mfma16_kernelI14__hip_bfloat16hLN4vllm18Fp8KVCacheDataTypeE1ES0_Li16ELi128ELi256ELb1ELi2EEvPKT_PKT0_S8_ifPKiSA_SA_iPKfiiiPfSD_PS3_PT2_iSC_SC_
    .private_segment_fixed_size: 64
    .sgpr_count:     36
    .sgpr_spill_count: 0
    .symbol:         _Z39paged_attention_ll4mi_QKV_mfma16_kernelI14__hip_bfloat16hLN4vllm18Fp8KVCacheDataTypeE1ES0_Li16ELi128ELi256ELb1ELi2EEvPKT_PKT0_S8_ifPKiSA_SA_iPKfiiiPfSD_PS3_PT2_iSC_SC_.kd
    .uniform_work_group_size: 1
    .uses_dynamic_stack: false
    .vgpr_count:     51
    .vgpr_spill_count: 0
    .wavefront_size: 32
  - .args:
      - .actual_access:  read_only
        .address_space:  global
        .offset:         0
        .size:           8
        .value_kind:     global_buffer
      - .actual_access:  read_only
        .address_space:  global
        .offset:         8
        .size:           8
        .value_kind:     global_buffer
      - .actual_access:  read_only
        .address_space:  global
        .offset:         16
        .size:           8
        .value_kind:     global_buffer
      - .offset:         24
        .size:           4
        .value_kind:     by_value
      - .offset:         28
        .size:           4
        .value_kind:     by_value
      - .actual_access:  read_only
        .address_space:  global
        .offset:         32
        .size:           8
        .value_kind:     global_buffer
      - .actual_access:  read_only
        .address_space:  global
        .offset:         40
        .size:           8
        .value_kind:     global_buffer
      - .actual_access:  read_only
        .address_space:  global
        .offset:         48
        .size:           8
        .value_kind:     global_buffer
      - .offset:         56
        .size:           4
        .value_kind:     by_value
      - .actual_access:  read_only
        .address_space:  global
        .offset:         64
        .size:           8
        .value_kind:     global_buffer
      - .offset:         72
        .size:           4
        .value_kind:     by_value
      - .offset:         76
        .size:           4
        .value_kind:     by_value
      - .offset:         80
        .size:           4
        .value_kind:     by_value
      - .actual_access:  read_only
        .address_space:  global
        .offset:         88
        .size:           8
        .value_kind:     global_buffer
      - .actual_access:  read_only
        .address_space:  global
        .offset:         96
        .size:           8
        .value_kind:     global_buffer
      - .actual_access:  read_only
        .address_space:  global
        .offset:         104
        .size:           8
        .value_kind:     global_buffer
      - .actual_access:  read_only
        .address_space:  global
        .offset:         112
        .size:           8
        .value_kind:     global_buffer
      - .offset:         120
        .size:           4
        .value_kind:     by_value
      - .address_space:  global
        .offset:         128
        .size:           8
        .value_kind:     global_buffer
      - .address_space:  global
        .offset:         136
        .size:           8
        .value_kind:     global_buffer
      - .offset:         144
        .size:           4
        .value_kind:     hidden_block_count_x
      - .offset:         148
        .size:           4
        .value_kind:     hidden_block_count_y
      - .offset:         152
        .size:           4
        .value_kind:     hidden_block_count_z
      - .offset:         156
        .size:           2
        .value_kind:     hidden_group_size_x
      - .offset:         158
        .size:           2
        .value_kind:     hidden_group_size_y
      - .offset:         160
        .size:           2
        .value_kind:     hidden_group_size_z
      - .offset:         162
        .size:           2
        .value_kind:     hidden_remainder_x
      - .offset:         164
        .size:           2
        .value_kind:     hidden_remainder_y
      - .offset:         166
        .size:           2
        .value_kind:     hidden_remainder_z
      - .offset:         184
        .size:           8
        .value_kind:     hidden_global_offset_x
      - .offset:         192
        .size:           8
        .value_kind:     hidden_global_offset_y
      - .offset:         200
        .size:           8
        .value_kind:     hidden_global_offset_z
      - .offset:         208
        .size:           2
        .value_kind:     hidden_grid_dims
      - .offset:         224
        .size:           8
        .value_kind:     hidden_hostcall_buffer
    .group_segment_fixed_size: 0
    .kernarg_segment_align: 8
    .kernarg_segment_size: 400
    .language:       OpenCL C
    .language_version:
      - 2
      - 0
    .max_flat_workgroup_size: 256
    .name:           _Z39paged_attention_ll4mi_QKV_mfma16_kernelI14__hip_bfloat16hLN4vllm18Fp8KVCacheDataTypeE1ES0_Li16ELi128ELi256ELb1ELi3EEvPKT_PKT0_S8_ifPKiSA_SA_iPKfiiiPfSD_PS3_PT2_iSC_SC_
    .private_segment_fixed_size: 64
    .sgpr_count:     36
    .sgpr_spill_count: 0
    .symbol:         _Z39paged_attention_ll4mi_QKV_mfma16_kernelI14__hip_bfloat16hLN4vllm18Fp8KVCacheDataTypeE1ES0_Li16ELi128ELi256ELb1ELi3EEvPKT_PKT0_S8_ifPKiSA_SA_iPKfiiiPfSD_PS3_PT2_iSC_SC_.kd
    .uniform_work_group_size: 1
    .uses_dynamic_stack: false
    .vgpr_count:     51
    .vgpr_spill_count: 0
    .wavefront_size: 32
  - .args:
      - .actual_access:  read_only
        .address_space:  global
        .offset:         0
        .size:           8
        .value_kind:     global_buffer
      - .actual_access:  read_only
        .address_space:  global
        .offset:         8
        .size:           8
        .value_kind:     global_buffer
      - .actual_access:  read_only
        .address_space:  global
        .offset:         16
        .size:           8
        .value_kind:     global_buffer
      - .offset:         24
        .size:           4
        .value_kind:     by_value
      - .offset:         28
        .size:           4
        .value_kind:     by_value
      - .actual_access:  read_only
        .address_space:  global
        .offset:         32
        .size:           8
        .value_kind:     global_buffer
      - .actual_access:  read_only
        .address_space:  global
        .offset:         40
        .size:           8
        .value_kind:     global_buffer
      - .actual_access:  read_only
        .address_space:  global
        .offset:         48
        .size:           8
        .value_kind:     global_buffer
      - .offset:         56
        .size:           4
        .value_kind:     by_value
      - .actual_access:  read_only
        .address_space:  global
        .offset:         64
        .size:           8
        .value_kind:     global_buffer
      - .offset:         72
        .size:           4
        .value_kind:     by_value
      - .offset:         76
        .size:           4
        .value_kind:     by_value
      - .offset:         80
        .size:           4
        .value_kind:     by_value
      - .actual_access:  read_only
        .address_space:  global
        .offset:         88
        .size:           8
        .value_kind:     global_buffer
      - .actual_access:  read_only
        .address_space:  global
        .offset:         96
        .size:           8
        .value_kind:     global_buffer
      - .actual_access:  read_only
        .address_space:  global
        .offset:         104
        .size:           8
        .value_kind:     global_buffer
      - .actual_access:  read_only
        .address_space:  global
        .offset:         112
        .size:           8
        .value_kind:     global_buffer
      - .offset:         120
        .size:           4
        .value_kind:     by_value
      - .address_space:  global
        .offset:         128
        .size:           8
        .value_kind:     global_buffer
      - .address_space:  global
        .offset:         136
        .size:           8
        .value_kind:     global_buffer
      - .offset:         144
        .size:           4
        .value_kind:     hidden_block_count_x
      - .offset:         148
        .size:           4
        .value_kind:     hidden_block_count_y
      - .offset:         152
        .size:           4
        .value_kind:     hidden_block_count_z
      - .offset:         156
        .size:           2
        .value_kind:     hidden_group_size_x
      - .offset:         158
        .size:           2
        .value_kind:     hidden_group_size_y
      - .offset:         160
        .size:           2
        .value_kind:     hidden_group_size_z
      - .offset:         162
        .size:           2
        .value_kind:     hidden_remainder_x
      - .offset:         164
        .size:           2
        .value_kind:     hidden_remainder_y
      - .offset:         166
        .size:           2
        .value_kind:     hidden_remainder_z
      - .offset:         184
        .size:           8
        .value_kind:     hidden_global_offset_x
      - .offset:         192
        .size:           8
        .value_kind:     hidden_global_offset_y
      - .offset:         200
        .size:           8
        .value_kind:     hidden_global_offset_z
      - .offset:         208
        .size:           2
        .value_kind:     hidden_grid_dims
      - .offset:         224
        .size:           8
        .value_kind:     hidden_hostcall_buffer
    .group_segment_fixed_size: 0
    .kernarg_segment_align: 8
    .kernarg_segment_size: 400
    .language:       OpenCL C
    .language_version:
      - 2
      - 0
    .max_flat_workgroup_size: 256
    .name:           _Z39paged_attention_ll4mi_QKV_mfma16_kernelI14__hip_bfloat16hLN4vllm18Fp8KVCacheDataTypeE1ES0_Li16ELi128ELi256ELb1ELi4EEvPKT_PKT0_S8_ifPKiSA_SA_iPKfiiiPfSD_PS3_PT2_iSC_SC_
    .private_segment_fixed_size: 64
    .sgpr_count:     36
    .sgpr_spill_count: 0
    .symbol:         _Z39paged_attention_ll4mi_QKV_mfma16_kernelI14__hip_bfloat16hLN4vllm18Fp8KVCacheDataTypeE1ES0_Li16ELi128ELi256ELb1ELi4EEvPKT_PKT0_S8_ifPKiSA_SA_iPKfiiiPfSD_PS3_PT2_iSC_SC_.kd
    .uniform_work_group_size: 1
    .uses_dynamic_stack: false
    .vgpr_count:     51
    .vgpr_spill_count: 0
    .wavefront_size: 32
  - .args:
      - .actual_access:  read_only
        .address_space:  global
        .offset:         0
        .size:           8
        .value_kind:     global_buffer
      - .actual_access:  read_only
        .address_space:  global
        .offset:         8
        .size:           8
        .value_kind:     global_buffer
      - .actual_access:  read_only
        .address_space:  global
        .offset:         16
        .size:           8
        .value_kind:     global_buffer
      - .offset:         24
        .size:           4
        .value_kind:     by_value
      - .offset:         28
        .size:           4
        .value_kind:     by_value
      - .actual_access:  read_only
        .address_space:  global
        .offset:         32
        .size:           8
        .value_kind:     global_buffer
      - .actual_access:  read_only
        .address_space:  global
        .offset:         40
        .size:           8
        .value_kind:     global_buffer
      - .actual_access:  read_only
        .address_space:  global
        .offset:         48
        .size:           8
        .value_kind:     global_buffer
      - .offset:         56
        .size:           4
        .value_kind:     by_value
      - .actual_access:  read_only
        .address_space:  global
        .offset:         64
        .size:           8
        .value_kind:     global_buffer
      - .offset:         72
        .size:           4
        .value_kind:     by_value
      - .offset:         76
        .size:           4
        .value_kind:     by_value
      - .offset:         80
        .size:           4
        .value_kind:     by_value
      - .actual_access:  read_only
        .address_space:  global
        .offset:         88
        .size:           8
        .value_kind:     global_buffer
      - .actual_access:  read_only
        .address_space:  global
        .offset:         96
        .size:           8
        .value_kind:     global_buffer
      - .actual_access:  read_only
        .address_space:  global
        .offset:         104
        .size:           8
        .value_kind:     global_buffer
      - .actual_access:  read_only
        .address_space:  global
        .offset:         112
        .size:           8
        .value_kind:     global_buffer
      - .offset:         120
        .size:           4
        .value_kind:     by_value
      - .address_space:  global
        .offset:         128
        .size:           8
        .value_kind:     global_buffer
      - .address_space:  global
        .offset:         136
        .size:           8
        .value_kind:     global_buffer
      - .offset:         144
        .size:           4
        .value_kind:     hidden_block_count_x
      - .offset:         148
        .size:           4
        .value_kind:     hidden_block_count_y
      - .offset:         152
        .size:           4
        .value_kind:     hidden_block_count_z
      - .offset:         156
        .size:           2
        .value_kind:     hidden_group_size_x
      - .offset:         158
        .size:           2
        .value_kind:     hidden_group_size_y
      - .offset:         160
        .size:           2
        .value_kind:     hidden_group_size_z
      - .offset:         162
        .size:           2
        .value_kind:     hidden_remainder_x
      - .offset:         164
        .size:           2
        .value_kind:     hidden_remainder_y
      - .offset:         166
        .size:           2
        .value_kind:     hidden_remainder_z
      - .offset:         184
        .size:           8
        .value_kind:     hidden_global_offset_x
      - .offset:         192
        .size:           8
        .value_kind:     hidden_global_offset_y
      - .offset:         200
        .size:           8
        .value_kind:     hidden_global_offset_z
      - .offset:         208
        .size:           2
        .value_kind:     hidden_grid_dims
      - .offset:         224
        .size:           8
        .value_kind:     hidden_hostcall_buffer
    .group_segment_fixed_size: 0
    .kernarg_segment_align: 8
    .kernarg_segment_size: 400
    .language:       OpenCL C
    .language_version:
      - 2
      - 0
    .max_flat_workgroup_size: 256
    .name:           _Z38paged_attention_ll4mi_QKV_mfma4_kernelI14__hip_bfloat16hLN4vllm18Fp8KVCacheDataTypeE1ES0_Li16ELi128ELi256ELb0ELi1EEvPKT_PKT0_S8_ifPKiSA_SA_iPKfiiiPfSD_PS3_PT2_iSC_SC_
    .private_segment_fixed_size: 64
    .sgpr_count:     36
    .sgpr_spill_count: 0
    .symbol:         _Z38paged_attention_ll4mi_QKV_mfma4_kernelI14__hip_bfloat16hLN4vllm18Fp8KVCacheDataTypeE1ES0_Li16ELi128ELi256ELb0ELi1EEvPKT_PKT0_S8_ifPKiSA_SA_iPKfiiiPfSD_PS3_PT2_iSC_SC_.kd
    .uniform_work_group_size: 1
    .uses_dynamic_stack: false
    .vgpr_count:     51
    .vgpr_spill_count: 0
    .wavefront_size: 32
  - .args:
      - .actual_access:  read_only
        .address_space:  global
        .offset:         0
        .size:           8
        .value_kind:     global_buffer
      - .actual_access:  read_only
        .address_space:  global
        .offset:         8
        .size:           8
        .value_kind:     global_buffer
      - .actual_access:  read_only
        .address_space:  global
        .offset:         16
        .size:           8
        .value_kind:     global_buffer
      - .offset:         24
        .size:           4
        .value_kind:     by_value
      - .offset:         28
        .size:           4
        .value_kind:     by_value
      - .actual_access:  read_only
        .address_space:  global
        .offset:         32
        .size:           8
        .value_kind:     global_buffer
      - .actual_access:  read_only
        .address_space:  global
        .offset:         40
        .size:           8
        .value_kind:     global_buffer
      - .actual_access:  read_only
        .address_space:  global
        .offset:         48
        .size:           8
        .value_kind:     global_buffer
      - .offset:         56
        .size:           4
        .value_kind:     by_value
      - .actual_access:  read_only
        .address_space:  global
        .offset:         64
        .size:           8
        .value_kind:     global_buffer
      - .offset:         72
        .size:           4
        .value_kind:     by_value
      - .offset:         76
        .size:           4
        .value_kind:     by_value
      - .offset:         80
        .size:           4
        .value_kind:     by_value
      - .actual_access:  read_only
        .address_space:  global
        .offset:         88
        .size:           8
        .value_kind:     global_buffer
      - .actual_access:  read_only
        .address_space:  global
        .offset:         96
        .size:           8
        .value_kind:     global_buffer
      - .actual_access:  read_only
        .address_space:  global
        .offset:         104
        .size:           8
        .value_kind:     global_buffer
      - .actual_access:  read_only
        .address_space:  global
        .offset:         112
        .size:           8
        .value_kind:     global_buffer
      - .offset:         120
        .size:           4
        .value_kind:     by_value
      - .address_space:  global
        .offset:         128
        .size:           8
        .value_kind:     global_buffer
      - .address_space:  global
        .offset:         136
        .size:           8
        .value_kind:     global_buffer
      - .offset:         144
        .size:           4
        .value_kind:     hidden_block_count_x
      - .offset:         148
        .size:           4
        .value_kind:     hidden_block_count_y
      - .offset:         152
        .size:           4
        .value_kind:     hidden_block_count_z
      - .offset:         156
        .size:           2
        .value_kind:     hidden_group_size_x
      - .offset:         158
        .size:           2
        .value_kind:     hidden_group_size_y
      - .offset:         160
        .size:           2
        .value_kind:     hidden_group_size_z
      - .offset:         162
        .size:           2
        .value_kind:     hidden_remainder_x
      - .offset:         164
        .size:           2
        .value_kind:     hidden_remainder_y
      - .offset:         166
        .size:           2
        .value_kind:     hidden_remainder_z
      - .offset:         184
        .size:           8
        .value_kind:     hidden_global_offset_x
      - .offset:         192
        .size:           8
        .value_kind:     hidden_global_offset_y
      - .offset:         200
        .size:           8
        .value_kind:     hidden_global_offset_z
      - .offset:         208
        .size:           2
        .value_kind:     hidden_grid_dims
      - .offset:         224
        .size:           8
        .value_kind:     hidden_hostcall_buffer
    .group_segment_fixed_size: 0
    .kernarg_segment_align: 8
    .kernarg_segment_size: 400
    .language:       OpenCL C
    .language_version:
      - 2
      - 0
    .max_flat_workgroup_size: 256
    .name:           _Z38paged_attention_ll4mi_QKV_mfma4_kernelI14__hip_bfloat16hLN4vllm18Fp8KVCacheDataTypeE1ES0_Li16ELi128ELi256ELb0ELi2EEvPKT_PKT0_S8_ifPKiSA_SA_iPKfiiiPfSD_PS3_PT2_iSC_SC_
    .private_segment_fixed_size: 64
    .sgpr_count:     36
    .sgpr_spill_count: 0
    .symbol:         _Z38paged_attention_ll4mi_QKV_mfma4_kernelI14__hip_bfloat16hLN4vllm18Fp8KVCacheDataTypeE1ES0_Li16ELi128ELi256ELb0ELi2EEvPKT_PKT0_S8_ifPKiSA_SA_iPKfiiiPfSD_PS3_PT2_iSC_SC_.kd
    .uniform_work_group_size: 1
    .uses_dynamic_stack: false
    .vgpr_count:     51
    .vgpr_spill_count: 0
    .wavefront_size: 32
  - .args:
      - .actual_access:  read_only
        .address_space:  global
        .offset:         0
        .size:           8
        .value_kind:     global_buffer
      - .actual_access:  read_only
        .address_space:  global
        .offset:         8
        .size:           8
        .value_kind:     global_buffer
      - .actual_access:  read_only
        .address_space:  global
        .offset:         16
        .size:           8
        .value_kind:     global_buffer
      - .offset:         24
        .size:           4
        .value_kind:     by_value
      - .offset:         28
        .size:           4
        .value_kind:     by_value
      - .actual_access:  read_only
        .address_space:  global
        .offset:         32
        .size:           8
        .value_kind:     global_buffer
      - .actual_access:  read_only
        .address_space:  global
        .offset:         40
        .size:           8
        .value_kind:     global_buffer
      - .actual_access:  read_only
        .address_space:  global
        .offset:         48
        .size:           8
        .value_kind:     global_buffer
      - .offset:         56
        .size:           4
        .value_kind:     by_value
      - .actual_access:  read_only
        .address_space:  global
        .offset:         64
        .size:           8
        .value_kind:     global_buffer
      - .offset:         72
        .size:           4
        .value_kind:     by_value
      - .offset:         76
        .size:           4
        .value_kind:     by_value
      - .offset:         80
        .size:           4
        .value_kind:     by_value
      - .actual_access:  read_only
        .address_space:  global
        .offset:         88
        .size:           8
        .value_kind:     global_buffer
      - .actual_access:  read_only
        .address_space:  global
        .offset:         96
        .size:           8
        .value_kind:     global_buffer
      - .actual_access:  read_only
        .address_space:  global
        .offset:         104
        .size:           8
        .value_kind:     global_buffer
      - .actual_access:  read_only
        .address_space:  global
        .offset:         112
        .size:           8
        .value_kind:     global_buffer
      - .offset:         120
        .size:           4
        .value_kind:     by_value
      - .address_space:  global
        .offset:         128
        .size:           8
        .value_kind:     global_buffer
      - .address_space:  global
        .offset:         136
        .size:           8
        .value_kind:     global_buffer
      - .offset:         144
        .size:           4
        .value_kind:     hidden_block_count_x
      - .offset:         148
        .size:           4
        .value_kind:     hidden_block_count_y
      - .offset:         152
        .size:           4
        .value_kind:     hidden_block_count_z
      - .offset:         156
        .size:           2
        .value_kind:     hidden_group_size_x
      - .offset:         158
        .size:           2
        .value_kind:     hidden_group_size_y
      - .offset:         160
        .size:           2
        .value_kind:     hidden_group_size_z
      - .offset:         162
        .size:           2
        .value_kind:     hidden_remainder_x
      - .offset:         164
        .size:           2
        .value_kind:     hidden_remainder_y
      - .offset:         166
        .size:           2
        .value_kind:     hidden_remainder_z
      - .offset:         184
        .size:           8
        .value_kind:     hidden_global_offset_x
      - .offset:         192
        .size:           8
        .value_kind:     hidden_global_offset_y
      - .offset:         200
        .size:           8
        .value_kind:     hidden_global_offset_z
      - .offset:         208
        .size:           2
        .value_kind:     hidden_grid_dims
      - .offset:         224
        .size:           8
        .value_kind:     hidden_hostcall_buffer
    .group_segment_fixed_size: 0
    .kernarg_segment_align: 8
    .kernarg_segment_size: 400
    .language:       OpenCL C
    .language_version:
      - 2
      - 0
    .max_flat_workgroup_size: 256
    .name:           _Z38paged_attention_ll4mi_QKV_mfma4_kernelI14__hip_bfloat16hLN4vllm18Fp8KVCacheDataTypeE1ES0_Li16ELi128ELi256ELb0ELi3EEvPKT_PKT0_S8_ifPKiSA_SA_iPKfiiiPfSD_PS3_PT2_iSC_SC_
    .private_segment_fixed_size: 64
    .sgpr_count:     36
    .sgpr_spill_count: 0
    .symbol:         _Z38paged_attention_ll4mi_QKV_mfma4_kernelI14__hip_bfloat16hLN4vllm18Fp8KVCacheDataTypeE1ES0_Li16ELi128ELi256ELb0ELi3EEvPKT_PKT0_S8_ifPKiSA_SA_iPKfiiiPfSD_PS3_PT2_iSC_SC_.kd
    .uniform_work_group_size: 1
    .uses_dynamic_stack: false
    .vgpr_count:     51
    .vgpr_spill_count: 0
    .wavefront_size: 32
  - .args:
      - .actual_access:  read_only
        .address_space:  global
        .offset:         0
        .size:           8
        .value_kind:     global_buffer
      - .actual_access:  read_only
        .address_space:  global
        .offset:         8
        .size:           8
        .value_kind:     global_buffer
      - .actual_access:  read_only
        .address_space:  global
        .offset:         16
        .size:           8
        .value_kind:     global_buffer
      - .offset:         24
        .size:           4
        .value_kind:     by_value
      - .offset:         28
        .size:           4
        .value_kind:     by_value
      - .actual_access:  read_only
        .address_space:  global
        .offset:         32
        .size:           8
        .value_kind:     global_buffer
      - .actual_access:  read_only
        .address_space:  global
        .offset:         40
        .size:           8
        .value_kind:     global_buffer
      - .actual_access:  read_only
        .address_space:  global
        .offset:         48
        .size:           8
        .value_kind:     global_buffer
      - .offset:         56
        .size:           4
        .value_kind:     by_value
      - .actual_access:  read_only
        .address_space:  global
        .offset:         64
        .size:           8
        .value_kind:     global_buffer
      - .offset:         72
        .size:           4
        .value_kind:     by_value
      - .offset:         76
        .size:           4
        .value_kind:     by_value
      - .offset:         80
        .size:           4
        .value_kind:     by_value
      - .actual_access:  read_only
        .address_space:  global
        .offset:         88
        .size:           8
        .value_kind:     global_buffer
      - .actual_access:  read_only
        .address_space:  global
        .offset:         96
        .size:           8
        .value_kind:     global_buffer
      - .actual_access:  read_only
        .address_space:  global
        .offset:         104
        .size:           8
        .value_kind:     global_buffer
      - .actual_access:  read_only
        .address_space:  global
        .offset:         112
        .size:           8
        .value_kind:     global_buffer
      - .offset:         120
        .size:           4
        .value_kind:     by_value
      - .address_space:  global
        .offset:         128
        .size:           8
        .value_kind:     global_buffer
      - .address_space:  global
        .offset:         136
        .size:           8
        .value_kind:     global_buffer
      - .offset:         144
        .size:           4
        .value_kind:     hidden_block_count_x
      - .offset:         148
        .size:           4
        .value_kind:     hidden_block_count_y
      - .offset:         152
        .size:           4
        .value_kind:     hidden_block_count_z
      - .offset:         156
        .size:           2
        .value_kind:     hidden_group_size_x
      - .offset:         158
        .size:           2
        .value_kind:     hidden_group_size_y
      - .offset:         160
        .size:           2
        .value_kind:     hidden_group_size_z
      - .offset:         162
        .size:           2
        .value_kind:     hidden_remainder_x
      - .offset:         164
        .size:           2
        .value_kind:     hidden_remainder_y
      - .offset:         166
        .size:           2
        .value_kind:     hidden_remainder_z
      - .offset:         184
        .size:           8
        .value_kind:     hidden_global_offset_x
      - .offset:         192
        .size:           8
        .value_kind:     hidden_global_offset_y
      - .offset:         200
        .size:           8
        .value_kind:     hidden_global_offset_z
      - .offset:         208
        .size:           2
        .value_kind:     hidden_grid_dims
      - .offset:         224
        .size:           8
        .value_kind:     hidden_hostcall_buffer
    .group_segment_fixed_size: 0
    .kernarg_segment_align: 8
    .kernarg_segment_size: 400
    .language:       OpenCL C
    .language_version:
      - 2
      - 0
    .max_flat_workgroup_size: 256
    .name:           _Z38paged_attention_ll4mi_QKV_mfma4_kernelI14__hip_bfloat16hLN4vllm18Fp8KVCacheDataTypeE1ES0_Li16ELi128ELi256ELb0ELi4EEvPKT_PKT0_S8_ifPKiSA_SA_iPKfiiiPfSD_PS3_PT2_iSC_SC_
    .private_segment_fixed_size: 64
    .sgpr_count:     36
    .sgpr_spill_count: 0
    .symbol:         _Z38paged_attention_ll4mi_QKV_mfma4_kernelI14__hip_bfloat16hLN4vllm18Fp8KVCacheDataTypeE1ES0_Li16ELi128ELi256ELb0ELi4EEvPKT_PKT0_S8_ifPKiSA_SA_iPKfiiiPfSD_PS3_PT2_iSC_SC_.kd
    .uniform_work_group_size: 1
    .uses_dynamic_stack: false
    .vgpr_count:     51
    .vgpr_spill_count: 0
    .wavefront_size: 32
  - .args:
      - .actual_access:  read_only
        .address_space:  global
        .offset:         0
        .size:           8
        .value_kind:     global_buffer
      - .actual_access:  read_only
        .address_space:  global
        .offset:         8
        .size:           8
        .value_kind:     global_buffer
      - .actual_access:  read_only
        .address_space:  global
        .offset:         16
        .size:           8
        .value_kind:     global_buffer
      - .offset:         24
        .size:           4
        .value_kind:     by_value
      - .offset:         28
        .size:           4
        .value_kind:     by_value
      - .actual_access:  read_only
        .address_space:  global
        .offset:         32
        .size:           8
        .value_kind:     global_buffer
      - .actual_access:  read_only
        .address_space:  global
        .offset:         40
        .size:           8
        .value_kind:     global_buffer
      - .actual_access:  read_only
        .address_space:  global
        .offset:         48
        .size:           8
        .value_kind:     global_buffer
      - .offset:         56
        .size:           4
        .value_kind:     by_value
      - .actual_access:  read_only
        .address_space:  global
        .offset:         64
        .size:           8
        .value_kind:     global_buffer
      - .offset:         72
        .size:           4
        .value_kind:     by_value
      - .offset:         76
        .size:           4
        .value_kind:     by_value
      - .offset:         80
        .size:           4
        .value_kind:     by_value
      - .actual_access:  read_only
        .address_space:  global
        .offset:         88
        .size:           8
        .value_kind:     global_buffer
      - .actual_access:  read_only
        .address_space:  global
        .offset:         96
        .size:           8
        .value_kind:     global_buffer
      - .actual_access:  read_only
        .address_space:  global
        .offset:         104
        .size:           8
        .value_kind:     global_buffer
      - .actual_access:  read_only
        .address_space:  global
        .offset:         112
        .size:           8
        .value_kind:     global_buffer
      - .offset:         120
        .size:           4
        .value_kind:     by_value
      - .address_space:  global
        .offset:         128
        .size:           8
        .value_kind:     global_buffer
      - .address_space:  global
        .offset:         136
        .size:           8
        .value_kind:     global_buffer
      - .offset:         144
        .size:           4
        .value_kind:     hidden_block_count_x
      - .offset:         148
        .size:           4
        .value_kind:     hidden_block_count_y
      - .offset:         152
        .size:           4
        .value_kind:     hidden_block_count_z
      - .offset:         156
        .size:           2
        .value_kind:     hidden_group_size_x
      - .offset:         158
        .size:           2
        .value_kind:     hidden_group_size_y
      - .offset:         160
        .size:           2
        .value_kind:     hidden_group_size_z
      - .offset:         162
        .size:           2
        .value_kind:     hidden_remainder_x
      - .offset:         164
        .size:           2
        .value_kind:     hidden_remainder_y
      - .offset:         166
        .size:           2
        .value_kind:     hidden_remainder_z
      - .offset:         184
        .size:           8
        .value_kind:     hidden_global_offset_x
      - .offset:         192
        .size:           8
        .value_kind:     hidden_global_offset_y
      - .offset:         200
        .size:           8
        .value_kind:     hidden_global_offset_z
      - .offset:         208
        .size:           2
        .value_kind:     hidden_grid_dims
      - .offset:         224
        .size:           8
        .value_kind:     hidden_hostcall_buffer
    .group_segment_fixed_size: 0
    .kernarg_segment_align: 8
    .kernarg_segment_size: 400
    .language:       OpenCL C
    .language_version:
      - 2
      - 0
    .max_flat_workgroup_size: 256
    .name:           _Z39paged_attention_ll4mi_QKV_mfma16_kernelI14__hip_bfloat16hLN4vllm18Fp8KVCacheDataTypeE1ES0_Li16ELi128ELi256ELb0ELi5EEvPKT_PKT0_S8_ifPKiSA_SA_iPKfiiiPfSD_PS3_PT2_iSC_SC_
    .private_segment_fixed_size: 64
    .sgpr_count:     36
    .sgpr_spill_count: 0
    .symbol:         _Z39paged_attention_ll4mi_QKV_mfma16_kernelI14__hip_bfloat16hLN4vllm18Fp8KVCacheDataTypeE1ES0_Li16ELi128ELi256ELb0ELi5EEvPKT_PKT0_S8_ifPKiSA_SA_iPKfiiiPfSD_PS3_PT2_iSC_SC_.kd
    .uniform_work_group_size: 1
    .uses_dynamic_stack: false
    .vgpr_count:     51
    .vgpr_spill_count: 0
    .wavefront_size: 32
  - .args:
      - .actual_access:  read_only
        .address_space:  global
        .offset:         0
        .size:           8
        .value_kind:     global_buffer
      - .actual_access:  read_only
        .address_space:  global
        .offset:         8
        .size:           8
        .value_kind:     global_buffer
      - .actual_access:  read_only
        .address_space:  global
        .offset:         16
        .size:           8
        .value_kind:     global_buffer
      - .offset:         24
        .size:           4
        .value_kind:     by_value
      - .offset:         28
        .size:           4
        .value_kind:     by_value
      - .actual_access:  read_only
        .address_space:  global
        .offset:         32
        .size:           8
        .value_kind:     global_buffer
      - .actual_access:  read_only
        .address_space:  global
        .offset:         40
        .size:           8
        .value_kind:     global_buffer
      - .actual_access:  read_only
        .address_space:  global
        .offset:         48
        .size:           8
        .value_kind:     global_buffer
      - .offset:         56
        .size:           4
        .value_kind:     by_value
      - .actual_access:  read_only
        .address_space:  global
        .offset:         64
        .size:           8
        .value_kind:     global_buffer
      - .offset:         72
        .size:           4
        .value_kind:     by_value
      - .offset:         76
        .size:           4
        .value_kind:     by_value
      - .offset:         80
        .size:           4
        .value_kind:     by_value
      - .actual_access:  read_only
        .address_space:  global
        .offset:         88
        .size:           8
        .value_kind:     global_buffer
      - .actual_access:  read_only
        .address_space:  global
        .offset:         96
        .size:           8
        .value_kind:     global_buffer
      - .actual_access:  read_only
        .address_space:  global
        .offset:         104
        .size:           8
        .value_kind:     global_buffer
      - .actual_access:  read_only
        .address_space:  global
        .offset:         112
        .size:           8
        .value_kind:     global_buffer
      - .offset:         120
        .size:           4
        .value_kind:     by_value
      - .address_space:  global
        .offset:         128
        .size:           8
        .value_kind:     global_buffer
      - .address_space:  global
        .offset:         136
        .size:           8
        .value_kind:     global_buffer
      - .offset:         144
        .size:           4
        .value_kind:     hidden_block_count_x
      - .offset:         148
        .size:           4
        .value_kind:     hidden_block_count_y
      - .offset:         152
        .size:           4
        .value_kind:     hidden_block_count_z
      - .offset:         156
        .size:           2
        .value_kind:     hidden_group_size_x
      - .offset:         158
        .size:           2
        .value_kind:     hidden_group_size_y
      - .offset:         160
        .size:           2
        .value_kind:     hidden_group_size_z
      - .offset:         162
        .size:           2
        .value_kind:     hidden_remainder_x
      - .offset:         164
        .size:           2
        .value_kind:     hidden_remainder_y
      - .offset:         166
        .size:           2
        .value_kind:     hidden_remainder_z
      - .offset:         184
        .size:           8
        .value_kind:     hidden_global_offset_x
      - .offset:         192
        .size:           8
        .value_kind:     hidden_global_offset_y
      - .offset:         200
        .size:           8
        .value_kind:     hidden_global_offset_z
      - .offset:         208
        .size:           2
        .value_kind:     hidden_grid_dims
      - .offset:         224
        .size:           8
        .value_kind:     hidden_hostcall_buffer
    .group_segment_fixed_size: 0
    .kernarg_segment_align: 8
    .kernarg_segment_size: 400
    .language:       OpenCL C
    .language_version:
      - 2
      - 0
    .max_flat_workgroup_size: 256
    .name:           _Z39paged_attention_ll4mi_QKV_mfma16_kernelI14__hip_bfloat16hLN4vllm18Fp8KVCacheDataTypeE1ES0_Li16ELi128ELi256ELb0ELi6EEvPKT_PKT0_S8_ifPKiSA_SA_iPKfiiiPfSD_PS3_PT2_iSC_SC_
    .private_segment_fixed_size: 64
    .sgpr_count:     36
    .sgpr_spill_count: 0
    .symbol:         _Z39paged_attention_ll4mi_QKV_mfma16_kernelI14__hip_bfloat16hLN4vllm18Fp8KVCacheDataTypeE1ES0_Li16ELi128ELi256ELb0ELi6EEvPKT_PKT0_S8_ifPKiSA_SA_iPKfiiiPfSD_PS3_PT2_iSC_SC_.kd
    .uniform_work_group_size: 1
    .uses_dynamic_stack: false
    .vgpr_count:     51
    .vgpr_spill_count: 0
    .wavefront_size: 32
  - .args:
      - .actual_access:  read_only
        .address_space:  global
        .offset:         0
        .size:           8
        .value_kind:     global_buffer
      - .actual_access:  read_only
        .address_space:  global
        .offset:         8
        .size:           8
        .value_kind:     global_buffer
      - .actual_access:  read_only
        .address_space:  global
        .offset:         16
        .size:           8
        .value_kind:     global_buffer
      - .offset:         24
        .size:           4
        .value_kind:     by_value
      - .offset:         28
        .size:           4
        .value_kind:     by_value
      - .actual_access:  read_only
        .address_space:  global
        .offset:         32
        .size:           8
        .value_kind:     global_buffer
      - .actual_access:  read_only
        .address_space:  global
        .offset:         40
        .size:           8
        .value_kind:     global_buffer
      - .actual_access:  read_only
        .address_space:  global
        .offset:         48
        .size:           8
        .value_kind:     global_buffer
      - .offset:         56
        .size:           4
        .value_kind:     by_value
      - .actual_access:  read_only
        .address_space:  global
        .offset:         64
        .size:           8
        .value_kind:     global_buffer
      - .offset:         72
        .size:           4
        .value_kind:     by_value
      - .offset:         76
        .size:           4
        .value_kind:     by_value
      - .offset:         80
        .size:           4
        .value_kind:     by_value
      - .actual_access:  read_only
        .address_space:  global
        .offset:         88
        .size:           8
        .value_kind:     global_buffer
      - .actual_access:  read_only
        .address_space:  global
        .offset:         96
        .size:           8
        .value_kind:     global_buffer
      - .actual_access:  read_only
        .address_space:  global
        .offset:         104
        .size:           8
        .value_kind:     global_buffer
      - .actual_access:  read_only
        .address_space:  global
        .offset:         112
        .size:           8
        .value_kind:     global_buffer
      - .offset:         120
        .size:           4
        .value_kind:     by_value
      - .address_space:  global
        .offset:         128
        .size:           8
        .value_kind:     global_buffer
      - .address_space:  global
        .offset:         136
        .size:           8
        .value_kind:     global_buffer
      - .offset:         144
        .size:           4
        .value_kind:     hidden_block_count_x
      - .offset:         148
        .size:           4
        .value_kind:     hidden_block_count_y
      - .offset:         152
        .size:           4
        .value_kind:     hidden_block_count_z
      - .offset:         156
        .size:           2
        .value_kind:     hidden_group_size_x
      - .offset:         158
        .size:           2
        .value_kind:     hidden_group_size_y
      - .offset:         160
        .size:           2
        .value_kind:     hidden_group_size_z
      - .offset:         162
        .size:           2
        .value_kind:     hidden_remainder_x
      - .offset:         164
        .size:           2
        .value_kind:     hidden_remainder_y
      - .offset:         166
        .size:           2
        .value_kind:     hidden_remainder_z
      - .offset:         184
        .size:           8
        .value_kind:     hidden_global_offset_x
      - .offset:         192
        .size:           8
        .value_kind:     hidden_global_offset_y
      - .offset:         200
        .size:           8
        .value_kind:     hidden_global_offset_z
      - .offset:         208
        .size:           2
        .value_kind:     hidden_grid_dims
      - .offset:         224
        .size:           8
        .value_kind:     hidden_hostcall_buffer
    .group_segment_fixed_size: 0
    .kernarg_segment_align: 8
    .kernarg_segment_size: 400
    .language:       OpenCL C
    .language_version:
      - 2
      - 0
    .max_flat_workgroup_size: 256
    .name:           _Z39paged_attention_ll4mi_QKV_mfma16_kernelI14__hip_bfloat16hLN4vllm18Fp8KVCacheDataTypeE1ES0_Li16ELi128ELi256ELb0ELi7EEvPKT_PKT0_S8_ifPKiSA_SA_iPKfiiiPfSD_PS3_PT2_iSC_SC_
    .private_segment_fixed_size: 64
    .sgpr_count:     36
    .sgpr_spill_count: 0
    .symbol:         _Z39paged_attention_ll4mi_QKV_mfma16_kernelI14__hip_bfloat16hLN4vllm18Fp8KVCacheDataTypeE1ES0_Li16ELi128ELi256ELb0ELi7EEvPKT_PKT0_S8_ifPKiSA_SA_iPKfiiiPfSD_PS3_PT2_iSC_SC_.kd
    .uniform_work_group_size: 1
    .uses_dynamic_stack: false
    .vgpr_count:     51
    .vgpr_spill_count: 0
    .wavefront_size: 32
  - .args:
      - .actual_access:  read_only
        .address_space:  global
        .offset:         0
        .size:           8
        .value_kind:     global_buffer
      - .actual_access:  read_only
        .address_space:  global
        .offset:         8
        .size:           8
        .value_kind:     global_buffer
      - .actual_access:  read_only
        .address_space:  global
        .offset:         16
        .size:           8
        .value_kind:     global_buffer
      - .offset:         24
        .size:           4
        .value_kind:     by_value
      - .offset:         28
        .size:           4
        .value_kind:     by_value
      - .actual_access:  read_only
        .address_space:  global
        .offset:         32
        .size:           8
        .value_kind:     global_buffer
      - .actual_access:  read_only
        .address_space:  global
        .offset:         40
        .size:           8
        .value_kind:     global_buffer
      - .actual_access:  read_only
        .address_space:  global
        .offset:         48
        .size:           8
        .value_kind:     global_buffer
      - .offset:         56
        .size:           4
        .value_kind:     by_value
      - .actual_access:  read_only
        .address_space:  global
        .offset:         64
        .size:           8
        .value_kind:     global_buffer
      - .offset:         72
        .size:           4
        .value_kind:     by_value
      - .offset:         76
        .size:           4
        .value_kind:     by_value
      - .offset:         80
        .size:           4
        .value_kind:     by_value
      - .actual_access:  read_only
        .address_space:  global
        .offset:         88
        .size:           8
        .value_kind:     global_buffer
      - .actual_access:  read_only
        .address_space:  global
        .offset:         96
        .size:           8
        .value_kind:     global_buffer
      - .actual_access:  read_only
        .address_space:  global
        .offset:         104
        .size:           8
        .value_kind:     global_buffer
      - .actual_access:  read_only
        .address_space:  global
        .offset:         112
        .size:           8
        .value_kind:     global_buffer
      - .offset:         120
        .size:           4
        .value_kind:     by_value
      - .address_space:  global
        .offset:         128
        .size:           8
        .value_kind:     global_buffer
      - .address_space:  global
        .offset:         136
        .size:           8
        .value_kind:     global_buffer
      - .offset:         144
        .size:           4
        .value_kind:     hidden_block_count_x
      - .offset:         148
        .size:           4
        .value_kind:     hidden_block_count_y
      - .offset:         152
        .size:           4
        .value_kind:     hidden_block_count_z
      - .offset:         156
        .size:           2
        .value_kind:     hidden_group_size_x
      - .offset:         158
        .size:           2
        .value_kind:     hidden_group_size_y
      - .offset:         160
        .size:           2
        .value_kind:     hidden_group_size_z
      - .offset:         162
        .size:           2
        .value_kind:     hidden_remainder_x
      - .offset:         164
        .size:           2
        .value_kind:     hidden_remainder_y
      - .offset:         166
        .size:           2
        .value_kind:     hidden_remainder_z
      - .offset:         184
        .size:           8
        .value_kind:     hidden_global_offset_x
      - .offset:         192
        .size:           8
        .value_kind:     hidden_global_offset_y
      - .offset:         200
        .size:           8
        .value_kind:     hidden_global_offset_z
      - .offset:         208
        .size:           2
        .value_kind:     hidden_grid_dims
      - .offset:         224
        .size:           8
        .value_kind:     hidden_hostcall_buffer
    .group_segment_fixed_size: 0
    .kernarg_segment_align: 8
    .kernarg_segment_size: 400
    .language:       OpenCL C
    .language_version:
      - 2
      - 0
    .max_flat_workgroup_size: 256
    .name:           _Z39paged_attention_ll4mi_QKV_mfma16_kernelI14__hip_bfloat16hLN4vllm18Fp8KVCacheDataTypeE1ES0_Li16ELi128ELi256ELb0ELi8EEvPKT_PKT0_S8_ifPKiSA_SA_iPKfiiiPfSD_PS3_PT2_iSC_SC_
    .private_segment_fixed_size: 64
    .sgpr_count:     36
    .sgpr_spill_count: 0
    .symbol:         _Z39paged_attention_ll4mi_QKV_mfma16_kernelI14__hip_bfloat16hLN4vllm18Fp8KVCacheDataTypeE1ES0_Li16ELi128ELi256ELb0ELi8EEvPKT_PKT0_S8_ifPKiSA_SA_iPKfiiiPfSD_PS3_PT2_iSC_SC_.kd
    .uniform_work_group_size: 1
    .uses_dynamic_stack: false
    .vgpr_count:     51
    .vgpr_spill_count: 0
    .wavefront_size: 32
  - .args:
      - .actual_access:  read_only
        .address_space:  global
        .offset:         0
        .size:           8
        .value_kind:     global_buffer
      - .actual_access:  read_only
        .address_space:  global
        .offset:         8
        .size:           8
        .value_kind:     global_buffer
      - .actual_access:  read_only
        .address_space:  global
        .offset:         16
        .size:           8
        .value_kind:     global_buffer
      - .offset:         24
        .size:           4
        .value_kind:     by_value
      - .offset:         28
        .size:           4
        .value_kind:     by_value
      - .actual_access:  read_only
        .address_space:  global
        .offset:         32
        .size:           8
        .value_kind:     global_buffer
      - .actual_access:  read_only
        .address_space:  global
        .offset:         40
        .size:           8
        .value_kind:     global_buffer
      - .actual_access:  read_only
        .address_space:  global
        .offset:         48
        .size:           8
        .value_kind:     global_buffer
      - .offset:         56
        .size:           4
        .value_kind:     by_value
      - .actual_access:  read_only
        .address_space:  global
        .offset:         64
        .size:           8
        .value_kind:     global_buffer
      - .offset:         72
        .size:           4
        .value_kind:     by_value
      - .offset:         76
        .size:           4
        .value_kind:     by_value
      - .offset:         80
        .size:           4
        .value_kind:     by_value
      - .actual_access:  read_only
        .address_space:  global
        .offset:         88
        .size:           8
        .value_kind:     global_buffer
      - .actual_access:  read_only
        .address_space:  global
        .offset:         96
        .size:           8
        .value_kind:     global_buffer
      - .actual_access:  read_only
        .address_space:  global
        .offset:         104
        .size:           8
        .value_kind:     global_buffer
      - .actual_access:  read_only
        .address_space:  global
        .offset:         112
        .size:           8
        .value_kind:     global_buffer
      - .offset:         120
        .size:           4
        .value_kind:     by_value
      - .address_space:  global
        .offset:         128
        .size:           8
        .value_kind:     global_buffer
      - .address_space:  global
        .offset:         136
        .size:           8
        .value_kind:     global_buffer
      - .offset:         144
        .size:           4
        .value_kind:     hidden_block_count_x
      - .offset:         148
        .size:           4
        .value_kind:     hidden_block_count_y
      - .offset:         152
        .size:           4
        .value_kind:     hidden_block_count_z
      - .offset:         156
        .size:           2
        .value_kind:     hidden_group_size_x
      - .offset:         158
        .size:           2
        .value_kind:     hidden_group_size_y
      - .offset:         160
        .size:           2
        .value_kind:     hidden_group_size_z
      - .offset:         162
        .size:           2
        .value_kind:     hidden_remainder_x
      - .offset:         164
        .size:           2
        .value_kind:     hidden_remainder_y
      - .offset:         166
        .size:           2
        .value_kind:     hidden_remainder_z
      - .offset:         184
        .size:           8
        .value_kind:     hidden_global_offset_x
      - .offset:         192
        .size:           8
        .value_kind:     hidden_global_offset_y
      - .offset:         200
        .size:           8
        .value_kind:     hidden_global_offset_z
      - .offset:         208
        .size:           2
        .value_kind:     hidden_grid_dims
      - .offset:         224
        .size:           8
        .value_kind:     hidden_hostcall_buffer
    .group_segment_fixed_size: 0
    .kernarg_segment_align: 8
    .kernarg_segment_size: 400
    .language:       OpenCL C
    .language_version:
      - 2
      - 0
    .max_flat_workgroup_size: 256
    .name:           _Z39paged_attention_ll4mi_QKV_mfma16_kernelI14__hip_bfloat16hLN4vllm18Fp8KVCacheDataTypeE1ES0_Li16ELi128ELi256ELb0ELi9EEvPKT_PKT0_S8_ifPKiSA_SA_iPKfiiiPfSD_PS3_PT2_iSC_SC_
    .private_segment_fixed_size: 64
    .sgpr_count:     36
    .sgpr_spill_count: 0
    .symbol:         _Z39paged_attention_ll4mi_QKV_mfma16_kernelI14__hip_bfloat16hLN4vllm18Fp8KVCacheDataTypeE1ES0_Li16ELi128ELi256ELb0ELi9EEvPKT_PKT0_S8_ifPKiSA_SA_iPKfiiiPfSD_PS3_PT2_iSC_SC_.kd
    .uniform_work_group_size: 1
    .uses_dynamic_stack: false
    .vgpr_count:     51
    .vgpr_spill_count: 0
    .wavefront_size: 32
  - .args:
      - .actual_access:  read_only
        .address_space:  global
        .offset:         0
        .size:           8
        .value_kind:     global_buffer
      - .actual_access:  read_only
        .address_space:  global
        .offset:         8
        .size:           8
        .value_kind:     global_buffer
      - .actual_access:  read_only
        .address_space:  global
        .offset:         16
        .size:           8
        .value_kind:     global_buffer
      - .offset:         24
        .size:           4
        .value_kind:     by_value
      - .offset:         28
        .size:           4
        .value_kind:     by_value
      - .actual_access:  read_only
        .address_space:  global
        .offset:         32
        .size:           8
        .value_kind:     global_buffer
      - .actual_access:  read_only
        .address_space:  global
        .offset:         40
        .size:           8
        .value_kind:     global_buffer
      - .actual_access:  read_only
        .address_space:  global
        .offset:         48
        .size:           8
        .value_kind:     global_buffer
      - .offset:         56
        .size:           4
        .value_kind:     by_value
      - .actual_access:  read_only
        .address_space:  global
        .offset:         64
        .size:           8
        .value_kind:     global_buffer
      - .offset:         72
        .size:           4
        .value_kind:     by_value
      - .offset:         76
        .size:           4
        .value_kind:     by_value
      - .offset:         80
        .size:           4
        .value_kind:     by_value
      - .actual_access:  read_only
        .address_space:  global
        .offset:         88
        .size:           8
        .value_kind:     global_buffer
      - .actual_access:  read_only
        .address_space:  global
        .offset:         96
        .size:           8
        .value_kind:     global_buffer
      - .actual_access:  read_only
        .address_space:  global
        .offset:         104
        .size:           8
        .value_kind:     global_buffer
      - .actual_access:  read_only
        .address_space:  global
        .offset:         112
        .size:           8
        .value_kind:     global_buffer
      - .offset:         120
        .size:           4
        .value_kind:     by_value
      - .address_space:  global
        .offset:         128
        .size:           8
        .value_kind:     global_buffer
      - .address_space:  global
        .offset:         136
        .size:           8
        .value_kind:     global_buffer
      - .offset:         144
        .size:           4
        .value_kind:     hidden_block_count_x
      - .offset:         148
        .size:           4
        .value_kind:     hidden_block_count_y
      - .offset:         152
        .size:           4
        .value_kind:     hidden_block_count_z
      - .offset:         156
        .size:           2
        .value_kind:     hidden_group_size_x
      - .offset:         158
        .size:           2
        .value_kind:     hidden_group_size_y
      - .offset:         160
        .size:           2
        .value_kind:     hidden_group_size_z
      - .offset:         162
        .size:           2
        .value_kind:     hidden_remainder_x
      - .offset:         164
        .size:           2
        .value_kind:     hidden_remainder_y
      - .offset:         166
        .size:           2
        .value_kind:     hidden_remainder_z
      - .offset:         184
        .size:           8
        .value_kind:     hidden_global_offset_x
      - .offset:         192
        .size:           8
        .value_kind:     hidden_global_offset_y
      - .offset:         200
        .size:           8
        .value_kind:     hidden_global_offset_z
      - .offset:         208
        .size:           2
        .value_kind:     hidden_grid_dims
      - .offset:         224
        .size:           8
        .value_kind:     hidden_hostcall_buffer
    .group_segment_fixed_size: 0
    .kernarg_segment_align: 8
    .kernarg_segment_size: 400
    .language:       OpenCL C
    .language_version:
      - 2
      - 0
    .max_flat_workgroup_size: 256
    .name:           _Z39paged_attention_ll4mi_QKV_mfma16_kernelI14__hip_bfloat16hLN4vllm18Fp8KVCacheDataTypeE1ES0_Li16ELi128ELi256ELb0ELi10EEvPKT_PKT0_S8_ifPKiSA_SA_iPKfiiiPfSD_PS3_PT2_iSC_SC_
    .private_segment_fixed_size: 64
    .sgpr_count:     36
    .sgpr_spill_count: 0
    .symbol:         _Z39paged_attention_ll4mi_QKV_mfma16_kernelI14__hip_bfloat16hLN4vllm18Fp8KVCacheDataTypeE1ES0_Li16ELi128ELi256ELb0ELi10EEvPKT_PKT0_S8_ifPKiSA_SA_iPKfiiiPfSD_PS3_PT2_iSC_SC_.kd
    .uniform_work_group_size: 1
    .uses_dynamic_stack: false
    .vgpr_count:     51
    .vgpr_spill_count: 0
    .wavefront_size: 32
  - .args:
      - .actual_access:  read_only
        .address_space:  global
        .offset:         0
        .size:           8
        .value_kind:     global_buffer
      - .actual_access:  read_only
        .address_space:  global
        .offset:         8
        .size:           8
        .value_kind:     global_buffer
      - .actual_access:  read_only
        .address_space:  global
        .offset:         16
        .size:           8
        .value_kind:     global_buffer
      - .offset:         24
        .size:           4
        .value_kind:     by_value
      - .offset:         28
        .size:           4
        .value_kind:     by_value
      - .actual_access:  read_only
        .address_space:  global
        .offset:         32
        .size:           8
        .value_kind:     global_buffer
      - .actual_access:  read_only
        .address_space:  global
        .offset:         40
        .size:           8
        .value_kind:     global_buffer
      - .actual_access:  read_only
        .address_space:  global
        .offset:         48
        .size:           8
        .value_kind:     global_buffer
      - .offset:         56
        .size:           4
        .value_kind:     by_value
      - .actual_access:  read_only
        .address_space:  global
        .offset:         64
        .size:           8
        .value_kind:     global_buffer
      - .offset:         72
        .size:           4
        .value_kind:     by_value
      - .offset:         76
        .size:           4
        .value_kind:     by_value
      - .offset:         80
        .size:           4
        .value_kind:     by_value
      - .actual_access:  read_only
        .address_space:  global
        .offset:         88
        .size:           8
        .value_kind:     global_buffer
      - .actual_access:  read_only
        .address_space:  global
        .offset:         96
        .size:           8
        .value_kind:     global_buffer
      - .actual_access:  read_only
        .address_space:  global
        .offset:         104
        .size:           8
        .value_kind:     global_buffer
      - .actual_access:  read_only
        .address_space:  global
        .offset:         112
        .size:           8
        .value_kind:     global_buffer
      - .offset:         120
        .size:           4
        .value_kind:     by_value
      - .address_space:  global
        .offset:         128
        .size:           8
        .value_kind:     global_buffer
      - .address_space:  global
        .offset:         136
        .size:           8
        .value_kind:     global_buffer
      - .offset:         144
        .size:           4
        .value_kind:     hidden_block_count_x
      - .offset:         148
        .size:           4
        .value_kind:     hidden_block_count_y
      - .offset:         152
        .size:           4
        .value_kind:     hidden_block_count_z
      - .offset:         156
        .size:           2
        .value_kind:     hidden_group_size_x
      - .offset:         158
        .size:           2
        .value_kind:     hidden_group_size_y
      - .offset:         160
        .size:           2
        .value_kind:     hidden_group_size_z
      - .offset:         162
        .size:           2
        .value_kind:     hidden_remainder_x
      - .offset:         164
        .size:           2
        .value_kind:     hidden_remainder_y
      - .offset:         166
        .size:           2
        .value_kind:     hidden_remainder_z
      - .offset:         184
        .size:           8
        .value_kind:     hidden_global_offset_x
      - .offset:         192
        .size:           8
        .value_kind:     hidden_global_offset_y
      - .offset:         200
        .size:           8
        .value_kind:     hidden_global_offset_z
      - .offset:         208
        .size:           2
        .value_kind:     hidden_grid_dims
      - .offset:         224
        .size:           8
        .value_kind:     hidden_hostcall_buffer
    .group_segment_fixed_size: 0
    .kernarg_segment_align: 8
    .kernarg_segment_size: 400
    .language:       OpenCL C
    .language_version:
      - 2
      - 0
    .max_flat_workgroup_size: 256
    .name:           _Z39paged_attention_ll4mi_QKV_mfma16_kernelI14__hip_bfloat16hLN4vllm18Fp8KVCacheDataTypeE1ES0_Li16ELi128ELi256ELb0ELi11EEvPKT_PKT0_S8_ifPKiSA_SA_iPKfiiiPfSD_PS3_PT2_iSC_SC_
    .private_segment_fixed_size: 64
    .sgpr_count:     36
    .sgpr_spill_count: 0
    .symbol:         _Z39paged_attention_ll4mi_QKV_mfma16_kernelI14__hip_bfloat16hLN4vllm18Fp8KVCacheDataTypeE1ES0_Li16ELi128ELi256ELb0ELi11EEvPKT_PKT0_S8_ifPKiSA_SA_iPKfiiiPfSD_PS3_PT2_iSC_SC_.kd
    .uniform_work_group_size: 1
    .uses_dynamic_stack: false
    .vgpr_count:     51
    .vgpr_spill_count: 0
    .wavefront_size: 32
  - .args:
      - .actual_access:  read_only
        .address_space:  global
        .offset:         0
        .size:           8
        .value_kind:     global_buffer
      - .actual_access:  read_only
        .address_space:  global
        .offset:         8
        .size:           8
        .value_kind:     global_buffer
      - .actual_access:  read_only
        .address_space:  global
        .offset:         16
        .size:           8
        .value_kind:     global_buffer
      - .offset:         24
        .size:           4
        .value_kind:     by_value
      - .offset:         28
        .size:           4
        .value_kind:     by_value
      - .actual_access:  read_only
        .address_space:  global
        .offset:         32
        .size:           8
        .value_kind:     global_buffer
      - .actual_access:  read_only
        .address_space:  global
        .offset:         40
        .size:           8
        .value_kind:     global_buffer
      - .actual_access:  read_only
        .address_space:  global
        .offset:         48
        .size:           8
        .value_kind:     global_buffer
      - .offset:         56
        .size:           4
        .value_kind:     by_value
      - .actual_access:  read_only
        .address_space:  global
        .offset:         64
        .size:           8
        .value_kind:     global_buffer
      - .offset:         72
        .size:           4
        .value_kind:     by_value
      - .offset:         76
        .size:           4
        .value_kind:     by_value
      - .offset:         80
        .size:           4
        .value_kind:     by_value
      - .actual_access:  read_only
        .address_space:  global
        .offset:         88
        .size:           8
        .value_kind:     global_buffer
      - .actual_access:  read_only
        .address_space:  global
        .offset:         96
        .size:           8
        .value_kind:     global_buffer
      - .actual_access:  read_only
        .address_space:  global
        .offset:         104
        .size:           8
        .value_kind:     global_buffer
      - .actual_access:  read_only
        .address_space:  global
        .offset:         112
        .size:           8
        .value_kind:     global_buffer
      - .offset:         120
        .size:           4
        .value_kind:     by_value
      - .address_space:  global
        .offset:         128
        .size:           8
        .value_kind:     global_buffer
      - .address_space:  global
        .offset:         136
        .size:           8
        .value_kind:     global_buffer
      - .offset:         144
        .size:           4
        .value_kind:     hidden_block_count_x
      - .offset:         148
        .size:           4
        .value_kind:     hidden_block_count_y
      - .offset:         152
        .size:           4
        .value_kind:     hidden_block_count_z
      - .offset:         156
        .size:           2
        .value_kind:     hidden_group_size_x
      - .offset:         158
        .size:           2
        .value_kind:     hidden_group_size_y
      - .offset:         160
        .size:           2
        .value_kind:     hidden_group_size_z
      - .offset:         162
        .size:           2
        .value_kind:     hidden_remainder_x
      - .offset:         164
        .size:           2
        .value_kind:     hidden_remainder_y
      - .offset:         166
        .size:           2
        .value_kind:     hidden_remainder_z
      - .offset:         184
        .size:           8
        .value_kind:     hidden_global_offset_x
      - .offset:         192
        .size:           8
        .value_kind:     hidden_global_offset_y
      - .offset:         200
        .size:           8
        .value_kind:     hidden_global_offset_z
      - .offset:         208
        .size:           2
        .value_kind:     hidden_grid_dims
      - .offset:         224
        .size:           8
        .value_kind:     hidden_hostcall_buffer
    .group_segment_fixed_size: 0
    .kernarg_segment_align: 8
    .kernarg_segment_size: 400
    .language:       OpenCL C
    .language_version:
      - 2
      - 0
    .max_flat_workgroup_size: 256
    .name:           _Z39paged_attention_ll4mi_QKV_mfma16_kernelI14__hip_bfloat16hLN4vllm18Fp8KVCacheDataTypeE1ES0_Li16ELi128ELi256ELb0ELi12EEvPKT_PKT0_S8_ifPKiSA_SA_iPKfiiiPfSD_PS3_PT2_iSC_SC_
    .private_segment_fixed_size: 64
    .sgpr_count:     36
    .sgpr_spill_count: 0
    .symbol:         _Z39paged_attention_ll4mi_QKV_mfma16_kernelI14__hip_bfloat16hLN4vllm18Fp8KVCacheDataTypeE1ES0_Li16ELi128ELi256ELb0ELi12EEvPKT_PKT0_S8_ifPKiSA_SA_iPKfiiiPfSD_PS3_PT2_iSC_SC_.kd
    .uniform_work_group_size: 1
    .uses_dynamic_stack: false
    .vgpr_count:     51
    .vgpr_spill_count: 0
    .wavefront_size: 32
  - .args:
      - .actual_access:  read_only
        .address_space:  global
        .offset:         0
        .size:           8
        .value_kind:     global_buffer
      - .actual_access:  read_only
        .address_space:  global
        .offset:         8
        .size:           8
        .value_kind:     global_buffer
      - .actual_access:  read_only
        .address_space:  global
        .offset:         16
        .size:           8
        .value_kind:     global_buffer
      - .offset:         24
        .size:           4
        .value_kind:     by_value
      - .offset:         28
        .size:           4
        .value_kind:     by_value
      - .actual_access:  read_only
        .address_space:  global
        .offset:         32
        .size:           8
        .value_kind:     global_buffer
      - .actual_access:  read_only
        .address_space:  global
        .offset:         40
        .size:           8
        .value_kind:     global_buffer
      - .actual_access:  read_only
        .address_space:  global
        .offset:         48
        .size:           8
        .value_kind:     global_buffer
      - .offset:         56
        .size:           4
        .value_kind:     by_value
      - .actual_access:  read_only
        .address_space:  global
        .offset:         64
        .size:           8
        .value_kind:     global_buffer
      - .offset:         72
        .size:           4
        .value_kind:     by_value
      - .offset:         76
        .size:           4
        .value_kind:     by_value
      - .offset:         80
        .size:           4
        .value_kind:     by_value
      - .actual_access:  read_only
        .address_space:  global
        .offset:         88
        .size:           8
        .value_kind:     global_buffer
      - .actual_access:  read_only
        .address_space:  global
        .offset:         96
        .size:           8
        .value_kind:     global_buffer
      - .actual_access:  read_only
        .address_space:  global
        .offset:         104
        .size:           8
        .value_kind:     global_buffer
      - .actual_access:  read_only
        .address_space:  global
        .offset:         112
        .size:           8
        .value_kind:     global_buffer
      - .offset:         120
        .size:           4
        .value_kind:     by_value
      - .address_space:  global
        .offset:         128
        .size:           8
        .value_kind:     global_buffer
      - .address_space:  global
        .offset:         136
        .size:           8
        .value_kind:     global_buffer
      - .offset:         144
        .size:           4
        .value_kind:     hidden_block_count_x
      - .offset:         148
        .size:           4
        .value_kind:     hidden_block_count_y
      - .offset:         152
        .size:           4
        .value_kind:     hidden_block_count_z
      - .offset:         156
        .size:           2
        .value_kind:     hidden_group_size_x
      - .offset:         158
        .size:           2
        .value_kind:     hidden_group_size_y
      - .offset:         160
        .size:           2
        .value_kind:     hidden_group_size_z
      - .offset:         162
        .size:           2
        .value_kind:     hidden_remainder_x
      - .offset:         164
        .size:           2
        .value_kind:     hidden_remainder_y
      - .offset:         166
        .size:           2
        .value_kind:     hidden_remainder_z
      - .offset:         184
        .size:           8
        .value_kind:     hidden_global_offset_x
      - .offset:         192
        .size:           8
        .value_kind:     hidden_global_offset_y
      - .offset:         200
        .size:           8
        .value_kind:     hidden_global_offset_z
      - .offset:         208
        .size:           2
        .value_kind:     hidden_grid_dims
      - .offset:         224
        .size:           8
        .value_kind:     hidden_hostcall_buffer
    .group_segment_fixed_size: 0
    .kernarg_segment_align: 8
    .kernarg_segment_size: 400
    .language:       OpenCL C
    .language_version:
      - 2
      - 0
    .max_flat_workgroup_size: 256
    .name:           _Z39paged_attention_ll4mi_QKV_mfma16_kernelI14__hip_bfloat16hLN4vllm18Fp8KVCacheDataTypeE1ES0_Li16ELi128ELi256ELb0ELi13EEvPKT_PKT0_S8_ifPKiSA_SA_iPKfiiiPfSD_PS3_PT2_iSC_SC_
    .private_segment_fixed_size: 64
    .sgpr_count:     36
    .sgpr_spill_count: 0
    .symbol:         _Z39paged_attention_ll4mi_QKV_mfma16_kernelI14__hip_bfloat16hLN4vllm18Fp8KVCacheDataTypeE1ES0_Li16ELi128ELi256ELb0ELi13EEvPKT_PKT0_S8_ifPKiSA_SA_iPKfiiiPfSD_PS3_PT2_iSC_SC_.kd
    .uniform_work_group_size: 1
    .uses_dynamic_stack: false
    .vgpr_count:     51
    .vgpr_spill_count: 0
    .wavefront_size: 32
  - .args:
      - .actual_access:  read_only
        .address_space:  global
        .offset:         0
        .size:           8
        .value_kind:     global_buffer
      - .actual_access:  read_only
        .address_space:  global
        .offset:         8
        .size:           8
        .value_kind:     global_buffer
      - .actual_access:  read_only
        .address_space:  global
        .offset:         16
        .size:           8
        .value_kind:     global_buffer
      - .offset:         24
        .size:           4
        .value_kind:     by_value
      - .offset:         28
        .size:           4
        .value_kind:     by_value
      - .actual_access:  read_only
        .address_space:  global
        .offset:         32
        .size:           8
        .value_kind:     global_buffer
      - .actual_access:  read_only
        .address_space:  global
        .offset:         40
        .size:           8
        .value_kind:     global_buffer
      - .actual_access:  read_only
        .address_space:  global
        .offset:         48
        .size:           8
        .value_kind:     global_buffer
      - .offset:         56
        .size:           4
        .value_kind:     by_value
      - .actual_access:  read_only
        .address_space:  global
        .offset:         64
        .size:           8
        .value_kind:     global_buffer
      - .offset:         72
        .size:           4
        .value_kind:     by_value
      - .offset:         76
        .size:           4
        .value_kind:     by_value
      - .offset:         80
        .size:           4
        .value_kind:     by_value
      - .actual_access:  read_only
        .address_space:  global
        .offset:         88
        .size:           8
        .value_kind:     global_buffer
      - .actual_access:  read_only
        .address_space:  global
        .offset:         96
        .size:           8
        .value_kind:     global_buffer
      - .actual_access:  read_only
        .address_space:  global
        .offset:         104
        .size:           8
        .value_kind:     global_buffer
      - .actual_access:  read_only
        .address_space:  global
        .offset:         112
        .size:           8
        .value_kind:     global_buffer
      - .offset:         120
        .size:           4
        .value_kind:     by_value
      - .address_space:  global
        .offset:         128
        .size:           8
        .value_kind:     global_buffer
      - .address_space:  global
        .offset:         136
        .size:           8
        .value_kind:     global_buffer
      - .offset:         144
        .size:           4
        .value_kind:     hidden_block_count_x
      - .offset:         148
        .size:           4
        .value_kind:     hidden_block_count_y
      - .offset:         152
        .size:           4
        .value_kind:     hidden_block_count_z
      - .offset:         156
        .size:           2
        .value_kind:     hidden_group_size_x
      - .offset:         158
        .size:           2
        .value_kind:     hidden_group_size_y
      - .offset:         160
        .size:           2
        .value_kind:     hidden_group_size_z
      - .offset:         162
        .size:           2
        .value_kind:     hidden_remainder_x
      - .offset:         164
        .size:           2
        .value_kind:     hidden_remainder_y
      - .offset:         166
        .size:           2
        .value_kind:     hidden_remainder_z
      - .offset:         184
        .size:           8
        .value_kind:     hidden_global_offset_x
      - .offset:         192
        .size:           8
        .value_kind:     hidden_global_offset_y
      - .offset:         200
        .size:           8
        .value_kind:     hidden_global_offset_z
      - .offset:         208
        .size:           2
        .value_kind:     hidden_grid_dims
      - .offset:         224
        .size:           8
        .value_kind:     hidden_hostcall_buffer
    .group_segment_fixed_size: 0
    .kernarg_segment_align: 8
    .kernarg_segment_size: 400
    .language:       OpenCL C
    .language_version:
      - 2
      - 0
    .max_flat_workgroup_size: 256
    .name:           _Z39paged_attention_ll4mi_QKV_mfma16_kernelI14__hip_bfloat16hLN4vllm18Fp8KVCacheDataTypeE1ES0_Li16ELi128ELi256ELb0ELi14EEvPKT_PKT0_S8_ifPKiSA_SA_iPKfiiiPfSD_PS3_PT2_iSC_SC_
    .private_segment_fixed_size: 64
    .sgpr_count:     36
    .sgpr_spill_count: 0
    .symbol:         _Z39paged_attention_ll4mi_QKV_mfma16_kernelI14__hip_bfloat16hLN4vllm18Fp8KVCacheDataTypeE1ES0_Li16ELi128ELi256ELb0ELi14EEvPKT_PKT0_S8_ifPKiSA_SA_iPKfiiiPfSD_PS3_PT2_iSC_SC_.kd
    .uniform_work_group_size: 1
    .uses_dynamic_stack: false
    .vgpr_count:     51
    .vgpr_spill_count: 0
    .wavefront_size: 32
  - .args:
      - .actual_access:  read_only
        .address_space:  global
        .offset:         0
        .size:           8
        .value_kind:     global_buffer
      - .actual_access:  read_only
        .address_space:  global
        .offset:         8
        .size:           8
        .value_kind:     global_buffer
      - .actual_access:  read_only
        .address_space:  global
        .offset:         16
        .size:           8
        .value_kind:     global_buffer
      - .offset:         24
        .size:           4
        .value_kind:     by_value
      - .offset:         28
        .size:           4
        .value_kind:     by_value
      - .actual_access:  read_only
        .address_space:  global
        .offset:         32
        .size:           8
        .value_kind:     global_buffer
      - .actual_access:  read_only
        .address_space:  global
        .offset:         40
        .size:           8
        .value_kind:     global_buffer
      - .actual_access:  read_only
        .address_space:  global
        .offset:         48
        .size:           8
        .value_kind:     global_buffer
      - .offset:         56
        .size:           4
        .value_kind:     by_value
      - .actual_access:  read_only
        .address_space:  global
        .offset:         64
        .size:           8
        .value_kind:     global_buffer
      - .offset:         72
        .size:           4
        .value_kind:     by_value
      - .offset:         76
        .size:           4
        .value_kind:     by_value
      - .offset:         80
        .size:           4
        .value_kind:     by_value
      - .actual_access:  read_only
        .address_space:  global
        .offset:         88
        .size:           8
        .value_kind:     global_buffer
      - .actual_access:  read_only
        .address_space:  global
        .offset:         96
        .size:           8
        .value_kind:     global_buffer
      - .actual_access:  read_only
        .address_space:  global
        .offset:         104
        .size:           8
        .value_kind:     global_buffer
      - .actual_access:  read_only
        .address_space:  global
        .offset:         112
        .size:           8
        .value_kind:     global_buffer
      - .offset:         120
        .size:           4
        .value_kind:     by_value
      - .address_space:  global
        .offset:         128
        .size:           8
        .value_kind:     global_buffer
      - .address_space:  global
        .offset:         136
        .size:           8
        .value_kind:     global_buffer
      - .offset:         144
        .size:           4
        .value_kind:     hidden_block_count_x
      - .offset:         148
        .size:           4
        .value_kind:     hidden_block_count_y
      - .offset:         152
        .size:           4
        .value_kind:     hidden_block_count_z
      - .offset:         156
        .size:           2
        .value_kind:     hidden_group_size_x
      - .offset:         158
        .size:           2
        .value_kind:     hidden_group_size_y
      - .offset:         160
        .size:           2
        .value_kind:     hidden_group_size_z
      - .offset:         162
        .size:           2
        .value_kind:     hidden_remainder_x
      - .offset:         164
        .size:           2
        .value_kind:     hidden_remainder_y
      - .offset:         166
        .size:           2
        .value_kind:     hidden_remainder_z
      - .offset:         184
        .size:           8
        .value_kind:     hidden_global_offset_x
      - .offset:         192
        .size:           8
        .value_kind:     hidden_global_offset_y
      - .offset:         200
        .size:           8
        .value_kind:     hidden_global_offset_z
      - .offset:         208
        .size:           2
        .value_kind:     hidden_grid_dims
      - .offset:         224
        .size:           8
        .value_kind:     hidden_hostcall_buffer
    .group_segment_fixed_size: 0
    .kernarg_segment_align: 8
    .kernarg_segment_size: 400
    .language:       OpenCL C
    .language_version:
      - 2
      - 0
    .max_flat_workgroup_size: 256
    .name:           _Z39paged_attention_ll4mi_QKV_mfma16_kernelI14__hip_bfloat16hLN4vllm18Fp8KVCacheDataTypeE1ES0_Li16ELi128ELi256ELb0ELi15EEvPKT_PKT0_S8_ifPKiSA_SA_iPKfiiiPfSD_PS3_PT2_iSC_SC_
    .private_segment_fixed_size: 64
    .sgpr_count:     36
    .sgpr_spill_count: 0
    .symbol:         _Z39paged_attention_ll4mi_QKV_mfma16_kernelI14__hip_bfloat16hLN4vllm18Fp8KVCacheDataTypeE1ES0_Li16ELi128ELi256ELb0ELi15EEvPKT_PKT0_S8_ifPKiSA_SA_iPKfiiiPfSD_PS3_PT2_iSC_SC_.kd
    .uniform_work_group_size: 1
    .uses_dynamic_stack: false
    .vgpr_count:     51
    .vgpr_spill_count: 0
    .wavefront_size: 32
  - .args:
      - .actual_access:  read_only
        .address_space:  global
        .offset:         0
        .size:           8
        .value_kind:     global_buffer
      - .actual_access:  read_only
        .address_space:  global
        .offset:         8
        .size:           8
        .value_kind:     global_buffer
      - .actual_access:  read_only
        .address_space:  global
        .offset:         16
        .size:           8
        .value_kind:     global_buffer
      - .offset:         24
        .size:           4
        .value_kind:     by_value
      - .offset:         28
        .size:           4
        .value_kind:     by_value
      - .actual_access:  read_only
        .address_space:  global
        .offset:         32
        .size:           8
        .value_kind:     global_buffer
      - .actual_access:  read_only
        .address_space:  global
        .offset:         40
        .size:           8
        .value_kind:     global_buffer
      - .actual_access:  read_only
        .address_space:  global
        .offset:         48
        .size:           8
        .value_kind:     global_buffer
      - .offset:         56
        .size:           4
        .value_kind:     by_value
      - .actual_access:  read_only
        .address_space:  global
        .offset:         64
        .size:           8
        .value_kind:     global_buffer
      - .offset:         72
        .size:           4
        .value_kind:     by_value
      - .offset:         76
        .size:           4
        .value_kind:     by_value
      - .offset:         80
        .size:           4
        .value_kind:     by_value
      - .actual_access:  read_only
        .address_space:  global
        .offset:         88
        .size:           8
        .value_kind:     global_buffer
      - .actual_access:  read_only
        .address_space:  global
        .offset:         96
        .size:           8
        .value_kind:     global_buffer
      - .actual_access:  read_only
        .address_space:  global
        .offset:         104
        .size:           8
        .value_kind:     global_buffer
      - .actual_access:  read_only
        .address_space:  global
        .offset:         112
        .size:           8
        .value_kind:     global_buffer
      - .offset:         120
        .size:           4
        .value_kind:     by_value
      - .address_space:  global
        .offset:         128
        .size:           8
        .value_kind:     global_buffer
      - .address_space:  global
        .offset:         136
        .size:           8
        .value_kind:     global_buffer
      - .offset:         144
        .size:           4
        .value_kind:     hidden_block_count_x
      - .offset:         148
        .size:           4
        .value_kind:     hidden_block_count_y
      - .offset:         152
        .size:           4
        .value_kind:     hidden_block_count_z
      - .offset:         156
        .size:           2
        .value_kind:     hidden_group_size_x
      - .offset:         158
        .size:           2
        .value_kind:     hidden_group_size_y
      - .offset:         160
        .size:           2
        .value_kind:     hidden_group_size_z
      - .offset:         162
        .size:           2
        .value_kind:     hidden_remainder_x
      - .offset:         164
        .size:           2
        .value_kind:     hidden_remainder_y
      - .offset:         166
        .size:           2
        .value_kind:     hidden_remainder_z
      - .offset:         184
        .size:           8
        .value_kind:     hidden_global_offset_x
      - .offset:         192
        .size:           8
        .value_kind:     hidden_global_offset_y
      - .offset:         200
        .size:           8
        .value_kind:     hidden_global_offset_z
      - .offset:         208
        .size:           2
        .value_kind:     hidden_grid_dims
      - .offset:         224
        .size:           8
        .value_kind:     hidden_hostcall_buffer
    .group_segment_fixed_size: 0
    .kernarg_segment_align: 8
    .kernarg_segment_size: 400
    .language:       OpenCL C
    .language_version:
      - 2
      - 0
    .max_flat_workgroup_size: 256
    .name:           _Z39paged_attention_ll4mi_QKV_mfma16_kernelI14__hip_bfloat16hLN4vllm18Fp8KVCacheDataTypeE1ES0_Li16ELi128ELi256ELb0ELi16EEvPKT_PKT0_S8_ifPKiSA_SA_iPKfiiiPfSD_PS3_PT2_iSC_SC_
    .private_segment_fixed_size: 64
    .sgpr_count:     36
    .sgpr_spill_count: 0
    .symbol:         _Z39paged_attention_ll4mi_QKV_mfma16_kernelI14__hip_bfloat16hLN4vllm18Fp8KVCacheDataTypeE1ES0_Li16ELi128ELi256ELb0ELi16EEvPKT_PKT0_S8_ifPKiSA_SA_iPKfiiiPfSD_PS3_PT2_iSC_SC_.kd
    .uniform_work_group_size: 1
    .uses_dynamic_stack: false
    .vgpr_count:     51
    .vgpr_spill_count: 0
    .wavefront_size: 32
  - .args:
      - .actual_access:  read_only
        .address_space:  global
        .offset:         0
        .size:           8
        .value_kind:     global_buffer
      - .actual_access:  read_only
        .address_space:  global
        .offset:         8
        .size:           8
        .value_kind:     global_buffer
      - .actual_access:  read_only
        .address_space:  global
        .offset:         16
        .size:           8
        .value_kind:     global_buffer
      - .offset:         24
        .size:           4
        .value_kind:     by_value
      - .offset:         28
        .size:           4
        .value_kind:     by_value
      - .actual_access:  read_only
        .address_space:  global
        .offset:         32
        .size:           8
        .value_kind:     global_buffer
      - .actual_access:  read_only
        .address_space:  global
        .offset:         40
        .size:           8
        .value_kind:     global_buffer
      - .actual_access:  read_only
        .address_space:  global
        .offset:         48
        .size:           8
        .value_kind:     global_buffer
      - .offset:         56
        .size:           4
        .value_kind:     by_value
      - .actual_access:  read_only
        .address_space:  global
        .offset:         64
        .size:           8
        .value_kind:     global_buffer
      - .offset:         72
        .size:           4
        .value_kind:     by_value
      - .offset:         76
        .size:           4
        .value_kind:     by_value
      - .offset:         80
        .size:           4
        .value_kind:     by_value
      - .actual_access:  read_only
        .address_space:  global
        .offset:         88
        .size:           8
        .value_kind:     global_buffer
      - .actual_access:  read_only
        .address_space:  global
        .offset:         96
        .size:           8
        .value_kind:     global_buffer
      - .actual_access:  read_only
        .address_space:  global
        .offset:         104
        .size:           8
        .value_kind:     global_buffer
      - .actual_access:  read_only
        .address_space:  global
        .offset:         112
        .size:           8
        .value_kind:     global_buffer
      - .offset:         120
        .size:           4
        .value_kind:     by_value
      - .address_space:  global
        .offset:         128
        .size:           8
        .value_kind:     global_buffer
      - .address_space:  global
        .offset:         136
        .size:           8
        .value_kind:     global_buffer
      - .offset:         144
        .size:           4
        .value_kind:     hidden_block_count_x
      - .offset:         148
        .size:           4
        .value_kind:     hidden_block_count_y
      - .offset:         152
        .size:           4
        .value_kind:     hidden_block_count_z
      - .offset:         156
        .size:           2
        .value_kind:     hidden_group_size_x
      - .offset:         158
        .size:           2
        .value_kind:     hidden_group_size_y
      - .offset:         160
        .size:           2
        .value_kind:     hidden_group_size_z
      - .offset:         162
        .size:           2
        .value_kind:     hidden_remainder_x
      - .offset:         164
        .size:           2
        .value_kind:     hidden_remainder_y
      - .offset:         166
        .size:           2
        .value_kind:     hidden_remainder_z
      - .offset:         184
        .size:           8
        .value_kind:     hidden_global_offset_x
      - .offset:         192
        .size:           8
        .value_kind:     hidden_global_offset_y
      - .offset:         200
        .size:           8
        .value_kind:     hidden_global_offset_z
      - .offset:         208
        .size:           2
        .value_kind:     hidden_grid_dims
      - .offset:         224
        .size:           8
        .value_kind:     hidden_hostcall_buffer
    .group_segment_fixed_size: 0
    .kernarg_segment_align: 8
    .kernarg_segment_size: 400
    .language:       OpenCL C
    .language_version:
      - 2
      - 0
    .max_flat_workgroup_size: 256
    .name:           _Z39paged_attention_ll4mi_QKV_mfma16_kernelI14__hip_bfloat16hLN4vllm18Fp8KVCacheDataTypeE1ES0_Li16ELi128ELi256ELb0ELi1EEvPKT_PKT0_S8_ifPKiSA_SA_iPKfiiiPfSD_PS3_PT2_iSC_SC_
    .private_segment_fixed_size: 64
    .sgpr_count:     36
    .sgpr_spill_count: 0
    .symbol:         _Z39paged_attention_ll4mi_QKV_mfma16_kernelI14__hip_bfloat16hLN4vllm18Fp8KVCacheDataTypeE1ES0_Li16ELi128ELi256ELb0ELi1EEvPKT_PKT0_S8_ifPKiSA_SA_iPKfiiiPfSD_PS3_PT2_iSC_SC_.kd
    .uniform_work_group_size: 1
    .uses_dynamic_stack: false
    .vgpr_count:     51
    .vgpr_spill_count: 0
    .wavefront_size: 32
  - .args:
      - .actual_access:  read_only
        .address_space:  global
        .offset:         0
        .size:           8
        .value_kind:     global_buffer
      - .actual_access:  read_only
        .address_space:  global
        .offset:         8
        .size:           8
        .value_kind:     global_buffer
      - .actual_access:  read_only
        .address_space:  global
        .offset:         16
        .size:           8
        .value_kind:     global_buffer
      - .offset:         24
        .size:           4
        .value_kind:     by_value
      - .offset:         28
        .size:           4
        .value_kind:     by_value
      - .actual_access:  read_only
        .address_space:  global
        .offset:         32
        .size:           8
        .value_kind:     global_buffer
      - .actual_access:  read_only
        .address_space:  global
        .offset:         40
        .size:           8
        .value_kind:     global_buffer
      - .actual_access:  read_only
        .address_space:  global
        .offset:         48
        .size:           8
        .value_kind:     global_buffer
      - .offset:         56
        .size:           4
        .value_kind:     by_value
      - .actual_access:  read_only
        .address_space:  global
        .offset:         64
        .size:           8
        .value_kind:     global_buffer
      - .offset:         72
        .size:           4
        .value_kind:     by_value
      - .offset:         76
        .size:           4
        .value_kind:     by_value
      - .offset:         80
        .size:           4
        .value_kind:     by_value
      - .actual_access:  read_only
        .address_space:  global
        .offset:         88
        .size:           8
        .value_kind:     global_buffer
      - .actual_access:  read_only
        .address_space:  global
        .offset:         96
        .size:           8
        .value_kind:     global_buffer
      - .actual_access:  read_only
        .address_space:  global
        .offset:         104
        .size:           8
        .value_kind:     global_buffer
      - .actual_access:  read_only
        .address_space:  global
        .offset:         112
        .size:           8
        .value_kind:     global_buffer
      - .offset:         120
        .size:           4
        .value_kind:     by_value
      - .address_space:  global
        .offset:         128
        .size:           8
        .value_kind:     global_buffer
      - .address_space:  global
        .offset:         136
        .size:           8
        .value_kind:     global_buffer
      - .offset:         144
        .size:           4
        .value_kind:     hidden_block_count_x
      - .offset:         148
        .size:           4
        .value_kind:     hidden_block_count_y
      - .offset:         152
        .size:           4
        .value_kind:     hidden_block_count_z
      - .offset:         156
        .size:           2
        .value_kind:     hidden_group_size_x
      - .offset:         158
        .size:           2
        .value_kind:     hidden_group_size_y
      - .offset:         160
        .size:           2
        .value_kind:     hidden_group_size_z
      - .offset:         162
        .size:           2
        .value_kind:     hidden_remainder_x
      - .offset:         164
        .size:           2
        .value_kind:     hidden_remainder_y
      - .offset:         166
        .size:           2
        .value_kind:     hidden_remainder_z
      - .offset:         184
        .size:           8
        .value_kind:     hidden_global_offset_x
      - .offset:         192
        .size:           8
        .value_kind:     hidden_global_offset_y
      - .offset:         200
        .size:           8
        .value_kind:     hidden_global_offset_z
      - .offset:         208
        .size:           2
        .value_kind:     hidden_grid_dims
      - .offset:         224
        .size:           8
        .value_kind:     hidden_hostcall_buffer
    .group_segment_fixed_size: 0
    .kernarg_segment_align: 8
    .kernarg_segment_size: 400
    .language:       OpenCL C
    .language_version:
      - 2
      - 0
    .max_flat_workgroup_size: 256
    .name:           _Z39paged_attention_ll4mi_QKV_mfma16_kernelI14__hip_bfloat16hLN4vllm18Fp8KVCacheDataTypeE1ES0_Li16ELi128ELi256ELb0ELi2EEvPKT_PKT0_S8_ifPKiSA_SA_iPKfiiiPfSD_PS3_PT2_iSC_SC_
    .private_segment_fixed_size: 64
    .sgpr_count:     36
    .sgpr_spill_count: 0
    .symbol:         _Z39paged_attention_ll4mi_QKV_mfma16_kernelI14__hip_bfloat16hLN4vllm18Fp8KVCacheDataTypeE1ES0_Li16ELi128ELi256ELb0ELi2EEvPKT_PKT0_S8_ifPKiSA_SA_iPKfiiiPfSD_PS3_PT2_iSC_SC_.kd
    .uniform_work_group_size: 1
    .uses_dynamic_stack: false
    .vgpr_count:     51
    .vgpr_spill_count: 0
    .wavefront_size: 32
  - .args:
      - .actual_access:  read_only
        .address_space:  global
        .offset:         0
        .size:           8
        .value_kind:     global_buffer
      - .actual_access:  read_only
        .address_space:  global
        .offset:         8
        .size:           8
        .value_kind:     global_buffer
      - .actual_access:  read_only
        .address_space:  global
        .offset:         16
        .size:           8
        .value_kind:     global_buffer
      - .offset:         24
        .size:           4
        .value_kind:     by_value
      - .offset:         28
        .size:           4
        .value_kind:     by_value
      - .actual_access:  read_only
        .address_space:  global
        .offset:         32
        .size:           8
        .value_kind:     global_buffer
      - .actual_access:  read_only
        .address_space:  global
        .offset:         40
        .size:           8
        .value_kind:     global_buffer
      - .actual_access:  read_only
        .address_space:  global
        .offset:         48
        .size:           8
        .value_kind:     global_buffer
      - .offset:         56
        .size:           4
        .value_kind:     by_value
      - .actual_access:  read_only
        .address_space:  global
        .offset:         64
        .size:           8
        .value_kind:     global_buffer
      - .offset:         72
        .size:           4
        .value_kind:     by_value
      - .offset:         76
        .size:           4
        .value_kind:     by_value
      - .offset:         80
        .size:           4
        .value_kind:     by_value
      - .actual_access:  read_only
        .address_space:  global
        .offset:         88
        .size:           8
        .value_kind:     global_buffer
      - .actual_access:  read_only
        .address_space:  global
        .offset:         96
        .size:           8
        .value_kind:     global_buffer
      - .actual_access:  read_only
        .address_space:  global
        .offset:         104
        .size:           8
        .value_kind:     global_buffer
      - .actual_access:  read_only
        .address_space:  global
        .offset:         112
        .size:           8
        .value_kind:     global_buffer
      - .offset:         120
        .size:           4
        .value_kind:     by_value
      - .address_space:  global
        .offset:         128
        .size:           8
        .value_kind:     global_buffer
      - .address_space:  global
        .offset:         136
        .size:           8
        .value_kind:     global_buffer
      - .offset:         144
        .size:           4
        .value_kind:     hidden_block_count_x
      - .offset:         148
        .size:           4
        .value_kind:     hidden_block_count_y
      - .offset:         152
        .size:           4
        .value_kind:     hidden_block_count_z
      - .offset:         156
        .size:           2
        .value_kind:     hidden_group_size_x
      - .offset:         158
        .size:           2
        .value_kind:     hidden_group_size_y
      - .offset:         160
        .size:           2
        .value_kind:     hidden_group_size_z
      - .offset:         162
        .size:           2
        .value_kind:     hidden_remainder_x
      - .offset:         164
        .size:           2
        .value_kind:     hidden_remainder_y
      - .offset:         166
        .size:           2
        .value_kind:     hidden_remainder_z
      - .offset:         184
        .size:           8
        .value_kind:     hidden_global_offset_x
      - .offset:         192
        .size:           8
        .value_kind:     hidden_global_offset_y
      - .offset:         200
        .size:           8
        .value_kind:     hidden_global_offset_z
      - .offset:         208
        .size:           2
        .value_kind:     hidden_grid_dims
      - .offset:         224
        .size:           8
        .value_kind:     hidden_hostcall_buffer
    .group_segment_fixed_size: 0
    .kernarg_segment_align: 8
    .kernarg_segment_size: 400
    .language:       OpenCL C
    .language_version:
      - 2
      - 0
    .max_flat_workgroup_size: 256
    .name:           _Z39paged_attention_ll4mi_QKV_mfma16_kernelI14__hip_bfloat16hLN4vllm18Fp8KVCacheDataTypeE1ES0_Li16ELi128ELi256ELb0ELi3EEvPKT_PKT0_S8_ifPKiSA_SA_iPKfiiiPfSD_PS3_PT2_iSC_SC_
    .private_segment_fixed_size: 64
    .sgpr_count:     36
    .sgpr_spill_count: 0
    .symbol:         _Z39paged_attention_ll4mi_QKV_mfma16_kernelI14__hip_bfloat16hLN4vllm18Fp8KVCacheDataTypeE1ES0_Li16ELi128ELi256ELb0ELi3EEvPKT_PKT0_S8_ifPKiSA_SA_iPKfiiiPfSD_PS3_PT2_iSC_SC_.kd
    .uniform_work_group_size: 1
    .uses_dynamic_stack: false
    .vgpr_count:     51
    .vgpr_spill_count: 0
    .wavefront_size: 32
  - .args:
      - .actual_access:  read_only
        .address_space:  global
        .offset:         0
        .size:           8
        .value_kind:     global_buffer
      - .actual_access:  read_only
        .address_space:  global
        .offset:         8
        .size:           8
        .value_kind:     global_buffer
      - .actual_access:  read_only
        .address_space:  global
        .offset:         16
        .size:           8
        .value_kind:     global_buffer
      - .offset:         24
        .size:           4
        .value_kind:     by_value
      - .offset:         28
        .size:           4
        .value_kind:     by_value
      - .actual_access:  read_only
        .address_space:  global
        .offset:         32
        .size:           8
        .value_kind:     global_buffer
      - .actual_access:  read_only
        .address_space:  global
        .offset:         40
        .size:           8
        .value_kind:     global_buffer
      - .actual_access:  read_only
        .address_space:  global
        .offset:         48
        .size:           8
        .value_kind:     global_buffer
      - .offset:         56
        .size:           4
        .value_kind:     by_value
      - .actual_access:  read_only
        .address_space:  global
        .offset:         64
        .size:           8
        .value_kind:     global_buffer
      - .offset:         72
        .size:           4
        .value_kind:     by_value
      - .offset:         76
        .size:           4
        .value_kind:     by_value
      - .offset:         80
        .size:           4
        .value_kind:     by_value
      - .actual_access:  read_only
        .address_space:  global
        .offset:         88
        .size:           8
        .value_kind:     global_buffer
      - .actual_access:  read_only
        .address_space:  global
        .offset:         96
        .size:           8
        .value_kind:     global_buffer
      - .actual_access:  read_only
        .address_space:  global
        .offset:         104
        .size:           8
        .value_kind:     global_buffer
      - .actual_access:  read_only
        .address_space:  global
        .offset:         112
        .size:           8
        .value_kind:     global_buffer
      - .offset:         120
        .size:           4
        .value_kind:     by_value
      - .address_space:  global
        .offset:         128
        .size:           8
        .value_kind:     global_buffer
      - .address_space:  global
        .offset:         136
        .size:           8
        .value_kind:     global_buffer
      - .offset:         144
        .size:           4
        .value_kind:     hidden_block_count_x
      - .offset:         148
        .size:           4
        .value_kind:     hidden_block_count_y
      - .offset:         152
        .size:           4
        .value_kind:     hidden_block_count_z
      - .offset:         156
        .size:           2
        .value_kind:     hidden_group_size_x
      - .offset:         158
        .size:           2
        .value_kind:     hidden_group_size_y
      - .offset:         160
        .size:           2
        .value_kind:     hidden_group_size_z
      - .offset:         162
        .size:           2
        .value_kind:     hidden_remainder_x
      - .offset:         164
        .size:           2
        .value_kind:     hidden_remainder_y
      - .offset:         166
        .size:           2
        .value_kind:     hidden_remainder_z
      - .offset:         184
        .size:           8
        .value_kind:     hidden_global_offset_x
      - .offset:         192
        .size:           8
        .value_kind:     hidden_global_offset_y
      - .offset:         200
        .size:           8
        .value_kind:     hidden_global_offset_z
      - .offset:         208
        .size:           2
        .value_kind:     hidden_grid_dims
      - .offset:         224
        .size:           8
        .value_kind:     hidden_hostcall_buffer
    .group_segment_fixed_size: 0
    .kernarg_segment_align: 8
    .kernarg_segment_size: 400
    .language:       OpenCL C
    .language_version:
      - 2
      - 0
    .max_flat_workgroup_size: 256
    .name:           _Z39paged_attention_ll4mi_QKV_mfma16_kernelI14__hip_bfloat16hLN4vllm18Fp8KVCacheDataTypeE1ES0_Li16ELi128ELi256ELb0ELi4EEvPKT_PKT0_S8_ifPKiSA_SA_iPKfiiiPfSD_PS3_PT2_iSC_SC_
    .private_segment_fixed_size: 64
    .sgpr_count:     36
    .sgpr_spill_count: 0
    .symbol:         _Z39paged_attention_ll4mi_QKV_mfma16_kernelI14__hip_bfloat16hLN4vllm18Fp8KVCacheDataTypeE1ES0_Li16ELi128ELi256ELb0ELi4EEvPKT_PKT0_S8_ifPKiSA_SA_iPKfiiiPfSD_PS3_PT2_iSC_SC_.kd
    .uniform_work_group_size: 1
    .uses_dynamic_stack: false
    .vgpr_count:     51
    .vgpr_spill_count: 0
    .wavefront_size: 32
  - .args:
      - .actual_access:  read_only
        .address_space:  global
        .offset:         0
        .size:           8
        .value_kind:     global_buffer
      - .actual_access:  read_only
        .address_space:  global
        .offset:         8
        .size:           8
        .value_kind:     global_buffer
      - .actual_access:  read_only
        .address_space:  global
        .offset:         16
        .size:           8
        .value_kind:     global_buffer
      - .offset:         24
        .size:           4
        .value_kind:     by_value
      - .offset:         28
        .size:           4
        .value_kind:     by_value
      - .actual_access:  read_only
        .address_space:  global
        .offset:         32
        .size:           8
        .value_kind:     global_buffer
      - .actual_access:  read_only
        .address_space:  global
        .offset:         40
        .size:           8
        .value_kind:     global_buffer
      - .actual_access:  read_only
        .address_space:  global
        .offset:         48
        .size:           8
        .value_kind:     global_buffer
      - .offset:         56
        .size:           4
        .value_kind:     by_value
      - .actual_access:  read_only
        .address_space:  global
        .offset:         64
        .size:           8
        .value_kind:     global_buffer
      - .offset:         72
        .size:           4
        .value_kind:     by_value
      - .offset:         76
        .size:           4
        .value_kind:     by_value
      - .offset:         80
        .size:           4
        .value_kind:     by_value
      - .actual_access:  read_only
        .address_space:  global
        .offset:         88
        .size:           8
        .value_kind:     global_buffer
      - .actual_access:  read_only
        .address_space:  global
        .offset:         96
        .size:           8
        .value_kind:     global_buffer
      - .actual_access:  read_only
        .address_space:  global
        .offset:         104
        .size:           8
        .value_kind:     global_buffer
      - .actual_access:  read_only
        .address_space:  global
        .offset:         112
        .size:           8
        .value_kind:     global_buffer
      - .offset:         120
        .size:           4
        .value_kind:     by_value
      - .address_space:  global
        .offset:         128
        .size:           8
        .value_kind:     global_buffer
      - .address_space:  global
        .offset:         136
        .size:           8
        .value_kind:     global_buffer
      - .offset:         144
        .size:           4
        .value_kind:     hidden_block_count_x
      - .offset:         148
        .size:           4
        .value_kind:     hidden_block_count_y
      - .offset:         152
        .size:           4
        .value_kind:     hidden_block_count_z
      - .offset:         156
        .size:           2
        .value_kind:     hidden_group_size_x
      - .offset:         158
        .size:           2
        .value_kind:     hidden_group_size_y
      - .offset:         160
        .size:           2
        .value_kind:     hidden_group_size_z
      - .offset:         162
        .size:           2
        .value_kind:     hidden_remainder_x
      - .offset:         164
        .size:           2
        .value_kind:     hidden_remainder_y
      - .offset:         166
        .size:           2
        .value_kind:     hidden_remainder_z
      - .offset:         184
        .size:           8
        .value_kind:     hidden_global_offset_x
      - .offset:         192
        .size:           8
        .value_kind:     hidden_global_offset_y
      - .offset:         200
        .size:           8
        .value_kind:     hidden_global_offset_z
      - .offset:         208
        .size:           2
        .value_kind:     hidden_grid_dims
      - .offset:         224
        .size:           8
        .value_kind:     hidden_hostcall_buffer
    .group_segment_fixed_size: 0
    .kernarg_segment_align: 8
    .kernarg_segment_size: 400
    .language:       OpenCL C
    .language_version:
      - 2
      - 0
    .max_flat_workgroup_size: 256
    .name:           _Z38paged_attention_ll4mi_QKV_mfma4_kernelI14__hip_bfloat16hLN4vllm18Fp8KVCacheDataTypeE1EhLi32ELi128ELi256ELb1ELi1EEvPKT_PKT0_S8_ifPKiSA_SA_iPKfiiiPfSD_PS3_PT2_iSC_SC_
    .private_segment_fixed_size: 64
    .sgpr_count:     36
    .sgpr_spill_count: 0
    .symbol:         _Z38paged_attention_ll4mi_QKV_mfma4_kernelI14__hip_bfloat16hLN4vllm18Fp8KVCacheDataTypeE1EhLi32ELi128ELi256ELb1ELi1EEvPKT_PKT0_S8_ifPKiSA_SA_iPKfiiiPfSD_PS3_PT2_iSC_SC_.kd
    .uniform_work_group_size: 1
    .uses_dynamic_stack: false
    .vgpr_count:     51
    .vgpr_spill_count: 0
    .wavefront_size: 32
  - .args:
      - .actual_access:  read_only
        .address_space:  global
        .offset:         0
        .size:           8
        .value_kind:     global_buffer
      - .actual_access:  read_only
        .address_space:  global
        .offset:         8
        .size:           8
        .value_kind:     global_buffer
      - .actual_access:  read_only
        .address_space:  global
        .offset:         16
        .size:           8
        .value_kind:     global_buffer
      - .offset:         24
        .size:           4
        .value_kind:     by_value
      - .offset:         28
        .size:           4
        .value_kind:     by_value
      - .actual_access:  read_only
        .address_space:  global
        .offset:         32
        .size:           8
        .value_kind:     global_buffer
      - .actual_access:  read_only
        .address_space:  global
        .offset:         40
        .size:           8
        .value_kind:     global_buffer
      - .actual_access:  read_only
        .address_space:  global
        .offset:         48
        .size:           8
        .value_kind:     global_buffer
      - .offset:         56
        .size:           4
        .value_kind:     by_value
      - .actual_access:  read_only
        .address_space:  global
        .offset:         64
        .size:           8
        .value_kind:     global_buffer
      - .offset:         72
        .size:           4
        .value_kind:     by_value
      - .offset:         76
        .size:           4
        .value_kind:     by_value
      - .offset:         80
        .size:           4
        .value_kind:     by_value
      - .actual_access:  read_only
        .address_space:  global
        .offset:         88
        .size:           8
        .value_kind:     global_buffer
      - .actual_access:  read_only
        .address_space:  global
        .offset:         96
        .size:           8
        .value_kind:     global_buffer
      - .actual_access:  read_only
        .address_space:  global
        .offset:         104
        .size:           8
        .value_kind:     global_buffer
      - .actual_access:  read_only
        .address_space:  global
        .offset:         112
        .size:           8
        .value_kind:     global_buffer
      - .offset:         120
        .size:           4
        .value_kind:     by_value
      - .address_space:  global
        .offset:         128
        .size:           8
        .value_kind:     global_buffer
      - .address_space:  global
        .offset:         136
        .size:           8
        .value_kind:     global_buffer
      - .offset:         144
        .size:           4
        .value_kind:     hidden_block_count_x
      - .offset:         148
        .size:           4
        .value_kind:     hidden_block_count_y
      - .offset:         152
        .size:           4
        .value_kind:     hidden_block_count_z
      - .offset:         156
        .size:           2
        .value_kind:     hidden_group_size_x
      - .offset:         158
        .size:           2
        .value_kind:     hidden_group_size_y
      - .offset:         160
        .size:           2
        .value_kind:     hidden_group_size_z
      - .offset:         162
        .size:           2
        .value_kind:     hidden_remainder_x
      - .offset:         164
        .size:           2
        .value_kind:     hidden_remainder_y
      - .offset:         166
        .size:           2
        .value_kind:     hidden_remainder_z
      - .offset:         184
        .size:           8
        .value_kind:     hidden_global_offset_x
      - .offset:         192
        .size:           8
        .value_kind:     hidden_global_offset_y
      - .offset:         200
        .size:           8
        .value_kind:     hidden_global_offset_z
      - .offset:         208
        .size:           2
        .value_kind:     hidden_grid_dims
      - .offset:         224
        .size:           8
        .value_kind:     hidden_hostcall_buffer
    .group_segment_fixed_size: 0
    .kernarg_segment_align: 8
    .kernarg_segment_size: 400
    .language:       OpenCL C
    .language_version:
      - 2
      - 0
    .max_flat_workgroup_size: 256
    .name:           _Z38paged_attention_ll4mi_QKV_mfma4_kernelI14__hip_bfloat16hLN4vllm18Fp8KVCacheDataTypeE1EhLi32ELi128ELi256ELb1ELi2EEvPKT_PKT0_S8_ifPKiSA_SA_iPKfiiiPfSD_PS3_PT2_iSC_SC_
    .private_segment_fixed_size: 64
    .sgpr_count:     36
    .sgpr_spill_count: 0
    .symbol:         _Z38paged_attention_ll4mi_QKV_mfma4_kernelI14__hip_bfloat16hLN4vllm18Fp8KVCacheDataTypeE1EhLi32ELi128ELi256ELb1ELi2EEvPKT_PKT0_S8_ifPKiSA_SA_iPKfiiiPfSD_PS3_PT2_iSC_SC_.kd
    .uniform_work_group_size: 1
    .uses_dynamic_stack: false
    .vgpr_count:     51
    .vgpr_spill_count: 0
    .wavefront_size: 32
  - .args:
      - .actual_access:  read_only
        .address_space:  global
        .offset:         0
        .size:           8
        .value_kind:     global_buffer
      - .actual_access:  read_only
        .address_space:  global
        .offset:         8
        .size:           8
        .value_kind:     global_buffer
      - .actual_access:  read_only
        .address_space:  global
        .offset:         16
        .size:           8
        .value_kind:     global_buffer
      - .offset:         24
        .size:           4
        .value_kind:     by_value
      - .offset:         28
        .size:           4
        .value_kind:     by_value
      - .actual_access:  read_only
        .address_space:  global
        .offset:         32
        .size:           8
        .value_kind:     global_buffer
      - .actual_access:  read_only
        .address_space:  global
        .offset:         40
        .size:           8
        .value_kind:     global_buffer
      - .actual_access:  read_only
        .address_space:  global
        .offset:         48
        .size:           8
        .value_kind:     global_buffer
      - .offset:         56
        .size:           4
        .value_kind:     by_value
      - .actual_access:  read_only
        .address_space:  global
        .offset:         64
        .size:           8
        .value_kind:     global_buffer
      - .offset:         72
        .size:           4
        .value_kind:     by_value
      - .offset:         76
        .size:           4
        .value_kind:     by_value
      - .offset:         80
        .size:           4
        .value_kind:     by_value
      - .actual_access:  read_only
        .address_space:  global
        .offset:         88
        .size:           8
        .value_kind:     global_buffer
      - .actual_access:  read_only
        .address_space:  global
        .offset:         96
        .size:           8
        .value_kind:     global_buffer
      - .actual_access:  read_only
        .address_space:  global
        .offset:         104
        .size:           8
        .value_kind:     global_buffer
      - .actual_access:  read_only
        .address_space:  global
        .offset:         112
        .size:           8
        .value_kind:     global_buffer
      - .offset:         120
        .size:           4
        .value_kind:     by_value
      - .address_space:  global
        .offset:         128
        .size:           8
        .value_kind:     global_buffer
      - .address_space:  global
        .offset:         136
        .size:           8
        .value_kind:     global_buffer
      - .offset:         144
        .size:           4
        .value_kind:     hidden_block_count_x
      - .offset:         148
        .size:           4
        .value_kind:     hidden_block_count_y
      - .offset:         152
        .size:           4
        .value_kind:     hidden_block_count_z
      - .offset:         156
        .size:           2
        .value_kind:     hidden_group_size_x
      - .offset:         158
        .size:           2
        .value_kind:     hidden_group_size_y
      - .offset:         160
        .size:           2
        .value_kind:     hidden_group_size_z
      - .offset:         162
        .size:           2
        .value_kind:     hidden_remainder_x
      - .offset:         164
        .size:           2
        .value_kind:     hidden_remainder_y
      - .offset:         166
        .size:           2
        .value_kind:     hidden_remainder_z
      - .offset:         184
        .size:           8
        .value_kind:     hidden_global_offset_x
      - .offset:         192
        .size:           8
        .value_kind:     hidden_global_offset_y
      - .offset:         200
        .size:           8
        .value_kind:     hidden_global_offset_z
      - .offset:         208
        .size:           2
        .value_kind:     hidden_grid_dims
      - .offset:         224
        .size:           8
        .value_kind:     hidden_hostcall_buffer
    .group_segment_fixed_size: 0
    .kernarg_segment_align: 8
    .kernarg_segment_size: 400
    .language:       OpenCL C
    .language_version:
      - 2
      - 0
    .max_flat_workgroup_size: 256
    .name:           _Z38paged_attention_ll4mi_QKV_mfma4_kernelI14__hip_bfloat16hLN4vllm18Fp8KVCacheDataTypeE1EhLi32ELi128ELi256ELb1ELi3EEvPKT_PKT0_S8_ifPKiSA_SA_iPKfiiiPfSD_PS3_PT2_iSC_SC_
    .private_segment_fixed_size: 64
    .sgpr_count:     36
    .sgpr_spill_count: 0
    .symbol:         _Z38paged_attention_ll4mi_QKV_mfma4_kernelI14__hip_bfloat16hLN4vllm18Fp8KVCacheDataTypeE1EhLi32ELi128ELi256ELb1ELi3EEvPKT_PKT0_S8_ifPKiSA_SA_iPKfiiiPfSD_PS3_PT2_iSC_SC_.kd
    .uniform_work_group_size: 1
    .uses_dynamic_stack: false
    .vgpr_count:     51
    .vgpr_spill_count: 0
    .wavefront_size: 32
  - .args:
      - .actual_access:  read_only
        .address_space:  global
        .offset:         0
        .size:           8
        .value_kind:     global_buffer
      - .actual_access:  read_only
        .address_space:  global
        .offset:         8
        .size:           8
        .value_kind:     global_buffer
      - .actual_access:  read_only
        .address_space:  global
        .offset:         16
        .size:           8
        .value_kind:     global_buffer
      - .offset:         24
        .size:           4
        .value_kind:     by_value
      - .offset:         28
        .size:           4
        .value_kind:     by_value
      - .actual_access:  read_only
        .address_space:  global
        .offset:         32
        .size:           8
        .value_kind:     global_buffer
      - .actual_access:  read_only
        .address_space:  global
        .offset:         40
        .size:           8
        .value_kind:     global_buffer
      - .actual_access:  read_only
        .address_space:  global
        .offset:         48
        .size:           8
        .value_kind:     global_buffer
      - .offset:         56
        .size:           4
        .value_kind:     by_value
      - .actual_access:  read_only
        .address_space:  global
        .offset:         64
        .size:           8
        .value_kind:     global_buffer
      - .offset:         72
        .size:           4
        .value_kind:     by_value
      - .offset:         76
        .size:           4
        .value_kind:     by_value
      - .offset:         80
        .size:           4
        .value_kind:     by_value
      - .actual_access:  read_only
        .address_space:  global
        .offset:         88
        .size:           8
        .value_kind:     global_buffer
      - .actual_access:  read_only
        .address_space:  global
        .offset:         96
        .size:           8
        .value_kind:     global_buffer
      - .actual_access:  read_only
        .address_space:  global
        .offset:         104
        .size:           8
        .value_kind:     global_buffer
      - .actual_access:  read_only
        .address_space:  global
        .offset:         112
        .size:           8
        .value_kind:     global_buffer
      - .offset:         120
        .size:           4
        .value_kind:     by_value
      - .address_space:  global
        .offset:         128
        .size:           8
        .value_kind:     global_buffer
      - .address_space:  global
        .offset:         136
        .size:           8
        .value_kind:     global_buffer
      - .offset:         144
        .size:           4
        .value_kind:     hidden_block_count_x
      - .offset:         148
        .size:           4
        .value_kind:     hidden_block_count_y
      - .offset:         152
        .size:           4
        .value_kind:     hidden_block_count_z
      - .offset:         156
        .size:           2
        .value_kind:     hidden_group_size_x
      - .offset:         158
        .size:           2
        .value_kind:     hidden_group_size_y
      - .offset:         160
        .size:           2
        .value_kind:     hidden_group_size_z
      - .offset:         162
        .size:           2
        .value_kind:     hidden_remainder_x
      - .offset:         164
        .size:           2
        .value_kind:     hidden_remainder_y
      - .offset:         166
        .size:           2
        .value_kind:     hidden_remainder_z
      - .offset:         184
        .size:           8
        .value_kind:     hidden_global_offset_x
      - .offset:         192
        .size:           8
        .value_kind:     hidden_global_offset_y
      - .offset:         200
        .size:           8
        .value_kind:     hidden_global_offset_z
      - .offset:         208
        .size:           2
        .value_kind:     hidden_grid_dims
      - .offset:         224
        .size:           8
        .value_kind:     hidden_hostcall_buffer
    .group_segment_fixed_size: 0
    .kernarg_segment_align: 8
    .kernarg_segment_size: 400
    .language:       OpenCL C
    .language_version:
      - 2
      - 0
    .max_flat_workgroup_size: 256
    .name:           _Z38paged_attention_ll4mi_QKV_mfma4_kernelI14__hip_bfloat16hLN4vllm18Fp8KVCacheDataTypeE1EhLi32ELi128ELi256ELb1ELi4EEvPKT_PKT0_S8_ifPKiSA_SA_iPKfiiiPfSD_PS3_PT2_iSC_SC_
    .private_segment_fixed_size: 64
    .sgpr_count:     36
    .sgpr_spill_count: 0
    .symbol:         _Z38paged_attention_ll4mi_QKV_mfma4_kernelI14__hip_bfloat16hLN4vllm18Fp8KVCacheDataTypeE1EhLi32ELi128ELi256ELb1ELi4EEvPKT_PKT0_S8_ifPKiSA_SA_iPKfiiiPfSD_PS3_PT2_iSC_SC_.kd
    .uniform_work_group_size: 1
    .uses_dynamic_stack: false
    .vgpr_count:     51
    .vgpr_spill_count: 0
    .wavefront_size: 32
  - .args:
      - .actual_access:  read_only
        .address_space:  global
        .offset:         0
        .size:           8
        .value_kind:     global_buffer
      - .actual_access:  read_only
        .address_space:  global
        .offset:         8
        .size:           8
        .value_kind:     global_buffer
      - .actual_access:  read_only
        .address_space:  global
        .offset:         16
        .size:           8
        .value_kind:     global_buffer
      - .offset:         24
        .size:           4
        .value_kind:     by_value
      - .offset:         28
        .size:           4
        .value_kind:     by_value
      - .actual_access:  read_only
        .address_space:  global
        .offset:         32
        .size:           8
        .value_kind:     global_buffer
      - .actual_access:  read_only
        .address_space:  global
        .offset:         40
        .size:           8
        .value_kind:     global_buffer
      - .actual_access:  read_only
        .address_space:  global
        .offset:         48
        .size:           8
        .value_kind:     global_buffer
      - .offset:         56
        .size:           4
        .value_kind:     by_value
      - .actual_access:  read_only
        .address_space:  global
        .offset:         64
        .size:           8
        .value_kind:     global_buffer
      - .offset:         72
        .size:           4
        .value_kind:     by_value
      - .offset:         76
        .size:           4
        .value_kind:     by_value
      - .offset:         80
        .size:           4
        .value_kind:     by_value
      - .actual_access:  read_only
        .address_space:  global
        .offset:         88
        .size:           8
        .value_kind:     global_buffer
      - .actual_access:  read_only
        .address_space:  global
        .offset:         96
        .size:           8
        .value_kind:     global_buffer
      - .actual_access:  read_only
        .address_space:  global
        .offset:         104
        .size:           8
        .value_kind:     global_buffer
      - .actual_access:  read_only
        .address_space:  global
        .offset:         112
        .size:           8
        .value_kind:     global_buffer
      - .offset:         120
        .size:           4
        .value_kind:     by_value
      - .address_space:  global
        .offset:         128
        .size:           8
        .value_kind:     global_buffer
      - .address_space:  global
        .offset:         136
        .size:           8
        .value_kind:     global_buffer
      - .offset:         144
        .size:           4
        .value_kind:     hidden_block_count_x
      - .offset:         148
        .size:           4
        .value_kind:     hidden_block_count_y
      - .offset:         152
        .size:           4
        .value_kind:     hidden_block_count_z
      - .offset:         156
        .size:           2
        .value_kind:     hidden_group_size_x
      - .offset:         158
        .size:           2
        .value_kind:     hidden_group_size_y
      - .offset:         160
        .size:           2
        .value_kind:     hidden_group_size_z
      - .offset:         162
        .size:           2
        .value_kind:     hidden_remainder_x
      - .offset:         164
        .size:           2
        .value_kind:     hidden_remainder_y
      - .offset:         166
        .size:           2
        .value_kind:     hidden_remainder_z
      - .offset:         184
        .size:           8
        .value_kind:     hidden_global_offset_x
      - .offset:         192
        .size:           8
        .value_kind:     hidden_global_offset_y
      - .offset:         200
        .size:           8
        .value_kind:     hidden_global_offset_z
      - .offset:         208
        .size:           2
        .value_kind:     hidden_grid_dims
      - .offset:         224
        .size:           8
        .value_kind:     hidden_hostcall_buffer
    .group_segment_fixed_size: 0
    .kernarg_segment_align: 8
    .kernarg_segment_size: 400
    .language:       OpenCL C
    .language_version:
      - 2
      - 0
    .max_flat_workgroup_size: 256
    .name:           _Z39paged_attention_ll4mi_QKV_mfma16_kernelI14__hip_bfloat16hLN4vllm18Fp8KVCacheDataTypeE1EhLi32ELi128ELi256ELb1ELi5EEvPKT_PKT0_S8_ifPKiSA_SA_iPKfiiiPfSD_PS3_PT2_iSC_SC_
    .private_segment_fixed_size: 64
    .sgpr_count:     36
    .sgpr_spill_count: 0
    .symbol:         _Z39paged_attention_ll4mi_QKV_mfma16_kernelI14__hip_bfloat16hLN4vllm18Fp8KVCacheDataTypeE1EhLi32ELi128ELi256ELb1ELi5EEvPKT_PKT0_S8_ifPKiSA_SA_iPKfiiiPfSD_PS3_PT2_iSC_SC_.kd
    .uniform_work_group_size: 1
    .uses_dynamic_stack: false
    .vgpr_count:     51
    .vgpr_spill_count: 0
    .wavefront_size: 32
  - .args:
      - .actual_access:  read_only
        .address_space:  global
        .offset:         0
        .size:           8
        .value_kind:     global_buffer
      - .actual_access:  read_only
        .address_space:  global
        .offset:         8
        .size:           8
        .value_kind:     global_buffer
      - .actual_access:  read_only
        .address_space:  global
        .offset:         16
        .size:           8
        .value_kind:     global_buffer
      - .offset:         24
        .size:           4
        .value_kind:     by_value
      - .offset:         28
        .size:           4
        .value_kind:     by_value
      - .actual_access:  read_only
        .address_space:  global
        .offset:         32
        .size:           8
        .value_kind:     global_buffer
      - .actual_access:  read_only
        .address_space:  global
        .offset:         40
        .size:           8
        .value_kind:     global_buffer
      - .actual_access:  read_only
        .address_space:  global
        .offset:         48
        .size:           8
        .value_kind:     global_buffer
      - .offset:         56
        .size:           4
        .value_kind:     by_value
      - .actual_access:  read_only
        .address_space:  global
        .offset:         64
        .size:           8
        .value_kind:     global_buffer
      - .offset:         72
        .size:           4
        .value_kind:     by_value
      - .offset:         76
        .size:           4
        .value_kind:     by_value
      - .offset:         80
        .size:           4
        .value_kind:     by_value
      - .actual_access:  read_only
        .address_space:  global
        .offset:         88
        .size:           8
        .value_kind:     global_buffer
      - .actual_access:  read_only
        .address_space:  global
        .offset:         96
        .size:           8
        .value_kind:     global_buffer
      - .actual_access:  read_only
        .address_space:  global
        .offset:         104
        .size:           8
        .value_kind:     global_buffer
      - .actual_access:  read_only
        .address_space:  global
        .offset:         112
        .size:           8
        .value_kind:     global_buffer
      - .offset:         120
        .size:           4
        .value_kind:     by_value
      - .address_space:  global
        .offset:         128
        .size:           8
        .value_kind:     global_buffer
      - .address_space:  global
        .offset:         136
        .size:           8
        .value_kind:     global_buffer
      - .offset:         144
        .size:           4
        .value_kind:     hidden_block_count_x
      - .offset:         148
        .size:           4
        .value_kind:     hidden_block_count_y
      - .offset:         152
        .size:           4
        .value_kind:     hidden_block_count_z
      - .offset:         156
        .size:           2
        .value_kind:     hidden_group_size_x
      - .offset:         158
        .size:           2
        .value_kind:     hidden_group_size_y
      - .offset:         160
        .size:           2
        .value_kind:     hidden_group_size_z
      - .offset:         162
        .size:           2
        .value_kind:     hidden_remainder_x
      - .offset:         164
        .size:           2
        .value_kind:     hidden_remainder_y
      - .offset:         166
        .size:           2
        .value_kind:     hidden_remainder_z
      - .offset:         184
        .size:           8
        .value_kind:     hidden_global_offset_x
      - .offset:         192
        .size:           8
        .value_kind:     hidden_global_offset_y
      - .offset:         200
        .size:           8
        .value_kind:     hidden_global_offset_z
      - .offset:         208
        .size:           2
        .value_kind:     hidden_grid_dims
      - .offset:         224
        .size:           8
        .value_kind:     hidden_hostcall_buffer
    .group_segment_fixed_size: 0
    .kernarg_segment_align: 8
    .kernarg_segment_size: 400
    .language:       OpenCL C
    .language_version:
      - 2
      - 0
    .max_flat_workgroup_size: 256
    .name:           _Z39paged_attention_ll4mi_QKV_mfma16_kernelI14__hip_bfloat16hLN4vllm18Fp8KVCacheDataTypeE1EhLi32ELi128ELi256ELb1ELi6EEvPKT_PKT0_S8_ifPKiSA_SA_iPKfiiiPfSD_PS3_PT2_iSC_SC_
    .private_segment_fixed_size: 64
    .sgpr_count:     36
    .sgpr_spill_count: 0
    .symbol:         _Z39paged_attention_ll4mi_QKV_mfma16_kernelI14__hip_bfloat16hLN4vllm18Fp8KVCacheDataTypeE1EhLi32ELi128ELi256ELb1ELi6EEvPKT_PKT0_S8_ifPKiSA_SA_iPKfiiiPfSD_PS3_PT2_iSC_SC_.kd
    .uniform_work_group_size: 1
    .uses_dynamic_stack: false
    .vgpr_count:     51
    .vgpr_spill_count: 0
    .wavefront_size: 32
  - .args:
      - .actual_access:  read_only
        .address_space:  global
        .offset:         0
        .size:           8
        .value_kind:     global_buffer
      - .actual_access:  read_only
        .address_space:  global
        .offset:         8
        .size:           8
        .value_kind:     global_buffer
      - .actual_access:  read_only
        .address_space:  global
        .offset:         16
        .size:           8
        .value_kind:     global_buffer
      - .offset:         24
        .size:           4
        .value_kind:     by_value
      - .offset:         28
        .size:           4
        .value_kind:     by_value
      - .actual_access:  read_only
        .address_space:  global
        .offset:         32
        .size:           8
        .value_kind:     global_buffer
      - .actual_access:  read_only
        .address_space:  global
        .offset:         40
        .size:           8
        .value_kind:     global_buffer
      - .actual_access:  read_only
        .address_space:  global
        .offset:         48
        .size:           8
        .value_kind:     global_buffer
      - .offset:         56
        .size:           4
        .value_kind:     by_value
      - .actual_access:  read_only
        .address_space:  global
        .offset:         64
        .size:           8
        .value_kind:     global_buffer
      - .offset:         72
        .size:           4
        .value_kind:     by_value
      - .offset:         76
        .size:           4
        .value_kind:     by_value
      - .offset:         80
        .size:           4
        .value_kind:     by_value
      - .actual_access:  read_only
        .address_space:  global
        .offset:         88
        .size:           8
        .value_kind:     global_buffer
      - .actual_access:  read_only
        .address_space:  global
        .offset:         96
        .size:           8
        .value_kind:     global_buffer
      - .actual_access:  read_only
        .address_space:  global
        .offset:         104
        .size:           8
        .value_kind:     global_buffer
      - .actual_access:  read_only
        .address_space:  global
        .offset:         112
        .size:           8
        .value_kind:     global_buffer
      - .offset:         120
        .size:           4
        .value_kind:     by_value
      - .address_space:  global
        .offset:         128
        .size:           8
        .value_kind:     global_buffer
      - .address_space:  global
        .offset:         136
        .size:           8
        .value_kind:     global_buffer
      - .offset:         144
        .size:           4
        .value_kind:     hidden_block_count_x
      - .offset:         148
        .size:           4
        .value_kind:     hidden_block_count_y
      - .offset:         152
        .size:           4
        .value_kind:     hidden_block_count_z
      - .offset:         156
        .size:           2
        .value_kind:     hidden_group_size_x
      - .offset:         158
        .size:           2
        .value_kind:     hidden_group_size_y
      - .offset:         160
        .size:           2
        .value_kind:     hidden_group_size_z
      - .offset:         162
        .size:           2
        .value_kind:     hidden_remainder_x
      - .offset:         164
        .size:           2
        .value_kind:     hidden_remainder_y
      - .offset:         166
        .size:           2
        .value_kind:     hidden_remainder_z
      - .offset:         184
        .size:           8
        .value_kind:     hidden_global_offset_x
      - .offset:         192
        .size:           8
        .value_kind:     hidden_global_offset_y
      - .offset:         200
        .size:           8
        .value_kind:     hidden_global_offset_z
      - .offset:         208
        .size:           2
        .value_kind:     hidden_grid_dims
      - .offset:         224
        .size:           8
        .value_kind:     hidden_hostcall_buffer
    .group_segment_fixed_size: 0
    .kernarg_segment_align: 8
    .kernarg_segment_size: 400
    .language:       OpenCL C
    .language_version:
      - 2
      - 0
    .max_flat_workgroup_size: 256
    .name:           _Z39paged_attention_ll4mi_QKV_mfma16_kernelI14__hip_bfloat16hLN4vllm18Fp8KVCacheDataTypeE1EhLi32ELi128ELi256ELb1ELi7EEvPKT_PKT0_S8_ifPKiSA_SA_iPKfiiiPfSD_PS3_PT2_iSC_SC_
    .private_segment_fixed_size: 64
    .sgpr_count:     36
    .sgpr_spill_count: 0
    .symbol:         _Z39paged_attention_ll4mi_QKV_mfma16_kernelI14__hip_bfloat16hLN4vllm18Fp8KVCacheDataTypeE1EhLi32ELi128ELi256ELb1ELi7EEvPKT_PKT0_S8_ifPKiSA_SA_iPKfiiiPfSD_PS3_PT2_iSC_SC_.kd
    .uniform_work_group_size: 1
    .uses_dynamic_stack: false
    .vgpr_count:     51
    .vgpr_spill_count: 0
    .wavefront_size: 32
  - .args:
      - .actual_access:  read_only
        .address_space:  global
        .offset:         0
        .size:           8
        .value_kind:     global_buffer
      - .actual_access:  read_only
        .address_space:  global
        .offset:         8
        .size:           8
        .value_kind:     global_buffer
      - .actual_access:  read_only
        .address_space:  global
        .offset:         16
        .size:           8
        .value_kind:     global_buffer
      - .offset:         24
        .size:           4
        .value_kind:     by_value
      - .offset:         28
        .size:           4
        .value_kind:     by_value
      - .actual_access:  read_only
        .address_space:  global
        .offset:         32
        .size:           8
        .value_kind:     global_buffer
      - .actual_access:  read_only
        .address_space:  global
        .offset:         40
        .size:           8
        .value_kind:     global_buffer
      - .actual_access:  read_only
        .address_space:  global
        .offset:         48
        .size:           8
        .value_kind:     global_buffer
      - .offset:         56
        .size:           4
        .value_kind:     by_value
      - .actual_access:  read_only
        .address_space:  global
        .offset:         64
        .size:           8
        .value_kind:     global_buffer
      - .offset:         72
        .size:           4
        .value_kind:     by_value
      - .offset:         76
        .size:           4
        .value_kind:     by_value
      - .offset:         80
        .size:           4
        .value_kind:     by_value
      - .actual_access:  read_only
        .address_space:  global
        .offset:         88
        .size:           8
        .value_kind:     global_buffer
      - .actual_access:  read_only
        .address_space:  global
        .offset:         96
        .size:           8
        .value_kind:     global_buffer
      - .actual_access:  read_only
        .address_space:  global
        .offset:         104
        .size:           8
        .value_kind:     global_buffer
      - .actual_access:  read_only
        .address_space:  global
        .offset:         112
        .size:           8
        .value_kind:     global_buffer
      - .offset:         120
        .size:           4
        .value_kind:     by_value
      - .address_space:  global
        .offset:         128
        .size:           8
        .value_kind:     global_buffer
      - .address_space:  global
        .offset:         136
        .size:           8
        .value_kind:     global_buffer
      - .offset:         144
        .size:           4
        .value_kind:     hidden_block_count_x
      - .offset:         148
        .size:           4
        .value_kind:     hidden_block_count_y
      - .offset:         152
        .size:           4
        .value_kind:     hidden_block_count_z
      - .offset:         156
        .size:           2
        .value_kind:     hidden_group_size_x
      - .offset:         158
        .size:           2
        .value_kind:     hidden_group_size_y
      - .offset:         160
        .size:           2
        .value_kind:     hidden_group_size_z
      - .offset:         162
        .size:           2
        .value_kind:     hidden_remainder_x
      - .offset:         164
        .size:           2
        .value_kind:     hidden_remainder_y
      - .offset:         166
        .size:           2
        .value_kind:     hidden_remainder_z
      - .offset:         184
        .size:           8
        .value_kind:     hidden_global_offset_x
      - .offset:         192
        .size:           8
        .value_kind:     hidden_global_offset_y
      - .offset:         200
        .size:           8
        .value_kind:     hidden_global_offset_z
      - .offset:         208
        .size:           2
        .value_kind:     hidden_grid_dims
      - .offset:         224
        .size:           8
        .value_kind:     hidden_hostcall_buffer
    .group_segment_fixed_size: 0
    .kernarg_segment_align: 8
    .kernarg_segment_size: 400
    .language:       OpenCL C
    .language_version:
      - 2
      - 0
    .max_flat_workgroup_size: 256
    .name:           _Z39paged_attention_ll4mi_QKV_mfma16_kernelI14__hip_bfloat16hLN4vllm18Fp8KVCacheDataTypeE1EhLi32ELi128ELi256ELb1ELi8EEvPKT_PKT0_S8_ifPKiSA_SA_iPKfiiiPfSD_PS3_PT2_iSC_SC_
    .private_segment_fixed_size: 64
    .sgpr_count:     36
    .sgpr_spill_count: 0
    .symbol:         _Z39paged_attention_ll4mi_QKV_mfma16_kernelI14__hip_bfloat16hLN4vllm18Fp8KVCacheDataTypeE1EhLi32ELi128ELi256ELb1ELi8EEvPKT_PKT0_S8_ifPKiSA_SA_iPKfiiiPfSD_PS3_PT2_iSC_SC_.kd
    .uniform_work_group_size: 1
    .uses_dynamic_stack: false
    .vgpr_count:     51
    .vgpr_spill_count: 0
    .wavefront_size: 32
  - .args:
      - .actual_access:  read_only
        .address_space:  global
        .offset:         0
        .size:           8
        .value_kind:     global_buffer
      - .actual_access:  read_only
        .address_space:  global
        .offset:         8
        .size:           8
        .value_kind:     global_buffer
      - .actual_access:  read_only
        .address_space:  global
        .offset:         16
        .size:           8
        .value_kind:     global_buffer
      - .offset:         24
        .size:           4
        .value_kind:     by_value
      - .offset:         28
        .size:           4
        .value_kind:     by_value
      - .actual_access:  read_only
        .address_space:  global
        .offset:         32
        .size:           8
        .value_kind:     global_buffer
      - .actual_access:  read_only
        .address_space:  global
        .offset:         40
        .size:           8
        .value_kind:     global_buffer
      - .actual_access:  read_only
        .address_space:  global
        .offset:         48
        .size:           8
        .value_kind:     global_buffer
      - .offset:         56
        .size:           4
        .value_kind:     by_value
      - .actual_access:  read_only
        .address_space:  global
        .offset:         64
        .size:           8
        .value_kind:     global_buffer
      - .offset:         72
        .size:           4
        .value_kind:     by_value
      - .offset:         76
        .size:           4
        .value_kind:     by_value
      - .offset:         80
        .size:           4
        .value_kind:     by_value
      - .actual_access:  read_only
        .address_space:  global
        .offset:         88
        .size:           8
        .value_kind:     global_buffer
      - .actual_access:  read_only
        .address_space:  global
        .offset:         96
        .size:           8
        .value_kind:     global_buffer
      - .actual_access:  read_only
        .address_space:  global
        .offset:         104
        .size:           8
        .value_kind:     global_buffer
      - .actual_access:  read_only
        .address_space:  global
        .offset:         112
        .size:           8
        .value_kind:     global_buffer
      - .offset:         120
        .size:           4
        .value_kind:     by_value
      - .address_space:  global
        .offset:         128
        .size:           8
        .value_kind:     global_buffer
      - .address_space:  global
        .offset:         136
        .size:           8
        .value_kind:     global_buffer
      - .offset:         144
        .size:           4
        .value_kind:     hidden_block_count_x
      - .offset:         148
        .size:           4
        .value_kind:     hidden_block_count_y
      - .offset:         152
        .size:           4
        .value_kind:     hidden_block_count_z
      - .offset:         156
        .size:           2
        .value_kind:     hidden_group_size_x
      - .offset:         158
        .size:           2
        .value_kind:     hidden_group_size_y
      - .offset:         160
        .size:           2
        .value_kind:     hidden_group_size_z
      - .offset:         162
        .size:           2
        .value_kind:     hidden_remainder_x
      - .offset:         164
        .size:           2
        .value_kind:     hidden_remainder_y
      - .offset:         166
        .size:           2
        .value_kind:     hidden_remainder_z
      - .offset:         184
        .size:           8
        .value_kind:     hidden_global_offset_x
      - .offset:         192
        .size:           8
        .value_kind:     hidden_global_offset_y
      - .offset:         200
        .size:           8
        .value_kind:     hidden_global_offset_z
      - .offset:         208
        .size:           2
        .value_kind:     hidden_grid_dims
      - .offset:         224
        .size:           8
        .value_kind:     hidden_hostcall_buffer
    .group_segment_fixed_size: 0
    .kernarg_segment_align: 8
    .kernarg_segment_size: 400
    .language:       OpenCL C
    .language_version:
      - 2
      - 0
    .max_flat_workgroup_size: 256
    .name:           _Z39paged_attention_ll4mi_QKV_mfma16_kernelI14__hip_bfloat16hLN4vllm18Fp8KVCacheDataTypeE1EhLi32ELi128ELi256ELb1ELi9EEvPKT_PKT0_S8_ifPKiSA_SA_iPKfiiiPfSD_PS3_PT2_iSC_SC_
    .private_segment_fixed_size: 64
    .sgpr_count:     36
    .sgpr_spill_count: 0
    .symbol:         _Z39paged_attention_ll4mi_QKV_mfma16_kernelI14__hip_bfloat16hLN4vllm18Fp8KVCacheDataTypeE1EhLi32ELi128ELi256ELb1ELi9EEvPKT_PKT0_S8_ifPKiSA_SA_iPKfiiiPfSD_PS3_PT2_iSC_SC_.kd
    .uniform_work_group_size: 1
    .uses_dynamic_stack: false
    .vgpr_count:     51
    .vgpr_spill_count: 0
    .wavefront_size: 32
  - .args:
      - .actual_access:  read_only
        .address_space:  global
        .offset:         0
        .size:           8
        .value_kind:     global_buffer
      - .actual_access:  read_only
        .address_space:  global
        .offset:         8
        .size:           8
        .value_kind:     global_buffer
      - .actual_access:  read_only
        .address_space:  global
        .offset:         16
        .size:           8
        .value_kind:     global_buffer
      - .offset:         24
        .size:           4
        .value_kind:     by_value
      - .offset:         28
        .size:           4
        .value_kind:     by_value
      - .actual_access:  read_only
        .address_space:  global
        .offset:         32
        .size:           8
        .value_kind:     global_buffer
      - .actual_access:  read_only
        .address_space:  global
        .offset:         40
        .size:           8
        .value_kind:     global_buffer
      - .actual_access:  read_only
        .address_space:  global
        .offset:         48
        .size:           8
        .value_kind:     global_buffer
      - .offset:         56
        .size:           4
        .value_kind:     by_value
      - .actual_access:  read_only
        .address_space:  global
        .offset:         64
        .size:           8
        .value_kind:     global_buffer
      - .offset:         72
        .size:           4
        .value_kind:     by_value
      - .offset:         76
        .size:           4
        .value_kind:     by_value
      - .offset:         80
        .size:           4
        .value_kind:     by_value
      - .actual_access:  read_only
        .address_space:  global
        .offset:         88
        .size:           8
        .value_kind:     global_buffer
      - .actual_access:  read_only
        .address_space:  global
        .offset:         96
        .size:           8
        .value_kind:     global_buffer
      - .actual_access:  read_only
        .address_space:  global
        .offset:         104
        .size:           8
        .value_kind:     global_buffer
      - .actual_access:  read_only
        .address_space:  global
        .offset:         112
        .size:           8
        .value_kind:     global_buffer
      - .offset:         120
        .size:           4
        .value_kind:     by_value
      - .address_space:  global
        .offset:         128
        .size:           8
        .value_kind:     global_buffer
      - .address_space:  global
        .offset:         136
        .size:           8
        .value_kind:     global_buffer
      - .offset:         144
        .size:           4
        .value_kind:     hidden_block_count_x
      - .offset:         148
        .size:           4
        .value_kind:     hidden_block_count_y
      - .offset:         152
        .size:           4
        .value_kind:     hidden_block_count_z
      - .offset:         156
        .size:           2
        .value_kind:     hidden_group_size_x
      - .offset:         158
        .size:           2
        .value_kind:     hidden_group_size_y
      - .offset:         160
        .size:           2
        .value_kind:     hidden_group_size_z
      - .offset:         162
        .size:           2
        .value_kind:     hidden_remainder_x
      - .offset:         164
        .size:           2
        .value_kind:     hidden_remainder_y
      - .offset:         166
        .size:           2
        .value_kind:     hidden_remainder_z
      - .offset:         184
        .size:           8
        .value_kind:     hidden_global_offset_x
      - .offset:         192
        .size:           8
        .value_kind:     hidden_global_offset_y
      - .offset:         200
        .size:           8
        .value_kind:     hidden_global_offset_z
      - .offset:         208
        .size:           2
        .value_kind:     hidden_grid_dims
      - .offset:         224
        .size:           8
        .value_kind:     hidden_hostcall_buffer
    .group_segment_fixed_size: 0
    .kernarg_segment_align: 8
    .kernarg_segment_size: 400
    .language:       OpenCL C
    .language_version:
      - 2
      - 0
    .max_flat_workgroup_size: 256
    .name:           _Z39paged_attention_ll4mi_QKV_mfma16_kernelI14__hip_bfloat16hLN4vllm18Fp8KVCacheDataTypeE1EhLi32ELi128ELi256ELb1ELi10EEvPKT_PKT0_S8_ifPKiSA_SA_iPKfiiiPfSD_PS3_PT2_iSC_SC_
    .private_segment_fixed_size: 64
    .sgpr_count:     36
    .sgpr_spill_count: 0
    .symbol:         _Z39paged_attention_ll4mi_QKV_mfma16_kernelI14__hip_bfloat16hLN4vllm18Fp8KVCacheDataTypeE1EhLi32ELi128ELi256ELb1ELi10EEvPKT_PKT0_S8_ifPKiSA_SA_iPKfiiiPfSD_PS3_PT2_iSC_SC_.kd
    .uniform_work_group_size: 1
    .uses_dynamic_stack: false
    .vgpr_count:     51
    .vgpr_spill_count: 0
    .wavefront_size: 32
  - .args:
      - .actual_access:  read_only
        .address_space:  global
        .offset:         0
        .size:           8
        .value_kind:     global_buffer
      - .actual_access:  read_only
        .address_space:  global
        .offset:         8
        .size:           8
        .value_kind:     global_buffer
      - .actual_access:  read_only
        .address_space:  global
        .offset:         16
        .size:           8
        .value_kind:     global_buffer
      - .offset:         24
        .size:           4
        .value_kind:     by_value
      - .offset:         28
        .size:           4
        .value_kind:     by_value
      - .actual_access:  read_only
        .address_space:  global
        .offset:         32
        .size:           8
        .value_kind:     global_buffer
      - .actual_access:  read_only
        .address_space:  global
        .offset:         40
        .size:           8
        .value_kind:     global_buffer
      - .actual_access:  read_only
        .address_space:  global
        .offset:         48
        .size:           8
        .value_kind:     global_buffer
      - .offset:         56
        .size:           4
        .value_kind:     by_value
      - .actual_access:  read_only
        .address_space:  global
        .offset:         64
        .size:           8
        .value_kind:     global_buffer
      - .offset:         72
        .size:           4
        .value_kind:     by_value
      - .offset:         76
        .size:           4
        .value_kind:     by_value
      - .offset:         80
        .size:           4
        .value_kind:     by_value
      - .actual_access:  read_only
        .address_space:  global
        .offset:         88
        .size:           8
        .value_kind:     global_buffer
      - .actual_access:  read_only
        .address_space:  global
        .offset:         96
        .size:           8
        .value_kind:     global_buffer
      - .actual_access:  read_only
        .address_space:  global
        .offset:         104
        .size:           8
        .value_kind:     global_buffer
      - .actual_access:  read_only
        .address_space:  global
        .offset:         112
        .size:           8
        .value_kind:     global_buffer
      - .offset:         120
        .size:           4
        .value_kind:     by_value
      - .address_space:  global
        .offset:         128
        .size:           8
        .value_kind:     global_buffer
      - .address_space:  global
        .offset:         136
        .size:           8
        .value_kind:     global_buffer
      - .offset:         144
        .size:           4
        .value_kind:     hidden_block_count_x
      - .offset:         148
        .size:           4
        .value_kind:     hidden_block_count_y
      - .offset:         152
        .size:           4
        .value_kind:     hidden_block_count_z
      - .offset:         156
        .size:           2
        .value_kind:     hidden_group_size_x
      - .offset:         158
        .size:           2
        .value_kind:     hidden_group_size_y
      - .offset:         160
        .size:           2
        .value_kind:     hidden_group_size_z
      - .offset:         162
        .size:           2
        .value_kind:     hidden_remainder_x
      - .offset:         164
        .size:           2
        .value_kind:     hidden_remainder_y
      - .offset:         166
        .size:           2
        .value_kind:     hidden_remainder_z
      - .offset:         184
        .size:           8
        .value_kind:     hidden_global_offset_x
      - .offset:         192
        .size:           8
        .value_kind:     hidden_global_offset_y
      - .offset:         200
        .size:           8
        .value_kind:     hidden_global_offset_z
      - .offset:         208
        .size:           2
        .value_kind:     hidden_grid_dims
      - .offset:         224
        .size:           8
        .value_kind:     hidden_hostcall_buffer
    .group_segment_fixed_size: 0
    .kernarg_segment_align: 8
    .kernarg_segment_size: 400
    .language:       OpenCL C
    .language_version:
      - 2
      - 0
    .max_flat_workgroup_size: 256
    .name:           _Z39paged_attention_ll4mi_QKV_mfma16_kernelI14__hip_bfloat16hLN4vllm18Fp8KVCacheDataTypeE1EhLi32ELi128ELi256ELb1ELi11EEvPKT_PKT0_S8_ifPKiSA_SA_iPKfiiiPfSD_PS3_PT2_iSC_SC_
    .private_segment_fixed_size: 64
    .sgpr_count:     36
    .sgpr_spill_count: 0
    .symbol:         _Z39paged_attention_ll4mi_QKV_mfma16_kernelI14__hip_bfloat16hLN4vllm18Fp8KVCacheDataTypeE1EhLi32ELi128ELi256ELb1ELi11EEvPKT_PKT0_S8_ifPKiSA_SA_iPKfiiiPfSD_PS3_PT2_iSC_SC_.kd
    .uniform_work_group_size: 1
    .uses_dynamic_stack: false
    .vgpr_count:     51
    .vgpr_spill_count: 0
    .wavefront_size: 32
  - .args:
      - .actual_access:  read_only
        .address_space:  global
        .offset:         0
        .size:           8
        .value_kind:     global_buffer
      - .actual_access:  read_only
        .address_space:  global
        .offset:         8
        .size:           8
        .value_kind:     global_buffer
      - .actual_access:  read_only
        .address_space:  global
        .offset:         16
        .size:           8
        .value_kind:     global_buffer
      - .offset:         24
        .size:           4
        .value_kind:     by_value
      - .offset:         28
        .size:           4
        .value_kind:     by_value
      - .actual_access:  read_only
        .address_space:  global
        .offset:         32
        .size:           8
        .value_kind:     global_buffer
      - .actual_access:  read_only
        .address_space:  global
        .offset:         40
        .size:           8
        .value_kind:     global_buffer
      - .actual_access:  read_only
        .address_space:  global
        .offset:         48
        .size:           8
        .value_kind:     global_buffer
      - .offset:         56
        .size:           4
        .value_kind:     by_value
      - .actual_access:  read_only
        .address_space:  global
        .offset:         64
        .size:           8
        .value_kind:     global_buffer
      - .offset:         72
        .size:           4
        .value_kind:     by_value
      - .offset:         76
        .size:           4
        .value_kind:     by_value
      - .offset:         80
        .size:           4
        .value_kind:     by_value
      - .actual_access:  read_only
        .address_space:  global
        .offset:         88
        .size:           8
        .value_kind:     global_buffer
      - .actual_access:  read_only
        .address_space:  global
        .offset:         96
        .size:           8
        .value_kind:     global_buffer
      - .actual_access:  read_only
        .address_space:  global
        .offset:         104
        .size:           8
        .value_kind:     global_buffer
      - .actual_access:  read_only
        .address_space:  global
        .offset:         112
        .size:           8
        .value_kind:     global_buffer
      - .offset:         120
        .size:           4
        .value_kind:     by_value
      - .address_space:  global
        .offset:         128
        .size:           8
        .value_kind:     global_buffer
      - .address_space:  global
        .offset:         136
        .size:           8
        .value_kind:     global_buffer
      - .offset:         144
        .size:           4
        .value_kind:     hidden_block_count_x
      - .offset:         148
        .size:           4
        .value_kind:     hidden_block_count_y
      - .offset:         152
        .size:           4
        .value_kind:     hidden_block_count_z
      - .offset:         156
        .size:           2
        .value_kind:     hidden_group_size_x
      - .offset:         158
        .size:           2
        .value_kind:     hidden_group_size_y
      - .offset:         160
        .size:           2
        .value_kind:     hidden_group_size_z
      - .offset:         162
        .size:           2
        .value_kind:     hidden_remainder_x
      - .offset:         164
        .size:           2
        .value_kind:     hidden_remainder_y
      - .offset:         166
        .size:           2
        .value_kind:     hidden_remainder_z
      - .offset:         184
        .size:           8
        .value_kind:     hidden_global_offset_x
      - .offset:         192
        .size:           8
        .value_kind:     hidden_global_offset_y
      - .offset:         200
        .size:           8
        .value_kind:     hidden_global_offset_z
      - .offset:         208
        .size:           2
        .value_kind:     hidden_grid_dims
      - .offset:         224
        .size:           8
        .value_kind:     hidden_hostcall_buffer
    .group_segment_fixed_size: 0
    .kernarg_segment_align: 8
    .kernarg_segment_size: 400
    .language:       OpenCL C
    .language_version:
      - 2
      - 0
    .max_flat_workgroup_size: 256
    .name:           _Z39paged_attention_ll4mi_QKV_mfma16_kernelI14__hip_bfloat16hLN4vllm18Fp8KVCacheDataTypeE1EhLi32ELi128ELi256ELb1ELi12EEvPKT_PKT0_S8_ifPKiSA_SA_iPKfiiiPfSD_PS3_PT2_iSC_SC_
    .private_segment_fixed_size: 64
    .sgpr_count:     36
    .sgpr_spill_count: 0
    .symbol:         _Z39paged_attention_ll4mi_QKV_mfma16_kernelI14__hip_bfloat16hLN4vllm18Fp8KVCacheDataTypeE1EhLi32ELi128ELi256ELb1ELi12EEvPKT_PKT0_S8_ifPKiSA_SA_iPKfiiiPfSD_PS3_PT2_iSC_SC_.kd
    .uniform_work_group_size: 1
    .uses_dynamic_stack: false
    .vgpr_count:     51
    .vgpr_spill_count: 0
    .wavefront_size: 32
  - .args:
      - .actual_access:  read_only
        .address_space:  global
        .offset:         0
        .size:           8
        .value_kind:     global_buffer
      - .actual_access:  read_only
        .address_space:  global
        .offset:         8
        .size:           8
        .value_kind:     global_buffer
      - .actual_access:  read_only
        .address_space:  global
        .offset:         16
        .size:           8
        .value_kind:     global_buffer
      - .offset:         24
        .size:           4
        .value_kind:     by_value
      - .offset:         28
        .size:           4
        .value_kind:     by_value
      - .actual_access:  read_only
        .address_space:  global
        .offset:         32
        .size:           8
        .value_kind:     global_buffer
      - .actual_access:  read_only
        .address_space:  global
        .offset:         40
        .size:           8
        .value_kind:     global_buffer
      - .actual_access:  read_only
        .address_space:  global
        .offset:         48
        .size:           8
        .value_kind:     global_buffer
      - .offset:         56
        .size:           4
        .value_kind:     by_value
      - .actual_access:  read_only
        .address_space:  global
        .offset:         64
        .size:           8
        .value_kind:     global_buffer
      - .offset:         72
        .size:           4
        .value_kind:     by_value
      - .offset:         76
        .size:           4
        .value_kind:     by_value
      - .offset:         80
        .size:           4
        .value_kind:     by_value
      - .actual_access:  read_only
        .address_space:  global
        .offset:         88
        .size:           8
        .value_kind:     global_buffer
      - .actual_access:  read_only
        .address_space:  global
        .offset:         96
        .size:           8
        .value_kind:     global_buffer
      - .actual_access:  read_only
        .address_space:  global
        .offset:         104
        .size:           8
        .value_kind:     global_buffer
      - .actual_access:  read_only
        .address_space:  global
        .offset:         112
        .size:           8
        .value_kind:     global_buffer
      - .offset:         120
        .size:           4
        .value_kind:     by_value
      - .address_space:  global
        .offset:         128
        .size:           8
        .value_kind:     global_buffer
      - .address_space:  global
        .offset:         136
        .size:           8
        .value_kind:     global_buffer
      - .offset:         144
        .size:           4
        .value_kind:     hidden_block_count_x
      - .offset:         148
        .size:           4
        .value_kind:     hidden_block_count_y
      - .offset:         152
        .size:           4
        .value_kind:     hidden_block_count_z
      - .offset:         156
        .size:           2
        .value_kind:     hidden_group_size_x
      - .offset:         158
        .size:           2
        .value_kind:     hidden_group_size_y
      - .offset:         160
        .size:           2
        .value_kind:     hidden_group_size_z
      - .offset:         162
        .size:           2
        .value_kind:     hidden_remainder_x
      - .offset:         164
        .size:           2
        .value_kind:     hidden_remainder_y
      - .offset:         166
        .size:           2
        .value_kind:     hidden_remainder_z
      - .offset:         184
        .size:           8
        .value_kind:     hidden_global_offset_x
      - .offset:         192
        .size:           8
        .value_kind:     hidden_global_offset_y
      - .offset:         200
        .size:           8
        .value_kind:     hidden_global_offset_z
      - .offset:         208
        .size:           2
        .value_kind:     hidden_grid_dims
      - .offset:         224
        .size:           8
        .value_kind:     hidden_hostcall_buffer
    .group_segment_fixed_size: 0
    .kernarg_segment_align: 8
    .kernarg_segment_size: 400
    .language:       OpenCL C
    .language_version:
      - 2
      - 0
    .max_flat_workgroup_size: 256
    .name:           _Z39paged_attention_ll4mi_QKV_mfma16_kernelI14__hip_bfloat16hLN4vllm18Fp8KVCacheDataTypeE1EhLi32ELi128ELi256ELb1ELi13EEvPKT_PKT0_S8_ifPKiSA_SA_iPKfiiiPfSD_PS3_PT2_iSC_SC_
    .private_segment_fixed_size: 64
    .sgpr_count:     36
    .sgpr_spill_count: 0
    .symbol:         _Z39paged_attention_ll4mi_QKV_mfma16_kernelI14__hip_bfloat16hLN4vllm18Fp8KVCacheDataTypeE1EhLi32ELi128ELi256ELb1ELi13EEvPKT_PKT0_S8_ifPKiSA_SA_iPKfiiiPfSD_PS3_PT2_iSC_SC_.kd
    .uniform_work_group_size: 1
    .uses_dynamic_stack: false
    .vgpr_count:     51
    .vgpr_spill_count: 0
    .wavefront_size: 32
  - .args:
      - .actual_access:  read_only
        .address_space:  global
        .offset:         0
        .size:           8
        .value_kind:     global_buffer
      - .actual_access:  read_only
        .address_space:  global
        .offset:         8
        .size:           8
        .value_kind:     global_buffer
      - .actual_access:  read_only
        .address_space:  global
        .offset:         16
        .size:           8
        .value_kind:     global_buffer
      - .offset:         24
        .size:           4
        .value_kind:     by_value
      - .offset:         28
        .size:           4
        .value_kind:     by_value
      - .actual_access:  read_only
        .address_space:  global
        .offset:         32
        .size:           8
        .value_kind:     global_buffer
      - .actual_access:  read_only
        .address_space:  global
        .offset:         40
        .size:           8
        .value_kind:     global_buffer
      - .actual_access:  read_only
        .address_space:  global
        .offset:         48
        .size:           8
        .value_kind:     global_buffer
      - .offset:         56
        .size:           4
        .value_kind:     by_value
      - .actual_access:  read_only
        .address_space:  global
        .offset:         64
        .size:           8
        .value_kind:     global_buffer
      - .offset:         72
        .size:           4
        .value_kind:     by_value
      - .offset:         76
        .size:           4
        .value_kind:     by_value
      - .offset:         80
        .size:           4
        .value_kind:     by_value
      - .actual_access:  read_only
        .address_space:  global
        .offset:         88
        .size:           8
        .value_kind:     global_buffer
      - .actual_access:  read_only
        .address_space:  global
        .offset:         96
        .size:           8
        .value_kind:     global_buffer
      - .actual_access:  read_only
        .address_space:  global
        .offset:         104
        .size:           8
        .value_kind:     global_buffer
      - .actual_access:  read_only
        .address_space:  global
        .offset:         112
        .size:           8
        .value_kind:     global_buffer
      - .offset:         120
        .size:           4
        .value_kind:     by_value
      - .address_space:  global
        .offset:         128
        .size:           8
        .value_kind:     global_buffer
      - .address_space:  global
        .offset:         136
        .size:           8
        .value_kind:     global_buffer
      - .offset:         144
        .size:           4
        .value_kind:     hidden_block_count_x
      - .offset:         148
        .size:           4
        .value_kind:     hidden_block_count_y
      - .offset:         152
        .size:           4
        .value_kind:     hidden_block_count_z
      - .offset:         156
        .size:           2
        .value_kind:     hidden_group_size_x
      - .offset:         158
        .size:           2
        .value_kind:     hidden_group_size_y
      - .offset:         160
        .size:           2
        .value_kind:     hidden_group_size_z
      - .offset:         162
        .size:           2
        .value_kind:     hidden_remainder_x
      - .offset:         164
        .size:           2
        .value_kind:     hidden_remainder_y
      - .offset:         166
        .size:           2
        .value_kind:     hidden_remainder_z
      - .offset:         184
        .size:           8
        .value_kind:     hidden_global_offset_x
      - .offset:         192
        .size:           8
        .value_kind:     hidden_global_offset_y
      - .offset:         200
        .size:           8
        .value_kind:     hidden_global_offset_z
      - .offset:         208
        .size:           2
        .value_kind:     hidden_grid_dims
      - .offset:         224
        .size:           8
        .value_kind:     hidden_hostcall_buffer
    .group_segment_fixed_size: 0
    .kernarg_segment_align: 8
    .kernarg_segment_size: 400
    .language:       OpenCL C
    .language_version:
      - 2
      - 0
    .max_flat_workgroup_size: 256
    .name:           _Z39paged_attention_ll4mi_QKV_mfma16_kernelI14__hip_bfloat16hLN4vllm18Fp8KVCacheDataTypeE1EhLi32ELi128ELi256ELb1ELi14EEvPKT_PKT0_S8_ifPKiSA_SA_iPKfiiiPfSD_PS3_PT2_iSC_SC_
    .private_segment_fixed_size: 64
    .sgpr_count:     36
    .sgpr_spill_count: 0
    .symbol:         _Z39paged_attention_ll4mi_QKV_mfma16_kernelI14__hip_bfloat16hLN4vllm18Fp8KVCacheDataTypeE1EhLi32ELi128ELi256ELb1ELi14EEvPKT_PKT0_S8_ifPKiSA_SA_iPKfiiiPfSD_PS3_PT2_iSC_SC_.kd
    .uniform_work_group_size: 1
    .uses_dynamic_stack: false
    .vgpr_count:     51
    .vgpr_spill_count: 0
    .wavefront_size: 32
  - .args:
      - .actual_access:  read_only
        .address_space:  global
        .offset:         0
        .size:           8
        .value_kind:     global_buffer
      - .actual_access:  read_only
        .address_space:  global
        .offset:         8
        .size:           8
        .value_kind:     global_buffer
      - .actual_access:  read_only
        .address_space:  global
        .offset:         16
        .size:           8
        .value_kind:     global_buffer
      - .offset:         24
        .size:           4
        .value_kind:     by_value
      - .offset:         28
        .size:           4
        .value_kind:     by_value
      - .actual_access:  read_only
        .address_space:  global
        .offset:         32
        .size:           8
        .value_kind:     global_buffer
      - .actual_access:  read_only
        .address_space:  global
        .offset:         40
        .size:           8
        .value_kind:     global_buffer
      - .actual_access:  read_only
        .address_space:  global
        .offset:         48
        .size:           8
        .value_kind:     global_buffer
      - .offset:         56
        .size:           4
        .value_kind:     by_value
      - .actual_access:  read_only
        .address_space:  global
        .offset:         64
        .size:           8
        .value_kind:     global_buffer
      - .offset:         72
        .size:           4
        .value_kind:     by_value
      - .offset:         76
        .size:           4
        .value_kind:     by_value
      - .offset:         80
        .size:           4
        .value_kind:     by_value
      - .actual_access:  read_only
        .address_space:  global
        .offset:         88
        .size:           8
        .value_kind:     global_buffer
      - .actual_access:  read_only
        .address_space:  global
        .offset:         96
        .size:           8
        .value_kind:     global_buffer
      - .actual_access:  read_only
        .address_space:  global
        .offset:         104
        .size:           8
        .value_kind:     global_buffer
      - .actual_access:  read_only
        .address_space:  global
        .offset:         112
        .size:           8
        .value_kind:     global_buffer
      - .offset:         120
        .size:           4
        .value_kind:     by_value
      - .address_space:  global
        .offset:         128
        .size:           8
        .value_kind:     global_buffer
      - .address_space:  global
        .offset:         136
        .size:           8
        .value_kind:     global_buffer
      - .offset:         144
        .size:           4
        .value_kind:     hidden_block_count_x
      - .offset:         148
        .size:           4
        .value_kind:     hidden_block_count_y
      - .offset:         152
        .size:           4
        .value_kind:     hidden_block_count_z
      - .offset:         156
        .size:           2
        .value_kind:     hidden_group_size_x
      - .offset:         158
        .size:           2
        .value_kind:     hidden_group_size_y
      - .offset:         160
        .size:           2
        .value_kind:     hidden_group_size_z
      - .offset:         162
        .size:           2
        .value_kind:     hidden_remainder_x
      - .offset:         164
        .size:           2
        .value_kind:     hidden_remainder_y
      - .offset:         166
        .size:           2
        .value_kind:     hidden_remainder_z
      - .offset:         184
        .size:           8
        .value_kind:     hidden_global_offset_x
      - .offset:         192
        .size:           8
        .value_kind:     hidden_global_offset_y
      - .offset:         200
        .size:           8
        .value_kind:     hidden_global_offset_z
      - .offset:         208
        .size:           2
        .value_kind:     hidden_grid_dims
      - .offset:         224
        .size:           8
        .value_kind:     hidden_hostcall_buffer
    .group_segment_fixed_size: 0
    .kernarg_segment_align: 8
    .kernarg_segment_size: 400
    .language:       OpenCL C
    .language_version:
      - 2
      - 0
    .max_flat_workgroup_size: 256
    .name:           _Z39paged_attention_ll4mi_QKV_mfma16_kernelI14__hip_bfloat16hLN4vllm18Fp8KVCacheDataTypeE1EhLi32ELi128ELi256ELb1ELi15EEvPKT_PKT0_S8_ifPKiSA_SA_iPKfiiiPfSD_PS3_PT2_iSC_SC_
    .private_segment_fixed_size: 64
    .sgpr_count:     36
    .sgpr_spill_count: 0
    .symbol:         _Z39paged_attention_ll4mi_QKV_mfma16_kernelI14__hip_bfloat16hLN4vllm18Fp8KVCacheDataTypeE1EhLi32ELi128ELi256ELb1ELi15EEvPKT_PKT0_S8_ifPKiSA_SA_iPKfiiiPfSD_PS3_PT2_iSC_SC_.kd
    .uniform_work_group_size: 1
    .uses_dynamic_stack: false
    .vgpr_count:     51
    .vgpr_spill_count: 0
    .wavefront_size: 32
  - .args:
      - .actual_access:  read_only
        .address_space:  global
        .offset:         0
        .size:           8
        .value_kind:     global_buffer
      - .actual_access:  read_only
        .address_space:  global
        .offset:         8
        .size:           8
        .value_kind:     global_buffer
      - .actual_access:  read_only
        .address_space:  global
        .offset:         16
        .size:           8
        .value_kind:     global_buffer
      - .offset:         24
        .size:           4
        .value_kind:     by_value
      - .offset:         28
        .size:           4
        .value_kind:     by_value
      - .actual_access:  read_only
        .address_space:  global
        .offset:         32
        .size:           8
        .value_kind:     global_buffer
      - .actual_access:  read_only
        .address_space:  global
        .offset:         40
        .size:           8
        .value_kind:     global_buffer
      - .actual_access:  read_only
        .address_space:  global
        .offset:         48
        .size:           8
        .value_kind:     global_buffer
      - .offset:         56
        .size:           4
        .value_kind:     by_value
      - .actual_access:  read_only
        .address_space:  global
        .offset:         64
        .size:           8
        .value_kind:     global_buffer
      - .offset:         72
        .size:           4
        .value_kind:     by_value
      - .offset:         76
        .size:           4
        .value_kind:     by_value
      - .offset:         80
        .size:           4
        .value_kind:     by_value
      - .actual_access:  read_only
        .address_space:  global
        .offset:         88
        .size:           8
        .value_kind:     global_buffer
      - .actual_access:  read_only
        .address_space:  global
        .offset:         96
        .size:           8
        .value_kind:     global_buffer
      - .actual_access:  read_only
        .address_space:  global
        .offset:         104
        .size:           8
        .value_kind:     global_buffer
      - .actual_access:  read_only
        .address_space:  global
        .offset:         112
        .size:           8
        .value_kind:     global_buffer
      - .offset:         120
        .size:           4
        .value_kind:     by_value
      - .address_space:  global
        .offset:         128
        .size:           8
        .value_kind:     global_buffer
      - .address_space:  global
        .offset:         136
        .size:           8
        .value_kind:     global_buffer
      - .offset:         144
        .size:           4
        .value_kind:     hidden_block_count_x
      - .offset:         148
        .size:           4
        .value_kind:     hidden_block_count_y
      - .offset:         152
        .size:           4
        .value_kind:     hidden_block_count_z
      - .offset:         156
        .size:           2
        .value_kind:     hidden_group_size_x
      - .offset:         158
        .size:           2
        .value_kind:     hidden_group_size_y
      - .offset:         160
        .size:           2
        .value_kind:     hidden_group_size_z
      - .offset:         162
        .size:           2
        .value_kind:     hidden_remainder_x
      - .offset:         164
        .size:           2
        .value_kind:     hidden_remainder_y
      - .offset:         166
        .size:           2
        .value_kind:     hidden_remainder_z
      - .offset:         184
        .size:           8
        .value_kind:     hidden_global_offset_x
      - .offset:         192
        .size:           8
        .value_kind:     hidden_global_offset_y
      - .offset:         200
        .size:           8
        .value_kind:     hidden_global_offset_z
      - .offset:         208
        .size:           2
        .value_kind:     hidden_grid_dims
      - .offset:         224
        .size:           8
        .value_kind:     hidden_hostcall_buffer
    .group_segment_fixed_size: 0
    .kernarg_segment_align: 8
    .kernarg_segment_size: 400
    .language:       OpenCL C
    .language_version:
      - 2
      - 0
    .max_flat_workgroup_size: 256
    .name:           _Z39paged_attention_ll4mi_QKV_mfma16_kernelI14__hip_bfloat16hLN4vllm18Fp8KVCacheDataTypeE1EhLi32ELi128ELi256ELb1ELi16EEvPKT_PKT0_S8_ifPKiSA_SA_iPKfiiiPfSD_PS3_PT2_iSC_SC_
    .private_segment_fixed_size: 64
    .sgpr_count:     36
    .sgpr_spill_count: 0
    .symbol:         _Z39paged_attention_ll4mi_QKV_mfma16_kernelI14__hip_bfloat16hLN4vllm18Fp8KVCacheDataTypeE1EhLi32ELi128ELi256ELb1ELi16EEvPKT_PKT0_S8_ifPKiSA_SA_iPKfiiiPfSD_PS3_PT2_iSC_SC_.kd
    .uniform_work_group_size: 1
    .uses_dynamic_stack: false
    .vgpr_count:     51
    .vgpr_spill_count: 0
    .wavefront_size: 32
  - .args:
      - .actual_access:  read_only
        .address_space:  global
        .offset:         0
        .size:           8
        .value_kind:     global_buffer
      - .actual_access:  read_only
        .address_space:  global
        .offset:         8
        .size:           8
        .value_kind:     global_buffer
      - .actual_access:  read_only
        .address_space:  global
        .offset:         16
        .size:           8
        .value_kind:     global_buffer
      - .offset:         24
        .size:           4
        .value_kind:     by_value
      - .offset:         28
        .size:           4
        .value_kind:     by_value
      - .actual_access:  read_only
        .address_space:  global
        .offset:         32
        .size:           8
        .value_kind:     global_buffer
      - .actual_access:  read_only
        .address_space:  global
        .offset:         40
        .size:           8
        .value_kind:     global_buffer
      - .actual_access:  read_only
        .address_space:  global
        .offset:         48
        .size:           8
        .value_kind:     global_buffer
      - .offset:         56
        .size:           4
        .value_kind:     by_value
      - .actual_access:  read_only
        .address_space:  global
        .offset:         64
        .size:           8
        .value_kind:     global_buffer
      - .offset:         72
        .size:           4
        .value_kind:     by_value
      - .offset:         76
        .size:           4
        .value_kind:     by_value
      - .offset:         80
        .size:           4
        .value_kind:     by_value
      - .actual_access:  read_only
        .address_space:  global
        .offset:         88
        .size:           8
        .value_kind:     global_buffer
      - .actual_access:  read_only
        .address_space:  global
        .offset:         96
        .size:           8
        .value_kind:     global_buffer
      - .actual_access:  read_only
        .address_space:  global
        .offset:         104
        .size:           8
        .value_kind:     global_buffer
      - .actual_access:  read_only
        .address_space:  global
        .offset:         112
        .size:           8
        .value_kind:     global_buffer
      - .offset:         120
        .size:           4
        .value_kind:     by_value
      - .address_space:  global
        .offset:         128
        .size:           8
        .value_kind:     global_buffer
      - .address_space:  global
        .offset:         136
        .size:           8
        .value_kind:     global_buffer
      - .offset:         144
        .size:           4
        .value_kind:     hidden_block_count_x
      - .offset:         148
        .size:           4
        .value_kind:     hidden_block_count_y
      - .offset:         152
        .size:           4
        .value_kind:     hidden_block_count_z
      - .offset:         156
        .size:           2
        .value_kind:     hidden_group_size_x
      - .offset:         158
        .size:           2
        .value_kind:     hidden_group_size_y
      - .offset:         160
        .size:           2
        .value_kind:     hidden_group_size_z
      - .offset:         162
        .size:           2
        .value_kind:     hidden_remainder_x
      - .offset:         164
        .size:           2
        .value_kind:     hidden_remainder_y
      - .offset:         166
        .size:           2
        .value_kind:     hidden_remainder_z
      - .offset:         184
        .size:           8
        .value_kind:     hidden_global_offset_x
      - .offset:         192
        .size:           8
        .value_kind:     hidden_global_offset_y
      - .offset:         200
        .size:           8
        .value_kind:     hidden_global_offset_z
      - .offset:         208
        .size:           2
        .value_kind:     hidden_grid_dims
      - .offset:         224
        .size:           8
        .value_kind:     hidden_hostcall_buffer
    .group_segment_fixed_size: 0
    .kernarg_segment_align: 8
    .kernarg_segment_size: 400
    .language:       OpenCL C
    .language_version:
      - 2
      - 0
    .max_flat_workgroup_size: 256
    .name:           _Z39paged_attention_ll4mi_QKV_mfma16_kernelI14__hip_bfloat16hLN4vllm18Fp8KVCacheDataTypeE1EhLi32ELi128ELi256ELb1ELi1EEvPKT_PKT0_S8_ifPKiSA_SA_iPKfiiiPfSD_PS3_PT2_iSC_SC_
    .private_segment_fixed_size: 64
    .sgpr_count:     36
    .sgpr_spill_count: 0
    .symbol:         _Z39paged_attention_ll4mi_QKV_mfma16_kernelI14__hip_bfloat16hLN4vllm18Fp8KVCacheDataTypeE1EhLi32ELi128ELi256ELb1ELi1EEvPKT_PKT0_S8_ifPKiSA_SA_iPKfiiiPfSD_PS3_PT2_iSC_SC_.kd
    .uniform_work_group_size: 1
    .uses_dynamic_stack: false
    .vgpr_count:     51
    .vgpr_spill_count: 0
    .wavefront_size: 32
  - .args:
      - .actual_access:  read_only
        .address_space:  global
        .offset:         0
        .size:           8
        .value_kind:     global_buffer
      - .actual_access:  read_only
        .address_space:  global
        .offset:         8
        .size:           8
        .value_kind:     global_buffer
      - .actual_access:  read_only
        .address_space:  global
        .offset:         16
        .size:           8
        .value_kind:     global_buffer
      - .offset:         24
        .size:           4
        .value_kind:     by_value
      - .offset:         28
        .size:           4
        .value_kind:     by_value
      - .actual_access:  read_only
        .address_space:  global
        .offset:         32
        .size:           8
        .value_kind:     global_buffer
      - .actual_access:  read_only
        .address_space:  global
        .offset:         40
        .size:           8
        .value_kind:     global_buffer
      - .actual_access:  read_only
        .address_space:  global
        .offset:         48
        .size:           8
        .value_kind:     global_buffer
      - .offset:         56
        .size:           4
        .value_kind:     by_value
      - .actual_access:  read_only
        .address_space:  global
        .offset:         64
        .size:           8
        .value_kind:     global_buffer
      - .offset:         72
        .size:           4
        .value_kind:     by_value
      - .offset:         76
        .size:           4
        .value_kind:     by_value
      - .offset:         80
        .size:           4
        .value_kind:     by_value
      - .actual_access:  read_only
        .address_space:  global
        .offset:         88
        .size:           8
        .value_kind:     global_buffer
      - .actual_access:  read_only
        .address_space:  global
        .offset:         96
        .size:           8
        .value_kind:     global_buffer
      - .actual_access:  read_only
        .address_space:  global
        .offset:         104
        .size:           8
        .value_kind:     global_buffer
      - .actual_access:  read_only
        .address_space:  global
        .offset:         112
        .size:           8
        .value_kind:     global_buffer
      - .offset:         120
        .size:           4
        .value_kind:     by_value
      - .address_space:  global
        .offset:         128
        .size:           8
        .value_kind:     global_buffer
      - .address_space:  global
        .offset:         136
        .size:           8
        .value_kind:     global_buffer
      - .offset:         144
        .size:           4
        .value_kind:     hidden_block_count_x
      - .offset:         148
        .size:           4
        .value_kind:     hidden_block_count_y
      - .offset:         152
        .size:           4
        .value_kind:     hidden_block_count_z
      - .offset:         156
        .size:           2
        .value_kind:     hidden_group_size_x
      - .offset:         158
        .size:           2
        .value_kind:     hidden_group_size_y
      - .offset:         160
        .size:           2
        .value_kind:     hidden_group_size_z
      - .offset:         162
        .size:           2
        .value_kind:     hidden_remainder_x
      - .offset:         164
        .size:           2
        .value_kind:     hidden_remainder_y
      - .offset:         166
        .size:           2
        .value_kind:     hidden_remainder_z
      - .offset:         184
        .size:           8
        .value_kind:     hidden_global_offset_x
      - .offset:         192
        .size:           8
        .value_kind:     hidden_global_offset_y
      - .offset:         200
        .size:           8
        .value_kind:     hidden_global_offset_z
      - .offset:         208
        .size:           2
        .value_kind:     hidden_grid_dims
      - .offset:         224
        .size:           8
        .value_kind:     hidden_hostcall_buffer
    .group_segment_fixed_size: 0
    .kernarg_segment_align: 8
    .kernarg_segment_size: 400
    .language:       OpenCL C
    .language_version:
      - 2
      - 0
    .max_flat_workgroup_size: 256
    .name:           _Z39paged_attention_ll4mi_QKV_mfma16_kernelI14__hip_bfloat16hLN4vllm18Fp8KVCacheDataTypeE1EhLi32ELi128ELi256ELb1ELi2EEvPKT_PKT0_S8_ifPKiSA_SA_iPKfiiiPfSD_PS3_PT2_iSC_SC_
    .private_segment_fixed_size: 64
    .sgpr_count:     36
    .sgpr_spill_count: 0
    .symbol:         _Z39paged_attention_ll4mi_QKV_mfma16_kernelI14__hip_bfloat16hLN4vllm18Fp8KVCacheDataTypeE1EhLi32ELi128ELi256ELb1ELi2EEvPKT_PKT0_S8_ifPKiSA_SA_iPKfiiiPfSD_PS3_PT2_iSC_SC_.kd
    .uniform_work_group_size: 1
    .uses_dynamic_stack: false
    .vgpr_count:     51
    .vgpr_spill_count: 0
    .wavefront_size: 32
  - .args:
      - .actual_access:  read_only
        .address_space:  global
        .offset:         0
        .size:           8
        .value_kind:     global_buffer
      - .actual_access:  read_only
        .address_space:  global
        .offset:         8
        .size:           8
        .value_kind:     global_buffer
      - .actual_access:  read_only
        .address_space:  global
        .offset:         16
        .size:           8
        .value_kind:     global_buffer
      - .offset:         24
        .size:           4
        .value_kind:     by_value
      - .offset:         28
        .size:           4
        .value_kind:     by_value
      - .actual_access:  read_only
        .address_space:  global
        .offset:         32
        .size:           8
        .value_kind:     global_buffer
      - .actual_access:  read_only
        .address_space:  global
        .offset:         40
        .size:           8
        .value_kind:     global_buffer
      - .actual_access:  read_only
        .address_space:  global
        .offset:         48
        .size:           8
        .value_kind:     global_buffer
      - .offset:         56
        .size:           4
        .value_kind:     by_value
      - .actual_access:  read_only
        .address_space:  global
        .offset:         64
        .size:           8
        .value_kind:     global_buffer
      - .offset:         72
        .size:           4
        .value_kind:     by_value
      - .offset:         76
        .size:           4
        .value_kind:     by_value
      - .offset:         80
        .size:           4
        .value_kind:     by_value
      - .actual_access:  read_only
        .address_space:  global
        .offset:         88
        .size:           8
        .value_kind:     global_buffer
      - .actual_access:  read_only
        .address_space:  global
        .offset:         96
        .size:           8
        .value_kind:     global_buffer
      - .actual_access:  read_only
        .address_space:  global
        .offset:         104
        .size:           8
        .value_kind:     global_buffer
      - .actual_access:  read_only
        .address_space:  global
        .offset:         112
        .size:           8
        .value_kind:     global_buffer
      - .offset:         120
        .size:           4
        .value_kind:     by_value
      - .address_space:  global
        .offset:         128
        .size:           8
        .value_kind:     global_buffer
      - .address_space:  global
        .offset:         136
        .size:           8
        .value_kind:     global_buffer
      - .offset:         144
        .size:           4
        .value_kind:     hidden_block_count_x
      - .offset:         148
        .size:           4
        .value_kind:     hidden_block_count_y
      - .offset:         152
        .size:           4
        .value_kind:     hidden_block_count_z
      - .offset:         156
        .size:           2
        .value_kind:     hidden_group_size_x
      - .offset:         158
        .size:           2
        .value_kind:     hidden_group_size_y
      - .offset:         160
        .size:           2
        .value_kind:     hidden_group_size_z
      - .offset:         162
        .size:           2
        .value_kind:     hidden_remainder_x
      - .offset:         164
        .size:           2
        .value_kind:     hidden_remainder_y
      - .offset:         166
        .size:           2
        .value_kind:     hidden_remainder_z
      - .offset:         184
        .size:           8
        .value_kind:     hidden_global_offset_x
      - .offset:         192
        .size:           8
        .value_kind:     hidden_global_offset_y
      - .offset:         200
        .size:           8
        .value_kind:     hidden_global_offset_z
      - .offset:         208
        .size:           2
        .value_kind:     hidden_grid_dims
      - .offset:         224
        .size:           8
        .value_kind:     hidden_hostcall_buffer
    .group_segment_fixed_size: 0
    .kernarg_segment_align: 8
    .kernarg_segment_size: 400
    .language:       OpenCL C
    .language_version:
      - 2
      - 0
    .max_flat_workgroup_size: 256
    .name:           _Z39paged_attention_ll4mi_QKV_mfma16_kernelI14__hip_bfloat16hLN4vllm18Fp8KVCacheDataTypeE1EhLi32ELi128ELi256ELb1ELi3EEvPKT_PKT0_S8_ifPKiSA_SA_iPKfiiiPfSD_PS3_PT2_iSC_SC_
    .private_segment_fixed_size: 64
    .sgpr_count:     36
    .sgpr_spill_count: 0
    .symbol:         _Z39paged_attention_ll4mi_QKV_mfma16_kernelI14__hip_bfloat16hLN4vllm18Fp8KVCacheDataTypeE1EhLi32ELi128ELi256ELb1ELi3EEvPKT_PKT0_S8_ifPKiSA_SA_iPKfiiiPfSD_PS3_PT2_iSC_SC_.kd
    .uniform_work_group_size: 1
    .uses_dynamic_stack: false
    .vgpr_count:     51
    .vgpr_spill_count: 0
    .wavefront_size: 32
  - .args:
      - .actual_access:  read_only
        .address_space:  global
        .offset:         0
        .size:           8
        .value_kind:     global_buffer
      - .actual_access:  read_only
        .address_space:  global
        .offset:         8
        .size:           8
        .value_kind:     global_buffer
      - .actual_access:  read_only
        .address_space:  global
        .offset:         16
        .size:           8
        .value_kind:     global_buffer
      - .offset:         24
        .size:           4
        .value_kind:     by_value
      - .offset:         28
        .size:           4
        .value_kind:     by_value
      - .actual_access:  read_only
        .address_space:  global
        .offset:         32
        .size:           8
        .value_kind:     global_buffer
      - .actual_access:  read_only
        .address_space:  global
        .offset:         40
        .size:           8
        .value_kind:     global_buffer
      - .actual_access:  read_only
        .address_space:  global
        .offset:         48
        .size:           8
        .value_kind:     global_buffer
      - .offset:         56
        .size:           4
        .value_kind:     by_value
      - .actual_access:  read_only
        .address_space:  global
        .offset:         64
        .size:           8
        .value_kind:     global_buffer
      - .offset:         72
        .size:           4
        .value_kind:     by_value
      - .offset:         76
        .size:           4
        .value_kind:     by_value
      - .offset:         80
        .size:           4
        .value_kind:     by_value
      - .actual_access:  read_only
        .address_space:  global
        .offset:         88
        .size:           8
        .value_kind:     global_buffer
      - .actual_access:  read_only
        .address_space:  global
        .offset:         96
        .size:           8
        .value_kind:     global_buffer
      - .actual_access:  read_only
        .address_space:  global
        .offset:         104
        .size:           8
        .value_kind:     global_buffer
      - .actual_access:  read_only
        .address_space:  global
        .offset:         112
        .size:           8
        .value_kind:     global_buffer
      - .offset:         120
        .size:           4
        .value_kind:     by_value
      - .address_space:  global
        .offset:         128
        .size:           8
        .value_kind:     global_buffer
      - .address_space:  global
        .offset:         136
        .size:           8
        .value_kind:     global_buffer
      - .offset:         144
        .size:           4
        .value_kind:     hidden_block_count_x
      - .offset:         148
        .size:           4
        .value_kind:     hidden_block_count_y
      - .offset:         152
        .size:           4
        .value_kind:     hidden_block_count_z
      - .offset:         156
        .size:           2
        .value_kind:     hidden_group_size_x
      - .offset:         158
        .size:           2
        .value_kind:     hidden_group_size_y
      - .offset:         160
        .size:           2
        .value_kind:     hidden_group_size_z
      - .offset:         162
        .size:           2
        .value_kind:     hidden_remainder_x
      - .offset:         164
        .size:           2
        .value_kind:     hidden_remainder_y
      - .offset:         166
        .size:           2
        .value_kind:     hidden_remainder_z
      - .offset:         184
        .size:           8
        .value_kind:     hidden_global_offset_x
      - .offset:         192
        .size:           8
        .value_kind:     hidden_global_offset_y
      - .offset:         200
        .size:           8
        .value_kind:     hidden_global_offset_z
      - .offset:         208
        .size:           2
        .value_kind:     hidden_grid_dims
      - .offset:         224
        .size:           8
        .value_kind:     hidden_hostcall_buffer
    .group_segment_fixed_size: 0
    .kernarg_segment_align: 8
    .kernarg_segment_size: 400
    .language:       OpenCL C
    .language_version:
      - 2
      - 0
    .max_flat_workgroup_size: 256
    .name:           _Z39paged_attention_ll4mi_QKV_mfma16_kernelI14__hip_bfloat16hLN4vllm18Fp8KVCacheDataTypeE1EhLi32ELi128ELi256ELb1ELi4EEvPKT_PKT0_S8_ifPKiSA_SA_iPKfiiiPfSD_PS3_PT2_iSC_SC_
    .private_segment_fixed_size: 64
    .sgpr_count:     36
    .sgpr_spill_count: 0
    .symbol:         _Z39paged_attention_ll4mi_QKV_mfma16_kernelI14__hip_bfloat16hLN4vllm18Fp8KVCacheDataTypeE1EhLi32ELi128ELi256ELb1ELi4EEvPKT_PKT0_S8_ifPKiSA_SA_iPKfiiiPfSD_PS3_PT2_iSC_SC_.kd
    .uniform_work_group_size: 1
    .uses_dynamic_stack: false
    .vgpr_count:     51
    .vgpr_spill_count: 0
    .wavefront_size: 32
  - .args:
      - .actual_access:  read_only
        .address_space:  global
        .offset:         0
        .size:           8
        .value_kind:     global_buffer
      - .actual_access:  read_only
        .address_space:  global
        .offset:         8
        .size:           8
        .value_kind:     global_buffer
      - .actual_access:  read_only
        .address_space:  global
        .offset:         16
        .size:           8
        .value_kind:     global_buffer
      - .offset:         24
        .size:           4
        .value_kind:     by_value
      - .offset:         28
        .size:           4
        .value_kind:     by_value
      - .actual_access:  read_only
        .address_space:  global
        .offset:         32
        .size:           8
        .value_kind:     global_buffer
      - .actual_access:  read_only
        .address_space:  global
        .offset:         40
        .size:           8
        .value_kind:     global_buffer
      - .actual_access:  read_only
        .address_space:  global
        .offset:         48
        .size:           8
        .value_kind:     global_buffer
      - .offset:         56
        .size:           4
        .value_kind:     by_value
      - .actual_access:  read_only
        .address_space:  global
        .offset:         64
        .size:           8
        .value_kind:     global_buffer
      - .offset:         72
        .size:           4
        .value_kind:     by_value
      - .offset:         76
        .size:           4
        .value_kind:     by_value
      - .offset:         80
        .size:           4
        .value_kind:     by_value
      - .actual_access:  read_only
        .address_space:  global
        .offset:         88
        .size:           8
        .value_kind:     global_buffer
      - .actual_access:  read_only
        .address_space:  global
        .offset:         96
        .size:           8
        .value_kind:     global_buffer
      - .actual_access:  read_only
        .address_space:  global
        .offset:         104
        .size:           8
        .value_kind:     global_buffer
      - .actual_access:  read_only
        .address_space:  global
        .offset:         112
        .size:           8
        .value_kind:     global_buffer
      - .offset:         120
        .size:           4
        .value_kind:     by_value
      - .address_space:  global
        .offset:         128
        .size:           8
        .value_kind:     global_buffer
      - .address_space:  global
        .offset:         136
        .size:           8
        .value_kind:     global_buffer
      - .offset:         144
        .size:           4
        .value_kind:     hidden_block_count_x
      - .offset:         148
        .size:           4
        .value_kind:     hidden_block_count_y
      - .offset:         152
        .size:           4
        .value_kind:     hidden_block_count_z
      - .offset:         156
        .size:           2
        .value_kind:     hidden_group_size_x
      - .offset:         158
        .size:           2
        .value_kind:     hidden_group_size_y
      - .offset:         160
        .size:           2
        .value_kind:     hidden_group_size_z
      - .offset:         162
        .size:           2
        .value_kind:     hidden_remainder_x
      - .offset:         164
        .size:           2
        .value_kind:     hidden_remainder_y
      - .offset:         166
        .size:           2
        .value_kind:     hidden_remainder_z
      - .offset:         184
        .size:           8
        .value_kind:     hidden_global_offset_x
      - .offset:         192
        .size:           8
        .value_kind:     hidden_global_offset_y
      - .offset:         200
        .size:           8
        .value_kind:     hidden_global_offset_z
      - .offset:         208
        .size:           2
        .value_kind:     hidden_grid_dims
      - .offset:         224
        .size:           8
        .value_kind:     hidden_hostcall_buffer
    .group_segment_fixed_size: 0
    .kernarg_segment_align: 8
    .kernarg_segment_size: 400
    .language:       OpenCL C
    .language_version:
      - 2
      - 0
    .max_flat_workgroup_size: 256
    .name:           _Z38paged_attention_ll4mi_QKV_mfma4_kernelI14__hip_bfloat16hLN4vllm18Fp8KVCacheDataTypeE1EhLi32ELi128ELi256ELb0ELi1EEvPKT_PKT0_S8_ifPKiSA_SA_iPKfiiiPfSD_PS3_PT2_iSC_SC_
    .private_segment_fixed_size: 64
    .sgpr_count:     36
    .sgpr_spill_count: 0
    .symbol:         _Z38paged_attention_ll4mi_QKV_mfma4_kernelI14__hip_bfloat16hLN4vllm18Fp8KVCacheDataTypeE1EhLi32ELi128ELi256ELb0ELi1EEvPKT_PKT0_S8_ifPKiSA_SA_iPKfiiiPfSD_PS3_PT2_iSC_SC_.kd
    .uniform_work_group_size: 1
    .uses_dynamic_stack: false
    .vgpr_count:     51
    .vgpr_spill_count: 0
    .wavefront_size: 32
  - .args:
      - .actual_access:  read_only
        .address_space:  global
        .offset:         0
        .size:           8
        .value_kind:     global_buffer
      - .actual_access:  read_only
        .address_space:  global
        .offset:         8
        .size:           8
        .value_kind:     global_buffer
      - .actual_access:  read_only
        .address_space:  global
        .offset:         16
        .size:           8
        .value_kind:     global_buffer
      - .offset:         24
        .size:           4
        .value_kind:     by_value
      - .offset:         28
        .size:           4
        .value_kind:     by_value
      - .actual_access:  read_only
        .address_space:  global
        .offset:         32
        .size:           8
        .value_kind:     global_buffer
      - .actual_access:  read_only
        .address_space:  global
        .offset:         40
        .size:           8
        .value_kind:     global_buffer
      - .actual_access:  read_only
        .address_space:  global
        .offset:         48
        .size:           8
        .value_kind:     global_buffer
      - .offset:         56
        .size:           4
        .value_kind:     by_value
      - .actual_access:  read_only
        .address_space:  global
        .offset:         64
        .size:           8
        .value_kind:     global_buffer
      - .offset:         72
        .size:           4
        .value_kind:     by_value
      - .offset:         76
        .size:           4
        .value_kind:     by_value
      - .offset:         80
        .size:           4
        .value_kind:     by_value
      - .actual_access:  read_only
        .address_space:  global
        .offset:         88
        .size:           8
        .value_kind:     global_buffer
      - .actual_access:  read_only
        .address_space:  global
        .offset:         96
        .size:           8
        .value_kind:     global_buffer
      - .actual_access:  read_only
        .address_space:  global
        .offset:         104
        .size:           8
        .value_kind:     global_buffer
      - .actual_access:  read_only
        .address_space:  global
        .offset:         112
        .size:           8
        .value_kind:     global_buffer
      - .offset:         120
        .size:           4
        .value_kind:     by_value
      - .address_space:  global
        .offset:         128
        .size:           8
        .value_kind:     global_buffer
      - .address_space:  global
        .offset:         136
        .size:           8
        .value_kind:     global_buffer
      - .offset:         144
        .size:           4
        .value_kind:     hidden_block_count_x
      - .offset:         148
        .size:           4
        .value_kind:     hidden_block_count_y
      - .offset:         152
        .size:           4
        .value_kind:     hidden_block_count_z
      - .offset:         156
        .size:           2
        .value_kind:     hidden_group_size_x
      - .offset:         158
        .size:           2
        .value_kind:     hidden_group_size_y
      - .offset:         160
        .size:           2
        .value_kind:     hidden_group_size_z
      - .offset:         162
        .size:           2
        .value_kind:     hidden_remainder_x
      - .offset:         164
        .size:           2
        .value_kind:     hidden_remainder_y
      - .offset:         166
        .size:           2
        .value_kind:     hidden_remainder_z
      - .offset:         184
        .size:           8
        .value_kind:     hidden_global_offset_x
      - .offset:         192
        .size:           8
        .value_kind:     hidden_global_offset_y
      - .offset:         200
        .size:           8
        .value_kind:     hidden_global_offset_z
      - .offset:         208
        .size:           2
        .value_kind:     hidden_grid_dims
      - .offset:         224
        .size:           8
        .value_kind:     hidden_hostcall_buffer
    .group_segment_fixed_size: 0
    .kernarg_segment_align: 8
    .kernarg_segment_size: 400
    .language:       OpenCL C
    .language_version:
      - 2
      - 0
    .max_flat_workgroup_size: 256
    .name:           _Z38paged_attention_ll4mi_QKV_mfma4_kernelI14__hip_bfloat16hLN4vllm18Fp8KVCacheDataTypeE1EhLi32ELi128ELi256ELb0ELi2EEvPKT_PKT0_S8_ifPKiSA_SA_iPKfiiiPfSD_PS3_PT2_iSC_SC_
    .private_segment_fixed_size: 64
    .sgpr_count:     36
    .sgpr_spill_count: 0
    .symbol:         _Z38paged_attention_ll4mi_QKV_mfma4_kernelI14__hip_bfloat16hLN4vllm18Fp8KVCacheDataTypeE1EhLi32ELi128ELi256ELb0ELi2EEvPKT_PKT0_S8_ifPKiSA_SA_iPKfiiiPfSD_PS3_PT2_iSC_SC_.kd
    .uniform_work_group_size: 1
    .uses_dynamic_stack: false
    .vgpr_count:     51
    .vgpr_spill_count: 0
    .wavefront_size: 32
  - .args:
      - .actual_access:  read_only
        .address_space:  global
        .offset:         0
        .size:           8
        .value_kind:     global_buffer
      - .actual_access:  read_only
        .address_space:  global
        .offset:         8
        .size:           8
        .value_kind:     global_buffer
      - .actual_access:  read_only
        .address_space:  global
        .offset:         16
        .size:           8
        .value_kind:     global_buffer
      - .offset:         24
        .size:           4
        .value_kind:     by_value
      - .offset:         28
        .size:           4
        .value_kind:     by_value
      - .actual_access:  read_only
        .address_space:  global
        .offset:         32
        .size:           8
        .value_kind:     global_buffer
      - .actual_access:  read_only
        .address_space:  global
        .offset:         40
        .size:           8
        .value_kind:     global_buffer
      - .actual_access:  read_only
        .address_space:  global
        .offset:         48
        .size:           8
        .value_kind:     global_buffer
      - .offset:         56
        .size:           4
        .value_kind:     by_value
      - .actual_access:  read_only
        .address_space:  global
        .offset:         64
        .size:           8
        .value_kind:     global_buffer
      - .offset:         72
        .size:           4
        .value_kind:     by_value
      - .offset:         76
        .size:           4
        .value_kind:     by_value
      - .offset:         80
        .size:           4
        .value_kind:     by_value
      - .actual_access:  read_only
        .address_space:  global
        .offset:         88
        .size:           8
        .value_kind:     global_buffer
      - .actual_access:  read_only
        .address_space:  global
        .offset:         96
        .size:           8
        .value_kind:     global_buffer
      - .actual_access:  read_only
        .address_space:  global
        .offset:         104
        .size:           8
        .value_kind:     global_buffer
      - .actual_access:  read_only
        .address_space:  global
        .offset:         112
        .size:           8
        .value_kind:     global_buffer
      - .offset:         120
        .size:           4
        .value_kind:     by_value
      - .address_space:  global
        .offset:         128
        .size:           8
        .value_kind:     global_buffer
      - .address_space:  global
        .offset:         136
        .size:           8
        .value_kind:     global_buffer
      - .offset:         144
        .size:           4
        .value_kind:     hidden_block_count_x
      - .offset:         148
        .size:           4
        .value_kind:     hidden_block_count_y
      - .offset:         152
        .size:           4
        .value_kind:     hidden_block_count_z
      - .offset:         156
        .size:           2
        .value_kind:     hidden_group_size_x
      - .offset:         158
        .size:           2
        .value_kind:     hidden_group_size_y
      - .offset:         160
        .size:           2
        .value_kind:     hidden_group_size_z
      - .offset:         162
        .size:           2
        .value_kind:     hidden_remainder_x
      - .offset:         164
        .size:           2
        .value_kind:     hidden_remainder_y
      - .offset:         166
        .size:           2
        .value_kind:     hidden_remainder_z
      - .offset:         184
        .size:           8
        .value_kind:     hidden_global_offset_x
      - .offset:         192
        .size:           8
        .value_kind:     hidden_global_offset_y
      - .offset:         200
        .size:           8
        .value_kind:     hidden_global_offset_z
      - .offset:         208
        .size:           2
        .value_kind:     hidden_grid_dims
      - .offset:         224
        .size:           8
        .value_kind:     hidden_hostcall_buffer
    .group_segment_fixed_size: 0
    .kernarg_segment_align: 8
    .kernarg_segment_size: 400
    .language:       OpenCL C
    .language_version:
      - 2
      - 0
    .max_flat_workgroup_size: 256
    .name:           _Z38paged_attention_ll4mi_QKV_mfma4_kernelI14__hip_bfloat16hLN4vllm18Fp8KVCacheDataTypeE1EhLi32ELi128ELi256ELb0ELi3EEvPKT_PKT0_S8_ifPKiSA_SA_iPKfiiiPfSD_PS3_PT2_iSC_SC_
    .private_segment_fixed_size: 64
    .sgpr_count:     36
    .sgpr_spill_count: 0
    .symbol:         _Z38paged_attention_ll4mi_QKV_mfma4_kernelI14__hip_bfloat16hLN4vllm18Fp8KVCacheDataTypeE1EhLi32ELi128ELi256ELb0ELi3EEvPKT_PKT0_S8_ifPKiSA_SA_iPKfiiiPfSD_PS3_PT2_iSC_SC_.kd
    .uniform_work_group_size: 1
    .uses_dynamic_stack: false
    .vgpr_count:     51
    .vgpr_spill_count: 0
    .wavefront_size: 32
  - .args:
      - .actual_access:  read_only
        .address_space:  global
        .offset:         0
        .size:           8
        .value_kind:     global_buffer
      - .actual_access:  read_only
        .address_space:  global
        .offset:         8
        .size:           8
        .value_kind:     global_buffer
      - .actual_access:  read_only
        .address_space:  global
        .offset:         16
        .size:           8
        .value_kind:     global_buffer
      - .offset:         24
        .size:           4
        .value_kind:     by_value
      - .offset:         28
        .size:           4
        .value_kind:     by_value
      - .actual_access:  read_only
        .address_space:  global
        .offset:         32
        .size:           8
        .value_kind:     global_buffer
      - .actual_access:  read_only
        .address_space:  global
        .offset:         40
        .size:           8
        .value_kind:     global_buffer
      - .actual_access:  read_only
        .address_space:  global
        .offset:         48
        .size:           8
        .value_kind:     global_buffer
      - .offset:         56
        .size:           4
        .value_kind:     by_value
      - .actual_access:  read_only
        .address_space:  global
        .offset:         64
        .size:           8
        .value_kind:     global_buffer
      - .offset:         72
        .size:           4
        .value_kind:     by_value
      - .offset:         76
        .size:           4
        .value_kind:     by_value
      - .offset:         80
        .size:           4
        .value_kind:     by_value
      - .actual_access:  read_only
        .address_space:  global
        .offset:         88
        .size:           8
        .value_kind:     global_buffer
      - .actual_access:  read_only
        .address_space:  global
        .offset:         96
        .size:           8
        .value_kind:     global_buffer
      - .actual_access:  read_only
        .address_space:  global
        .offset:         104
        .size:           8
        .value_kind:     global_buffer
      - .actual_access:  read_only
        .address_space:  global
        .offset:         112
        .size:           8
        .value_kind:     global_buffer
      - .offset:         120
        .size:           4
        .value_kind:     by_value
      - .address_space:  global
        .offset:         128
        .size:           8
        .value_kind:     global_buffer
      - .address_space:  global
        .offset:         136
        .size:           8
        .value_kind:     global_buffer
      - .offset:         144
        .size:           4
        .value_kind:     hidden_block_count_x
      - .offset:         148
        .size:           4
        .value_kind:     hidden_block_count_y
      - .offset:         152
        .size:           4
        .value_kind:     hidden_block_count_z
      - .offset:         156
        .size:           2
        .value_kind:     hidden_group_size_x
      - .offset:         158
        .size:           2
        .value_kind:     hidden_group_size_y
      - .offset:         160
        .size:           2
        .value_kind:     hidden_group_size_z
      - .offset:         162
        .size:           2
        .value_kind:     hidden_remainder_x
      - .offset:         164
        .size:           2
        .value_kind:     hidden_remainder_y
      - .offset:         166
        .size:           2
        .value_kind:     hidden_remainder_z
      - .offset:         184
        .size:           8
        .value_kind:     hidden_global_offset_x
      - .offset:         192
        .size:           8
        .value_kind:     hidden_global_offset_y
      - .offset:         200
        .size:           8
        .value_kind:     hidden_global_offset_z
      - .offset:         208
        .size:           2
        .value_kind:     hidden_grid_dims
      - .offset:         224
        .size:           8
        .value_kind:     hidden_hostcall_buffer
    .group_segment_fixed_size: 0
    .kernarg_segment_align: 8
    .kernarg_segment_size: 400
    .language:       OpenCL C
    .language_version:
      - 2
      - 0
    .max_flat_workgroup_size: 256
    .name:           _Z38paged_attention_ll4mi_QKV_mfma4_kernelI14__hip_bfloat16hLN4vllm18Fp8KVCacheDataTypeE1EhLi32ELi128ELi256ELb0ELi4EEvPKT_PKT0_S8_ifPKiSA_SA_iPKfiiiPfSD_PS3_PT2_iSC_SC_
    .private_segment_fixed_size: 64
    .sgpr_count:     36
    .sgpr_spill_count: 0
    .symbol:         _Z38paged_attention_ll4mi_QKV_mfma4_kernelI14__hip_bfloat16hLN4vllm18Fp8KVCacheDataTypeE1EhLi32ELi128ELi256ELb0ELi4EEvPKT_PKT0_S8_ifPKiSA_SA_iPKfiiiPfSD_PS3_PT2_iSC_SC_.kd
    .uniform_work_group_size: 1
    .uses_dynamic_stack: false
    .vgpr_count:     51
    .vgpr_spill_count: 0
    .wavefront_size: 32
  - .args:
      - .actual_access:  read_only
        .address_space:  global
        .offset:         0
        .size:           8
        .value_kind:     global_buffer
      - .actual_access:  read_only
        .address_space:  global
        .offset:         8
        .size:           8
        .value_kind:     global_buffer
      - .actual_access:  read_only
        .address_space:  global
        .offset:         16
        .size:           8
        .value_kind:     global_buffer
      - .offset:         24
        .size:           4
        .value_kind:     by_value
      - .offset:         28
        .size:           4
        .value_kind:     by_value
      - .actual_access:  read_only
        .address_space:  global
        .offset:         32
        .size:           8
        .value_kind:     global_buffer
      - .actual_access:  read_only
        .address_space:  global
        .offset:         40
        .size:           8
        .value_kind:     global_buffer
      - .actual_access:  read_only
        .address_space:  global
        .offset:         48
        .size:           8
        .value_kind:     global_buffer
      - .offset:         56
        .size:           4
        .value_kind:     by_value
      - .actual_access:  read_only
        .address_space:  global
        .offset:         64
        .size:           8
        .value_kind:     global_buffer
      - .offset:         72
        .size:           4
        .value_kind:     by_value
      - .offset:         76
        .size:           4
        .value_kind:     by_value
      - .offset:         80
        .size:           4
        .value_kind:     by_value
      - .actual_access:  read_only
        .address_space:  global
        .offset:         88
        .size:           8
        .value_kind:     global_buffer
      - .actual_access:  read_only
        .address_space:  global
        .offset:         96
        .size:           8
        .value_kind:     global_buffer
      - .actual_access:  read_only
        .address_space:  global
        .offset:         104
        .size:           8
        .value_kind:     global_buffer
      - .actual_access:  read_only
        .address_space:  global
        .offset:         112
        .size:           8
        .value_kind:     global_buffer
      - .offset:         120
        .size:           4
        .value_kind:     by_value
      - .address_space:  global
        .offset:         128
        .size:           8
        .value_kind:     global_buffer
      - .address_space:  global
        .offset:         136
        .size:           8
        .value_kind:     global_buffer
      - .offset:         144
        .size:           4
        .value_kind:     hidden_block_count_x
      - .offset:         148
        .size:           4
        .value_kind:     hidden_block_count_y
      - .offset:         152
        .size:           4
        .value_kind:     hidden_block_count_z
      - .offset:         156
        .size:           2
        .value_kind:     hidden_group_size_x
      - .offset:         158
        .size:           2
        .value_kind:     hidden_group_size_y
      - .offset:         160
        .size:           2
        .value_kind:     hidden_group_size_z
      - .offset:         162
        .size:           2
        .value_kind:     hidden_remainder_x
      - .offset:         164
        .size:           2
        .value_kind:     hidden_remainder_y
      - .offset:         166
        .size:           2
        .value_kind:     hidden_remainder_z
      - .offset:         184
        .size:           8
        .value_kind:     hidden_global_offset_x
      - .offset:         192
        .size:           8
        .value_kind:     hidden_global_offset_y
      - .offset:         200
        .size:           8
        .value_kind:     hidden_global_offset_z
      - .offset:         208
        .size:           2
        .value_kind:     hidden_grid_dims
      - .offset:         224
        .size:           8
        .value_kind:     hidden_hostcall_buffer
    .group_segment_fixed_size: 0
    .kernarg_segment_align: 8
    .kernarg_segment_size: 400
    .language:       OpenCL C
    .language_version:
      - 2
      - 0
    .max_flat_workgroup_size: 256
    .name:           _Z39paged_attention_ll4mi_QKV_mfma16_kernelI14__hip_bfloat16hLN4vllm18Fp8KVCacheDataTypeE1EhLi32ELi128ELi256ELb0ELi5EEvPKT_PKT0_S8_ifPKiSA_SA_iPKfiiiPfSD_PS3_PT2_iSC_SC_
    .private_segment_fixed_size: 64
    .sgpr_count:     36
    .sgpr_spill_count: 0
    .symbol:         _Z39paged_attention_ll4mi_QKV_mfma16_kernelI14__hip_bfloat16hLN4vllm18Fp8KVCacheDataTypeE1EhLi32ELi128ELi256ELb0ELi5EEvPKT_PKT0_S8_ifPKiSA_SA_iPKfiiiPfSD_PS3_PT2_iSC_SC_.kd
    .uniform_work_group_size: 1
    .uses_dynamic_stack: false
    .vgpr_count:     51
    .vgpr_spill_count: 0
    .wavefront_size: 32
  - .args:
      - .actual_access:  read_only
        .address_space:  global
        .offset:         0
        .size:           8
        .value_kind:     global_buffer
      - .actual_access:  read_only
        .address_space:  global
        .offset:         8
        .size:           8
        .value_kind:     global_buffer
      - .actual_access:  read_only
        .address_space:  global
        .offset:         16
        .size:           8
        .value_kind:     global_buffer
      - .offset:         24
        .size:           4
        .value_kind:     by_value
      - .offset:         28
        .size:           4
        .value_kind:     by_value
      - .actual_access:  read_only
        .address_space:  global
        .offset:         32
        .size:           8
        .value_kind:     global_buffer
      - .actual_access:  read_only
        .address_space:  global
        .offset:         40
        .size:           8
        .value_kind:     global_buffer
      - .actual_access:  read_only
        .address_space:  global
        .offset:         48
        .size:           8
        .value_kind:     global_buffer
      - .offset:         56
        .size:           4
        .value_kind:     by_value
      - .actual_access:  read_only
        .address_space:  global
        .offset:         64
        .size:           8
        .value_kind:     global_buffer
      - .offset:         72
        .size:           4
        .value_kind:     by_value
      - .offset:         76
        .size:           4
        .value_kind:     by_value
      - .offset:         80
        .size:           4
        .value_kind:     by_value
      - .actual_access:  read_only
        .address_space:  global
        .offset:         88
        .size:           8
        .value_kind:     global_buffer
      - .actual_access:  read_only
        .address_space:  global
        .offset:         96
        .size:           8
        .value_kind:     global_buffer
      - .actual_access:  read_only
        .address_space:  global
        .offset:         104
        .size:           8
        .value_kind:     global_buffer
      - .actual_access:  read_only
        .address_space:  global
        .offset:         112
        .size:           8
        .value_kind:     global_buffer
      - .offset:         120
        .size:           4
        .value_kind:     by_value
      - .address_space:  global
        .offset:         128
        .size:           8
        .value_kind:     global_buffer
      - .address_space:  global
        .offset:         136
        .size:           8
        .value_kind:     global_buffer
      - .offset:         144
        .size:           4
        .value_kind:     hidden_block_count_x
      - .offset:         148
        .size:           4
        .value_kind:     hidden_block_count_y
      - .offset:         152
        .size:           4
        .value_kind:     hidden_block_count_z
      - .offset:         156
        .size:           2
        .value_kind:     hidden_group_size_x
      - .offset:         158
        .size:           2
        .value_kind:     hidden_group_size_y
      - .offset:         160
        .size:           2
        .value_kind:     hidden_group_size_z
      - .offset:         162
        .size:           2
        .value_kind:     hidden_remainder_x
      - .offset:         164
        .size:           2
        .value_kind:     hidden_remainder_y
      - .offset:         166
        .size:           2
        .value_kind:     hidden_remainder_z
      - .offset:         184
        .size:           8
        .value_kind:     hidden_global_offset_x
      - .offset:         192
        .size:           8
        .value_kind:     hidden_global_offset_y
      - .offset:         200
        .size:           8
        .value_kind:     hidden_global_offset_z
      - .offset:         208
        .size:           2
        .value_kind:     hidden_grid_dims
      - .offset:         224
        .size:           8
        .value_kind:     hidden_hostcall_buffer
    .group_segment_fixed_size: 0
    .kernarg_segment_align: 8
    .kernarg_segment_size: 400
    .language:       OpenCL C
    .language_version:
      - 2
      - 0
    .max_flat_workgroup_size: 256
    .name:           _Z39paged_attention_ll4mi_QKV_mfma16_kernelI14__hip_bfloat16hLN4vllm18Fp8KVCacheDataTypeE1EhLi32ELi128ELi256ELb0ELi6EEvPKT_PKT0_S8_ifPKiSA_SA_iPKfiiiPfSD_PS3_PT2_iSC_SC_
    .private_segment_fixed_size: 64
    .sgpr_count:     36
    .sgpr_spill_count: 0
    .symbol:         _Z39paged_attention_ll4mi_QKV_mfma16_kernelI14__hip_bfloat16hLN4vllm18Fp8KVCacheDataTypeE1EhLi32ELi128ELi256ELb0ELi6EEvPKT_PKT0_S8_ifPKiSA_SA_iPKfiiiPfSD_PS3_PT2_iSC_SC_.kd
    .uniform_work_group_size: 1
    .uses_dynamic_stack: false
    .vgpr_count:     51
    .vgpr_spill_count: 0
    .wavefront_size: 32
  - .args:
      - .actual_access:  read_only
        .address_space:  global
        .offset:         0
        .size:           8
        .value_kind:     global_buffer
      - .actual_access:  read_only
        .address_space:  global
        .offset:         8
        .size:           8
        .value_kind:     global_buffer
      - .actual_access:  read_only
        .address_space:  global
        .offset:         16
        .size:           8
        .value_kind:     global_buffer
      - .offset:         24
        .size:           4
        .value_kind:     by_value
      - .offset:         28
        .size:           4
        .value_kind:     by_value
      - .actual_access:  read_only
        .address_space:  global
        .offset:         32
        .size:           8
        .value_kind:     global_buffer
      - .actual_access:  read_only
        .address_space:  global
        .offset:         40
        .size:           8
        .value_kind:     global_buffer
      - .actual_access:  read_only
        .address_space:  global
        .offset:         48
        .size:           8
        .value_kind:     global_buffer
      - .offset:         56
        .size:           4
        .value_kind:     by_value
      - .actual_access:  read_only
        .address_space:  global
        .offset:         64
        .size:           8
        .value_kind:     global_buffer
      - .offset:         72
        .size:           4
        .value_kind:     by_value
      - .offset:         76
        .size:           4
        .value_kind:     by_value
      - .offset:         80
        .size:           4
        .value_kind:     by_value
      - .actual_access:  read_only
        .address_space:  global
        .offset:         88
        .size:           8
        .value_kind:     global_buffer
      - .actual_access:  read_only
        .address_space:  global
        .offset:         96
        .size:           8
        .value_kind:     global_buffer
      - .actual_access:  read_only
        .address_space:  global
        .offset:         104
        .size:           8
        .value_kind:     global_buffer
      - .actual_access:  read_only
        .address_space:  global
        .offset:         112
        .size:           8
        .value_kind:     global_buffer
      - .offset:         120
        .size:           4
        .value_kind:     by_value
      - .address_space:  global
        .offset:         128
        .size:           8
        .value_kind:     global_buffer
      - .address_space:  global
        .offset:         136
        .size:           8
        .value_kind:     global_buffer
      - .offset:         144
        .size:           4
        .value_kind:     hidden_block_count_x
      - .offset:         148
        .size:           4
        .value_kind:     hidden_block_count_y
      - .offset:         152
        .size:           4
        .value_kind:     hidden_block_count_z
      - .offset:         156
        .size:           2
        .value_kind:     hidden_group_size_x
      - .offset:         158
        .size:           2
        .value_kind:     hidden_group_size_y
      - .offset:         160
        .size:           2
        .value_kind:     hidden_group_size_z
      - .offset:         162
        .size:           2
        .value_kind:     hidden_remainder_x
      - .offset:         164
        .size:           2
        .value_kind:     hidden_remainder_y
      - .offset:         166
        .size:           2
        .value_kind:     hidden_remainder_z
      - .offset:         184
        .size:           8
        .value_kind:     hidden_global_offset_x
      - .offset:         192
        .size:           8
        .value_kind:     hidden_global_offset_y
      - .offset:         200
        .size:           8
        .value_kind:     hidden_global_offset_z
      - .offset:         208
        .size:           2
        .value_kind:     hidden_grid_dims
      - .offset:         224
        .size:           8
        .value_kind:     hidden_hostcall_buffer
    .group_segment_fixed_size: 0
    .kernarg_segment_align: 8
    .kernarg_segment_size: 400
    .language:       OpenCL C
    .language_version:
      - 2
      - 0
    .max_flat_workgroup_size: 256
    .name:           _Z39paged_attention_ll4mi_QKV_mfma16_kernelI14__hip_bfloat16hLN4vllm18Fp8KVCacheDataTypeE1EhLi32ELi128ELi256ELb0ELi7EEvPKT_PKT0_S8_ifPKiSA_SA_iPKfiiiPfSD_PS3_PT2_iSC_SC_
    .private_segment_fixed_size: 64
    .sgpr_count:     36
    .sgpr_spill_count: 0
    .symbol:         _Z39paged_attention_ll4mi_QKV_mfma16_kernelI14__hip_bfloat16hLN4vllm18Fp8KVCacheDataTypeE1EhLi32ELi128ELi256ELb0ELi7EEvPKT_PKT0_S8_ifPKiSA_SA_iPKfiiiPfSD_PS3_PT2_iSC_SC_.kd
    .uniform_work_group_size: 1
    .uses_dynamic_stack: false
    .vgpr_count:     51
    .vgpr_spill_count: 0
    .wavefront_size: 32
  - .args:
      - .actual_access:  read_only
        .address_space:  global
        .offset:         0
        .size:           8
        .value_kind:     global_buffer
      - .actual_access:  read_only
        .address_space:  global
        .offset:         8
        .size:           8
        .value_kind:     global_buffer
      - .actual_access:  read_only
        .address_space:  global
        .offset:         16
        .size:           8
        .value_kind:     global_buffer
      - .offset:         24
        .size:           4
        .value_kind:     by_value
      - .offset:         28
        .size:           4
        .value_kind:     by_value
      - .actual_access:  read_only
        .address_space:  global
        .offset:         32
        .size:           8
        .value_kind:     global_buffer
      - .actual_access:  read_only
        .address_space:  global
        .offset:         40
        .size:           8
        .value_kind:     global_buffer
      - .actual_access:  read_only
        .address_space:  global
        .offset:         48
        .size:           8
        .value_kind:     global_buffer
      - .offset:         56
        .size:           4
        .value_kind:     by_value
      - .actual_access:  read_only
        .address_space:  global
        .offset:         64
        .size:           8
        .value_kind:     global_buffer
      - .offset:         72
        .size:           4
        .value_kind:     by_value
      - .offset:         76
        .size:           4
        .value_kind:     by_value
      - .offset:         80
        .size:           4
        .value_kind:     by_value
      - .actual_access:  read_only
        .address_space:  global
        .offset:         88
        .size:           8
        .value_kind:     global_buffer
      - .actual_access:  read_only
        .address_space:  global
        .offset:         96
        .size:           8
        .value_kind:     global_buffer
      - .actual_access:  read_only
        .address_space:  global
        .offset:         104
        .size:           8
        .value_kind:     global_buffer
      - .actual_access:  read_only
        .address_space:  global
        .offset:         112
        .size:           8
        .value_kind:     global_buffer
      - .offset:         120
        .size:           4
        .value_kind:     by_value
      - .address_space:  global
        .offset:         128
        .size:           8
        .value_kind:     global_buffer
      - .address_space:  global
        .offset:         136
        .size:           8
        .value_kind:     global_buffer
      - .offset:         144
        .size:           4
        .value_kind:     hidden_block_count_x
      - .offset:         148
        .size:           4
        .value_kind:     hidden_block_count_y
      - .offset:         152
        .size:           4
        .value_kind:     hidden_block_count_z
      - .offset:         156
        .size:           2
        .value_kind:     hidden_group_size_x
      - .offset:         158
        .size:           2
        .value_kind:     hidden_group_size_y
      - .offset:         160
        .size:           2
        .value_kind:     hidden_group_size_z
      - .offset:         162
        .size:           2
        .value_kind:     hidden_remainder_x
      - .offset:         164
        .size:           2
        .value_kind:     hidden_remainder_y
      - .offset:         166
        .size:           2
        .value_kind:     hidden_remainder_z
      - .offset:         184
        .size:           8
        .value_kind:     hidden_global_offset_x
      - .offset:         192
        .size:           8
        .value_kind:     hidden_global_offset_y
      - .offset:         200
        .size:           8
        .value_kind:     hidden_global_offset_z
      - .offset:         208
        .size:           2
        .value_kind:     hidden_grid_dims
      - .offset:         224
        .size:           8
        .value_kind:     hidden_hostcall_buffer
    .group_segment_fixed_size: 0
    .kernarg_segment_align: 8
    .kernarg_segment_size: 400
    .language:       OpenCL C
    .language_version:
      - 2
      - 0
    .max_flat_workgroup_size: 256
    .name:           _Z39paged_attention_ll4mi_QKV_mfma16_kernelI14__hip_bfloat16hLN4vllm18Fp8KVCacheDataTypeE1EhLi32ELi128ELi256ELb0ELi8EEvPKT_PKT0_S8_ifPKiSA_SA_iPKfiiiPfSD_PS3_PT2_iSC_SC_
    .private_segment_fixed_size: 64
    .sgpr_count:     36
    .sgpr_spill_count: 0
    .symbol:         _Z39paged_attention_ll4mi_QKV_mfma16_kernelI14__hip_bfloat16hLN4vllm18Fp8KVCacheDataTypeE1EhLi32ELi128ELi256ELb0ELi8EEvPKT_PKT0_S8_ifPKiSA_SA_iPKfiiiPfSD_PS3_PT2_iSC_SC_.kd
    .uniform_work_group_size: 1
    .uses_dynamic_stack: false
    .vgpr_count:     51
    .vgpr_spill_count: 0
    .wavefront_size: 32
  - .args:
      - .actual_access:  read_only
        .address_space:  global
        .offset:         0
        .size:           8
        .value_kind:     global_buffer
      - .actual_access:  read_only
        .address_space:  global
        .offset:         8
        .size:           8
        .value_kind:     global_buffer
      - .actual_access:  read_only
        .address_space:  global
        .offset:         16
        .size:           8
        .value_kind:     global_buffer
      - .offset:         24
        .size:           4
        .value_kind:     by_value
      - .offset:         28
        .size:           4
        .value_kind:     by_value
      - .actual_access:  read_only
        .address_space:  global
        .offset:         32
        .size:           8
        .value_kind:     global_buffer
      - .actual_access:  read_only
        .address_space:  global
        .offset:         40
        .size:           8
        .value_kind:     global_buffer
      - .actual_access:  read_only
        .address_space:  global
        .offset:         48
        .size:           8
        .value_kind:     global_buffer
      - .offset:         56
        .size:           4
        .value_kind:     by_value
      - .actual_access:  read_only
        .address_space:  global
        .offset:         64
        .size:           8
        .value_kind:     global_buffer
      - .offset:         72
        .size:           4
        .value_kind:     by_value
      - .offset:         76
        .size:           4
        .value_kind:     by_value
      - .offset:         80
        .size:           4
        .value_kind:     by_value
      - .actual_access:  read_only
        .address_space:  global
        .offset:         88
        .size:           8
        .value_kind:     global_buffer
      - .actual_access:  read_only
        .address_space:  global
        .offset:         96
        .size:           8
        .value_kind:     global_buffer
      - .actual_access:  read_only
        .address_space:  global
        .offset:         104
        .size:           8
        .value_kind:     global_buffer
      - .actual_access:  read_only
        .address_space:  global
        .offset:         112
        .size:           8
        .value_kind:     global_buffer
      - .offset:         120
        .size:           4
        .value_kind:     by_value
      - .address_space:  global
        .offset:         128
        .size:           8
        .value_kind:     global_buffer
      - .address_space:  global
        .offset:         136
        .size:           8
        .value_kind:     global_buffer
      - .offset:         144
        .size:           4
        .value_kind:     hidden_block_count_x
      - .offset:         148
        .size:           4
        .value_kind:     hidden_block_count_y
      - .offset:         152
        .size:           4
        .value_kind:     hidden_block_count_z
      - .offset:         156
        .size:           2
        .value_kind:     hidden_group_size_x
      - .offset:         158
        .size:           2
        .value_kind:     hidden_group_size_y
      - .offset:         160
        .size:           2
        .value_kind:     hidden_group_size_z
      - .offset:         162
        .size:           2
        .value_kind:     hidden_remainder_x
      - .offset:         164
        .size:           2
        .value_kind:     hidden_remainder_y
      - .offset:         166
        .size:           2
        .value_kind:     hidden_remainder_z
      - .offset:         184
        .size:           8
        .value_kind:     hidden_global_offset_x
      - .offset:         192
        .size:           8
        .value_kind:     hidden_global_offset_y
      - .offset:         200
        .size:           8
        .value_kind:     hidden_global_offset_z
      - .offset:         208
        .size:           2
        .value_kind:     hidden_grid_dims
      - .offset:         224
        .size:           8
        .value_kind:     hidden_hostcall_buffer
    .group_segment_fixed_size: 0
    .kernarg_segment_align: 8
    .kernarg_segment_size: 400
    .language:       OpenCL C
    .language_version:
      - 2
      - 0
    .max_flat_workgroup_size: 256
    .name:           _Z39paged_attention_ll4mi_QKV_mfma16_kernelI14__hip_bfloat16hLN4vllm18Fp8KVCacheDataTypeE1EhLi32ELi128ELi256ELb0ELi9EEvPKT_PKT0_S8_ifPKiSA_SA_iPKfiiiPfSD_PS3_PT2_iSC_SC_
    .private_segment_fixed_size: 64
    .sgpr_count:     36
    .sgpr_spill_count: 0
    .symbol:         _Z39paged_attention_ll4mi_QKV_mfma16_kernelI14__hip_bfloat16hLN4vllm18Fp8KVCacheDataTypeE1EhLi32ELi128ELi256ELb0ELi9EEvPKT_PKT0_S8_ifPKiSA_SA_iPKfiiiPfSD_PS3_PT2_iSC_SC_.kd
    .uniform_work_group_size: 1
    .uses_dynamic_stack: false
    .vgpr_count:     51
    .vgpr_spill_count: 0
    .wavefront_size: 32
  - .args:
      - .actual_access:  read_only
        .address_space:  global
        .offset:         0
        .size:           8
        .value_kind:     global_buffer
      - .actual_access:  read_only
        .address_space:  global
        .offset:         8
        .size:           8
        .value_kind:     global_buffer
      - .actual_access:  read_only
        .address_space:  global
        .offset:         16
        .size:           8
        .value_kind:     global_buffer
      - .offset:         24
        .size:           4
        .value_kind:     by_value
      - .offset:         28
        .size:           4
        .value_kind:     by_value
      - .actual_access:  read_only
        .address_space:  global
        .offset:         32
        .size:           8
        .value_kind:     global_buffer
      - .actual_access:  read_only
        .address_space:  global
        .offset:         40
        .size:           8
        .value_kind:     global_buffer
      - .actual_access:  read_only
        .address_space:  global
        .offset:         48
        .size:           8
        .value_kind:     global_buffer
      - .offset:         56
        .size:           4
        .value_kind:     by_value
      - .actual_access:  read_only
        .address_space:  global
        .offset:         64
        .size:           8
        .value_kind:     global_buffer
      - .offset:         72
        .size:           4
        .value_kind:     by_value
      - .offset:         76
        .size:           4
        .value_kind:     by_value
      - .offset:         80
        .size:           4
        .value_kind:     by_value
      - .actual_access:  read_only
        .address_space:  global
        .offset:         88
        .size:           8
        .value_kind:     global_buffer
      - .actual_access:  read_only
        .address_space:  global
        .offset:         96
        .size:           8
        .value_kind:     global_buffer
      - .actual_access:  read_only
        .address_space:  global
        .offset:         104
        .size:           8
        .value_kind:     global_buffer
      - .actual_access:  read_only
        .address_space:  global
        .offset:         112
        .size:           8
        .value_kind:     global_buffer
      - .offset:         120
        .size:           4
        .value_kind:     by_value
      - .address_space:  global
        .offset:         128
        .size:           8
        .value_kind:     global_buffer
      - .address_space:  global
        .offset:         136
        .size:           8
        .value_kind:     global_buffer
      - .offset:         144
        .size:           4
        .value_kind:     hidden_block_count_x
      - .offset:         148
        .size:           4
        .value_kind:     hidden_block_count_y
      - .offset:         152
        .size:           4
        .value_kind:     hidden_block_count_z
      - .offset:         156
        .size:           2
        .value_kind:     hidden_group_size_x
      - .offset:         158
        .size:           2
        .value_kind:     hidden_group_size_y
      - .offset:         160
        .size:           2
        .value_kind:     hidden_group_size_z
      - .offset:         162
        .size:           2
        .value_kind:     hidden_remainder_x
      - .offset:         164
        .size:           2
        .value_kind:     hidden_remainder_y
      - .offset:         166
        .size:           2
        .value_kind:     hidden_remainder_z
      - .offset:         184
        .size:           8
        .value_kind:     hidden_global_offset_x
      - .offset:         192
        .size:           8
        .value_kind:     hidden_global_offset_y
      - .offset:         200
        .size:           8
        .value_kind:     hidden_global_offset_z
      - .offset:         208
        .size:           2
        .value_kind:     hidden_grid_dims
      - .offset:         224
        .size:           8
        .value_kind:     hidden_hostcall_buffer
    .group_segment_fixed_size: 0
    .kernarg_segment_align: 8
    .kernarg_segment_size: 400
    .language:       OpenCL C
    .language_version:
      - 2
      - 0
    .max_flat_workgroup_size: 256
    .name:           _Z39paged_attention_ll4mi_QKV_mfma16_kernelI14__hip_bfloat16hLN4vllm18Fp8KVCacheDataTypeE1EhLi32ELi128ELi256ELb0ELi10EEvPKT_PKT0_S8_ifPKiSA_SA_iPKfiiiPfSD_PS3_PT2_iSC_SC_
    .private_segment_fixed_size: 64
    .sgpr_count:     36
    .sgpr_spill_count: 0
    .symbol:         _Z39paged_attention_ll4mi_QKV_mfma16_kernelI14__hip_bfloat16hLN4vllm18Fp8KVCacheDataTypeE1EhLi32ELi128ELi256ELb0ELi10EEvPKT_PKT0_S8_ifPKiSA_SA_iPKfiiiPfSD_PS3_PT2_iSC_SC_.kd
    .uniform_work_group_size: 1
    .uses_dynamic_stack: false
    .vgpr_count:     51
    .vgpr_spill_count: 0
    .wavefront_size: 32
  - .args:
      - .actual_access:  read_only
        .address_space:  global
        .offset:         0
        .size:           8
        .value_kind:     global_buffer
      - .actual_access:  read_only
        .address_space:  global
        .offset:         8
        .size:           8
        .value_kind:     global_buffer
      - .actual_access:  read_only
        .address_space:  global
        .offset:         16
        .size:           8
        .value_kind:     global_buffer
      - .offset:         24
        .size:           4
        .value_kind:     by_value
      - .offset:         28
        .size:           4
        .value_kind:     by_value
      - .actual_access:  read_only
        .address_space:  global
        .offset:         32
        .size:           8
        .value_kind:     global_buffer
      - .actual_access:  read_only
        .address_space:  global
        .offset:         40
        .size:           8
        .value_kind:     global_buffer
      - .actual_access:  read_only
        .address_space:  global
        .offset:         48
        .size:           8
        .value_kind:     global_buffer
      - .offset:         56
        .size:           4
        .value_kind:     by_value
      - .actual_access:  read_only
        .address_space:  global
        .offset:         64
        .size:           8
        .value_kind:     global_buffer
      - .offset:         72
        .size:           4
        .value_kind:     by_value
      - .offset:         76
        .size:           4
        .value_kind:     by_value
      - .offset:         80
        .size:           4
        .value_kind:     by_value
      - .actual_access:  read_only
        .address_space:  global
        .offset:         88
        .size:           8
        .value_kind:     global_buffer
      - .actual_access:  read_only
        .address_space:  global
        .offset:         96
        .size:           8
        .value_kind:     global_buffer
      - .actual_access:  read_only
        .address_space:  global
        .offset:         104
        .size:           8
        .value_kind:     global_buffer
      - .actual_access:  read_only
        .address_space:  global
        .offset:         112
        .size:           8
        .value_kind:     global_buffer
      - .offset:         120
        .size:           4
        .value_kind:     by_value
      - .address_space:  global
        .offset:         128
        .size:           8
        .value_kind:     global_buffer
      - .address_space:  global
        .offset:         136
        .size:           8
        .value_kind:     global_buffer
      - .offset:         144
        .size:           4
        .value_kind:     hidden_block_count_x
      - .offset:         148
        .size:           4
        .value_kind:     hidden_block_count_y
      - .offset:         152
        .size:           4
        .value_kind:     hidden_block_count_z
      - .offset:         156
        .size:           2
        .value_kind:     hidden_group_size_x
      - .offset:         158
        .size:           2
        .value_kind:     hidden_group_size_y
      - .offset:         160
        .size:           2
        .value_kind:     hidden_group_size_z
      - .offset:         162
        .size:           2
        .value_kind:     hidden_remainder_x
      - .offset:         164
        .size:           2
        .value_kind:     hidden_remainder_y
      - .offset:         166
        .size:           2
        .value_kind:     hidden_remainder_z
      - .offset:         184
        .size:           8
        .value_kind:     hidden_global_offset_x
      - .offset:         192
        .size:           8
        .value_kind:     hidden_global_offset_y
      - .offset:         200
        .size:           8
        .value_kind:     hidden_global_offset_z
      - .offset:         208
        .size:           2
        .value_kind:     hidden_grid_dims
      - .offset:         224
        .size:           8
        .value_kind:     hidden_hostcall_buffer
    .group_segment_fixed_size: 0
    .kernarg_segment_align: 8
    .kernarg_segment_size: 400
    .language:       OpenCL C
    .language_version:
      - 2
      - 0
    .max_flat_workgroup_size: 256
    .name:           _Z39paged_attention_ll4mi_QKV_mfma16_kernelI14__hip_bfloat16hLN4vllm18Fp8KVCacheDataTypeE1EhLi32ELi128ELi256ELb0ELi11EEvPKT_PKT0_S8_ifPKiSA_SA_iPKfiiiPfSD_PS3_PT2_iSC_SC_
    .private_segment_fixed_size: 64
    .sgpr_count:     36
    .sgpr_spill_count: 0
    .symbol:         _Z39paged_attention_ll4mi_QKV_mfma16_kernelI14__hip_bfloat16hLN4vllm18Fp8KVCacheDataTypeE1EhLi32ELi128ELi256ELb0ELi11EEvPKT_PKT0_S8_ifPKiSA_SA_iPKfiiiPfSD_PS3_PT2_iSC_SC_.kd
    .uniform_work_group_size: 1
    .uses_dynamic_stack: false
    .vgpr_count:     51
    .vgpr_spill_count: 0
    .wavefront_size: 32
  - .args:
      - .actual_access:  read_only
        .address_space:  global
        .offset:         0
        .size:           8
        .value_kind:     global_buffer
      - .actual_access:  read_only
        .address_space:  global
        .offset:         8
        .size:           8
        .value_kind:     global_buffer
      - .actual_access:  read_only
        .address_space:  global
        .offset:         16
        .size:           8
        .value_kind:     global_buffer
      - .offset:         24
        .size:           4
        .value_kind:     by_value
      - .offset:         28
        .size:           4
        .value_kind:     by_value
      - .actual_access:  read_only
        .address_space:  global
        .offset:         32
        .size:           8
        .value_kind:     global_buffer
      - .actual_access:  read_only
        .address_space:  global
        .offset:         40
        .size:           8
        .value_kind:     global_buffer
      - .actual_access:  read_only
        .address_space:  global
        .offset:         48
        .size:           8
        .value_kind:     global_buffer
      - .offset:         56
        .size:           4
        .value_kind:     by_value
      - .actual_access:  read_only
        .address_space:  global
        .offset:         64
        .size:           8
        .value_kind:     global_buffer
      - .offset:         72
        .size:           4
        .value_kind:     by_value
      - .offset:         76
        .size:           4
        .value_kind:     by_value
      - .offset:         80
        .size:           4
        .value_kind:     by_value
      - .actual_access:  read_only
        .address_space:  global
        .offset:         88
        .size:           8
        .value_kind:     global_buffer
      - .actual_access:  read_only
        .address_space:  global
        .offset:         96
        .size:           8
        .value_kind:     global_buffer
      - .actual_access:  read_only
        .address_space:  global
        .offset:         104
        .size:           8
        .value_kind:     global_buffer
      - .actual_access:  read_only
        .address_space:  global
        .offset:         112
        .size:           8
        .value_kind:     global_buffer
      - .offset:         120
        .size:           4
        .value_kind:     by_value
      - .address_space:  global
        .offset:         128
        .size:           8
        .value_kind:     global_buffer
      - .address_space:  global
        .offset:         136
        .size:           8
        .value_kind:     global_buffer
      - .offset:         144
        .size:           4
        .value_kind:     hidden_block_count_x
      - .offset:         148
        .size:           4
        .value_kind:     hidden_block_count_y
      - .offset:         152
        .size:           4
        .value_kind:     hidden_block_count_z
      - .offset:         156
        .size:           2
        .value_kind:     hidden_group_size_x
      - .offset:         158
        .size:           2
        .value_kind:     hidden_group_size_y
      - .offset:         160
        .size:           2
        .value_kind:     hidden_group_size_z
      - .offset:         162
        .size:           2
        .value_kind:     hidden_remainder_x
      - .offset:         164
        .size:           2
        .value_kind:     hidden_remainder_y
      - .offset:         166
        .size:           2
        .value_kind:     hidden_remainder_z
      - .offset:         184
        .size:           8
        .value_kind:     hidden_global_offset_x
      - .offset:         192
        .size:           8
        .value_kind:     hidden_global_offset_y
      - .offset:         200
        .size:           8
        .value_kind:     hidden_global_offset_z
      - .offset:         208
        .size:           2
        .value_kind:     hidden_grid_dims
      - .offset:         224
        .size:           8
        .value_kind:     hidden_hostcall_buffer
    .group_segment_fixed_size: 0
    .kernarg_segment_align: 8
    .kernarg_segment_size: 400
    .language:       OpenCL C
    .language_version:
      - 2
      - 0
    .max_flat_workgroup_size: 256
    .name:           _Z39paged_attention_ll4mi_QKV_mfma16_kernelI14__hip_bfloat16hLN4vllm18Fp8KVCacheDataTypeE1EhLi32ELi128ELi256ELb0ELi12EEvPKT_PKT0_S8_ifPKiSA_SA_iPKfiiiPfSD_PS3_PT2_iSC_SC_
    .private_segment_fixed_size: 64
    .sgpr_count:     36
    .sgpr_spill_count: 0
    .symbol:         _Z39paged_attention_ll4mi_QKV_mfma16_kernelI14__hip_bfloat16hLN4vllm18Fp8KVCacheDataTypeE1EhLi32ELi128ELi256ELb0ELi12EEvPKT_PKT0_S8_ifPKiSA_SA_iPKfiiiPfSD_PS3_PT2_iSC_SC_.kd
    .uniform_work_group_size: 1
    .uses_dynamic_stack: false
    .vgpr_count:     51
    .vgpr_spill_count: 0
    .wavefront_size: 32
  - .args:
      - .actual_access:  read_only
        .address_space:  global
        .offset:         0
        .size:           8
        .value_kind:     global_buffer
      - .actual_access:  read_only
        .address_space:  global
        .offset:         8
        .size:           8
        .value_kind:     global_buffer
      - .actual_access:  read_only
        .address_space:  global
        .offset:         16
        .size:           8
        .value_kind:     global_buffer
      - .offset:         24
        .size:           4
        .value_kind:     by_value
      - .offset:         28
        .size:           4
        .value_kind:     by_value
      - .actual_access:  read_only
        .address_space:  global
        .offset:         32
        .size:           8
        .value_kind:     global_buffer
      - .actual_access:  read_only
        .address_space:  global
        .offset:         40
        .size:           8
        .value_kind:     global_buffer
      - .actual_access:  read_only
        .address_space:  global
        .offset:         48
        .size:           8
        .value_kind:     global_buffer
      - .offset:         56
        .size:           4
        .value_kind:     by_value
      - .actual_access:  read_only
        .address_space:  global
        .offset:         64
        .size:           8
        .value_kind:     global_buffer
      - .offset:         72
        .size:           4
        .value_kind:     by_value
      - .offset:         76
        .size:           4
        .value_kind:     by_value
      - .offset:         80
        .size:           4
        .value_kind:     by_value
      - .actual_access:  read_only
        .address_space:  global
        .offset:         88
        .size:           8
        .value_kind:     global_buffer
      - .actual_access:  read_only
        .address_space:  global
        .offset:         96
        .size:           8
        .value_kind:     global_buffer
      - .actual_access:  read_only
        .address_space:  global
        .offset:         104
        .size:           8
        .value_kind:     global_buffer
      - .actual_access:  read_only
        .address_space:  global
        .offset:         112
        .size:           8
        .value_kind:     global_buffer
      - .offset:         120
        .size:           4
        .value_kind:     by_value
      - .address_space:  global
        .offset:         128
        .size:           8
        .value_kind:     global_buffer
      - .address_space:  global
        .offset:         136
        .size:           8
        .value_kind:     global_buffer
      - .offset:         144
        .size:           4
        .value_kind:     hidden_block_count_x
      - .offset:         148
        .size:           4
        .value_kind:     hidden_block_count_y
      - .offset:         152
        .size:           4
        .value_kind:     hidden_block_count_z
      - .offset:         156
        .size:           2
        .value_kind:     hidden_group_size_x
      - .offset:         158
        .size:           2
        .value_kind:     hidden_group_size_y
      - .offset:         160
        .size:           2
        .value_kind:     hidden_group_size_z
      - .offset:         162
        .size:           2
        .value_kind:     hidden_remainder_x
      - .offset:         164
        .size:           2
        .value_kind:     hidden_remainder_y
      - .offset:         166
        .size:           2
        .value_kind:     hidden_remainder_z
      - .offset:         184
        .size:           8
        .value_kind:     hidden_global_offset_x
      - .offset:         192
        .size:           8
        .value_kind:     hidden_global_offset_y
      - .offset:         200
        .size:           8
        .value_kind:     hidden_global_offset_z
      - .offset:         208
        .size:           2
        .value_kind:     hidden_grid_dims
      - .offset:         224
        .size:           8
        .value_kind:     hidden_hostcall_buffer
    .group_segment_fixed_size: 0
    .kernarg_segment_align: 8
    .kernarg_segment_size: 400
    .language:       OpenCL C
    .language_version:
      - 2
      - 0
    .max_flat_workgroup_size: 256
    .name:           _Z39paged_attention_ll4mi_QKV_mfma16_kernelI14__hip_bfloat16hLN4vllm18Fp8KVCacheDataTypeE1EhLi32ELi128ELi256ELb0ELi13EEvPKT_PKT0_S8_ifPKiSA_SA_iPKfiiiPfSD_PS3_PT2_iSC_SC_
    .private_segment_fixed_size: 64
    .sgpr_count:     36
    .sgpr_spill_count: 0
    .symbol:         _Z39paged_attention_ll4mi_QKV_mfma16_kernelI14__hip_bfloat16hLN4vllm18Fp8KVCacheDataTypeE1EhLi32ELi128ELi256ELb0ELi13EEvPKT_PKT0_S8_ifPKiSA_SA_iPKfiiiPfSD_PS3_PT2_iSC_SC_.kd
    .uniform_work_group_size: 1
    .uses_dynamic_stack: false
    .vgpr_count:     51
    .vgpr_spill_count: 0
    .wavefront_size: 32
  - .args:
      - .actual_access:  read_only
        .address_space:  global
        .offset:         0
        .size:           8
        .value_kind:     global_buffer
      - .actual_access:  read_only
        .address_space:  global
        .offset:         8
        .size:           8
        .value_kind:     global_buffer
      - .actual_access:  read_only
        .address_space:  global
        .offset:         16
        .size:           8
        .value_kind:     global_buffer
      - .offset:         24
        .size:           4
        .value_kind:     by_value
      - .offset:         28
        .size:           4
        .value_kind:     by_value
      - .actual_access:  read_only
        .address_space:  global
        .offset:         32
        .size:           8
        .value_kind:     global_buffer
      - .actual_access:  read_only
        .address_space:  global
        .offset:         40
        .size:           8
        .value_kind:     global_buffer
      - .actual_access:  read_only
        .address_space:  global
        .offset:         48
        .size:           8
        .value_kind:     global_buffer
      - .offset:         56
        .size:           4
        .value_kind:     by_value
      - .actual_access:  read_only
        .address_space:  global
        .offset:         64
        .size:           8
        .value_kind:     global_buffer
      - .offset:         72
        .size:           4
        .value_kind:     by_value
      - .offset:         76
        .size:           4
        .value_kind:     by_value
      - .offset:         80
        .size:           4
        .value_kind:     by_value
      - .actual_access:  read_only
        .address_space:  global
        .offset:         88
        .size:           8
        .value_kind:     global_buffer
      - .actual_access:  read_only
        .address_space:  global
        .offset:         96
        .size:           8
        .value_kind:     global_buffer
      - .actual_access:  read_only
        .address_space:  global
        .offset:         104
        .size:           8
        .value_kind:     global_buffer
      - .actual_access:  read_only
        .address_space:  global
        .offset:         112
        .size:           8
        .value_kind:     global_buffer
      - .offset:         120
        .size:           4
        .value_kind:     by_value
      - .address_space:  global
        .offset:         128
        .size:           8
        .value_kind:     global_buffer
      - .address_space:  global
        .offset:         136
        .size:           8
        .value_kind:     global_buffer
      - .offset:         144
        .size:           4
        .value_kind:     hidden_block_count_x
      - .offset:         148
        .size:           4
        .value_kind:     hidden_block_count_y
      - .offset:         152
        .size:           4
        .value_kind:     hidden_block_count_z
      - .offset:         156
        .size:           2
        .value_kind:     hidden_group_size_x
      - .offset:         158
        .size:           2
        .value_kind:     hidden_group_size_y
      - .offset:         160
        .size:           2
        .value_kind:     hidden_group_size_z
      - .offset:         162
        .size:           2
        .value_kind:     hidden_remainder_x
      - .offset:         164
        .size:           2
        .value_kind:     hidden_remainder_y
      - .offset:         166
        .size:           2
        .value_kind:     hidden_remainder_z
      - .offset:         184
        .size:           8
        .value_kind:     hidden_global_offset_x
      - .offset:         192
        .size:           8
        .value_kind:     hidden_global_offset_y
      - .offset:         200
        .size:           8
        .value_kind:     hidden_global_offset_z
      - .offset:         208
        .size:           2
        .value_kind:     hidden_grid_dims
      - .offset:         224
        .size:           8
        .value_kind:     hidden_hostcall_buffer
    .group_segment_fixed_size: 0
    .kernarg_segment_align: 8
    .kernarg_segment_size: 400
    .language:       OpenCL C
    .language_version:
      - 2
      - 0
    .max_flat_workgroup_size: 256
    .name:           _Z39paged_attention_ll4mi_QKV_mfma16_kernelI14__hip_bfloat16hLN4vllm18Fp8KVCacheDataTypeE1EhLi32ELi128ELi256ELb0ELi14EEvPKT_PKT0_S8_ifPKiSA_SA_iPKfiiiPfSD_PS3_PT2_iSC_SC_
    .private_segment_fixed_size: 64
    .sgpr_count:     36
    .sgpr_spill_count: 0
    .symbol:         _Z39paged_attention_ll4mi_QKV_mfma16_kernelI14__hip_bfloat16hLN4vllm18Fp8KVCacheDataTypeE1EhLi32ELi128ELi256ELb0ELi14EEvPKT_PKT0_S8_ifPKiSA_SA_iPKfiiiPfSD_PS3_PT2_iSC_SC_.kd
    .uniform_work_group_size: 1
    .uses_dynamic_stack: false
    .vgpr_count:     51
    .vgpr_spill_count: 0
    .wavefront_size: 32
  - .args:
      - .actual_access:  read_only
        .address_space:  global
        .offset:         0
        .size:           8
        .value_kind:     global_buffer
      - .actual_access:  read_only
        .address_space:  global
        .offset:         8
        .size:           8
        .value_kind:     global_buffer
      - .actual_access:  read_only
        .address_space:  global
        .offset:         16
        .size:           8
        .value_kind:     global_buffer
      - .offset:         24
        .size:           4
        .value_kind:     by_value
      - .offset:         28
        .size:           4
        .value_kind:     by_value
      - .actual_access:  read_only
        .address_space:  global
        .offset:         32
        .size:           8
        .value_kind:     global_buffer
      - .actual_access:  read_only
        .address_space:  global
        .offset:         40
        .size:           8
        .value_kind:     global_buffer
      - .actual_access:  read_only
        .address_space:  global
        .offset:         48
        .size:           8
        .value_kind:     global_buffer
      - .offset:         56
        .size:           4
        .value_kind:     by_value
      - .actual_access:  read_only
        .address_space:  global
        .offset:         64
        .size:           8
        .value_kind:     global_buffer
      - .offset:         72
        .size:           4
        .value_kind:     by_value
      - .offset:         76
        .size:           4
        .value_kind:     by_value
      - .offset:         80
        .size:           4
        .value_kind:     by_value
      - .actual_access:  read_only
        .address_space:  global
        .offset:         88
        .size:           8
        .value_kind:     global_buffer
      - .actual_access:  read_only
        .address_space:  global
        .offset:         96
        .size:           8
        .value_kind:     global_buffer
      - .actual_access:  read_only
        .address_space:  global
        .offset:         104
        .size:           8
        .value_kind:     global_buffer
      - .actual_access:  read_only
        .address_space:  global
        .offset:         112
        .size:           8
        .value_kind:     global_buffer
      - .offset:         120
        .size:           4
        .value_kind:     by_value
      - .address_space:  global
        .offset:         128
        .size:           8
        .value_kind:     global_buffer
      - .address_space:  global
        .offset:         136
        .size:           8
        .value_kind:     global_buffer
      - .offset:         144
        .size:           4
        .value_kind:     hidden_block_count_x
      - .offset:         148
        .size:           4
        .value_kind:     hidden_block_count_y
      - .offset:         152
        .size:           4
        .value_kind:     hidden_block_count_z
      - .offset:         156
        .size:           2
        .value_kind:     hidden_group_size_x
      - .offset:         158
        .size:           2
        .value_kind:     hidden_group_size_y
      - .offset:         160
        .size:           2
        .value_kind:     hidden_group_size_z
      - .offset:         162
        .size:           2
        .value_kind:     hidden_remainder_x
      - .offset:         164
        .size:           2
        .value_kind:     hidden_remainder_y
      - .offset:         166
        .size:           2
        .value_kind:     hidden_remainder_z
      - .offset:         184
        .size:           8
        .value_kind:     hidden_global_offset_x
      - .offset:         192
        .size:           8
        .value_kind:     hidden_global_offset_y
      - .offset:         200
        .size:           8
        .value_kind:     hidden_global_offset_z
      - .offset:         208
        .size:           2
        .value_kind:     hidden_grid_dims
      - .offset:         224
        .size:           8
        .value_kind:     hidden_hostcall_buffer
    .group_segment_fixed_size: 0
    .kernarg_segment_align: 8
    .kernarg_segment_size: 400
    .language:       OpenCL C
    .language_version:
      - 2
      - 0
    .max_flat_workgroup_size: 256
    .name:           _Z39paged_attention_ll4mi_QKV_mfma16_kernelI14__hip_bfloat16hLN4vllm18Fp8KVCacheDataTypeE1EhLi32ELi128ELi256ELb0ELi15EEvPKT_PKT0_S8_ifPKiSA_SA_iPKfiiiPfSD_PS3_PT2_iSC_SC_
    .private_segment_fixed_size: 64
    .sgpr_count:     36
    .sgpr_spill_count: 0
    .symbol:         _Z39paged_attention_ll4mi_QKV_mfma16_kernelI14__hip_bfloat16hLN4vllm18Fp8KVCacheDataTypeE1EhLi32ELi128ELi256ELb0ELi15EEvPKT_PKT0_S8_ifPKiSA_SA_iPKfiiiPfSD_PS3_PT2_iSC_SC_.kd
    .uniform_work_group_size: 1
    .uses_dynamic_stack: false
    .vgpr_count:     51
    .vgpr_spill_count: 0
    .wavefront_size: 32
  - .args:
      - .actual_access:  read_only
        .address_space:  global
        .offset:         0
        .size:           8
        .value_kind:     global_buffer
      - .actual_access:  read_only
        .address_space:  global
        .offset:         8
        .size:           8
        .value_kind:     global_buffer
      - .actual_access:  read_only
        .address_space:  global
        .offset:         16
        .size:           8
        .value_kind:     global_buffer
      - .offset:         24
        .size:           4
        .value_kind:     by_value
      - .offset:         28
        .size:           4
        .value_kind:     by_value
      - .actual_access:  read_only
        .address_space:  global
        .offset:         32
        .size:           8
        .value_kind:     global_buffer
      - .actual_access:  read_only
        .address_space:  global
        .offset:         40
        .size:           8
        .value_kind:     global_buffer
      - .actual_access:  read_only
        .address_space:  global
        .offset:         48
        .size:           8
        .value_kind:     global_buffer
      - .offset:         56
        .size:           4
        .value_kind:     by_value
      - .actual_access:  read_only
        .address_space:  global
        .offset:         64
        .size:           8
        .value_kind:     global_buffer
      - .offset:         72
        .size:           4
        .value_kind:     by_value
      - .offset:         76
        .size:           4
        .value_kind:     by_value
      - .offset:         80
        .size:           4
        .value_kind:     by_value
      - .actual_access:  read_only
        .address_space:  global
        .offset:         88
        .size:           8
        .value_kind:     global_buffer
      - .actual_access:  read_only
        .address_space:  global
        .offset:         96
        .size:           8
        .value_kind:     global_buffer
      - .actual_access:  read_only
        .address_space:  global
        .offset:         104
        .size:           8
        .value_kind:     global_buffer
      - .actual_access:  read_only
        .address_space:  global
        .offset:         112
        .size:           8
        .value_kind:     global_buffer
      - .offset:         120
        .size:           4
        .value_kind:     by_value
      - .address_space:  global
        .offset:         128
        .size:           8
        .value_kind:     global_buffer
      - .address_space:  global
        .offset:         136
        .size:           8
        .value_kind:     global_buffer
      - .offset:         144
        .size:           4
        .value_kind:     hidden_block_count_x
      - .offset:         148
        .size:           4
        .value_kind:     hidden_block_count_y
      - .offset:         152
        .size:           4
        .value_kind:     hidden_block_count_z
      - .offset:         156
        .size:           2
        .value_kind:     hidden_group_size_x
      - .offset:         158
        .size:           2
        .value_kind:     hidden_group_size_y
      - .offset:         160
        .size:           2
        .value_kind:     hidden_group_size_z
      - .offset:         162
        .size:           2
        .value_kind:     hidden_remainder_x
      - .offset:         164
        .size:           2
        .value_kind:     hidden_remainder_y
      - .offset:         166
        .size:           2
        .value_kind:     hidden_remainder_z
      - .offset:         184
        .size:           8
        .value_kind:     hidden_global_offset_x
      - .offset:         192
        .size:           8
        .value_kind:     hidden_global_offset_y
      - .offset:         200
        .size:           8
        .value_kind:     hidden_global_offset_z
      - .offset:         208
        .size:           2
        .value_kind:     hidden_grid_dims
      - .offset:         224
        .size:           8
        .value_kind:     hidden_hostcall_buffer
    .group_segment_fixed_size: 0
    .kernarg_segment_align: 8
    .kernarg_segment_size: 400
    .language:       OpenCL C
    .language_version:
      - 2
      - 0
    .max_flat_workgroup_size: 256
    .name:           _Z39paged_attention_ll4mi_QKV_mfma16_kernelI14__hip_bfloat16hLN4vllm18Fp8KVCacheDataTypeE1EhLi32ELi128ELi256ELb0ELi16EEvPKT_PKT0_S8_ifPKiSA_SA_iPKfiiiPfSD_PS3_PT2_iSC_SC_
    .private_segment_fixed_size: 64
    .sgpr_count:     36
    .sgpr_spill_count: 0
    .symbol:         _Z39paged_attention_ll4mi_QKV_mfma16_kernelI14__hip_bfloat16hLN4vllm18Fp8KVCacheDataTypeE1EhLi32ELi128ELi256ELb0ELi16EEvPKT_PKT0_S8_ifPKiSA_SA_iPKfiiiPfSD_PS3_PT2_iSC_SC_.kd
    .uniform_work_group_size: 1
    .uses_dynamic_stack: false
    .vgpr_count:     51
    .vgpr_spill_count: 0
    .wavefront_size: 32
  - .args:
      - .actual_access:  read_only
        .address_space:  global
        .offset:         0
        .size:           8
        .value_kind:     global_buffer
      - .actual_access:  read_only
        .address_space:  global
        .offset:         8
        .size:           8
        .value_kind:     global_buffer
      - .actual_access:  read_only
        .address_space:  global
        .offset:         16
        .size:           8
        .value_kind:     global_buffer
      - .offset:         24
        .size:           4
        .value_kind:     by_value
      - .offset:         28
        .size:           4
        .value_kind:     by_value
      - .actual_access:  read_only
        .address_space:  global
        .offset:         32
        .size:           8
        .value_kind:     global_buffer
      - .actual_access:  read_only
        .address_space:  global
        .offset:         40
        .size:           8
        .value_kind:     global_buffer
      - .actual_access:  read_only
        .address_space:  global
        .offset:         48
        .size:           8
        .value_kind:     global_buffer
      - .offset:         56
        .size:           4
        .value_kind:     by_value
      - .actual_access:  read_only
        .address_space:  global
        .offset:         64
        .size:           8
        .value_kind:     global_buffer
      - .offset:         72
        .size:           4
        .value_kind:     by_value
      - .offset:         76
        .size:           4
        .value_kind:     by_value
      - .offset:         80
        .size:           4
        .value_kind:     by_value
      - .actual_access:  read_only
        .address_space:  global
        .offset:         88
        .size:           8
        .value_kind:     global_buffer
      - .actual_access:  read_only
        .address_space:  global
        .offset:         96
        .size:           8
        .value_kind:     global_buffer
      - .actual_access:  read_only
        .address_space:  global
        .offset:         104
        .size:           8
        .value_kind:     global_buffer
      - .actual_access:  read_only
        .address_space:  global
        .offset:         112
        .size:           8
        .value_kind:     global_buffer
      - .offset:         120
        .size:           4
        .value_kind:     by_value
      - .address_space:  global
        .offset:         128
        .size:           8
        .value_kind:     global_buffer
      - .address_space:  global
        .offset:         136
        .size:           8
        .value_kind:     global_buffer
      - .offset:         144
        .size:           4
        .value_kind:     hidden_block_count_x
      - .offset:         148
        .size:           4
        .value_kind:     hidden_block_count_y
      - .offset:         152
        .size:           4
        .value_kind:     hidden_block_count_z
      - .offset:         156
        .size:           2
        .value_kind:     hidden_group_size_x
      - .offset:         158
        .size:           2
        .value_kind:     hidden_group_size_y
      - .offset:         160
        .size:           2
        .value_kind:     hidden_group_size_z
      - .offset:         162
        .size:           2
        .value_kind:     hidden_remainder_x
      - .offset:         164
        .size:           2
        .value_kind:     hidden_remainder_y
      - .offset:         166
        .size:           2
        .value_kind:     hidden_remainder_z
      - .offset:         184
        .size:           8
        .value_kind:     hidden_global_offset_x
      - .offset:         192
        .size:           8
        .value_kind:     hidden_global_offset_y
      - .offset:         200
        .size:           8
        .value_kind:     hidden_global_offset_z
      - .offset:         208
        .size:           2
        .value_kind:     hidden_grid_dims
      - .offset:         224
        .size:           8
        .value_kind:     hidden_hostcall_buffer
    .group_segment_fixed_size: 0
    .kernarg_segment_align: 8
    .kernarg_segment_size: 400
    .language:       OpenCL C
    .language_version:
      - 2
      - 0
    .max_flat_workgroup_size: 256
    .name:           _Z39paged_attention_ll4mi_QKV_mfma16_kernelI14__hip_bfloat16hLN4vllm18Fp8KVCacheDataTypeE1EhLi32ELi128ELi256ELb0ELi1EEvPKT_PKT0_S8_ifPKiSA_SA_iPKfiiiPfSD_PS3_PT2_iSC_SC_
    .private_segment_fixed_size: 64
    .sgpr_count:     36
    .sgpr_spill_count: 0
    .symbol:         _Z39paged_attention_ll4mi_QKV_mfma16_kernelI14__hip_bfloat16hLN4vllm18Fp8KVCacheDataTypeE1EhLi32ELi128ELi256ELb0ELi1EEvPKT_PKT0_S8_ifPKiSA_SA_iPKfiiiPfSD_PS3_PT2_iSC_SC_.kd
    .uniform_work_group_size: 1
    .uses_dynamic_stack: false
    .vgpr_count:     51
    .vgpr_spill_count: 0
    .wavefront_size: 32
  - .args:
      - .actual_access:  read_only
        .address_space:  global
        .offset:         0
        .size:           8
        .value_kind:     global_buffer
      - .actual_access:  read_only
        .address_space:  global
        .offset:         8
        .size:           8
        .value_kind:     global_buffer
      - .actual_access:  read_only
        .address_space:  global
        .offset:         16
        .size:           8
        .value_kind:     global_buffer
      - .offset:         24
        .size:           4
        .value_kind:     by_value
      - .offset:         28
        .size:           4
        .value_kind:     by_value
      - .actual_access:  read_only
        .address_space:  global
        .offset:         32
        .size:           8
        .value_kind:     global_buffer
      - .actual_access:  read_only
        .address_space:  global
        .offset:         40
        .size:           8
        .value_kind:     global_buffer
      - .actual_access:  read_only
        .address_space:  global
        .offset:         48
        .size:           8
        .value_kind:     global_buffer
      - .offset:         56
        .size:           4
        .value_kind:     by_value
      - .actual_access:  read_only
        .address_space:  global
        .offset:         64
        .size:           8
        .value_kind:     global_buffer
      - .offset:         72
        .size:           4
        .value_kind:     by_value
      - .offset:         76
        .size:           4
        .value_kind:     by_value
      - .offset:         80
        .size:           4
        .value_kind:     by_value
      - .actual_access:  read_only
        .address_space:  global
        .offset:         88
        .size:           8
        .value_kind:     global_buffer
      - .actual_access:  read_only
        .address_space:  global
        .offset:         96
        .size:           8
        .value_kind:     global_buffer
      - .actual_access:  read_only
        .address_space:  global
        .offset:         104
        .size:           8
        .value_kind:     global_buffer
      - .actual_access:  read_only
        .address_space:  global
        .offset:         112
        .size:           8
        .value_kind:     global_buffer
      - .offset:         120
        .size:           4
        .value_kind:     by_value
      - .address_space:  global
        .offset:         128
        .size:           8
        .value_kind:     global_buffer
      - .address_space:  global
        .offset:         136
        .size:           8
        .value_kind:     global_buffer
      - .offset:         144
        .size:           4
        .value_kind:     hidden_block_count_x
      - .offset:         148
        .size:           4
        .value_kind:     hidden_block_count_y
      - .offset:         152
        .size:           4
        .value_kind:     hidden_block_count_z
      - .offset:         156
        .size:           2
        .value_kind:     hidden_group_size_x
      - .offset:         158
        .size:           2
        .value_kind:     hidden_group_size_y
      - .offset:         160
        .size:           2
        .value_kind:     hidden_group_size_z
      - .offset:         162
        .size:           2
        .value_kind:     hidden_remainder_x
      - .offset:         164
        .size:           2
        .value_kind:     hidden_remainder_y
      - .offset:         166
        .size:           2
        .value_kind:     hidden_remainder_z
      - .offset:         184
        .size:           8
        .value_kind:     hidden_global_offset_x
      - .offset:         192
        .size:           8
        .value_kind:     hidden_global_offset_y
      - .offset:         200
        .size:           8
        .value_kind:     hidden_global_offset_z
      - .offset:         208
        .size:           2
        .value_kind:     hidden_grid_dims
      - .offset:         224
        .size:           8
        .value_kind:     hidden_hostcall_buffer
    .group_segment_fixed_size: 0
    .kernarg_segment_align: 8
    .kernarg_segment_size: 400
    .language:       OpenCL C
    .language_version:
      - 2
      - 0
    .max_flat_workgroup_size: 256
    .name:           _Z39paged_attention_ll4mi_QKV_mfma16_kernelI14__hip_bfloat16hLN4vllm18Fp8KVCacheDataTypeE1EhLi32ELi128ELi256ELb0ELi2EEvPKT_PKT0_S8_ifPKiSA_SA_iPKfiiiPfSD_PS3_PT2_iSC_SC_
    .private_segment_fixed_size: 64
    .sgpr_count:     36
    .sgpr_spill_count: 0
    .symbol:         _Z39paged_attention_ll4mi_QKV_mfma16_kernelI14__hip_bfloat16hLN4vllm18Fp8KVCacheDataTypeE1EhLi32ELi128ELi256ELb0ELi2EEvPKT_PKT0_S8_ifPKiSA_SA_iPKfiiiPfSD_PS3_PT2_iSC_SC_.kd
    .uniform_work_group_size: 1
    .uses_dynamic_stack: false
    .vgpr_count:     51
    .vgpr_spill_count: 0
    .wavefront_size: 32
  - .args:
      - .actual_access:  read_only
        .address_space:  global
        .offset:         0
        .size:           8
        .value_kind:     global_buffer
      - .actual_access:  read_only
        .address_space:  global
        .offset:         8
        .size:           8
        .value_kind:     global_buffer
      - .actual_access:  read_only
        .address_space:  global
        .offset:         16
        .size:           8
        .value_kind:     global_buffer
      - .offset:         24
        .size:           4
        .value_kind:     by_value
      - .offset:         28
        .size:           4
        .value_kind:     by_value
      - .actual_access:  read_only
        .address_space:  global
        .offset:         32
        .size:           8
        .value_kind:     global_buffer
      - .actual_access:  read_only
        .address_space:  global
        .offset:         40
        .size:           8
        .value_kind:     global_buffer
      - .actual_access:  read_only
        .address_space:  global
        .offset:         48
        .size:           8
        .value_kind:     global_buffer
      - .offset:         56
        .size:           4
        .value_kind:     by_value
      - .actual_access:  read_only
        .address_space:  global
        .offset:         64
        .size:           8
        .value_kind:     global_buffer
      - .offset:         72
        .size:           4
        .value_kind:     by_value
      - .offset:         76
        .size:           4
        .value_kind:     by_value
      - .offset:         80
        .size:           4
        .value_kind:     by_value
      - .actual_access:  read_only
        .address_space:  global
        .offset:         88
        .size:           8
        .value_kind:     global_buffer
      - .actual_access:  read_only
        .address_space:  global
        .offset:         96
        .size:           8
        .value_kind:     global_buffer
      - .actual_access:  read_only
        .address_space:  global
        .offset:         104
        .size:           8
        .value_kind:     global_buffer
      - .actual_access:  read_only
        .address_space:  global
        .offset:         112
        .size:           8
        .value_kind:     global_buffer
      - .offset:         120
        .size:           4
        .value_kind:     by_value
      - .address_space:  global
        .offset:         128
        .size:           8
        .value_kind:     global_buffer
      - .address_space:  global
        .offset:         136
        .size:           8
        .value_kind:     global_buffer
      - .offset:         144
        .size:           4
        .value_kind:     hidden_block_count_x
      - .offset:         148
        .size:           4
        .value_kind:     hidden_block_count_y
      - .offset:         152
        .size:           4
        .value_kind:     hidden_block_count_z
      - .offset:         156
        .size:           2
        .value_kind:     hidden_group_size_x
      - .offset:         158
        .size:           2
        .value_kind:     hidden_group_size_y
      - .offset:         160
        .size:           2
        .value_kind:     hidden_group_size_z
      - .offset:         162
        .size:           2
        .value_kind:     hidden_remainder_x
      - .offset:         164
        .size:           2
        .value_kind:     hidden_remainder_y
      - .offset:         166
        .size:           2
        .value_kind:     hidden_remainder_z
      - .offset:         184
        .size:           8
        .value_kind:     hidden_global_offset_x
      - .offset:         192
        .size:           8
        .value_kind:     hidden_global_offset_y
      - .offset:         200
        .size:           8
        .value_kind:     hidden_global_offset_z
      - .offset:         208
        .size:           2
        .value_kind:     hidden_grid_dims
      - .offset:         224
        .size:           8
        .value_kind:     hidden_hostcall_buffer
    .group_segment_fixed_size: 0
    .kernarg_segment_align: 8
    .kernarg_segment_size: 400
    .language:       OpenCL C
    .language_version:
      - 2
      - 0
    .max_flat_workgroup_size: 256
    .name:           _Z39paged_attention_ll4mi_QKV_mfma16_kernelI14__hip_bfloat16hLN4vllm18Fp8KVCacheDataTypeE1EhLi32ELi128ELi256ELb0ELi3EEvPKT_PKT0_S8_ifPKiSA_SA_iPKfiiiPfSD_PS3_PT2_iSC_SC_
    .private_segment_fixed_size: 64
    .sgpr_count:     36
    .sgpr_spill_count: 0
    .symbol:         _Z39paged_attention_ll4mi_QKV_mfma16_kernelI14__hip_bfloat16hLN4vllm18Fp8KVCacheDataTypeE1EhLi32ELi128ELi256ELb0ELi3EEvPKT_PKT0_S8_ifPKiSA_SA_iPKfiiiPfSD_PS3_PT2_iSC_SC_.kd
    .uniform_work_group_size: 1
    .uses_dynamic_stack: false
    .vgpr_count:     51
    .vgpr_spill_count: 0
    .wavefront_size: 32
  - .args:
      - .actual_access:  read_only
        .address_space:  global
        .offset:         0
        .size:           8
        .value_kind:     global_buffer
      - .actual_access:  read_only
        .address_space:  global
        .offset:         8
        .size:           8
        .value_kind:     global_buffer
      - .actual_access:  read_only
        .address_space:  global
        .offset:         16
        .size:           8
        .value_kind:     global_buffer
      - .offset:         24
        .size:           4
        .value_kind:     by_value
      - .offset:         28
        .size:           4
        .value_kind:     by_value
      - .actual_access:  read_only
        .address_space:  global
        .offset:         32
        .size:           8
        .value_kind:     global_buffer
      - .actual_access:  read_only
        .address_space:  global
        .offset:         40
        .size:           8
        .value_kind:     global_buffer
      - .actual_access:  read_only
        .address_space:  global
        .offset:         48
        .size:           8
        .value_kind:     global_buffer
      - .offset:         56
        .size:           4
        .value_kind:     by_value
      - .actual_access:  read_only
        .address_space:  global
        .offset:         64
        .size:           8
        .value_kind:     global_buffer
      - .offset:         72
        .size:           4
        .value_kind:     by_value
      - .offset:         76
        .size:           4
        .value_kind:     by_value
      - .offset:         80
        .size:           4
        .value_kind:     by_value
      - .actual_access:  read_only
        .address_space:  global
        .offset:         88
        .size:           8
        .value_kind:     global_buffer
      - .actual_access:  read_only
        .address_space:  global
        .offset:         96
        .size:           8
        .value_kind:     global_buffer
      - .actual_access:  read_only
        .address_space:  global
        .offset:         104
        .size:           8
        .value_kind:     global_buffer
      - .actual_access:  read_only
        .address_space:  global
        .offset:         112
        .size:           8
        .value_kind:     global_buffer
      - .offset:         120
        .size:           4
        .value_kind:     by_value
      - .address_space:  global
        .offset:         128
        .size:           8
        .value_kind:     global_buffer
      - .address_space:  global
        .offset:         136
        .size:           8
        .value_kind:     global_buffer
      - .offset:         144
        .size:           4
        .value_kind:     hidden_block_count_x
      - .offset:         148
        .size:           4
        .value_kind:     hidden_block_count_y
      - .offset:         152
        .size:           4
        .value_kind:     hidden_block_count_z
      - .offset:         156
        .size:           2
        .value_kind:     hidden_group_size_x
      - .offset:         158
        .size:           2
        .value_kind:     hidden_group_size_y
      - .offset:         160
        .size:           2
        .value_kind:     hidden_group_size_z
      - .offset:         162
        .size:           2
        .value_kind:     hidden_remainder_x
      - .offset:         164
        .size:           2
        .value_kind:     hidden_remainder_y
      - .offset:         166
        .size:           2
        .value_kind:     hidden_remainder_z
      - .offset:         184
        .size:           8
        .value_kind:     hidden_global_offset_x
      - .offset:         192
        .size:           8
        .value_kind:     hidden_global_offset_y
      - .offset:         200
        .size:           8
        .value_kind:     hidden_global_offset_z
      - .offset:         208
        .size:           2
        .value_kind:     hidden_grid_dims
      - .offset:         224
        .size:           8
        .value_kind:     hidden_hostcall_buffer
    .group_segment_fixed_size: 0
    .kernarg_segment_align: 8
    .kernarg_segment_size: 400
    .language:       OpenCL C
    .language_version:
      - 2
      - 0
    .max_flat_workgroup_size: 256
    .name:           _Z39paged_attention_ll4mi_QKV_mfma16_kernelI14__hip_bfloat16hLN4vllm18Fp8KVCacheDataTypeE1EhLi32ELi128ELi256ELb0ELi4EEvPKT_PKT0_S8_ifPKiSA_SA_iPKfiiiPfSD_PS3_PT2_iSC_SC_
    .private_segment_fixed_size: 64
    .sgpr_count:     36
    .sgpr_spill_count: 0
    .symbol:         _Z39paged_attention_ll4mi_QKV_mfma16_kernelI14__hip_bfloat16hLN4vllm18Fp8KVCacheDataTypeE1EhLi32ELi128ELi256ELb0ELi4EEvPKT_PKT0_S8_ifPKiSA_SA_iPKfiiiPfSD_PS3_PT2_iSC_SC_.kd
    .uniform_work_group_size: 1
    .uses_dynamic_stack: false
    .vgpr_count:     51
    .vgpr_spill_count: 0
    .wavefront_size: 32
  - .args:
      - .actual_access:  read_only
        .address_space:  global
        .offset:         0
        .size:           8
        .value_kind:     global_buffer
      - .actual_access:  read_only
        .address_space:  global
        .offset:         8
        .size:           8
        .value_kind:     global_buffer
      - .actual_access:  read_only
        .address_space:  global
        .offset:         16
        .size:           8
        .value_kind:     global_buffer
      - .offset:         24
        .size:           4
        .value_kind:     by_value
      - .offset:         28
        .size:           4
        .value_kind:     by_value
      - .actual_access:  read_only
        .address_space:  global
        .offset:         32
        .size:           8
        .value_kind:     global_buffer
      - .actual_access:  read_only
        .address_space:  global
        .offset:         40
        .size:           8
        .value_kind:     global_buffer
      - .actual_access:  read_only
        .address_space:  global
        .offset:         48
        .size:           8
        .value_kind:     global_buffer
      - .offset:         56
        .size:           4
        .value_kind:     by_value
      - .actual_access:  read_only
        .address_space:  global
        .offset:         64
        .size:           8
        .value_kind:     global_buffer
      - .offset:         72
        .size:           4
        .value_kind:     by_value
      - .offset:         76
        .size:           4
        .value_kind:     by_value
      - .offset:         80
        .size:           4
        .value_kind:     by_value
      - .actual_access:  read_only
        .address_space:  global
        .offset:         88
        .size:           8
        .value_kind:     global_buffer
      - .actual_access:  read_only
        .address_space:  global
        .offset:         96
        .size:           8
        .value_kind:     global_buffer
      - .actual_access:  read_only
        .address_space:  global
        .offset:         104
        .size:           8
        .value_kind:     global_buffer
      - .actual_access:  read_only
        .address_space:  global
        .offset:         112
        .size:           8
        .value_kind:     global_buffer
      - .offset:         120
        .size:           4
        .value_kind:     by_value
      - .address_space:  global
        .offset:         128
        .size:           8
        .value_kind:     global_buffer
      - .address_space:  global
        .offset:         136
        .size:           8
        .value_kind:     global_buffer
      - .offset:         144
        .size:           4
        .value_kind:     hidden_block_count_x
      - .offset:         148
        .size:           4
        .value_kind:     hidden_block_count_y
      - .offset:         152
        .size:           4
        .value_kind:     hidden_block_count_z
      - .offset:         156
        .size:           2
        .value_kind:     hidden_group_size_x
      - .offset:         158
        .size:           2
        .value_kind:     hidden_group_size_y
      - .offset:         160
        .size:           2
        .value_kind:     hidden_group_size_z
      - .offset:         162
        .size:           2
        .value_kind:     hidden_remainder_x
      - .offset:         164
        .size:           2
        .value_kind:     hidden_remainder_y
      - .offset:         166
        .size:           2
        .value_kind:     hidden_remainder_z
      - .offset:         184
        .size:           8
        .value_kind:     hidden_global_offset_x
      - .offset:         192
        .size:           8
        .value_kind:     hidden_global_offset_y
      - .offset:         200
        .size:           8
        .value_kind:     hidden_global_offset_z
      - .offset:         208
        .size:           2
        .value_kind:     hidden_grid_dims
      - .offset:         224
        .size:           8
        .value_kind:     hidden_hostcall_buffer
    .group_segment_fixed_size: 0
    .kernarg_segment_align: 8
    .kernarg_segment_size: 400
    .language:       OpenCL C
    .language_version:
      - 2
      - 0
    .max_flat_workgroup_size: 256
    .name:           _Z38paged_attention_ll4mi_QKV_mfma4_kernelI14__hip_bfloat16hLN4vllm18Fp8KVCacheDataTypeE1ES0_Li32ELi128ELi256ELb1ELi1EEvPKT_PKT0_S8_ifPKiSA_SA_iPKfiiiPfSD_PS3_PT2_iSC_SC_
    .private_segment_fixed_size: 64
    .sgpr_count:     36
    .sgpr_spill_count: 0
    .symbol:         _Z38paged_attention_ll4mi_QKV_mfma4_kernelI14__hip_bfloat16hLN4vllm18Fp8KVCacheDataTypeE1ES0_Li32ELi128ELi256ELb1ELi1EEvPKT_PKT0_S8_ifPKiSA_SA_iPKfiiiPfSD_PS3_PT2_iSC_SC_.kd
    .uniform_work_group_size: 1
    .uses_dynamic_stack: false
    .vgpr_count:     51
    .vgpr_spill_count: 0
    .wavefront_size: 32
  - .args:
      - .actual_access:  read_only
        .address_space:  global
        .offset:         0
        .size:           8
        .value_kind:     global_buffer
      - .actual_access:  read_only
        .address_space:  global
        .offset:         8
        .size:           8
        .value_kind:     global_buffer
      - .actual_access:  read_only
        .address_space:  global
        .offset:         16
        .size:           8
        .value_kind:     global_buffer
      - .offset:         24
        .size:           4
        .value_kind:     by_value
      - .offset:         28
        .size:           4
        .value_kind:     by_value
      - .actual_access:  read_only
        .address_space:  global
        .offset:         32
        .size:           8
        .value_kind:     global_buffer
      - .actual_access:  read_only
        .address_space:  global
        .offset:         40
        .size:           8
        .value_kind:     global_buffer
      - .actual_access:  read_only
        .address_space:  global
        .offset:         48
        .size:           8
        .value_kind:     global_buffer
      - .offset:         56
        .size:           4
        .value_kind:     by_value
      - .actual_access:  read_only
        .address_space:  global
        .offset:         64
        .size:           8
        .value_kind:     global_buffer
      - .offset:         72
        .size:           4
        .value_kind:     by_value
      - .offset:         76
        .size:           4
        .value_kind:     by_value
      - .offset:         80
        .size:           4
        .value_kind:     by_value
      - .actual_access:  read_only
        .address_space:  global
        .offset:         88
        .size:           8
        .value_kind:     global_buffer
      - .actual_access:  read_only
        .address_space:  global
        .offset:         96
        .size:           8
        .value_kind:     global_buffer
      - .actual_access:  read_only
        .address_space:  global
        .offset:         104
        .size:           8
        .value_kind:     global_buffer
      - .actual_access:  read_only
        .address_space:  global
        .offset:         112
        .size:           8
        .value_kind:     global_buffer
      - .offset:         120
        .size:           4
        .value_kind:     by_value
      - .address_space:  global
        .offset:         128
        .size:           8
        .value_kind:     global_buffer
      - .address_space:  global
        .offset:         136
        .size:           8
        .value_kind:     global_buffer
      - .offset:         144
        .size:           4
        .value_kind:     hidden_block_count_x
      - .offset:         148
        .size:           4
        .value_kind:     hidden_block_count_y
      - .offset:         152
        .size:           4
        .value_kind:     hidden_block_count_z
      - .offset:         156
        .size:           2
        .value_kind:     hidden_group_size_x
      - .offset:         158
        .size:           2
        .value_kind:     hidden_group_size_y
      - .offset:         160
        .size:           2
        .value_kind:     hidden_group_size_z
      - .offset:         162
        .size:           2
        .value_kind:     hidden_remainder_x
      - .offset:         164
        .size:           2
        .value_kind:     hidden_remainder_y
      - .offset:         166
        .size:           2
        .value_kind:     hidden_remainder_z
      - .offset:         184
        .size:           8
        .value_kind:     hidden_global_offset_x
      - .offset:         192
        .size:           8
        .value_kind:     hidden_global_offset_y
      - .offset:         200
        .size:           8
        .value_kind:     hidden_global_offset_z
      - .offset:         208
        .size:           2
        .value_kind:     hidden_grid_dims
      - .offset:         224
        .size:           8
        .value_kind:     hidden_hostcall_buffer
    .group_segment_fixed_size: 0
    .kernarg_segment_align: 8
    .kernarg_segment_size: 400
    .language:       OpenCL C
    .language_version:
      - 2
      - 0
    .max_flat_workgroup_size: 256
    .name:           _Z38paged_attention_ll4mi_QKV_mfma4_kernelI14__hip_bfloat16hLN4vllm18Fp8KVCacheDataTypeE1ES0_Li32ELi128ELi256ELb1ELi2EEvPKT_PKT0_S8_ifPKiSA_SA_iPKfiiiPfSD_PS3_PT2_iSC_SC_
    .private_segment_fixed_size: 64
    .sgpr_count:     36
    .sgpr_spill_count: 0
    .symbol:         _Z38paged_attention_ll4mi_QKV_mfma4_kernelI14__hip_bfloat16hLN4vllm18Fp8KVCacheDataTypeE1ES0_Li32ELi128ELi256ELb1ELi2EEvPKT_PKT0_S8_ifPKiSA_SA_iPKfiiiPfSD_PS3_PT2_iSC_SC_.kd
    .uniform_work_group_size: 1
    .uses_dynamic_stack: false
    .vgpr_count:     51
    .vgpr_spill_count: 0
    .wavefront_size: 32
  - .args:
      - .actual_access:  read_only
        .address_space:  global
        .offset:         0
        .size:           8
        .value_kind:     global_buffer
      - .actual_access:  read_only
        .address_space:  global
        .offset:         8
        .size:           8
        .value_kind:     global_buffer
      - .actual_access:  read_only
        .address_space:  global
        .offset:         16
        .size:           8
        .value_kind:     global_buffer
      - .offset:         24
        .size:           4
        .value_kind:     by_value
      - .offset:         28
        .size:           4
        .value_kind:     by_value
      - .actual_access:  read_only
        .address_space:  global
        .offset:         32
        .size:           8
        .value_kind:     global_buffer
      - .actual_access:  read_only
        .address_space:  global
        .offset:         40
        .size:           8
        .value_kind:     global_buffer
      - .actual_access:  read_only
        .address_space:  global
        .offset:         48
        .size:           8
        .value_kind:     global_buffer
      - .offset:         56
        .size:           4
        .value_kind:     by_value
      - .actual_access:  read_only
        .address_space:  global
        .offset:         64
        .size:           8
        .value_kind:     global_buffer
      - .offset:         72
        .size:           4
        .value_kind:     by_value
      - .offset:         76
        .size:           4
        .value_kind:     by_value
      - .offset:         80
        .size:           4
        .value_kind:     by_value
      - .actual_access:  read_only
        .address_space:  global
        .offset:         88
        .size:           8
        .value_kind:     global_buffer
      - .actual_access:  read_only
        .address_space:  global
        .offset:         96
        .size:           8
        .value_kind:     global_buffer
      - .actual_access:  read_only
        .address_space:  global
        .offset:         104
        .size:           8
        .value_kind:     global_buffer
      - .actual_access:  read_only
        .address_space:  global
        .offset:         112
        .size:           8
        .value_kind:     global_buffer
      - .offset:         120
        .size:           4
        .value_kind:     by_value
      - .address_space:  global
        .offset:         128
        .size:           8
        .value_kind:     global_buffer
      - .address_space:  global
        .offset:         136
        .size:           8
        .value_kind:     global_buffer
      - .offset:         144
        .size:           4
        .value_kind:     hidden_block_count_x
      - .offset:         148
        .size:           4
        .value_kind:     hidden_block_count_y
      - .offset:         152
        .size:           4
        .value_kind:     hidden_block_count_z
      - .offset:         156
        .size:           2
        .value_kind:     hidden_group_size_x
      - .offset:         158
        .size:           2
        .value_kind:     hidden_group_size_y
      - .offset:         160
        .size:           2
        .value_kind:     hidden_group_size_z
      - .offset:         162
        .size:           2
        .value_kind:     hidden_remainder_x
      - .offset:         164
        .size:           2
        .value_kind:     hidden_remainder_y
      - .offset:         166
        .size:           2
        .value_kind:     hidden_remainder_z
      - .offset:         184
        .size:           8
        .value_kind:     hidden_global_offset_x
      - .offset:         192
        .size:           8
        .value_kind:     hidden_global_offset_y
      - .offset:         200
        .size:           8
        .value_kind:     hidden_global_offset_z
      - .offset:         208
        .size:           2
        .value_kind:     hidden_grid_dims
      - .offset:         224
        .size:           8
        .value_kind:     hidden_hostcall_buffer
    .group_segment_fixed_size: 0
    .kernarg_segment_align: 8
    .kernarg_segment_size: 400
    .language:       OpenCL C
    .language_version:
      - 2
      - 0
    .max_flat_workgroup_size: 256
    .name:           _Z38paged_attention_ll4mi_QKV_mfma4_kernelI14__hip_bfloat16hLN4vllm18Fp8KVCacheDataTypeE1ES0_Li32ELi128ELi256ELb1ELi3EEvPKT_PKT0_S8_ifPKiSA_SA_iPKfiiiPfSD_PS3_PT2_iSC_SC_
    .private_segment_fixed_size: 64
    .sgpr_count:     36
    .sgpr_spill_count: 0
    .symbol:         _Z38paged_attention_ll4mi_QKV_mfma4_kernelI14__hip_bfloat16hLN4vllm18Fp8KVCacheDataTypeE1ES0_Li32ELi128ELi256ELb1ELi3EEvPKT_PKT0_S8_ifPKiSA_SA_iPKfiiiPfSD_PS3_PT2_iSC_SC_.kd
    .uniform_work_group_size: 1
    .uses_dynamic_stack: false
    .vgpr_count:     51
    .vgpr_spill_count: 0
    .wavefront_size: 32
  - .args:
      - .actual_access:  read_only
        .address_space:  global
        .offset:         0
        .size:           8
        .value_kind:     global_buffer
      - .actual_access:  read_only
        .address_space:  global
        .offset:         8
        .size:           8
        .value_kind:     global_buffer
      - .actual_access:  read_only
        .address_space:  global
        .offset:         16
        .size:           8
        .value_kind:     global_buffer
      - .offset:         24
        .size:           4
        .value_kind:     by_value
      - .offset:         28
        .size:           4
        .value_kind:     by_value
      - .actual_access:  read_only
        .address_space:  global
        .offset:         32
        .size:           8
        .value_kind:     global_buffer
      - .actual_access:  read_only
        .address_space:  global
        .offset:         40
        .size:           8
        .value_kind:     global_buffer
      - .actual_access:  read_only
        .address_space:  global
        .offset:         48
        .size:           8
        .value_kind:     global_buffer
      - .offset:         56
        .size:           4
        .value_kind:     by_value
      - .actual_access:  read_only
        .address_space:  global
        .offset:         64
        .size:           8
        .value_kind:     global_buffer
      - .offset:         72
        .size:           4
        .value_kind:     by_value
      - .offset:         76
        .size:           4
        .value_kind:     by_value
      - .offset:         80
        .size:           4
        .value_kind:     by_value
      - .actual_access:  read_only
        .address_space:  global
        .offset:         88
        .size:           8
        .value_kind:     global_buffer
      - .actual_access:  read_only
        .address_space:  global
        .offset:         96
        .size:           8
        .value_kind:     global_buffer
      - .actual_access:  read_only
        .address_space:  global
        .offset:         104
        .size:           8
        .value_kind:     global_buffer
      - .actual_access:  read_only
        .address_space:  global
        .offset:         112
        .size:           8
        .value_kind:     global_buffer
      - .offset:         120
        .size:           4
        .value_kind:     by_value
      - .address_space:  global
        .offset:         128
        .size:           8
        .value_kind:     global_buffer
      - .address_space:  global
        .offset:         136
        .size:           8
        .value_kind:     global_buffer
      - .offset:         144
        .size:           4
        .value_kind:     hidden_block_count_x
      - .offset:         148
        .size:           4
        .value_kind:     hidden_block_count_y
      - .offset:         152
        .size:           4
        .value_kind:     hidden_block_count_z
      - .offset:         156
        .size:           2
        .value_kind:     hidden_group_size_x
      - .offset:         158
        .size:           2
        .value_kind:     hidden_group_size_y
      - .offset:         160
        .size:           2
        .value_kind:     hidden_group_size_z
      - .offset:         162
        .size:           2
        .value_kind:     hidden_remainder_x
      - .offset:         164
        .size:           2
        .value_kind:     hidden_remainder_y
      - .offset:         166
        .size:           2
        .value_kind:     hidden_remainder_z
      - .offset:         184
        .size:           8
        .value_kind:     hidden_global_offset_x
      - .offset:         192
        .size:           8
        .value_kind:     hidden_global_offset_y
      - .offset:         200
        .size:           8
        .value_kind:     hidden_global_offset_z
      - .offset:         208
        .size:           2
        .value_kind:     hidden_grid_dims
      - .offset:         224
        .size:           8
        .value_kind:     hidden_hostcall_buffer
    .group_segment_fixed_size: 0
    .kernarg_segment_align: 8
    .kernarg_segment_size: 400
    .language:       OpenCL C
    .language_version:
      - 2
      - 0
    .max_flat_workgroup_size: 256
    .name:           _Z38paged_attention_ll4mi_QKV_mfma4_kernelI14__hip_bfloat16hLN4vllm18Fp8KVCacheDataTypeE1ES0_Li32ELi128ELi256ELb1ELi4EEvPKT_PKT0_S8_ifPKiSA_SA_iPKfiiiPfSD_PS3_PT2_iSC_SC_
    .private_segment_fixed_size: 64
    .sgpr_count:     36
    .sgpr_spill_count: 0
    .symbol:         _Z38paged_attention_ll4mi_QKV_mfma4_kernelI14__hip_bfloat16hLN4vllm18Fp8KVCacheDataTypeE1ES0_Li32ELi128ELi256ELb1ELi4EEvPKT_PKT0_S8_ifPKiSA_SA_iPKfiiiPfSD_PS3_PT2_iSC_SC_.kd
    .uniform_work_group_size: 1
    .uses_dynamic_stack: false
    .vgpr_count:     51
    .vgpr_spill_count: 0
    .wavefront_size: 32
  - .args:
      - .actual_access:  read_only
        .address_space:  global
        .offset:         0
        .size:           8
        .value_kind:     global_buffer
      - .actual_access:  read_only
        .address_space:  global
        .offset:         8
        .size:           8
        .value_kind:     global_buffer
      - .actual_access:  read_only
        .address_space:  global
        .offset:         16
        .size:           8
        .value_kind:     global_buffer
      - .offset:         24
        .size:           4
        .value_kind:     by_value
      - .offset:         28
        .size:           4
        .value_kind:     by_value
      - .actual_access:  read_only
        .address_space:  global
        .offset:         32
        .size:           8
        .value_kind:     global_buffer
      - .actual_access:  read_only
        .address_space:  global
        .offset:         40
        .size:           8
        .value_kind:     global_buffer
      - .actual_access:  read_only
        .address_space:  global
        .offset:         48
        .size:           8
        .value_kind:     global_buffer
      - .offset:         56
        .size:           4
        .value_kind:     by_value
      - .actual_access:  read_only
        .address_space:  global
        .offset:         64
        .size:           8
        .value_kind:     global_buffer
      - .offset:         72
        .size:           4
        .value_kind:     by_value
      - .offset:         76
        .size:           4
        .value_kind:     by_value
      - .offset:         80
        .size:           4
        .value_kind:     by_value
      - .actual_access:  read_only
        .address_space:  global
        .offset:         88
        .size:           8
        .value_kind:     global_buffer
      - .actual_access:  read_only
        .address_space:  global
        .offset:         96
        .size:           8
        .value_kind:     global_buffer
      - .actual_access:  read_only
        .address_space:  global
        .offset:         104
        .size:           8
        .value_kind:     global_buffer
      - .actual_access:  read_only
        .address_space:  global
        .offset:         112
        .size:           8
        .value_kind:     global_buffer
      - .offset:         120
        .size:           4
        .value_kind:     by_value
      - .address_space:  global
        .offset:         128
        .size:           8
        .value_kind:     global_buffer
      - .address_space:  global
        .offset:         136
        .size:           8
        .value_kind:     global_buffer
      - .offset:         144
        .size:           4
        .value_kind:     hidden_block_count_x
      - .offset:         148
        .size:           4
        .value_kind:     hidden_block_count_y
      - .offset:         152
        .size:           4
        .value_kind:     hidden_block_count_z
      - .offset:         156
        .size:           2
        .value_kind:     hidden_group_size_x
      - .offset:         158
        .size:           2
        .value_kind:     hidden_group_size_y
      - .offset:         160
        .size:           2
        .value_kind:     hidden_group_size_z
      - .offset:         162
        .size:           2
        .value_kind:     hidden_remainder_x
      - .offset:         164
        .size:           2
        .value_kind:     hidden_remainder_y
      - .offset:         166
        .size:           2
        .value_kind:     hidden_remainder_z
      - .offset:         184
        .size:           8
        .value_kind:     hidden_global_offset_x
      - .offset:         192
        .size:           8
        .value_kind:     hidden_global_offset_y
      - .offset:         200
        .size:           8
        .value_kind:     hidden_global_offset_z
      - .offset:         208
        .size:           2
        .value_kind:     hidden_grid_dims
      - .offset:         224
        .size:           8
        .value_kind:     hidden_hostcall_buffer
    .group_segment_fixed_size: 0
    .kernarg_segment_align: 8
    .kernarg_segment_size: 400
    .language:       OpenCL C
    .language_version:
      - 2
      - 0
    .max_flat_workgroup_size: 256
    .name:           _Z39paged_attention_ll4mi_QKV_mfma16_kernelI14__hip_bfloat16hLN4vllm18Fp8KVCacheDataTypeE1ES0_Li32ELi128ELi256ELb1ELi5EEvPKT_PKT0_S8_ifPKiSA_SA_iPKfiiiPfSD_PS3_PT2_iSC_SC_
    .private_segment_fixed_size: 64
    .sgpr_count:     36
    .sgpr_spill_count: 0
    .symbol:         _Z39paged_attention_ll4mi_QKV_mfma16_kernelI14__hip_bfloat16hLN4vllm18Fp8KVCacheDataTypeE1ES0_Li32ELi128ELi256ELb1ELi5EEvPKT_PKT0_S8_ifPKiSA_SA_iPKfiiiPfSD_PS3_PT2_iSC_SC_.kd
    .uniform_work_group_size: 1
    .uses_dynamic_stack: false
    .vgpr_count:     51
    .vgpr_spill_count: 0
    .wavefront_size: 32
  - .args:
      - .actual_access:  read_only
        .address_space:  global
        .offset:         0
        .size:           8
        .value_kind:     global_buffer
      - .actual_access:  read_only
        .address_space:  global
        .offset:         8
        .size:           8
        .value_kind:     global_buffer
      - .actual_access:  read_only
        .address_space:  global
        .offset:         16
        .size:           8
        .value_kind:     global_buffer
      - .offset:         24
        .size:           4
        .value_kind:     by_value
      - .offset:         28
        .size:           4
        .value_kind:     by_value
      - .actual_access:  read_only
        .address_space:  global
        .offset:         32
        .size:           8
        .value_kind:     global_buffer
      - .actual_access:  read_only
        .address_space:  global
        .offset:         40
        .size:           8
        .value_kind:     global_buffer
      - .actual_access:  read_only
        .address_space:  global
        .offset:         48
        .size:           8
        .value_kind:     global_buffer
      - .offset:         56
        .size:           4
        .value_kind:     by_value
      - .actual_access:  read_only
        .address_space:  global
        .offset:         64
        .size:           8
        .value_kind:     global_buffer
      - .offset:         72
        .size:           4
        .value_kind:     by_value
      - .offset:         76
        .size:           4
        .value_kind:     by_value
      - .offset:         80
        .size:           4
        .value_kind:     by_value
      - .actual_access:  read_only
        .address_space:  global
        .offset:         88
        .size:           8
        .value_kind:     global_buffer
      - .actual_access:  read_only
        .address_space:  global
        .offset:         96
        .size:           8
        .value_kind:     global_buffer
      - .actual_access:  read_only
        .address_space:  global
        .offset:         104
        .size:           8
        .value_kind:     global_buffer
      - .actual_access:  read_only
        .address_space:  global
        .offset:         112
        .size:           8
        .value_kind:     global_buffer
      - .offset:         120
        .size:           4
        .value_kind:     by_value
      - .address_space:  global
        .offset:         128
        .size:           8
        .value_kind:     global_buffer
      - .address_space:  global
        .offset:         136
        .size:           8
        .value_kind:     global_buffer
      - .offset:         144
        .size:           4
        .value_kind:     hidden_block_count_x
      - .offset:         148
        .size:           4
        .value_kind:     hidden_block_count_y
      - .offset:         152
        .size:           4
        .value_kind:     hidden_block_count_z
      - .offset:         156
        .size:           2
        .value_kind:     hidden_group_size_x
      - .offset:         158
        .size:           2
        .value_kind:     hidden_group_size_y
      - .offset:         160
        .size:           2
        .value_kind:     hidden_group_size_z
      - .offset:         162
        .size:           2
        .value_kind:     hidden_remainder_x
      - .offset:         164
        .size:           2
        .value_kind:     hidden_remainder_y
      - .offset:         166
        .size:           2
        .value_kind:     hidden_remainder_z
      - .offset:         184
        .size:           8
        .value_kind:     hidden_global_offset_x
      - .offset:         192
        .size:           8
        .value_kind:     hidden_global_offset_y
      - .offset:         200
        .size:           8
        .value_kind:     hidden_global_offset_z
      - .offset:         208
        .size:           2
        .value_kind:     hidden_grid_dims
      - .offset:         224
        .size:           8
        .value_kind:     hidden_hostcall_buffer
    .group_segment_fixed_size: 0
    .kernarg_segment_align: 8
    .kernarg_segment_size: 400
    .language:       OpenCL C
    .language_version:
      - 2
      - 0
    .max_flat_workgroup_size: 256
    .name:           _Z39paged_attention_ll4mi_QKV_mfma16_kernelI14__hip_bfloat16hLN4vllm18Fp8KVCacheDataTypeE1ES0_Li32ELi128ELi256ELb1ELi6EEvPKT_PKT0_S8_ifPKiSA_SA_iPKfiiiPfSD_PS3_PT2_iSC_SC_
    .private_segment_fixed_size: 64
    .sgpr_count:     36
    .sgpr_spill_count: 0
    .symbol:         _Z39paged_attention_ll4mi_QKV_mfma16_kernelI14__hip_bfloat16hLN4vllm18Fp8KVCacheDataTypeE1ES0_Li32ELi128ELi256ELb1ELi6EEvPKT_PKT0_S8_ifPKiSA_SA_iPKfiiiPfSD_PS3_PT2_iSC_SC_.kd
    .uniform_work_group_size: 1
    .uses_dynamic_stack: false
    .vgpr_count:     51
    .vgpr_spill_count: 0
    .wavefront_size: 32
  - .args:
      - .actual_access:  read_only
        .address_space:  global
        .offset:         0
        .size:           8
        .value_kind:     global_buffer
      - .actual_access:  read_only
        .address_space:  global
        .offset:         8
        .size:           8
        .value_kind:     global_buffer
      - .actual_access:  read_only
        .address_space:  global
        .offset:         16
        .size:           8
        .value_kind:     global_buffer
      - .offset:         24
        .size:           4
        .value_kind:     by_value
      - .offset:         28
        .size:           4
        .value_kind:     by_value
      - .actual_access:  read_only
        .address_space:  global
        .offset:         32
        .size:           8
        .value_kind:     global_buffer
      - .actual_access:  read_only
        .address_space:  global
        .offset:         40
        .size:           8
        .value_kind:     global_buffer
      - .actual_access:  read_only
        .address_space:  global
        .offset:         48
        .size:           8
        .value_kind:     global_buffer
      - .offset:         56
        .size:           4
        .value_kind:     by_value
      - .actual_access:  read_only
        .address_space:  global
        .offset:         64
        .size:           8
        .value_kind:     global_buffer
      - .offset:         72
        .size:           4
        .value_kind:     by_value
      - .offset:         76
        .size:           4
        .value_kind:     by_value
      - .offset:         80
        .size:           4
        .value_kind:     by_value
      - .actual_access:  read_only
        .address_space:  global
        .offset:         88
        .size:           8
        .value_kind:     global_buffer
      - .actual_access:  read_only
        .address_space:  global
        .offset:         96
        .size:           8
        .value_kind:     global_buffer
      - .actual_access:  read_only
        .address_space:  global
        .offset:         104
        .size:           8
        .value_kind:     global_buffer
      - .actual_access:  read_only
        .address_space:  global
        .offset:         112
        .size:           8
        .value_kind:     global_buffer
      - .offset:         120
        .size:           4
        .value_kind:     by_value
      - .address_space:  global
        .offset:         128
        .size:           8
        .value_kind:     global_buffer
      - .address_space:  global
        .offset:         136
        .size:           8
        .value_kind:     global_buffer
      - .offset:         144
        .size:           4
        .value_kind:     hidden_block_count_x
      - .offset:         148
        .size:           4
        .value_kind:     hidden_block_count_y
      - .offset:         152
        .size:           4
        .value_kind:     hidden_block_count_z
      - .offset:         156
        .size:           2
        .value_kind:     hidden_group_size_x
      - .offset:         158
        .size:           2
        .value_kind:     hidden_group_size_y
      - .offset:         160
        .size:           2
        .value_kind:     hidden_group_size_z
      - .offset:         162
        .size:           2
        .value_kind:     hidden_remainder_x
      - .offset:         164
        .size:           2
        .value_kind:     hidden_remainder_y
      - .offset:         166
        .size:           2
        .value_kind:     hidden_remainder_z
      - .offset:         184
        .size:           8
        .value_kind:     hidden_global_offset_x
      - .offset:         192
        .size:           8
        .value_kind:     hidden_global_offset_y
      - .offset:         200
        .size:           8
        .value_kind:     hidden_global_offset_z
      - .offset:         208
        .size:           2
        .value_kind:     hidden_grid_dims
      - .offset:         224
        .size:           8
        .value_kind:     hidden_hostcall_buffer
    .group_segment_fixed_size: 0
    .kernarg_segment_align: 8
    .kernarg_segment_size: 400
    .language:       OpenCL C
    .language_version:
      - 2
      - 0
    .max_flat_workgroup_size: 256
    .name:           _Z39paged_attention_ll4mi_QKV_mfma16_kernelI14__hip_bfloat16hLN4vllm18Fp8KVCacheDataTypeE1ES0_Li32ELi128ELi256ELb1ELi7EEvPKT_PKT0_S8_ifPKiSA_SA_iPKfiiiPfSD_PS3_PT2_iSC_SC_
    .private_segment_fixed_size: 64
    .sgpr_count:     36
    .sgpr_spill_count: 0
    .symbol:         _Z39paged_attention_ll4mi_QKV_mfma16_kernelI14__hip_bfloat16hLN4vllm18Fp8KVCacheDataTypeE1ES0_Li32ELi128ELi256ELb1ELi7EEvPKT_PKT0_S8_ifPKiSA_SA_iPKfiiiPfSD_PS3_PT2_iSC_SC_.kd
    .uniform_work_group_size: 1
    .uses_dynamic_stack: false
    .vgpr_count:     51
    .vgpr_spill_count: 0
    .wavefront_size: 32
  - .args:
      - .actual_access:  read_only
        .address_space:  global
        .offset:         0
        .size:           8
        .value_kind:     global_buffer
      - .actual_access:  read_only
        .address_space:  global
        .offset:         8
        .size:           8
        .value_kind:     global_buffer
      - .actual_access:  read_only
        .address_space:  global
        .offset:         16
        .size:           8
        .value_kind:     global_buffer
      - .offset:         24
        .size:           4
        .value_kind:     by_value
      - .offset:         28
        .size:           4
        .value_kind:     by_value
      - .actual_access:  read_only
        .address_space:  global
        .offset:         32
        .size:           8
        .value_kind:     global_buffer
      - .actual_access:  read_only
        .address_space:  global
        .offset:         40
        .size:           8
        .value_kind:     global_buffer
      - .actual_access:  read_only
        .address_space:  global
        .offset:         48
        .size:           8
        .value_kind:     global_buffer
      - .offset:         56
        .size:           4
        .value_kind:     by_value
      - .actual_access:  read_only
        .address_space:  global
        .offset:         64
        .size:           8
        .value_kind:     global_buffer
      - .offset:         72
        .size:           4
        .value_kind:     by_value
      - .offset:         76
        .size:           4
        .value_kind:     by_value
      - .offset:         80
        .size:           4
        .value_kind:     by_value
      - .actual_access:  read_only
        .address_space:  global
        .offset:         88
        .size:           8
        .value_kind:     global_buffer
      - .actual_access:  read_only
        .address_space:  global
        .offset:         96
        .size:           8
        .value_kind:     global_buffer
      - .actual_access:  read_only
        .address_space:  global
        .offset:         104
        .size:           8
        .value_kind:     global_buffer
      - .actual_access:  read_only
        .address_space:  global
        .offset:         112
        .size:           8
        .value_kind:     global_buffer
      - .offset:         120
        .size:           4
        .value_kind:     by_value
      - .address_space:  global
        .offset:         128
        .size:           8
        .value_kind:     global_buffer
      - .address_space:  global
        .offset:         136
        .size:           8
        .value_kind:     global_buffer
      - .offset:         144
        .size:           4
        .value_kind:     hidden_block_count_x
      - .offset:         148
        .size:           4
        .value_kind:     hidden_block_count_y
      - .offset:         152
        .size:           4
        .value_kind:     hidden_block_count_z
      - .offset:         156
        .size:           2
        .value_kind:     hidden_group_size_x
      - .offset:         158
        .size:           2
        .value_kind:     hidden_group_size_y
      - .offset:         160
        .size:           2
        .value_kind:     hidden_group_size_z
      - .offset:         162
        .size:           2
        .value_kind:     hidden_remainder_x
      - .offset:         164
        .size:           2
        .value_kind:     hidden_remainder_y
      - .offset:         166
        .size:           2
        .value_kind:     hidden_remainder_z
      - .offset:         184
        .size:           8
        .value_kind:     hidden_global_offset_x
      - .offset:         192
        .size:           8
        .value_kind:     hidden_global_offset_y
      - .offset:         200
        .size:           8
        .value_kind:     hidden_global_offset_z
      - .offset:         208
        .size:           2
        .value_kind:     hidden_grid_dims
      - .offset:         224
        .size:           8
        .value_kind:     hidden_hostcall_buffer
    .group_segment_fixed_size: 0
    .kernarg_segment_align: 8
    .kernarg_segment_size: 400
    .language:       OpenCL C
    .language_version:
      - 2
      - 0
    .max_flat_workgroup_size: 256
    .name:           _Z39paged_attention_ll4mi_QKV_mfma16_kernelI14__hip_bfloat16hLN4vllm18Fp8KVCacheDataTypeE1ES0_Li32ELi128ELi256ELb1ELi8EEvPKT_PKT0_S8_ifPKiSA_SA_iPKfiiiPfSD_PS3_PT2_iSC_SC_
    .private_segment_fixed_size: 64
    .sgpr_count:     36
    .sgpr_spill_count: 0
    .symbol:         _Z39paged_attention_ll4mi_QKV_mfma16_kernelI14__hip_bfloat16hLN4vllm18Fp8KVCacheDataTypeE1ES0_Li32ELi128ELi256ELb1ELi8EEvPKT_PKT0_S8_ifPKiSA_SA_iPKfiiiPfSD_PS3_PT2_iSC_SC_.kd
    .uniform_work_group_size: 1
    .uses_dynamic_stack: false
    .vgpr_count:     51
    .vgpr_spill_count: 0
    .wavefront_size: 32
  - .args:
      - .actual_access:  read_only
        .address_space:  global
        .offset:         0
        .size:           8
        .value_kind:     global_buffer
      - .actual_access:  read_only
        .address_space:  global
        .offset:         8
        .size:           8
        .value_kind:     global_buffer
      - .actual_access:  read_only
        .address_space:  global
        .offset:         16
        .size:           8
        .value_kind:     global_buffer
      - .offset:         24
        .size:           4
        .value_kind:     by_value
      - .offset:         28
        .size:           4
        .value_kind:     by_value
      - .actual_access:  read_only
        .address_space:  global
        .offset:         32
        .size:           8
        .value_kind:     global_buffer
      - .actual_access:  read_only
        .address_space:  global
        .offset:         40
        .size:           8
        .value_kind:     global_buffer
      - .actual_access:  read_only
        .address_space:  global
        .offset:         48
        .size:           8
        .value_kind:     global_buffer
      - .offset:         56
        .size:           4
        .value_kind:     by_value
      - .actual_access:  read_only
        .address_space:  global
        .offset:         64
        .size:           8
        .value_kind:     global_buffer
      - .offset:         72
        .size:           4
        .value_kind:     by_value
      - .offset:         76
        .size:           4
        .value_kind:     by_value
      - .offset:         80
        .size:           4
        .value_kind:     by_value
      - .actual_access:  read_only
        .address_space:  global
        .offset:         88
        .size:           8
        .value_kind:     global_buffer
      - .actual_access:  read_only
        .address_space:  global
        .offset:         96
        .size:           8
        .value_kind:     global_buffer
      - .actual_access:  read_only
        .address_space:  global
        .offset:         104
        .size:           8
        .value_kind:     global_buffer
      - .actual_access:  read_only
        .address_space:  global
        .offset:         112
        .size:           8
        .value_kind:     global_buffer
      - .offset:         120
        .size:           4
        .value_kind:     by_value
      - .address_space:  global
        .offset:         128
        .size:           8
        .value_kind:     global_buffer
      - .address_space:  global
        .offset:         136
        .size:           8
        .value_kind:     global_buffer
      - .offset:         144
        .size:           4
        .value_kind:     hidden_block_count_x
      - .offset:         148
        .size:           4
        .value_kind:     hidden_block_count_y
      - .offset:         152
        .size:           4
        .value_kind:     hidden_block_count_z
      - .offset:         156
        .size:           2
        .value_kind:     hidden_group_size_x
      - .offset:         158
        .size:           2
        .value_kind:     hidden_group_size_y
      - .offset:         160
        .size:           2
        .value_kind:     hidden_group_size_z
      - .offset:         162
        .size:           2
        .value_kind:     hidden_remainder_x
      - .offset:         164
        .size:           2
        .value_kind:     hidden_remainder_y
      - .offset:         166
        .size:           2
        .value_kind:     hidden_remainder_z
      - .offset:         184
        .size:           8
        .value_kind:     hidden_global_offset_x
      - .offset:         192
        .size:           8
        .value_kind:     hidden_global_offset_y
      - .offset:         200
        .size:           8
        .value_kind:     hidden_global_offset_z
      - .offset:         208
        .size:           2
        .value_kind:     hidden_grid_dims
      - .offset:         224
        .size:           8
        .value_kind:     hidden_hostcall_buffer
    .group_segment_fixed_size: 0
    .kernarg_segment_align: 8
    .kernarg_segment_size: 400
    .language:       OpenCL C
    .language_version:
      - 2
      - 0
    .max_flat_workgroup_size: 256
    .name:           _Z39paged_attention_ll4mi_QKV_mfma16_kernelI14__hip_bfloat16hLN4vllm18Fp8KVCacheDataTypeE1ES0_Li32ELi128ELi256ELb1ELi9EEvPKT_PKT0_S8_ifPKiSA_SA_iPKfiiiPfSD_PS3_PT2_iSC_SC_
    .private_segment_fixed_size: 64
    .sgpr_count:     36
    .sgpr_spill_count: 0
    .symbol:         _Z39paged_attention_ll4mi_QKV_mfma16_kernelI14__hip_bfloat16hLN4vllm18Fp8KVCacheDataTypeE1ES0_Li32ELi128ELi256ELb1ELi9EEvPKT_PKT0_S8_ifPKiSA_SA_iPKfiiiPfSD_PS3_PT2_iSC_SC_.kd
    .uniform_work_group_size: 1
    .uses_dynamic_stack: false
    .vgpr_count:     51
    .vgpr_spill_count: 0
    .wavefront_size: 32
  - .args:
      - .actual_access:  read_only
        .address_space:  global
        .offset:         0
        .size:           8
        .value_kind:     global_buffer
      - .actual_access:  read_only
        .address_space:  global
        .offset:         8
        .size:           8
        .value_kind:     global_buffer
      - .actual_access:  read_only
        .address_space:  global
        .offset:         16
        .size:           8
        .value_kind:     global_buffer
      - .offset:         24
        .size:           4
        .value_kind:     by_value
      - .offset:         28
        .size:           4
        .value_kind:     by_value
      - .actual_access:  read_only
        .address_space:  global
        .offset:         32
        .size:           8
        .value_kind:     global_buffer
      - .actual_access:  read_only
        .address_space:  global
        .offset:         40
        .size:           8
        .value_kind:     global_buffer
      - .actual_access:  read_only
        .address_space:  global
        .offset:         48
        .size:           8
        .value_kind:     global_buffer
      - .offset:         56
        .size:           4
        .value_kind:     by_value
      - .actual_access:  read_only
        .address_space:  global
        .offset:         64
        .size:           8
        .value_kind:     global_buffer
      - .offset:         72
        .size:           4
        .value_kind:     by_value
      - .offset:         76
        .size:           4
        .value_kind:     by_value
      - .offset:         80
        .size:           4
        .value_kind:     by_value
      - .actual_access:  read_only
        .address_space:  global
        .offset:         88
        .size:           8
        .value_kind:     global_buffer
      - .actual_access:  read_only
        .address_space:  global
        .offset:         96
        .size:           8
        .value_kind:     global_buffer
      - .actual_access:  read_only
        .address_space:  global
        .offset:         104
        .size:           8
        .value_kind:     global_buffer
      - .actual_access:  read_only
        .address_space:  global
        .offset:         112
        .size:           8
        .value_kind:     global_buffer
      - .offset:         120
        .size:           4
        .value_kind:     by_value
      - .address_space:  global
        .offset:         128
        .size:           8
        .value_kind:     global_buffer
      - .address_space:  global
        .offset:         136
        .size:           8
        .value_kind:     global_buffer
      - .offset:         144
        .size:           4
        .value_kind:     hidden_block_count_x
      - .offset:         148
        .size:           4
        .value_kind:     hidden_block_count_y
      - .offset:         152
        .size:           4
        .value_kind:     hidden_block_count_z
      - .offset:         156
        .size:           2
        .value_kind:     hidden_group_size_x
      - .offset:         158
        .size:           2
        .value_kind:     hidden_group_size_y
      - .offset:         160
        .size:           2
        .value_kind:     hidden_group_size_z
      - .offset:         162
        .size:           2
        .value_kind:     hidden_remainder_x
      - .offset:         164
        .size:           2
        .value_kind:     hidden_remainder_y
      - .offset:         166
        .size:           2
        .value_kind:     hidden_remainder_z
      - .offset:         184
        .size:           8
        .value_kind:     hidden_global_offset_x
      - .offset:         192
        .size:           8
        .value_kind:     hidden_global_offset_y
      - .offset:         200
        .size:           8
        .value_kind:     hidden_global_offset_z
      - .offset:         208
        .size:           2
        .value_kind:     hidden_grid_dims
      - .offset:         224
        .size:           8
        .value_kind:     hidden_hostcall_buffer
    .group_segment_fixed_size: 0
    .kernarg_segment_align: 8
    .kernarg_segment_size: 400
    .language:       OpenCL C
    .language_version:
      - 2
      - 0
    .max_flat_workgroup_size: 256
    .name:           _Z39paged_attention_ll4mi_QKV_mfma16_kernelI14__hip_bfloat16hLN4vllm18Fp8KVCacheDataTypeE1ES0_Li32ELi128ELi256ELb1ELi10EEvPKT_PKT0_S8_ifPKiSA_SA_iPKfiiiPfSD_PS3_PT2_iSC_SC_
    .private_segment_fixed_size: 64
    .sgpr_count:     36
    .sgpr_spill_count: 0
    .symbol:         _Z39paged_attention_ll4mi_QKV_mfma16_kernelI14__hip_bfloat16hLN4vllm18Fp8KVCacheDataTypeE1ES0_Li32ELi128ELi256ELb1ELi10EEvPKT_PKT0_S8_ifPKiSA_SA_iPKfiiiPfSD_PS3_PT2_iSC_SC_.kd
    .uniform_work_group_size: 1
    .uses_dynamic_stack: false
    .vgpr_count:     51
    .vgpr_spill_count: 0
    .wavefront_size: 32
  - .args:
      - .actual_access:  read_only
        .address_space:  global
        .offset:         0
        .size:           8
        .value_kind:     global_buffer
      - .actual_access:  read_only
        .address_space:  global
        .offset:         8
        .size:           8
        .value_kind:     global_buffer
      - .actual_access:  read_only
        .address_space:  global
        .offset:         16
        .size:           8
        .value_kind:     global_buffer
      - .offset:         24
        .size:           4
        .value_kind:     by_value
      - .offset:         28
        .size:           4
        .value_kind:     by_value
      - .actual_access:  read_only
        .address_space:  global
        .offset:         32
        .size:           8
        .value_kind:     global_buffer
      - .actual_access:  read_only
        .address_space:  global
        .offset:         40
        .size:           8
        .value_kind:     global_buffer
      - .actual_access:  read_only
        .address_space:  global
        .offset:         48
        .size:           8
        .value_kind:     global_buffer
      - .offset:         56
        .size:           4
        .value_kind:     by_value
      - .actual_access:  read_only
        .address_space:  global
        .offset:         64
        .size:           8
        .value_kind:     global_buffer
      - .offset:         72
        .size:           4
        .value_kind:     by_value
      - .offset:         76
        .size:           4
        .value_kind:     by_value
      - .offset:         80
        .size:           4
        .value_kind:     by_value
      - .actual_access:  read_only
        .address_space:  global
        .offset:         88
        .size:           8
        .value_kind:     global_buffer
      - .actual_access:  read_only
        .address_space:  global
        .offset:         96
        .size:           8
        .value_kind:     global_buffer
      - .actual_access:  read_only
        .address_space:  global
        .offset:         104
        .size:           8
        .value_kind:     global_buffer
      - .actual_access:  read_only
        .address_space:  global
        .offset:         112
        .size:           8
        .value_kind:     global_buffer
      - .offset:         120
        .size:           4
        .value_kind:     by_value
      - .address_space:  global
        .offset:         128
        .size:           8
        .value_kind:     global_buffer
      - .address_space:  global
        .offset:         136
        .size:           8
        .value_kind:     global_buffer
      - .offset:         144
        .size:           4
        .value_kind:     hidden_block_count_x
      - .offset:         148
        .size:           4
        .value_kind:     hidden_block_count_y
      - .offset:         152
        .size:           4
        .value_kind:     hidden_block_count_z
      - .offset:         156
        .size:           2
        .value_kind:     hidden_group_size_x
      - .offset:         158
        .size:           2
        .value_kind:     hidden_group_size_y
      - .offset:         160
        .size:           2
        .value_kind:     hidden_group_size_z
      - .offset:         162
        .size:           2
        .value_kind:     hidden_remainder_x
      - .offset:         164
        .size:           2
        .value_kind:     hidden_remainder_y
      - .offset:         166
        .size:           2
        .value_kind:     hidden_remainder_z
      - .offset:         184
        .size:           8
        .value_kind:     hidden_global_offset_x
      - .offset:         192
        .size:           8
        .value_kind:     hidden_global_offset_y
      - .offset:         200
        .size:           8
        .value_kind:     hidden_global_offset_z
      - .offset:         208
        .size:           2
        .value_kind:     hidden_grid_dims
      - .offset:         224
        .size:           8
        .value_kind:     hidden_hostcall_buffer
    .group_segment_fixed_size: 0
    .kernarg_segment_align: 8
    .kernarg_segment_size: 400
    .language:       OpenCL C
    .language_version:
      - 2
      - 0
    .max_flat_workgroup_size: 256
    .name:           _Z39paged_attention_ll4mi_QKV_mfma16_kernelI14__hip_bfloat16hLN4vllm18Fp8KVCacheDataTypeE1ES0_Li32ELi128ELi256ELb1ELi11EEvPKT_PKT0_S8_ifPKiSA_SA_iPKfiiiPfSD_PS3_PT2_iSC_SC_
    .private_segment_fixed_size: 64
    .sgpr_count:     36
    .sgpr_spill_count: 0
    .symbol:         _Z39paged_attention_ll4mi_QKV_mfma16_kernelI14__hip_bfloat16hLN4vllm18Fp8KVCacheDataTypeE1ES0_Li32ELi128ELi256ELb1ELi11EEvPKT_PKT0_S8_ifPKiSA_SA_iPKfiiiPfSD_PS3_PT2_iSC_SC_.kd
    .uniform_work_group_size: 1
    .uses_dynamic_stack: false
    .vgpr_count:     51
    .vgpr_spill_count: 0
    .wavefront_size: 32
  - .args:
      - .actual_access:  read_only
        .address_space:  global
        .offset:         0
        .size:           8
        .value_kind:     global_buffer
      - .actual_access:  read_only
        .address_space:  global
        .offset:         8
        .size:           8
        .value_kind:     global_buffer
      - .actual_access:  read_only
        .address_space:  global
        .offset:         16
        .size:           8
        .value_kind:     global_buffer
      - .offset:         24
        .size:           4
        .value_kind:     by_value
      - .offset:         28
        .size:           4
        .value_kind:     by_value
      - .actual_access:  read_only
        .address_space:  global
        .offset:         32
        .size:           8
        .value_kind:     global_buffer
      - .actual_access:  read_only
        .address_space:  global
        .offset:         40
        .size:           8
        .value_kind:     global_buffer
      - .actual_access:  read_only
        .address_space:  global
        .offset:         48
        .size:           8
        .value_kind:     global_buffer
      - .offset:         56
        .size:           4
        .value_kind:     by_value
      - .actual_access:  read_only
        .address_space:  global
        .offset:         64
        .size:           8
        .value_kind:     global_buffer
      - .offset:         72
        .size:           4
        .value_kind:     by_value
      - .offset:         76
        .size:           4
        .value_kind:     by_value
      - .offset:         80
        .size:           4
        .value_kind:     by_value
      - .actual_access:  read_only
        .address_space:  global
        .offset:         88
        .size:           8
        .value_kind:     global_buffer
      - .actual_access:  read_only
        .address_space:  global
        .offset:         96
        .size:           8
        .value_kind:     global_buffer
      - .actual_access:  read_only
        .address_space:  global
        .offset:         104
        .size:           8
        .value_kind:     global_buffer
      - .actual_access:  read_only
        .address_space:  global
        .offset:         112
        .size:           8
        .value_kind:     global_buffer
      - .offset:         120
        .size:           4
        .value_kind:     by_value
      - .address_space:  global
        .offset:         128
        .size:           8
        .value_kind:     global_buffer
      - .address_space:  global
        .offset:         136
        .size:           8
        .value_kind:     global_buffer
      - .offset:         144
        .size:           4
        .value_kind:     hidden_block_count_x
      - .offset:         148
        .size:           4
        .value_kind:     hidden_block_count_y
      - .offset:         152
        .size:           4
        .value_kind:     hidden_block_count_z
      - .offset:         156
        .size:           2
        .value_kind:     hidden_group_size_x
      - .offset:         158
        .size:           2
        .value_kind:     hidden_group_size_y
      - .offset:         160
        .size:           2
        .value_kind:     hidden_group_size_z
      - .offset:         162
        .size:           2
        .value_kind:     hidden_remainder_x
      - .offset:         164
        .size:           2
        .value_kind:     hidden_remainder_y
      - .offset:         166
        .size:           2
        .value_kind:     hidden_remainder_z
      - .offset:         184
        .size:           8
        .value_kind:     hidden_global_offset_x
      - .offset:         192
        .size:           8
        .value_kind:     hidden_global_offset_y
      - .offset:         200
        .size:           8
        .value_kind:     hidden_global_offset_z
      - .offset:         208
        .size:           2
        .value_kind:     hidden_grid_dims
      - .offset:         224
        .size:           8
        .value_kind:     hidden_hostcall_buffer
    .group_segment_fixed_size: 0
    .kernarg_segment_align: 8
    .kernarg_segment_size: 400
    .language:       OpenCL C
    .language_version:
      - 2
      - 0
    .max_flat_workgroup_size: 256
    .name:           _Z39paged_attention_ll4mi_QKV_mfma16_kernelI14__hip_bfloat16hLN4vllm18Fp8KVCacheDataTypeE1ES0_Li32ELi128ELi256ELb1ELi12EEvPKT_PKT0_S8_ifPKiSA_SA_iPKfiiiPfSD_PS3_PT2_iSC_SC_
    .private_segment_fixed_size: 64
    .sgpr_count:     36
    .sgpr_spill_count: 0
    .symbol:         _Z39paged_attention_ll4mi_QKV_mfma16_kernelI14__hip_bfloat16hLN4vllm18Fp8KVCacheDataTypeE1ES0_Li32ELi128ELi256ELb1ELi12EEvPKT_PKT0_S8_ifPKiSA_SA_iPKfiiiPfSD_PS3_PT2_iSC_SC_.kd
    .uniform_work_group_size: 1
    .uses_dynamic_stack: false
    .vgpr_count:     51
    .vgpr_spill_count: 0
    .wavefront_size: 32
  - .args:
      - .actual_access:  read_only
        .address_space:  global
        .offset:         0
        .size:           8
        .value_kind:     global_buffer
      - .actual_access:  read_only
        .address_space:  global
        .offset:         8
        .size:           8
        .value_kind:     global_buffer
      - .actual_access:  read_only
        .address_space:  global
        .offset:         16
        .size:           8
        .value_kind:     global_buffer
      - .offset:         24
        .size:           4
        .value_kind:     by_value
      - .offset:         28
        .size:           4
        .value_kind:     by_value
      - .actual_access:  read_only
        .address_space:  global
        .offset:         32
        .size:           8
        .value_kind:     global_buffer
      - .actual_access:  read_only
        .address_space:  global
        .offset:         40
        .size:           8
        .value_kind:     global_buffer
      - .actual_access:  read_only
        .address_space:  global
        .offset:         48
        .size:           8
        .value_kind:     global_buffer
      - .offset:         56
        .size:           4
        .value_kind:     by_value
      - .actual_access:  read_only
        .address_space:  global
        .offset:         64
        .size:           8
        .value_kind:     global_buffer
      - .offset:         72
        .size:           4
        .value_kind:     by_value
      - .offset:         76
        .size:           4
        .value_kind:     by_value
      - .offset:         80
        .size:           4
        .value_kind:     by_value
      - .actual_access:  read_only
        .address_space:  global
        .offset:         88
        .size:           8
        .value_kind:     global_buffer
      - .actual_access:  read_only
        .address_space:  global
        .offset:         96
        .size:           8
        .value_kind:     global_buffer
      - .actual_access:  read_only
        .address_space:  global
        .offset:         104
        .size:           8
        .value_kind:     global_buffer
      - .actual_access:  read_only
        .address_space:  global
        .offset:         112
        .size:           8
        .value_kind:     global_buffer
      - .offset:         120
        .size:           4
        .value_kind:     by_value
      - .address_space:  global
        .offset:         128
        .size:           8
        .value_kind:     global_buffer
      - .address_space:  global
        .offset:         136
        .size:           8
        .value_kind:     global_buffer
      - .offset:         144
        .size:           4
        .value_kind:     hidden_block_count_x
      - .offset:         148
        .size:           4
        .value_kind:     hidden_block_count_y
      - .offset:         152
        .size:           4
        .value_kind:     hidden_block_count_z
      - .offset:         156
        .size:           2
        .value_kind:     hidden_group_size_x
      - .offset:         158
        .size:           2
        .value_kind:     hidden_group_size_y
      - .offset:         160
        .size:           2
        .value_kind:     hidden_group_size_z
      - .offset:         162
        .size:           2
        .value_kind:     hidden_remainder_x
      - .offset:         164
        .size:           2
        .value_kind:     hidden_remainder_y
      - .offset:         166
        .size:           2
        .value_kind:     hidden_remainder_z
      - .offset:         184
        .size:           8
        .value_kind:     hidden_global_offset_x
      - .offset:         192
        .size:           8
        .value_kind:     hidden_global_offset_y
      - .offset:         200
        .size:           8
        .value_kind:     hidden_global_offset_z
      - .offset:         208
        .size:           2
        .value_kind:     hidden_grid_dims
      - .offset:         224
        .size:           8
        .value_kind:     hidden_hostcall_buffer
    .group_segment_fixed_size: 0
    .kernarg_segment_align: 8
    .kernarg_segment_size: 400
    .language:       OpenCL C
    .language_version:
      - 2
      - 0
    .max_flat_workgroup_size: 256
    .name:           _Z39paged_attention_ll4mi_QKV_mfma16_kernelI14__hip_bfloat16hLN4vllm18Fp8KVCacheDataTypeE1ES0_Li32ELi128ELi256ELb1ELi13EEvPKT_PKT0_S8_ifPKiSA_SA_iPKfiiiPfSD_PS3_PT2_iSC_SC_
    .private_segment_fixed_size: 64
    .sgpr_count:     36
    .sgpr_spill_count: 0
    .symbol:         _Z39paged_attention_ll4mi_QKV_mfma16_kernelI14__hip_bfloat16hLN4vllm18Fp8KVCacheDataTypeE1ES0_Li32ELi128ELi256ELb1ELi13EEvPKT_PKT0_S8_ifPKiSA_SA_iPKfiiiPfSD_PS3_PT2_iSC_SC_.kd
    .uniform_work_group_size: 1
    .uses_dynamic_stack: false
    .vgpr_count:     51
    .vgpr_spill_count: 0
    .wavefront_size: 32
  - .args:
      - .actual_access:  read_only
        .address_space:  global
        .offset:         0
        .size:           8
        .value_kind:     global_buffer
      - .actual_access:  read_only
        .address_space:  global
        .offset:         8
        .size:           8
        .value_kind:     global_buffer
      - .actual_access:  read_only
        .address_space:  global
        .offset:         16
        .size:           8
        .value_kind:     global_buffer
      - .offset:         24
        .size:           4
        .value_kind:     by_value
      - .offset:         28
        .size:           4
        .value_kind:     by_value
      - .actual_access:  read_only
        .address_space:  global
        .offset:         32
        .size:           8
        .value_kind:     global_buffer
      - .actual_access:  read_only
        .address_space:  global
        .offset:         40
        .size:           8
        .value_kind:     global_buffer
      - .actual_access:  read_only
        .address_space:  global
        .offset:         48
        .size:           8
        .value_kind:     global_buffer
      - .offset:         56
        .size:           4
        .value_kind:     by_value
      - .actual_access:  read_only
        .address_space:  global
        .offset:         64
        .size:           8
        .value_kind:     global_buffer
      - .offset:         72
        .size:           4
        .value_kind:     by_value
      - .offset:         76
        .size:           4
        .value_kind:     by_value
      - .offset:         80
        .size:           4
        .value_kind:     by_value
      - .actual_access:  read_only
        .address_space:  global
        .offset:         88
        .size:           8
        .value_kind:     global_buffer
      - .actual_access:  read_only
        .address_space:  global
        .offset:         96
        .size:           8
        .value_kind:     global_buffer
      - .actual_access:  read_only
        .address_space:  global
        .offset:         104
        .size:           8
        .value_kind:     global_buffer
      - .actual_access:  read_only
        .address_space:  global
        .offset:         112
        .size:           8
        .value_kind:     global_buffer
      - .offset:         120
        .size:           4
        .value_kind:     by_value
      - .address_space:  global
        .offset:         128
        .size:           8
        .value_kind:     global_buffer
      - .address_space:  global
        .offset:         136
        .size:           8
        .value_kind:     global_buffer
      - .offset:         144
        .size:           4
        .value_kind:     hidden_block_count_x
      - .offset:         148
        .size:           4
        .value_kind:     hidden_block_count_y
      - .offset:         152
        .size:           4
        .value_kind:     hidden_block_count_z
      - .offset:         156
        .size:           2
        .value_kind:     hidden_group_size_x
      - .offset:         158
        .size:           2
        .value_kind:     hidden_group_size_y
      - .offset:         160
        .size:           2
        .value_kind:     hidden_group_size_z
      - .offset:         162
        .size:           2
        .value_kind:     hidden_remainder_x
      - .offset:         164
        .size:           2
        .value_kind:     hidden_remainder_y
      - .offset:         166
        .size:           2
        .value_kind:     hidden_remainder_z
      - .offset:         184
        .size:           8
        .value_kind:     hidden_global_offset_x
      - .offset:         192
        .size:           8
        .value_kind:     hidden_global_offset_y
      - .offset:         200
        .size:           8
        .value_kind:     hidden_global_offset_z
      - .offset:         208
        .size:           2
        .value_kind:     hidden_grid_dims
      - .offset:         224
        .size:           8
        .value_kind:     hidden_hostcall_buffer
    .group_segment_fixed_size: 0
    .kernarg_segment_align: 8
    .kernarg_segment_size: 400
    .language:       OpenCL C
    .language_version:
      - 2
      - 0
    .max_flat_workgroup_size: 256
    .name:           _Z39paged_attention_ll4mi_QKV_mfma16_kernelI14__hip_bfloat16hLN4vllm18Fp8KVCacheDataTypeE1ES0_Li32ELi128ELi256ELb1ELi14EEvPKT_PKT0_S8_ifPKiSA_SA_iPKfiiiPfSD_PS3_PT2_iSC_SC_
    .private_segment_fixed_size: 64
    .sgpr_count:     36
    .sgpr_spill_count: 0
    .symbol:         _Z39paged_attention_ll4mi_QKV_mfma16_kernelI14__hip_bfloat16hLN4vllm18Fp8KVCacheDataTypeE1ES0_Li32ELi128ELi256ELb1ELi14EEvPKT_PKT0_S8_ifPKiSA_SA_iPKfiiiPfSD_PS3_PT2_iSC_SC_.kd
    .uniform_work_group_size: 1
    .uses_dynamic_stack: false
    .vgpr_count:     51
    .vgpr_spill_count: 0
    .wavefront_size: 32
  - .args:
      - .actual_access:  read_only
        .address_space:  global
        .offset:         0
        .size:           8
        .value_kind:     global_buffer
      - .actual_access:  read_only
        .address_space:  global
        .offset:         8
        .size:           8
        .value_kind:     global_buffer
      - .actual_access:  read_only
        .address_space:  global
        .offset:         16
        .size:           8
        .value_kind:     global_buffer
      - .offset:         24
        .size:           4
        .value_kind:     by_value
      - .offset:         28
        .size:           4
        .value_kind:     by_value
      - .actual_access:  read_only
        .address_space:  global
        .offset:         32
        .size:           8
        .value_kind:     global_buffer
      - .actual_access:  read_only
        .address_space:  global
        .offset:         40
        .size:           8
        .value_kind:     global_buffer
      - .actual_access:  read_only
        .address_space:  global
        .offset:         48
        .size:           8
        .value_kind:     global_buffer
      - .offset:         56
        .size:           4
        .value_kind:     by_value
      - .actual_access:  read_only
        .address_space:  global
        .offset:         64
        .size:           8
        .value_kind:     global_buffer
      - .offset:         72
        .size:           4
        .value_kind:     by_value
      - .offset:         76
        .size:           4
        .value_kind:     by_value
      - .offset:         80
        .size:           4
        .value_kind:     by_value
      - .actual_access:  read_only
        .address_space:  global
        .offset:         88
        .size:           8
        .value_kind:     global_buffer
      - .actual_access:  read_only
        .address_space:  global
        .offset:         96
        .size:           8
        .value_kind:     global_buffer
      - .actual_access:  read_only
        .address_space:  global
        .offset:         104
        .size:           8
        .value_kind:     global_buffer
      - .actual_access:  read_only
        .address_space:  global
        .offset:         112
        .size:           8
        .value_kind:     global_buffer
      - .offset:         120
        .size:           4
        .value_kind:     by_value
      - .address_space:  global
        .offset:         128
        .size:           8
        .value_kind:     global_buffer
      - .address_space:  global
        .offset:         136
        .size:           8
        .value_kind:     global_buffer
      - .offset:         144
        .size:           4
        .value_kind:     hidden_block_count_x
      - .offset:         148
        .size:           4
        .value_kind:     hidden_block_count_y
      - .offset:         152
        .size:           4
        .value_kind:     hidden_block_count_z
      - .offset:         156
        .size:           2
        .value_kind:     hidden_group_size_x
      - .offset:         158
        .size:           2
        .value_kind:     hidden_group_size_y
      - .offset:         160
        .size:           2
        .value_kind:     hidden_group_size_z
      - .offset:         162
        .size:           2
        .value_kind:     hidden_remainder_x
      - .offset:         164
        .size:           2
        .value_kind:     hidden_remainder_y
      - .offset:         166
        .size:           2
        .value_kind:     hidden_remainder_z
      - .offset:         184
        .size:           8
        .value_kind:     hidden_global_offset_x
      - .offset:         192
        .size:           8
        .value_kind:     hidden_global_offset_y
      - .offset:         200
        .size:           8
        .value_kind:     hidden_global_offset_z
      - .offset:         208
        .size:           2
        .value_kind:     hidden_grid_dims
      - .offset:         224
        .size:           8
        .value_kind:     hidden_hostcall_buffer
    .group_segment_fixed_size: 0
    .kernarg_segment_align: 8
    .kernarg_segment_size: 400
    .language:       OpenCL C
    .language_version:
      - 2
      - 0
    .max_flat_workgroup_size: 256
    .name:           _Z39paged_attention_ll4mi_QKV_mfma16_kernelI14__hip_bfloat16hLN4vllm18Fp8KVCacheDataTypeE1ES0_Li32ELi128ELi256ELb1ELi15EEvPKT_PKT0_S8_ifPKiSA_SA_iPKfiiiPfSD_PS3_PT2_iSC_SC_
    .private_segment_fixed_size: 64
    .sgpr_count:     36
    .sgpr_spill_count: 0
    .symbol:         _Z39paged_attention_ll4mi_QKV_mfma16_kernelI14__hip_bfloat16hLN4vllm18Fp8KVCacheDataTypeE1ES0_Li32ELi128ELi256ELb1ELi15EEvPKT_PKT0_S8_ifPKiSA_SA_iPKfiiiPfSD_PS3_PT2_iSC_SC_.kd
    .uniform_work_group_size: 1
    .uses_dynamic_stack: false
    .vgpr_count:     51
    .vgpr_spill_count: 0
    .wavefront_size: 32
  - .args:
      - .actual_access:  read_only
        .address_space:  global
        .offset:         0
        .size:           8
        .value_kind:     global_buffer
      - .actual_access:  read_only
        .address_space:  global
        .offset:         8
        .size:           8
        .value_kind:     global_buffer
      - .actual_access:  read_only
        .address_space:  global
        .offset:         16
        .size:           8
        .value_kind:     global_buffer
      - .offset:         24
        .size:           4
        .value_kind:     by_value
      - .offset:         28
        .size:           4
        .value_kind:     by_value
      - .actual_access:  read_only
        .address_space:  global
        .offset:         32
        .size:           8
        .value_kind:     global_buffer
      - .actual_access:  read_only
        .address_space:  global
        .offset:         40
        .size:           8
        .value_kind:     global_buffer
      - .actual_access:  read_only
        .address_space:  global
        .offset:         48
        .size:           8
        .value_kind:     global_buffer
      - .offset:         56
        .size:           4
        .value_kind:     by_value
      - .actual_access:  read_only
        .address_space:  global
        .offset:         64
        .size:           8
        .value_kind:     global_buffer
      - .offset:         72
        .size:           4
        .value_kind:     by_value
      - .offset:         76
        .size:           4
        .value_kind:     by_value
      - .offset:         80
        .size:           4
        .value_kind:     by_value
      - .actual_access:  read_only
        .address_space:  global
        .offset:         88
        .size:           8
        .value_kind:     global_buffer
      - .actual_access:  read_only
        .address_space:  global
        .offset:         96
        .size:           8
        .value_kind:     global_buffer
      - .actual_access:  read_only
        .address_space:  global
        .offset:         104
        .size:           8
        .value_kind:     global_buffer
      - .actual_access:  read_only
        .address_space:  global
        .offset:         112
        .size:           8
        .value_kind:     global_buffer
      - .offset:         120
        .size:           4
        .value_kind:     by_value
      - .address_space:  global
        .offset:         128
        .size:           8
        .value_kind:     global_buffer
      - .address_space:  global
        .offset:         136
        .size:           8
        .value_kind:     global_buffer
      - .offset:         144
        .size:           4
        .value_kind:     hidden_block_count_x
      - .offset:         148
        .size:           4
        .value_kind:     hidden_block_count_y
      - .offset:         152
        .size:           4
        .value_kind:     hidden_block_count_z
      - .offset:         156
        .size:           2
        .value_kind:     hidden_group_size_x
      - .offset:         158
        .size:           2
        .value_kind:     hidden_group_size_y
      - .offset:         160
        .size:           2
        .value_kind:     hidden_group_size_z
      - .offset:         162
        .size:           2
        .value_kind:     hidden_remainder_x
      - .offset:         164
        .size:           2
        .value_kind:     hidden_remainder_y
      - .offset:         166
        .size:           2
        .value_kind:     hidden_remainder_z
      - .offset:         184
        .size:           8
        .value_kind:     hidden_global_offset_x
      - .offset:         192
        .size:           8
        .value_kind:     hidden_global_offset_y
      - .offset:         200
        .size:           8
        .value_kind:     hidden_global_offset_z
      - .offset:         208
        .size:           2
        .value_kind:     hidden_grid_dims
      - .offset:         224
        .size:           8
        .value_kind:     hidden_hostcall_buffer
    .group_segment_fixed_size: 0
    .kernarg_segment_align: 8
    .kernarg_segment_size: 400
    .language:       OpenCL C
    .language_version:
      - 2
      - 0
    .max_flat_workgroup_size: 256
    .name:           _Z39paged_attention_ll4mi_QKV_mfma16_kernelI14__hip_bfloat16hLN4vllm18Fp8KVCacheDataTypeE1ES0_Li32ELi128ELi256ELb1ELi16EEvPKT_PKT0_S8_ifPKiSA_SA_iPKfiiiPfSD_PS3_PT2_iSC_SC_
    .private_segment_fixed_size: 64
    .sgpr_count:     36
    .sgpr_spill_count: 0
    .symbol:         _Z39paged_attention_ll4mi_QKV_mfma16_kernelI14__hip_bfloat16hLN4vllm18Fp8KVCacheDataTypeE1ES0_Li32ELi128ELi256ELb1ELi16EEvPKT_PKT0_S8_ifPKiSA_SA_iPKfiiiPfSD_PS3_PT2_iSC_SC_.kd
    .uniform_work_group_size: 1
    .uses_dynamic_stack: false
    .vgpr_count:     51
    .vgpr_spill_count: 0
    .wavefront_size: 32
  - .args:
      - .actual_access:  read_only
        .address_space:  global
        .offset:         0
        .size:           8
        .value_kind:     global_buffer
      - .actual_access:  read_only
        .address_space:  global
        .offset:         8
        .size:           8
        .value_kind:     global_buffer
      - .actual_access:  read_only
        .address_space:  global
        .offset:         16
        .size:           8
        .value_kind:     global_buffer
      - .offset:         24
        .size:           4
        .value_kind:     by_value
      - .offset:         28
        .size:           4
        .value_kind:     by_value
      - .actual_access:  read_only
        .address_space:  global
        .offset:         32
        .size:           8
        .value_kind:     global_buffer
      - .actual_access:  read_only
        .address_space:  global
        .offset:         40
        .size:           8
        .value_kind:     global_buffer
      - .actual_access:  read_only
        .address_space:  global
        .offset:         48
        .size:           8
        .value_kind:     global_buffer
      - .offset:         56
        .size:           4
        .value_kind:     by_value
      - .actual_access:  read_only
        .address_space:  global
        .offset:         64
        .size:           8
        .value_kind:     global_buffer
      - .offset:         72
        .size:           4
        .value_kind:     by_value
      - .offset:         76
        .size:           4
        .value_kind:     by_value
      - .offset:         80
        .size:           4
        .value_kind:     by_value
      - .actual_access:  read_only
        .address_space:  global
        .offset:         88
        .size:           8
        .value_kind:     global_buffer
      - .actual_access:  read_only
        .address_space:  global
        .offset:         96
        .size:           8
        .value_kind:     global_buffer
      - .actual_access:  read_only
        .address_space:  global
        .offset:         104
        .size:           8
        .value_kind:     global_buffer
      - .actual_access:  read_only
        .address_space:  global
        .offset:         112
        .size:           8
        .value_kind:     global_buffer
      - .offset:         120
        .size:           4
        .value_kind:     by_value
      - .address_space:  global
        .offset:         128
        .size:           8
        .value_kind:     global_buffer
      - .address_space:  global
        .offset:         136
        .size:           8
        .value_kind:     global_buffer
      - .offset:         144
        .size:           4
        .value_kind:     hidden_block_count_x
      - .offset:         148
        .size:           4
        .value_kind:     hidden_block_count_y
      - .offset:         152
        .size:           4
        .value_kind:     hidden_block_count_z
      - .offset:         156
        .size:           2
        .value_kind:     hidden_group_size_x
      - .offset:         158
        .size:           2
        .value_kind:     hidden_group_size_y
      - .offset:         160
        .size:           2
        .value_kind:     hidden_group_size_z
      - .offset:         162
        .size:           2
        .value_kind:     hidden_remainder_x
      - .offset:         164
        .size:           2
        .value_kind:     hidden_remainder_y
      - .offset:         166
        .size:           2
        .value_kind:     hidden_remainder_z
      - .offset:         184
        .size:           8
        .value_kind:     hidden_global_offset_x
      - .offset:         192
        .size:           8
        .value_kind:     hidden_global_offset_y
      - .offset:         200
        .size:           8
        .value_kind:     hidden_global_offset_z
      - .offset:         208
        .size:           2
        .value_kind:     hidden_grid_dims
      - .offset:         224
        .size:           8
        .value_kind:     hidden_hostcall_buffer
    .group_segment_fixed_size: 0
    .kernarg_segment_align: 8
    .kernarg_segment_size: 400
    .language:       OpenCL C
    .language_version:
      - 2
      - 0
    .max_flat_workgroup_size: 256
    .name:           _Z39paged_attention_ll4mi_QKV_mfma16_kernelI14__hip_bfloat16hLN4vllm18Fp8KVCacheDataTypeE1ES0_Li32ELi128ELi256ELb1ELi1EEvPKT_PKT0_S8_ifPKiSA_SA_iPKfiiiPfSD_PS3_PT2_iSC_SC_
    .private_segment_fixed_size: 64
    .sgpr_count:     36
    .sgpr_spill_count: 0
    .symbol:         _Z39paged_attention_ll4mi_QKV_mfma16_kernelI14__hip_bfloat16hLN4vllm18Fp8KVCacheDataTypeE1ES0_Li32ELi128ELi256ELb1ELi1EEvPKT_PKT0_S8_ifPKiSA_SA_iPKfiiiPfSD_PS3_PT2_iSC_SC_.kd
    .uniform_work_group_size: 1
    .uses_dynamic_stack: false
    .vgpr_count:     51
    .vgpr_spill_count: 0
    .wavefront_size: 32
  - .args:
      - .actual_access:  read_only
        .address_space:  global
        .offset:         0
        .size:           8
        .value_kind:     global_buffer
      - .actual_access:  read_only
        .address_space:  global
        .offset:         8
        .size:           8
        .value_kind:     global_buffer
      - .actual_access:  read_only
        .address_space:  global
        .offset:         16
        .size:           8
        .value_kind:     global_buffer
      - .offset:         24
        .size:           4
        .value_kind:     by_value
      - .offset:         28
        .size:           4
        .value_kind:     by_value
      - .actual_access:  read_only
        .address_space:  global
        .offset:         32
        .size:           8
        .value_kind:     global_buffer
      - .actual_access:  read_only
        .address_space:  global
        .offset:         40
        .size:           8
        .value_kind:     global_buffer
      - .actual_access:  read_only
        .address_space:  global
        .offset:         48
        .size:           8
        .value_kind:     global_buffer
      - .offset:         56
        .size:           4
        .value_kind:     by_value
      - .actual_access:  read_only
        .address_space:  global
        .offset:         64
        .size:           8
        .value_kind:     global_buffer
      - .offset:         72
        .size:           4
        .value_kind:     by_value
      - .offset:         76
        .size:           4
        .value_kind:     by_value
      - .offset:         80
        .size:           4
        .value_kind:     by_value
      - .actual_access:  read_only
        .address_space:  global
        .offset:         88
        .size:           8
        .value_kind:     global_buffer
      - .actual_access:  read_only
        .address_space:  global
        .offset:         96
        .size:           8
        .value_kind:     global_buffer
      - .actual_access:  read_only
        .address_space:  global
        .offset:         104
        .size:           8
        .value_kind:     global_buffer
      - .actual_access:  read_only
        .address_space:  global
        .offset:         112
        .size:           8
        .value_kind:     global_buffer
      - .offset:         120
        .size:           4
        .value_kind:     by_value
      - .address_space:  global
        .offset:         128
        .size:           8
        .value_kind:     global_buffer
      - .address_space:  global
        .offset:         136
        .size:           8
        .value_kind:     global_buffer
      - .offset:         144
        .size:           4
        .value_kind:     hidden_block_count_x
      - .offset:         148
        .size:           4
        .value_kind:     hidden_block_count_y
      - .offset:         152
        .size:           4
        .value_kind:     hidden_block_count_z
      - .offset:         156
        .size:           2
        .value_kind:     hidden_group_size_x
      - .offset:         158
        .size:           2
        .value_kind:     hidden_group_size_y
      - .offset:         160
        .size:           2
        .value_kind:     hidden_group_size_z
      - .offset:         162
        .size:           2
        .value_kind:     hidden_remainder_x
      - .offset:         164
        .size:           2
        .value_kind:     hidden_remainder_y
      - .offset:         166
        .size:           2
        .value_kind:     hidden_remainder_z
      - .offset:         184
        .size:           8
        .value_kind:     hidden_global_offset_x
      - .offset:         192
        .size:           8
        .value_kind:     hidden_global_offset_y
      - .offset:         200
        .size:           8
        .value_kind:     hidden_global_offset_z
      - .offset:         208
        .size:           2
        .value_kind:     hidden_grid_dims
      - .offset:         224
        .size:           8
        .value_kind:     hidden_hostcall_buffer
    .group_segment_fixed_size: 0
    .kernarg_segment_align: 8
    .kernarg_segment_size: 400
    .language:       OpenCL C
    .language_version:
      - 2
      - 0
    .max_flat_workgroup_size: 256
    .name:           _Z39paged_attention_ll4mi_QKV_mfma16_kernelI14__hip_bfloat16hLN4vllm18Fp8KVCacheDataTypeE1ES0_Li32ELi128ELi256ELb1ELi2EEvPKT_PKT0_S8_ifPKiSA_SA_iPKfiiiPfSD_PS3_PT2_iSC_SC_
    .private_segment_fixed_size: 64
    .sgpr_count:     36
    .sgpr_spill_count: 0
    .symbol:         _Z39paged_attention_ll4mi_QKV_mfma16_kernelI14__hip_bfloat16hLN4vllm18Fp8KVCacheDataTypeE1ES0_Li32ELi128ELi256ELb1ELi2EEvPKT_PKT0_S8_ifPKiSA_SA_iPKfiiiPfSD_PS3_PT2_iSC_SC_.kd
    .uniform_work_group_size: 1
    .uses_dynamic_stack: false
    .vgpr_count:     51
    .vgpr_spill_count: 0
    .wavefront_size: 32
  - .args:
      - .actual_access:  read_only
        .address_space:  global
        .offset:         0
        .size:           8
        .value_kind:     global_buffer
      - .actual_access:  read_only
        .address_space:  global
        .offset:         8
        .size:           8
        .value_kind:     global_buffer
      - .actual_access:  read_only
        .address_space:  global
        .offset:         16
        .size:           8
        .value_kind:     global_buffer
      - .offset:         24
        .size:           4
        .value_kind:     by_value
      - .offset:         28
        .size:           4
        .value_kind:     by_value
      - .actual_access:  read_only
        .address_space:  global
        .offset:         32
        .size:           8
        .value_kind:     global_buffer
      - .actual_access:  read_only
        .address_space:  global
        .offset:         40
        .size:           8
        .value_kind:     global_buffer
      - .actual_access:  read_only
        .address_space:  global
        .offset:         48
        .size:           8
        .value_kind:     global_buffer
      - .offset:         56
        .size:           4
        .value_kind:     by_value
      - .actual_access:  read_only
        .address_space:  global
        .offset:         64
        .size:           8
        .value_kind:     global_buffer
      - .offset:         72
        .size:           4
        .value_kind:     by_value
      - .offset:         76
        .size:           4
        .value_kind:     by_value
      - .offset:         80
        .size:           4
        .value_kind:     by_value
      - .actual_access:  read_only
        .address_space:  global
        .offset:         88
        .size:           8
        .value_kind:     global_buffer
      - .actual_access:  read_only
        .address_space:  global
        .offset:         96
        .size:           8
        .value_kind:     global_buffer
      - .actual_access:  read_only
        .address_space:  global
        .offset:         104
        .size:           8
        .value_kind:     global_buffer
      - .actual_access:  read_only
        .address_space:  global
        .offset:         112
        .size:           8
        .value_kind:     global_buffer
      - .offset:         120
        .size:           4
        .value_kind:     by_value
      - .address_space:  global
        .offset:         128
        .size:           8
        .value_kind:     global_buffer
      - .address_space:  global
        .offset:         136
        .size:           8
        .value_kind:     global_buffer
      - .offset:         144
        .size:           4
        .value_kind:     hidden_block_count_x
      - .offset:         148
        .size:           4
        .value_kind:     hidden_block_count_y
      - .offset:         152
        .size:           4
        .value_kind:     hidden_block_count_z
      - .offset:         156
        .size:           2
        .value_kind:     hidden_group_size_x
      - .offset:         158
        .size:           2
        .value_kind:     hidden_group_size_y
      - .offset:         160
        .size:           2
        .value_kind:     hidden_group_size_z
      - .offset:         162
        .size:           2
        .value_kind:     hidden_remainder_x
      - .offset:         164
        .size:           2
        .value_kind:     hidden_remainder_y
      - .offset:         166
        .size:           2
        .value_kind:     hidden_remainder_z
      - .offset:         184
        .size:           8
        .value_kind:     hidden_global_offset_x
      - .offset:         192
        .size:           8
        .value_kind:     hidden_global_offset_y
      - .offset:         200
        .size:           8
        .value_kind:     hidden_global_offset_z
      - .offset:         208
        .size:           2
        .value_kind:     hidden_grid_dims
      - .offset:         224
        .size:           8
        .value_kind:     hidden_hostcall_buffer
    .group_segment_fixed_size: 0
    .kernarg_segment_align: 8
    .kernarg_segment_size: 400
    .language:       OpenCL C
    .language_version:
      - 2
      - 0
    .max_flat_workgroup_size: 256
    .name:           _Z39paged_attention_ll4mi_QKV_mfma16_kernelI14__hip_bfloat16hLN4vllm18Fp8KVCacheDataTypeE1ES0_Li32ELi128ELi256ELb1ELi3EEvPKT_PKT0_S8_ifPKiSA_SA_iPKfiiiPfSD_PS3_PT2_iSC_SC_
    .private_segment_fixed_size: 64
    .sgpr_count:     36
    .sgpr_spill_count: 0
    .symbol:         _Z39paged_attention_ll4mi_QKV_mfma16_kernelI14__hip_bfloat16hLN4vllm18Fp8KVCacheDataTypeE1ES0_Li32ELi128ELi256ELb1ELi3EEvPKT_PKT0_S8_ifPKiSA_SA_iPKfiiiPfSD_PS3_PT2_iSC_SC_.kd
    .uniform_work_group_size: 1
    .uses_dynamic_stack: false
    .vgpr_count:     51
    .vgpr_spill_count: 0
    .wavefront_size: 32
  - .args:
      - .actual_access:  read_only
        .address_space:  global
        .offset:         0
        .size:           8
        .value_kind:     global_buffer
      - .actual_access:  read_only
        .address_space:  global
        .offset:         8
        .size:           8
        .value_kind:     global_buffer
      - .actual_access:  read_only
        .address_space:  global
        .offset:         16
        .size:           8
        .value_kind:     global_buffer
      - .offset:         24
        .size:           4
        .value_kind:     by_value
      - .offset:         28
        .size:           4
        .value_kind:     by_value
      - .actual_access:  read_only
        .address_space:  global
        .offset:         32
        .size:           8
        .value_kind:     global_buffer
      - .actual_access:  read_only
        .address_space:  global
        .offset:         40
        .size:           8
        .value_kind:     global_buffer
      - .actual_access:  read_only
        .address_space:  global
        .offset:         48
        .size:           8
        .value_kind:     global_buffer
      - .offset:         56
        .size:           4
        .value_kind:     by_value
      - .actual_access:  read_only
        .address_space:  global
        .offset:         64
        .size:           8
        .value_kind:     global_buffer
      - .offset:         72
        .size:           4
        .value_kind:     by_value
      - .offset:         76
        .size:           4
        .value_kind:     by_value
      - .offset:         80
        .size:           4
        .value_kind:     by_value
      - .actual_access:  read_only
        .address_space:  global
        .offset:         88
        .size:           8
        .value_kind:     global_buffer
      - .actual_access:  read_only
        .address_space:  global
        .offset:         96
        .size:           8
        .value_kind:     global_buffer
      - .actual_access:  read_only
        .address_space:  global
        .offset:         104
        .size:           8
        .value_kind:     global_buffer
      - .actual_access:  read_only
        .address_space:  global
        .offset:         112
        .size:           8
        .value_kind:     global_buffer
      - .offset:         120
        .size:           4
        .value_kind:     by_value
      - .address_space:  global
        .offset:         128
        .size:           8
        .value_kind:     global_buffer
      - .address_space:  global
        .offset:         136
        .size:           8
        .value_kind:     global_buffer
      - .offset:         144
        .size:           4
        .value_kind:     hidden_block_count_x
      - .offset:         148
        .size:           4
        .value_kind:     hidden_block_count_y
      - .offset:         152
        .size:           4
        .value_kind:     hidden_block_count_z
      - .offset:         156
        .size:           2
        .value_kind:     hidden_group_size_x
      - .offset:         158
        .size:           2
        .value_kind:     hidden_group_size_y
      - .offset:         160
        .size:           2
        .value_kind:     hidden_group_size_z
      - .offset:         162
        .size:           2
        .value_kind:     hidden_remainder_x
      - .offset:         164
        .size:           2
        .value_kind:     hidden_remainder_y
      - .offset:         166
        .size:           2
        .value_kind:     hidden_remainder_z
      - .offset:         184
        .size:           8
        .value_kind:     hidden_global_offset_x
      - .offset:         192
        .size:           8
        .value_kind:     hidden_global_offset_y
      - .offset:         200
        .size:           8
        .value_kind:     hidden_global_offset_z
      - .offset:         208
        .size:           2
        .value_kind:     hidden_grid_dims
      - .offset:         224
        .size:           8
        .value_kind:     hidden_hostcall_buffer
    .group_segment_fixed_size: 0
    .kernarg_segment_align: 8
    .kernarg_segment_size: 400
    .language:       OpenCL C
    .language_version:
      - 2
      - 0
    .max_flat_workgroup_size: 256
    .name:           _Z39paged_attention_ll4mi_QKV_mfma16_kernelI14__hip_bfloat16hLN4vllm18Fp8KVCacheDataTypeE1ES0_Li32ELi128ELi256ELb1ELi4EEvPKT_PKT0_S8_ifPKiSA_SA_iPKfiiiPfSD_PS3_PT2_iSC_SC_
    .private_segment_fixed_size: 64
    .sgpr_count:     36
    .sgpr_spill_count: 0
    .symbol:         _Z39paged_attention_ll4mi_QKV_mfma16_kernelI14__hip_bfloat16hLN4vllm18Fp8KVCacheDataTypeE1ES0_Li32ELi128ELi256ELb1ELi4EEvPKT_PKT0_S8_ifPKiSA_SA_iPKfiiiPfSD_PS3_PT2_iSC_SC_.kd
    .uniform_work_group_size: 1
    .uses_dynamic_stack: false
    .vgpr_count:     51
    .vgpr_spill_count: 0
    .wavefront_size: 32
  - .args:
      - .actual_access:  read_only
        .address_space:  global
        .offset:         0
        .size:           8
        .value_kind:     global_buffer
      - .actual_access:  read_only
        .address_space:  global
        .offset:         8
        .size:           8
        .value_kind:     global_buffer
      - .actual_access:  read_only
        .address_space:  global
        .offset:         16
        .size:           8
        .value_kind:     global_buffer
      - .offset:         24
        .size:           4
        .value_kind:     by_value
      - .offset:         28
        .size:           4
        .value_kind:     by_value
      - .actual_access:  read_only
        .address_space:  global
        .offset:         32
        .size:           8
        .value_kind:     global_buffer
      - .actual_access:  read_only
        .address_space:  global
        .offset:         40
        .size:           8
        .value_kind:     global_buffer
      - .actual_access:  read_only
        .address_space:  global
        .offset:         48
        .size:           8
        .value_kind:     global_buffer
      - .offset:         56
        .size:           4
        .value_kind:     by_value
      - .actual_access:  read_only
        .address_space:  global
        .offset:         64
        .size:           8
        .value_kind:     global_buffer
      - .offset:         72
        .size:           4
        .value_kind:     by_value
      - .offset:         76
        .size:           4
        .value_kind:     by_value
      - .offset:         80
        .size:           4
        .value_kind:     by_value
      - .actual_access:  read_only
        .address_space:  global
        .offset:         88
        .size:           8
        .value_kind:     global_buffer
      - .actual_access:  read_only
        .address_space:  global
        .offset:         96
        .size:           8
        .value_kind:     global_buffer
      - .actual_access:  read_only
        .address_space:  global
        .offset:         104
        .size:           8
        .value_kind:     global_buffer
      - .actual_access:  read_only
        .address_space:  global
        .offset:         112
        .size:           8
        .value_kind:     global_buffer
      - .offset:         120
        .size:           4
        .value_kind:     by_value
      - .address_space:  global
        .offset:         128
        .size:           8
        .value_kind:     global_buffer
      - .address_space:  global
        .offset:         136
        .size:           8
        .value_kind:     global_buffer
      - .offset:         144
        .size:           4
        .value_kind:     hidden_block_count_x
      - .offset:         148
        .size:           4
        .value_kind:     hidden_block_count_y
      - .offset:         152
        .size:           4
        .value_kind:     hidden_block_count_z
      - .offset:         156
        .size:           2
        .value_kind:     hidden_group_size_x
      - .offset:         158
        .size:           2
        .value_kind:     hidden_group_size_y
      - .offset:         160
        .size:           2
        .value_kind:     hidden_group_size_z
      - .offset:         162
        .size:           2
        .value_kind:     hidden_remainder_x
      - .offset:         164
        .size:           2
        .value_kind:     hidden_remainder_y
      - .offset:         166
        .size:           2
        .value_kind:     hidden_remainder_z
      - .offset:         184
        .size:           8
        .value_kind:     hidden_global_offset_x
      - .offset:         192
        .size:           8
        .value_kind:     hidden_global_offset_y
      - .offset:         200
        .size:           8
        .value_kind:     hidden_global_offset_z
      - .offset:         208
        .size:           2
        .value_kind:     hidden_grid_dims
      - .offset:         224
        .size:           8
        .value_kind:     hidden_hostcall_buffer
    .group_segment_fixed_size: 0
    .kernarg_segment_align: 8
    .kernarg_segment_size: 400
    .language:       OpenCL C
    .language_version:
      - 2
      - 0
    .max_flat_workgroup_size: 256
    .name:           _Z38paged_attention_ll4mi_QKV_mfma4_kernelI14__hip_bfloat16hLN4vllm18Fp8KVCacheDataTypeE1ES0_Li32ELi128ELi256ELb0ELi1EEvPKT_PKT0_S8_ifPKiSA_SA_iPKfiiiPfSD_PS3_PT2_iSC_SC_
    .private_segment_fixed_size: 64
    .sgpr_count:     36
    .sgpr_spill_count: 0
    .symbol:         _Z38paged_attention_ll4mi_QKV_mfma4_kernelI14__hip_bfloat16hLN4vllm18Fp8KVCacheDataTypeE1ES0_Li32ELi128ELi256ELb0ELi1EEvPKT_PKT0_S8_ifPKiSA_SA_iPKfiiiPfSD_PS3_PT2_iSC_SC_.kd
    .uniform_work_group_size: 1
    .uses_dynamic_stack: false
    .vgpr_count:     51
    .vgpr_spill_count: 0
    .wavefront_size: 32
  - .args:
      - .actual_access:  read_only
        .address_space:  global
        .offset:         0
        .size:           8
        .value_kind:     global_buffer
      - .actual_access:  read_only
        .address_space:  global
        .offset:         8
        .size:           8
        .value_kind:     global_buffer
      - .actual_access:  read_only
        .address_space:  global
        .offset:         16
        .size:           8
        .value_kind:     global_buffer
      - .offset:         24
        .size:           4
        .value_kind:     by_value
      - .offset:         28
        .size:           4
        .value_kind:     by_value
      - .actual_access:  read_only
        .address_space:  global
        .offset:         32
        .size:           8
        .value_kind:     global_buffer
      - .actual_access:  read_only
        .address_space:  global
        .offset:         40
        .size:           8
        .value_kind:     global_buffer
      - .actual_access:  read_only
        .address_space:  global
        .offset:         48
        .size:           8
        .value_kind:     global_buffer
      - .offset:         56
        .size:           4
        .value_kind:     by_value
      - .actual_access:  read_only
        .address_space:  global
        .offset:         64
        .size:           8
        .value_kind:     global_buffer
      - .offset:         72
        .size:           4
        .value_kind:     by_value
      - .offset:         76
        .size:           4
        .value_kind:     by_value
      - .offset:         80
        .size:           4
        .value_kind:     by_value
      - .actual_access:  read_only
        .address_space:  global
        .offset:         88
        .size:           8
        .value_kind:     global_buffer
      - .actual_access:  read_only
        .address_space:  global
        .offset:         96
        .size:           8
        .value_kind:     global_buffer
      - .actual_access:  read_only
        .address_space:  global
        .offset:         104
        .size:           8
        .value_kind:     global_buffer
      - .actual_access:  read_only
        .address_space:  global
        .offset:         112
        .size:           8
        .value_kind:     global_buffer
      - .offset:         120
        .size:           4
        .value_kind:     by_value
      - .address_space:  global
        .offset:         128
        .size:           8
        .value_kind:     global_buffer
      - .address_space:  global
        .offset:         136
        .size:           8
        .value_kind:     global_buffer
      - .offset:         144
        .size:           4
        .value_kind:     hidden_block_count_x
      - .offset:         148
        .size:           4
        .value_kind:     hidden_block_count_y
      - .offset:         152
        .size:           4
        .value_kind:     hidden_block_count_z
      - .offset:         156
        .size:           2
        .value_kind:     hidden_group_size_x
      - .offset:         158
        .size:           2
        .value_kind:     hidden_group_size_y
      - .offset:         160
        .size:           2
        .value_kind:     hidden_group_size_z
      - .offset:         162
        .size:           2
        .value_kind:     hidden_remainder_x
      - .offset:         164
        .size:           2
        .value_kind:     hidden_remainder_y
      - .offset:         166
        .size:           2
        .value_kind:     hidden_remainder_z
      - .offset:         184
        .size:           8
        .value_kind:     hidden_global_offset_x
      - .offset:         192
        .size:           8
        .value_kind:     hidden_global_offset_y
      - .offset:         200
        .size:           8
        .value_kind:     hidden_global_offset_z
      - .offset:         208
        .size:           2
        .value_kind:     hidden_grid_dims
      - .offset:         224
        .size:           8
        .value_kind:     hidden_hostcall_buffer
    .group_segment_fixed_size: 0
    .kernarg_segment_align: 8
    .kernarg_segment_size: 400
    .language:       OpenCL C
    .language_version:
      - 2
      - 0
    .max_flat_workgroup_size: 256
    .name:           _Z38paged_attention_ll4mi_QKV_mfma4_kernelI14__hip_bfloat16hLN4vllm18Fp8KVCacheDataTypeE1ES0_Li32ELi128ELi256ELb0ELi2EEvPKT_PKT0_S8_ifPKiSA_SA_iPKfiiiPfSD_PS3_PT2_iSC_SC_
    .private_segment_fixed_size: 64
    .sgpr_count:     36
    .sgpr_spill_count: 0
    .symbol:         _Z38paged_attention_ll4mi_QKV_mfma4_kernelI14__hip_bfloat16hLN4vllm18Fp8KVCacheDataTypeE1ES0_Li32ELi128ELi256ELb0ELi2EEvPKT_PKT0_S8_ifPKiSA_SA_iPKfiiiPfSD_PS3_PT2_iSC_SC_.kd
    .uniform_work_group_size: 1
    .uses_dynamic_stack: false
    .vgpr_count:     51
    .vgpr_spill_count: 0
    .wavefront_size: 32
  - .args:
      - .actual_access:  read_only
        .address_space:  global
        .offset:         0
        .size:           8
        .value_kind:     global_buffer
      - .actual_access:  read_only
        .address_space:  global
        .offset:         8
        .size:           8
        .value_kind:     global_buffer
      - .actual_access:  read_only
        .address_space:  global
        .offset:         16
        .size:           8
        .value_kind:     global_buffer
      - .offset:         24
        .size:           4
        .value_kind:     by_value
      - .offset:         28
        .size:           4
        .value_kind:     by_value
      - .actual_access:  read_only
        .address_space:  global
        .offset:         32
        .size:           8
        .value_kind:     global_buffer
      - .actual_access:  read_only
        .address_space:  global
        .offset:         40
        .size:           8
        .value_kind:     global_buffer
      - .actual_access:  read_only
        .address_space:  global
        .offset:         48
        .size:           8
        .value_kind:     global_buffer
      - .offset:         56
        .size:           4
        .value_kind:     by_value
      - .actual_access:  read_only
        .address_space:  global
        .offset:         64
        .size:           8
        .value_kind:     global_buffer
      - .offset:         72
        .size:           4
        .value_kind:     by_value
      - .offset:         76
        .size:           4
        .value_kind:     by_value
      - .offset:         80
        .size:           4
        .value_kind:     by_value
      - .actual_access:  read_only
        .address_space:  global
        .offset:         88
        .size:           8
        .value_kind:     global_buffer
      - .actual_access:  read_only
        .address_space:  global
        .offset:         96
        .size:           8
        .value_kind:     global_buffer
      - .actual_access:  read_only
        .address_space:  global
        .offset:         104
        .size:           8
        .value_kind:     global_buffer
      - .actual_access:  read_only
        .address_space:  global
        .offset:         112
        .size:           8
        .value_kind:     global_buffer
      - .offset:         120
        .size:           4
        .value_kind:     by_value
      - .address_space:  global
        .offset:         128
        .size:           8
        .value_kind:     global_buffer
      - .address_space:  global
        .offset:         136
        .size:           8
        .value_kind:     global_buffer
      - .offset:         144
        .size:           4
        .value_kind:     hidden_block_count_x
      - .offset:         148
        .size:           4
        .value_kind:     hidden_block_count_y
      - .offset:         152
        .size:           4
        .value_kind:     hidden_block_count_z
      - .offset:         156
        .size:           2
        .value_kind:     hidden_group_size_x
      - .offset:         158
        .size:           2
        .value_kind:     hidden_group_size_y
      - .offset:         160
        .size:           2
        .value_kind:     hidden_group_size_z
      - .offset:         162
        .size:           2
        .value_kind:     hidden_remainder_x
      - .offset:         164
        .size:           2
        .value_kind:     hidden_remainder_y
      - .offset:         166
        .size:           2
        .value_kind:     hidden_remainder_z
      - .offset:         184
        .size:           8
        .value_kind:     hidden_global_offset_x
      - .offset:         192
        .size:           8
        .value_kind:     hidden_global_offset_y
      - .offset:         200
        .size:           8
        .value_kind:     hidden_global_offset_z
      - .offset:         208
        .size:           2
        .value_kind:     hidden_grid_dims
      - .offset:         224
        .size:           8
        .value_kind:     hidden_hostcall_buffer
    .group_segment_fixed_size: 0
    .kernarg_segment_align: 8
    .kernarg_segment_size: 400
    .language:       OpenCL C
    .language_version:
      - 2
      - 0
    .max_flat_workgroup_size: 256
    .name:           _Z38paged_attention_ll4mi_QKV_mfma4_kernelI14__hip_bfloat16hLN4vllm18Fp8KVCacheDataTypeE1ES0_Li32ELi128ELi256ELb0ELi3EEvPKT_PKT0_S8_ifPKiSA_SA_iPKfiiiPfSD_PS3_PT2_iSC_SC_
    .private_segment_fixed_size: 64
    .sgpr_count:     36
    .sgpr_spill_count: 0
    .symbol:         _Z38paged_attention_ll4mi_QKV_mfma4_kernelI14__hip_bfloat16hLN4vllm18Fp8KVCacheDataTypeE1ES0_Li32ELi128ELi256ELb0ELi3EEvPKT_PKT0_S8_ifPKiSA_SA_iPKfiiiPfSD_PS3_PT2_iSC_SC_.kd
    .uniform_work_group_size: 1
    .uses_dynamic_stack: false
    .vgpr_count:     51
    .vgpr_spill_count: 0
    .wavefront_size: 32
  - .args:
      - .actual_access:  read_only
        .address_space:  global
        .offset:         0
        .size:           8
        .value_kind:     global_buffer
      - .actual_access:  read_only
        .address_space:  global
        .offset:         8
        .size:           8
        .value_kind:     global_buffer
      - .actual_access:  read_only
        .address_space:  global
        .offset:         16
        .size:           8
        .value_kind:     global_buffer
      - .offset:         24
        .size:           4
        .value_kind:     by_value
      - .offset:         28
        .size:           4
        .value_kind:     by_value
      - .actual_access:  read_only
        .address_space:  global
        .offset:         32
        .size:           8
        .value_kind:     global_buffer
      - .actual_access:  read_only
        .address_space:  global
        .offset:         40
        .size:           8
        .value_kind:     global_buffer
      - .actual_access:  read_only
        .address_space:  global
        .offset:         48
        .size:           8
        .value_kind:     global_buffer
      - .offset:         56
        .size:           4
        .value_kind:     by_value
      - .actual_access:  read_only
        .address_space:  global
        .offset:         64
        .size:           8
        .value_kind:     global_buffer
      - .offset:         72
        .size:           4
        .value_kind:     by_value
      - .offset:         76
        .size:           4
        .value_kind:     by_value
      - .offset:         80
        .size:           4
        .value_kind:     by_value
      - .actual_access:  read_only
        .address_space:  global
        .offset:         88
        .size:           8
        .value_kind:     global_buffer
      - .actual_access:  read_only
        .address_space:  global
        .offset:         96
        .size:           8
        .value_kind:     global_buffer
      - .actual_access:  read_only
        .address_space:  global
        .offset:         104
        .size:           8
        .value_kind:     global_buffer
      - .actual_access:  read_only
        .address_space:  global
        .offset:         112
        .size:           8
        .value_kind:     global_buffer
      - .offset:         120
        .size:           4
        .value_kind:     by_value
      - .address_space:  global
        .offset:         128
        .size:           8
        .value_kind:     global_buffer
      - .address_space:  global
        .offset:         136
        .size:           8
        .value_kind:     global_buffer
      - .offset:         144
        .size:           4
        .value_kind:     hidden_block_count_x
      - .offset:         148
        .size:           4
        .value_kind:     hidden_block_count_y
      - .offset:         152
        .size:           4
        .value_kind:     hidden_block_count_z
      - .offset:         156
        .size:           2
        .value_kind:     hidden_group_size_x
      - .offset:         158
        .size:           2
        .value_kind:     hidden_group_size_y
      - .offset:         160
        .size:           2
        .value_kind:     hidden_group_size_z
      - .offset:         162
        .size:           2
        .value_kind:     hidden_remainder_x
      - .offset:         164
        .size:           2
        .value_kind:     hidden_remainder_y
      - .offset:         166
        .size:           2
        .value_kind:     hidden_remainder_z
      - .offset:         184
        .size:           8
        .value_kind:     hidden_global_offset_x
      - .offset:         192
        .size:           8
        .value_kind:     hidden_global_offset_y
      - .offset:         200
        .size:           8
        .value_kind:     hidden_global_offset_z
      - .offset:         208
        .size:           2
        .value_kind:     hidden_grid_dims
      - .offset:         224
        .size:           8
        .value_kind:     hidden_hostcall_buffer
    .group_segment_fixed_size: 0
    .kernarg_segment_align: 8
    .kernarg_segment_size: 400
    .language:       OpenCL C
    .language_version:
      - 2
      - 0
    .max_flat_workgroup_size: 256
    .name:           _Z38paged_attention_ll4mi_QKV_mfma4_kernelI14__hip_bfloat16hLN4vllm18Fp8KVCacheDataTypeE1ES0_Li32ELi128ELi256ELb0ELi4EEvPKT_PKT0_S8_ifPKiSA_SA_iPKfiiiPfSD_PS3_PT2_iSC_SC_
    .private_segment_fixed_size: 64
    .sgpr_count:     36
    .sgpr_spill_count: 0
    .symbol:         _Z38paged_attention_ll4mi_QKV_mfma4_kernelI14__hip_bfloat16hLN4vllm18Fp8KVCacheDataTypeE1ES0_Li32ELi128ELi256ELb0ELi4EEvPKT_PKT0_S8_ifPKiSA_SA_iPKfiiiPfSD_PS3_PT2_iSC_SC_.kd
    .uniform_work_group_size: 1
    .uses_dynamic_stack: false
    .vgpr_count:     51
    .vgpr_spill_count: 0
    .wavefront_size: 32
  - .args:
      - .actual_access:  read_only
        .address_space:  global
        .offset:         0
        .size:           8
        .value_kind:     global_buffer
      - .actual_access:  read_only
        .address_space:  global
        .offset:         8
        .size:           8
        .value_kind:     global_buffer
      - .actual_access:  read_only
        .address_space:  global
        .offset:         16
        .size:           8
        .value_kind:     global_buffer
      - .offset:         24
        .size:           4
        .value_kind:     by_value
      - .offset:         28
        .size:           4
        .value_kind:     by_value
      - .actual_access:  read_only
        .address_space:  global
        .offset:         32
        .size:           8
        .value_kind:     global_buffer
      - .actual_access:  read_only
        .address_space:  global
        .offset:         40
        .size:           8
        .value_kind:     global_buffer
      - .actual_access:  read_only
        .address_space:  global
        .offset:         48
        .size:           8
        .value_kind:     global_buffer
      - .offset:         56
        .size:           4
        .value_kind:     by_value
      - .actual_access:  read_only
        .address_space:  global
        .offset:         64
        .size:           8
        .value_kind:     global_buffer
      - .offset:         72
        .size:           4
        .value_kind:     by_value
      - .offset:         76
        .size:           4
        .value_kind:     by_value
      - .offset:         80
        .size:           4
        .value_kind:     by_value
      - .actual_access:  read_only
        .address_space:  global
        .offset:         88
        .size:           8
        .value_kind:     global_buffer
      - .actual_access:  read_only
        .address_space:  global
        .offset:         96
        .size:           8
        .value_kind:     global_buffer
      - .actual_access:  read_only
        .address_space:  global
        .offset:         104
        .size:           8
        .value_kind:     global_buffer
      - .actual_access:  read_only
        .address_space:  global
        .offset:         112
        .size:           8
        .value_kind:     global_buffer
      - .offset:         120
        .size:           4
        .value_kind:     by_value
      - .address_space:  global
        .offset:         128
        .size:           8
        .value_kind:     global_buffer
      - .address_space:  global
        .offset:         136
        .size:           8
        .value_kind:     global_buffer
      - .offset:         144
        .size:           4
        .value_kind:     hidden_block_count_x
      - .offset:         148
        .size:           4
        .value_kind:     hidden_block_count_y
      - .offset:         152
        .size:           4
        .value_kind:     hidden_block_count_z
      - .offset:         156
        .size:           2
        .value_kind:     hidden_group_size_x
      - .offset:         158
        .size:           2
        .value_kind:     hidden_group_size_y
      - .offset:         160
        .size:           2
        .value_kind:     hidden_group_size_z
      - .offset:         162
        .size:           2
        .value_kind:     hidden_remainder_x
      - .offset:         164
        .size:           2
        .value_kind:     hidden_remainder_y
      - .offset:         166
        .size:           2
        .value_kind:     hidden_remainder_z
      - .offset:         184
        .size:           8
        .value_kind:     hidden_global_offset_x
      - .offset:         192
        .size:           8
        .value_kind:     hidden_global_offset_y
      - .offset:         200
        .size:           8
        .value_kind:     hidden_global_offset_z
      - .offset:         208
        .size:           2
        .value_kind:     hidden_grid_dims
      - .offset:         224
        .size:           8
        .value_kind:     hidden_hostcall_buffer
    .group_segment_fixed_size: 0
    .kernarg_segment_align: 8
    .kernarg_segment_size: 400
    .language:       OpenCL C
    .language_version:
      - 2
      - 0
    .max_flat_workgroup_size: 256
    .name:           _Z39paged_attention_ll4mi_QKV_mfma16_kernelI14__hip_bfloat16hLN4vllm18Fp8KVCacheDataTypeE1ES0_Li32ELi128ELi256ELb0ELi5EEvPKT_PKT0_S8_ifPKiSA_SA_iPKfiiiPfSD_PS3_PT2_iSC_SC_
    .private_segment_fixed_size: 64
    .sgpr_count:     36
    .sgpr_spill_count: 0
    .symbol:         _Z39paged_attention_ll4mi_QKV_mfma16_kernelI14__hip_bfloat16hLN4vllm18Fp8KVCacheDataTypeE1ES0_Li32ELi128ELi256ELb0ELi5EEvPKT_PKT0_S8_ifPKiSA_SA_iPKfiiiPfSD_PS3_PT2_iSC_SC_.kd
    .uniform_work_group_size: 1
    .uses_dynamic_stack: false
    .vgpr_count:     51
    .vgpr_spill_count: 0
    .wavefront_size: 32
  - .args:
      - .actual_access:  read_only
        .address_space:  global
        .offset:         0
        .size:           8
        .value_kind:     global_buffer
      - .actual_access:  read_only
        .address_space:  global
        .offset:         8
        .size:           8
        .value_kind:     global_buffer
      - .actual_access:  read_only
        .address_space:  global
        .offset:         16
        .size:           8
        .value_kind:     global_buffer
      - .offset:         24
        .size:           4
        .value_kind:     by_value
      - .offset:         28
        .size:           4
        .value_kind:     by_value
      - .actual_access:  read_only
        .address_space:  global
        .offset:         32
        .size:           8
        .value_kind:     global_buffer
      - .actual_access:  read_only
        .address_space:  global
        .offset:         40
        .size:           8
        .value_kind:     global_buffer
      - .actual_access:  read_only
        .address_space:  global
        .offset:         48
        .size:           8
        .value_kind:     global_buffer
      - .offset:         56
        .size:           4
        .value_kind:     by_value
      - .actual_access:  read_only
        .address_space:  global
        .offset:         64
        .size:           8
        .value_kind:     global_buffer
      - .offset:         72
        .size:           4
        .value_kind:     by_value
      - .offset:         76
        .size:           4
        .value_kind:     by_value
      - .offset:         80
        .size:           4
        .value_kind:     by_value
      - .actual_access:  read_only
        .address_space:  global
        .offset:         88
        .size:           8
        .value_kind:     global_buffer
      - .actual_access:  read_only
        .address_space:  global
        .offset:         96
        .size:           8
        .value_kind:     global_buffer
      - .actual_access:  read_only
        .address_space:  global
        .offset:         104
        .size:           8
        .value_kind:     global_buffer
      - .actual_access:  read_only
        .address_space:  global
        .offset:         112
        .size:           8
        .value_kind:     global_buffer
      - .offset:         120
        .size:           4
        .value_kind:     by_value
      - .address_space:  global
        .offset:         128
        .size:           8
        .value_kind:     global_buffer
      - .address_space:  global
        .offset:         136
        .size:           8
        .value_kind:     global_buffer
      - .offset:         144
        .size:           4
        .value_kind:     hidden_block_count_x
      - .offset:         148
        .size:           4
        .value_kind:     hidden_block_count_y
      - .offset:         152
        .size:           4
        .value_kind:     hidden_block_count_z
      - .offset:         156
        .size:           2
        .value_kind:     hidden_group_size_x
      - .offset:         158
        .size:           2
        .value_kind:     hidden_group_size_y
      - .offset:         160
        .size:           2
        .value_kind:     hidden_group_size_z
      - .offset:         162
        .size:           2
        .value_kind:     hidden_remainder_x
      - .offset:         164
        .size:           2
        .value_kind:     hidden_remainder_y
      - .offset:         166
        .size:           2
        .value_kind:     hidden_remainder_z
      - .offset:         184
        .size:           8
        .value_kind:     hidden_global_offset_x
      - .offset:         192
        .size:           8
        .value_kind:     hidden_global_offset_y
      - .offset:         200
        .size:           8
        .value_kind:     hidden_global_offset_z
      - .offset:         208
        .size:           2
        .value_kind:     hidden_grid_dims
      - .offset:         224
        .size:           8
        .value_kind:     hidden_hostcall_buffer
    .group_segment_fixed_size: 0
    .kernarg_segment_align: 8
    .kernarg_segment_size: 400
    .language:       OpenCL C
    .language_version:
      - 2
      - 0
    .max_flat_workgroup_size: 256
    .name:           _Z39paged_attention_ll4mi_QKV_mfma16_kernelI14__hip_bfloat16hLN4vllm18Fp8KVCacheDataTypeE1ES0_Li32ELi128ELi256ELb0ELi6EEvPKT_PKT0_S8_ifPKiSA_SA_iPKfiiiPfSD_PS3_PT2_iSC_SC_
    .private_segment_fixed_size: 64
    .sgpr_count:     36
    .sgpr_spill_count: 0
    .symbol:         _Z39paged_attention_ll4mi_QKV_mfma16_kernelI14__hip_bfloat16hLN4vllm18Fp8KVCacheDataTypeE1ES0_Li32ELi128ELi256ELb0ELi6EEvPKT_PKT0_S8_ifPKiSA_SA_iPKfiiiPfSD_PS3_PT2_iSC_SC_.kd
    .uniform_work_group_size: 1
    .uses_dynamic_stack: false
    .vgpr_count:     51
    .vgpr_spill_count: 0
    .wavefront_size: 32
  - .args:
      - .actual_access:  read_only
        .address_space:  global
        .offset:         0
        .size:           8
        .value_kind:     global_buffer
      - .actual_access:  read_only
        .address_space:  global
        .offset:         8
        .size:           8
        .value_kind:     global_buffer
      - .actual_access:  read_only
        .address_space:  global
        .offset:         16
        .size:           8
        .value_kind:     global_buffer
      - .offset:         24
        .size:           4
        .value_kind:     by_value
      - .offset:         28
        .size:           4
        .value_kind:     by_value
      - .actual_access:  read_only
        .address_space:  global
        .offset:         32
        .size:           8
        .value_kind:     global_buffer
      - .actual_access:  read_only
        .address_space:  global
        .offset:         40
        .size:           8
        .value_kind:     global_buffer
      - .actual_access:  read_only
        .address_space:  global
        .offset:         48
        .size:           8
        .value_kind:     global_buffer
      - .offset:         56
        .size:           4
        .value_kind:     by_value
      - .actual_access:  read_only
        .address_space:  global
        .offset:         64
        .size:           8
        .value_kind:     global_buffer
      - .offset:         72
        .size:           4
        .value_kind:     by_value
      - .offset:         76
        .size:           4
        .value_kind:     by_value
      - .offset:         80
        .size:           4
        .value_kind:     by_value
      - .actual_access:  read_only
        .address_space:  global
        .offset:         88
        .size:           8
        .value_kind:     global_buffer
      - .actual_access:  read_only
        .address_space:  global
        .offset:         96
        .size:           8
        .value_kind:     global_buffer
      - .actual_access:  read_only
        .address_space:  global
        .offset:         104
        .size:           8
        .value_kind:     global_buffer
      - .actual_access:  read_only
        .address_space:  global
        .offset:         112
        .size:           8
        .value_kind:     global_buffer
      - .offset:         120
        .size:           4
        .value_kind:     by_value
      - .address_space:  global
        .offset:         128
        .size:           8
        .value_kind:     global_buffer
      - .address_space:  global
        .offset:         136
        .size:           8
        .value_kind:     global_buffer
      - .offset:         144
        .size:           4
        .value_kind:     hidden_block_count_x
      - .offset:         148
        .size:           4
        .value_kind:     hidden_block_count_y
      - .offset:         152
        .size:           4
        .value_kind:     hidden_block_count_z
      - .offset:         156
        .size:           2
        .value_kind:     hidden_group_size_x
      - .offset:         158
        .size:           2
        .value_kind:     hidden_group_size_y
      - .offset:         160
        .size:           2
        .value_kind:     hidden_group_size_z
      - .offset:         162
        .size:           2
        .value_kind:     hidden_remainder_x
      - .offset:         164
        .size:           2
        .value_kind:     hidden_remainder_y
      - .offset:         166
        .size:           2
        .value_kind:     hidden_remainder_z
      - .offset:         184
        .size:           8
        .value_kind:     hidden_global_offset_x
      - .offset:         192
        .size:           8
        .value_kind:     hidden_global_offset_y
      - .offset:         200
        .size:           8
        .value_kind:     hidden_global_offset_z
      - .offset:         208
        .size:           2
        .value_kind:     hidden_grid_dims
      - .offset:         224
        .size:           8
        .value_kind:     hidden_hostcall_buffer
    .group_segment_fixed_size: 0
    .kernarg_segment_align: 8
    .kernarg_segment_size: 400
    .language:       OpenCL C
    .language_version:
      - 2
      - 0
    .max_flat_workgroup_size: 256
    .name:           _Z39paged_attention_ll4mi_QKV_mfma16_kernelI14__hip_bfloat16hLN4vllm18Fp8KVCacheDataTypeE1ES0_Li32ELi128ELi256ELb0ELi7EEvPKT_PKT0_S8_ifPKiSA_SA_iPKfiiiPfSD_PS3_PT2_iSC_SC_
    .private_segment_fixed_size: 64
    .sgpr_count:     36
    .sgpr_spill_count: 0
    .symbol:         _Z39paged_attention_ll4mi_QKV_mfma16_kernelI14__hip_bfloat16hLN4vllm18Fp8KVCacheDataTypeE1ES0_Li32ELi128ELi256ELb0ELi7EEvPKT_PKT0_S8_ifPKiSA_SA_iPKfiiiPfSD_PS3_PT2_iSC_SC_.kd
    .uniform_work_group_size: 1
    .uses_dynamic_stack: false
    .vgpr_count:     51
    .vgpr_spill_count: 0
    .wavefront_size: 32
  - .args:
      - .actual_access:  read_only
        .address_space:  global
        .offset:         0
        .size:           8
        .value_kind:     global_buffer
      - .actual_access:  read_only
        .address_space:  global
        .offset:         8
        .size:           8
        .value_kind:     global_buffer
      - .actual_access:  read_only
        .address_space:  global
        .offset:         16
        .size:           8
        .value_kind:     global_buffer
      - .offset:         24
        .size:           4
        .value_kind:     by_value
      - .offset:         28
        .size:           4
        .value_kind:     by_value
      - .actual_access:  read_only
        .address_space:  global
        .offset:         32
        .size:           8
        .value_kind:     global_buffer
      - .actual_access:  read_only
        .address_space:  global
        .offset:         40
        .size:           8
        .value_kind:     global_buffer
      - .actual_access:  read_only
        .address_space:  global
        .offset:         48
        .size:           8
        .value_kind:     global_buffer
      - .offset:         56
        .size:           4
        .value_kind:     by_value
      - .actual_access:  read_only
        .address_space:  global
        .offset:         64
        .size:           8
        .value_kind:     global_buffer
      - .offset:         72
        .size:           4
        .value_kind:     by_value
      - .offset:         76
        .size:           4
        .value_kind:     by_value
      - .offset:         80
        .size:           4
        .value_kind:     by_value
      - .actual_access:  read_only
        .address_space:  global
        .offset:         88
        .size:           8
        .value_kind:     global_buffer
      - .actual_access:  read_only
        .address_space:  global
        .offset:         96
        .size:           8
        .value_kind:     global_buffer
      - .actual_access:  read_only
        .address_space:  global
        .offset:         104
        .size:           8
        .value_kind:     global_buffer
      - .actual_access:  read_only
        .address_space:  global
        .offset:         112
        .size:           8
        .value_kind:     global_buffer
      - .offset:         120
        .size:           4
        .value_kind:     by_value
      - .address_space:  global
        .offset:         128
        .size:           8
        .value_kind:     global_buffer
      - .address_space:  global
        .offset:         136
        .size:           8
        .value_kind:     global_buffer
      - .offset:         144
        .size:           4
        .value_kind:     hidden_block_count_x
      - .offset:         148
        .size:           4
        .value_kind:     hidden_block_count_y
      - .offset:         152
        .size:           4
        .value_kind:     hidden_block_count_z
      - .offset:         156
        .size:           2
        .value_kind:     hidden_group_size_x
      - .offset:         158
        .size:           2
        .value_kind:     hidden_group_size_y
      - .offset:         160
        .size:           2
        .value_kind:     hidden_group_size_z
      - .offset:         162
        .size:           2
        .value_kind:     hidden_remainder_x
      - .offset:         164
        .size:           2
        .value_kind:     hidden_remainder_y
      - .offset:         166
        .size:           2
        .value_kind:     hidden_remainder_z
      - .offset:         184
        .size:           8
        .value_kind:     hidden_global_offset_x
      - .offset:         192
        .size:           8
        .value_kind:     hidden_global_offset_y
      - .offset:         200
        .size:           8
        .value_kind:     hidden_global_offset_z
      - .offset:         208
        .size:           2
        .value_kind:     hidden_grid_dims
      - .offset:         224
        .size:           8
        .value_kind:     hidden_hostcall_buffer
    .group_segment_fixed_size: 0
    .kernarg_segment_align: 8
    .kernarg_segment_size: 400
    .language:       OpenCL C
    .language_version:
      - 2
      - 0
    .max_flat_workgroup_size: 256
    .name:           _Z39paged_attention_ll4mi_QKV_mfma16_kernelI14__hip_bfloat16hLN4vllm18Fp8KVCacheDataTypeE1ES0_Li32ELi128ELi256ELb0ELi8EEvPKT_PKT0_S8_ifPKiSA_SA_iPKfiiiPfSD_PS3_PT2_iSC_SC_
    .private_segment_fixed_size: 64
    .sgpr_count:     36
    .sgpr_spill_count: 0
    .symbol:         _Z39paged_attention_ll4mi_QKV_mfma16_kernelI14__hip_bfloat16hLN4vllm18Fp8KVCacheDataTypeE1ES0_Li32ELi128ELi256ELb0ELi8EEvPKT_PKT0_S8_ifPKiSA_SA_iPKfiiiPfSD_PS3_PT2_iSC_SC_.kd
    .uniform_work_group_size: 1
    .uses_dynamic_stack: false
    .vgpr_count:     51
    .vgpr_spill_count: 0
    .wavefront_size: 32
  - .args:
      - .actual_access:  read_only
        .address_space:  global
        .offset:         0
        .size:           8
        .value_kind:     global_buffer
      - .actual_access:  read_only
        .address_space:  global
        .offset:         8
        .size:           8
        .value_kind:     global_buffer
      - .actual_access:  read_only
        .address_space:  global
        .offset:         16
        .size:           8
        .value_kind:     global_buffer
      - .offset:         24
        .size:           4
        .value_kind:     by_value
      - .offset:         28
        .size:           4
        .value_kind:     by_value
      - .actual_access:  read_only
        .address_space:  global
        .offset:         32
        .size:           8
        .value_kind:     global_buffer
      - .actual_access:  read_only
        .address_space:  global
        .offset:         40
        .size:           8
        .value_kind:     global_buffer
      - .actual_access:  read_only
        .address_space:  global
        .offset:         48
        .size:           8
        .value_kind:     global_buffer
      - .offset:         56
        .size:           4
        .value_kind:     by_value
      - .actual_access:  read_only
        .address_space:  global
        .offset:         64
        .size:           8
        .value_kind:     global_buffer
      - .offset:         72
        .size:           4
        .value_kind:     by_value
      - .offset:         76
        .size:           4
        .value_kind:     by_value
      - .offset:         80
        .size:           4
        .value_kind:     by_value
      - .actual_access:  read_only
        .address_space:  global
        .offset:         88
        .size:           8
        .value_kind:     global_buffer
      - .actual_access:  read_only
        .address_space:  global
        .offset:         96
        .size:           8
        .value_kind:     global_buffer
      - .actual_access:  read_only
        .address_space:  global
        .offset:         104
        .size:           8
        .value_kind:     global_buffer
      - .actual_access:  read_only
        .address_space:  global
        .offset:         112
        .size:           8
        .value_kind:     global_buffer
      - .offset:         120
        .size:           4
        .value_kind:     by_value
      - .address_space:  global
        .offset:         128
        .size:           8
        .value_kind:     global_buffer
      - .address_space:  global
        .offset:         136
        .size:           8
        .value_kind:     global_buffer
      - .offset:         144
        .size:           4
        .value_kind:     hidden_block_count_x
      - .offset:         148
        .size:           4
        .value_kind:     hidden_block_count_y
      - .offset:         152
        .size:           4
        .value_kind:     hidden_block_count_z
      - .offset:         156
        .size:           2
        .value_kind:     hidden_group_size_x
      - .offset:         158
        .size:           2
        .value_kind:     hidden_group_size_y
      - .offset:         160
        .size:           2
        .value_kind:     hidden_group_size_z
      - .offset:         162
        .size:           2
        .value_kind:     hidden_remainder_x
      - .offset:         164
        .size:           2
        .value_kind:     hidden_remainder_y
      - .offset:         166
        .size:           2
        .value_kind:     hidden_remainder_z
      - .offset:         184
        .size:           8
        .value_kind:     hidden_global_offset_x
      - .offset:         192
        .size:           8
        .value_kind:     hidden_global_offset_y
      - .offset:         200
        .size:           8
        .value_kind:     hidden_global_offset_z
      - .offset:         208
        .size:           2
        .value_kind:     hidden_grid_dims
      - .offset:         224
        .size:           8
        .value_kind:     hidden_hostcall_buffer
    .group_segment_fixed_size: 0
    .kernarg_segment_align: 8
    .kernarg_segment_size: 400
    .language:       OpenCL C
    .language_version:
      - 2
      - 0
    .max_flat_workgroup_size: 256
    .name:           _Z39paged_attention_ll4mi_QKV_mfma16_kernelI14__hip_bfloat16hLN4vllm18Fp8KVCacheDataTypeE1ES0_Li32ELi128ELi256ELb0ELi9EEvPKT_PKT0_S8_ifPKiSA_SA_iPKfiiiPfSD_PS3_PT2_iSC_SC_
    .private_segment_fixed_size: 64
    .sgpr_count:     36
    .sgpr_spill_count: 0
    .symbol:         _Z39paged_attention_ll4mi_QKV_mfma16_kernelI14__hip_bfloat16hLN4vllm18Fp8KVCacheDataTypeE1ES0_Li32ELi128ELi256ELb0ELi9EEvPKT_PKT0_S8_ifPKiSA_SA_iPKfiiiPfSD_PS3_PT2_iSC_SC_.kd
    .uniform_work_group_size: 1
    .uses_dynamic_stack: false
    .vgpr_count:     51
    .vgpr_spill_count: 0
    .wavefront_size: 32
  - .args:
      - .actual_access:  read_only
        .address_space:  global
        .offset:         0
        .size:           8
        .value_kind:     global_buffer
      - .actual_access:  read_only
        .address_space:  global
        .offset:         8
        .size:           8
        .value_kind:     global_buffer
      - .actual_access:  read_only
        .address_space:  global
        .offset:         16
        .size:           8
        .value_kind:     global_buffer
      - .offset:         24
        .size:           4
        .value_kind:     by_value
      - .offset:         28
        .size:           4
        .value_kind:     by_value
      - .actual_access:  read_only
        .address_space:  global
        .offset:         32
        .size:           8
        .value_kind:     global_buffer
      - .actual_access:  read_only
        .address_space:  global
        .offset:         40
        .size:           8
        .value_kind:     global_buffer
      - .actual_access:  read_only
        .address_space:  global
        .offset:         48
        .size:           8
        .value_kind:     global_buffer
      - .offset:         56
        .size:           4
        .value_kind:     by_value
      - .actual_access:  read_only
        .address_space:  global
        .offset:         64
        .size:           8
        .value_kind:     global_buffer
      - .offset:         72
        .size:           4
        .value_kind:     by_value
      - .offset:         76
        .size:           4
        .value_kind:     by_value
      - .offset:         80
        .size:           4
        .value_kind:     by_value
      - .actual_access:  read_only
        .address_space:  global
        .offset:         88
        .size:           8
        .value_kind:     global_buffer
      - .actual_access:  read_only
        .address_space:  global
        .offset:         96
        .size:           8
        .value_kind:     global_buffer
      - .actual_access:  read_only
        .address_space:  global
        .offset:         104
        .size:           8
        .value_kind:     global_buffer
      - .actual_access:  read_only
        .address_space:  global
        .offset:         112
        .size:           8
        .value_kind:     global_buffer
      - .offset:         120
        .size:           4
        .value_kind:     by_value
      - .address_space:  global
        .offset:         128
        .size:           8
        .value_kind:     global_buffer
      - .address_space:  global
        .offset:         136
        .size:           8
        .value_kind:     global_buffer
      - .offset:         144
        .size:           4
        .value_kind:     hidden_block_count_x
      - .offset:         148
        .size:           4
        .value_kind:     hidden_block_count_y
      - .offset:         152
        .size:           4
        .value_kind:     hidden_block_count_z
      - .offset:         156
        .size:           2
        .value_kind:     hidden_group_size_x
      - .offset:         158
        .size:           2
        .value_kind:     hidden_group_size_y
      - .offset:         160
        .size:           2
        .value_kind:     hidden_group_size_z
      - .offset:         162
        .size:           2
        .value_kind:     hidden_remainder_x
      - .offset:         164
        .size:           2
        .value_kind:     hidden_remainder_y
      - .offset:         166
        .size:           2
        .value_kind:     hidden_remainder_z
      - .offset:         184
        .size:           8
        .value_kind:     hidden_global_offset_x
      - .offset:         192
        .size:           8
        .value_kind:     hidden_global_offset_y
      - .offset:         200
        .size:           8
        .value_kind:     hidden_global_offset_z
      - .offset:         208
        .size:           2
        .value_kind:     hidden_grid_dims
      - .offset:         224
        .size:           8
        .value_kind:     hidden_hostcall_buffer
    .group_segment_fixed_size: 0
    .kernarg_segment_align: 8
    .kernarg_segment_size: 400
    .language:       OpenCL C
    .language_version:
      - 2
      - 0
    .max_flat_workgroup_size: 256
    .name:           _Z39paged_attention_ll4mi_QKV_mfma16_kernelI14__hip_bfloat16hLN4vllm18Fp8KVCacheDataTypeE1ES0_Li32ELi128ELi256ELb0ELi10EEvPKT_PKT0_S8_ifPKiSA_SA_iPKfiiiPfSD_PS3_PT2_iSC_SC_
    .private_segment_fixed_size: 64
    .sgpr_count:     36
    .sgpr_spill_count: 0
    .symbol:         _Z39paged_attention_ll4mi_QKV_mfma16_kernelI14__hip_bfloat16hLN4vllm18Fp8KVCacheDataTypeE1ES0_Li32ELi128ELi256ELb0ELi10EEvPKT_PKT0_S8_ifPKiSA_SA_iPKfiiiPfSD_PS3_PT2_iSC_SC_.kd
    .uniform_work_group_size: 1
    .uses_dynamic_stack: false
    .vgpr_count:     51
    .vgpr_spill_count: 0
    .wavefront_size: 32
  - .args:
      - .actual_access:  read_only
        .address_space:  global
        .offset:         0
        .size:           8
        .value_kind:     global_buffer
      - .actual_access:  read_only
        .address_space:  global
        .offset:         8
        .size:           8
        .value_kind:     global_buffer
      - .actual_access:  read_only
        .address_space:  global
        .offset:         16
        .size:           8
        .value_kind:     global_buffer
      - .offset:         24
        .size:           4
        .value_kind:     by_value
      - .offset:         28
        .size:           4
        .value_kind:     by_value
      - .actual_access:  read_only
        .address_space:  global
        .offset:         32
        .size:           8
        .value_kind:     global_buffer
      - .actual_access:  read_only
        .address_space:  global
        .offset:         40
        .size:           8
        .value_kind:     global_buffer
      - .actual_access:  read_only
        .address_space:  global
        .offset:         48
        .size:           8
        .value_kind:     global_buffer
      - .offset:         56
        .size:           4
        .value_kind:     by_value
      - .actual_access:  read_only
        .address_space:  global
        .offset:         64
        .size:           8
        .value_kind:     global_buffer
      - .offset:         72
        .size:           4
        .value_kind:     by_value
      - .offset:         76
        .size:           4
        .value_kind:     by_value
      - .offset:         80
        .size:           4
        .value_kind:     by_value
      - .actual_access:  read_only
        .address_space:  global
        .offset:         88
        .size:           8
        .value_kind:     global_buffer
      - .actual_access:  read_only
        .address_space:  global
        .offset:         96
        .size:           8
        .value_kind:     global_buffer
      - .actual_access:  read_only
        .address_space:  global
        .offset:         104
        .size:           8
        .value_kind:     global_buffer
      - .actual_access:  read_only
        .address_space:  global
        .offset:         112
        .size:           8
        .value_kind:     global_buffer
      - .offset:         120
        .size:           4
        .value_kind:     by_value
      - .address_space:  global
        .offset:         128
        .size:           8
        .value_kind:     global_buffer
      - .address_space:  global
        .offset:         136
        .size:           8
        .value_kind:     global_buffer
      - .offset:         144
        .size:           4
        .value_kind:     hidden_block_count_x
      - .offset:         148
        .size:           4
        .value_kind:     hidden_block_count_y
      - .offset:         152
        .size:           4
        .value_kind:     hidden_block_count_z
      - .offset:         156
        .size:           2
        .value_kind:     hidden_group_size_x
      - .offset:         158
        .size:           2
        .value_kind:     hidden_group_size_y
      - .offset:         160
        .size:           2
        .value_kind:     hidden_group_size_z
      - .offset:         162
        .size:           2
        .value_kind:     hidden_remainder_x
      - .offset:         164
        .size:           2
        .value_kind:     hidden_remainder_y
      - .offset:         166
        .size:           2
        .value_kind:     hidden_remainder_z
      - .offset:         184
        .size:           8
        .value_kind:     hidden_global_offset_x
      - .offset:         192
        .size:           8
        .value_kind:     hidden_global_offset_y
      - .offset:         200
        .size:           8
        .value_kind:     hidden_global_offset_z
      - .offset:         208
        .size:           2
        .value_kind:     hidden_grid_dims
      - .offset:         224
        .size:           8
        .value_kind:     hidden_hostcall_buffer
    .group_segment_fixed_size: 0
    .kernarg_segment_align: 8
    .kernarg_segment_size: 400
    .language:       OpenCL C
    .language_version:
      - 2
      - 0
    .max_flat_workgroup_size: 256
    .name:           _Z39paged_attention_ll4mi_QKV_mfma16_kernelI14__hip_bfloat16hLN4vllm18Fp8KVCacheDataTypeE1ES0_Li32ELi128ELi256ELb0ELi11EEvPKT_PKT0_S8_ifPKiSA_SA_iPKfiiiPfSD_PS3_PT2_iSC_SC_
    .private_segment_fixed_size: 64
    .sgpr_count:     36
    .sgpr_spill_count: 0
    .symbol:         _Z39paged_attention_ll4mi_QKV_mfma16_kernelI14__hip_bfloat16hLN4vllm18Fp8KVCacheDataTypeE1ES0_Li32ELi128ELi256ELb0ELi11EEvPKT_PKT0_S8_ifPKiSA_SA_iPKfiiiPfSD_PS3_PT2_iSC_SC_.kd
    .uniform_work_group_size: 1
    .uses_dynamic_stack: false
    .vgpr_count:     51
    .vgpr_spill_count: 0
    .wavefront_size: 32
  - .args:
      - .actual_access:  read_only
        .address_space:  global
        .offset:         0
        .size:           8
        .value_kind:     global_buffer
      - .actual_access:  read_only
        .address_space:  global
        .offset:         8
        .size:           8
        .value_kind:     global_buffer
      - .actual_access:  read_only
        .address_space:  global
        .offset:         16
        .size:           8
        .value_kind:     global_buffer
      - .offset:         24
        .size:           4
        .value_kind:     by_value
      - .offset:         28
        .size:           4
        .value_kind:     by_value
      - .actual_access:  read_only
        .address_space:  global
        .offset:         32
        .size:           8
        .value_kind:     global_buffer
      - .actual_access:  read_only
        .address_space:  global
        .offset:         40
        .size:           8
        .value_kind:     global_buffer
      - .actual_access:  read_only
        .address_space:  global
        .offset:         48
        .size:           8
        .value_kind:     global_buffer
      - .offset:         56
        .size:           4
        .value_kind:     by_value
      - .actual_access:  read_only
        .address_space:  global
        .offset:         64
        .size:           8
        .value_kind:     global_buffer
      - .offset:         72
        .size:           4
        .value_kind:     by_value
      - .offset:         76
        .size:           4
        .value_kind:     by_value
      - .offset:         80
        .size:           4
        .value_kind:     by_value
      - .actual_access:  read_only
        .address_space:  global
        .offset:         88
        .size:           8
        .value_kind:     global_buffer
      - .actual_access:  read_only
        .address_space:  global
        .offset:         96
        .size:           8
        .value_kind:     global_buffer
      - .actual_access:  read_only
        .address_space:  global
        .offset:         104
        .size:           8
        .value_kind:     global_buffer
      - .actual_access:  read_only
        .address_space:  global
        .offset:         112
        .size:           8
        .value_kind:     global_buffer
      - .offset:         120
        .size:           4
        .value_kind:     by_value
      - .address_space:  global
        .offset:         128
        .size:           8
        .value_kind:     global_buffer
      - .address_space:  global
        .offset:         136
        .size:           8
        .value_kind:     global_buffer
      - .offset:         144
        .size:           4
        .value_kind:     hidden_block_count_x
      - .offset:         148
        .size:           4
        .value_kind:     hidden_block_count_y
      - .offset:         152
        .size:           4
        .value_kind:     hidden_block_count_z
      - .offset:         156
        .size:           2
        .value_kind:     hidden_group_size_x
      - .offset:         158
        .size:           2
        .value_kind:     hidden_group_size_y
      - .offset:         160
        .size:           2
        .value_kind:     hidden_group_size_z
      - .offset:         162
        .size:           2
        .value_kind:     hidden_remainder_x
      - .offset:         164
        .size:           2
        .value_kind:     hidden_remainder_y
      - .offset:         166
        .size:           2
        .value_kind:     hidden_remainder_z
      - .offset:         184
        .size:           8
        .value_kind:     hidden_global_offset_x
      - .offset:         192
        .size:           8
        .value_kind:     hidden_global_offset_y
      - .offset:         200
        .size:           8
        .value_kind:     hidden_global_offset_z
      - .offset:         208
        .size:           2
        .value_kind:     hidden_grid_dims
      - .offset:         224
        .size:           8
        .value_kind:     hidden_hostcall_buffer
    .group_segment_fixed_size: 0
    .kernarg_segment_align: 8
    .kernarg_segment_size: 400
    .language:       OpenCL C
    .language_version:
      - 2
      - 0
    .max_flat_workgroup_size: 256
    .name:           _Z39paged_attention_ll4mi_QKV_mfma16_kernelI14__hip_bfloat16hLN4vllm18Fp8KVCacheDataTypeE1ES0_Li32ELi128ELi256ELb0ELi12EEvPKT_PKT0_S8_ifPKiSA_SA_iPKfiiiPfSD_PS3_PT2_iSC_SC_
    .private_segment_fixed_size: 64
    .sgpr_count:     36
    .sgpr_spill_count: 0
    .symbol:         _Z39paged_attention_ll4mi_QKV_mfma16_kernelI14__hip_bfloat16hLN4vllm18Fp8KVCacheDataTypeE1ES0_Li32ELi128ELi256ELb0ELi12EEvPKT_PKT0_S8_ifPKiSA_SA_iPKfiiiPfSD_PS3_PT2_iSC_SC_.kd
    .uniform_work_group_size: 1
    .uses_dynamic_stack: false
    .vgpr_count:     51
    .vgpr_spill_count: 0
    .wavefront_size: 32
  - .args:
      - .actual_access:  read_only
        .address_space:  global
        .offset:         0
        .size:           8
        .value_kind:     global_buffer
      - .actual_access:  read_only
        .address_space:  global
        .offset:         8
        .size:           8
        .value_kind:     global_buffer
      - .actual_access:  read_only
        .address_space:  global
        .offset:         16
        .size:           8
        .value_kind:     global_buffer
      - .offset:         24
        .size:           4
        .value_kind:     by_value
      - .offset:         28
        .size:           4
        .value_kind:     by_value
      - .actual_access:  read_only
        .address_space:  global
        .offset:         32
        .size:           8
        .value_kind:     global_buffer
      - .actual_access:  read_only
        .address_space:  global
        .offset:         40
        .size:           8
        .value_kind:     global_buffer
      - .actual_access:  read_only
        .address_space:  global
        .offset:         48
        .size:           8
        .value_kind:     global_buffer
      - .offset:         56
        .size:           4
        .value_kind:     by_value
      - .actual_access:  read_only
        .address_space:  global
        .offset:         64
        .size:           8
        .value_kind:     global_buffer
      - .offset:         72
        .size:           4
        .value_kind:     by_value
      - .offset:         76
        .size:           4
        .value_kind:     by_value
      - .offset:         80
        .size:           4
        .value_kind:     by_value
      - .actual_access:  read_only
        .address_space:  global
        .offset:         88
        .size:           8
        .value_kind:     global_buffer
      - .actual_access:  read_only
        .address_space:  global
        .offset:         96
        .size:           8
        .value_kind:     global_buffer
      - .actual_access:  read_only
        .address_space:  global
        .offset:         104
        .size:           8
        .value_kind:     global_buffer
      - .actual_access:  read_only
        .address_space:  global
        .offset:         112
        .size:           8
        .value_kind:     global_buffer
      - .offset:         120
        .size:           4
        .value_kind:     by_value
      - .address_space:  global
        .offset:         128
        .size:           8
        .value_kind:     global_buffer
      - .address_space:  global
        .offset:         136
        .size:           8
        .value_kind:     global_buffer
      - .offset:         144
        .size:           4
        .value_kind:     hidden_block_count_x
      - .offset:         148
        .size:           4
        .value_kind:     hidden_block_count_y
      - .offset:         152
        .size:           4
        .value_kind:     hidden_block_count_z
      - .offset:         156
        .size:           2
        .value_kind:     hidden_group_size_x
      - .offset:         158
        .size:           2
        .value_kind:     hidden_group_size_y
      - .offset:         160
        .size:           2
        .value_kind:     hidden_group_size_z
      - .offset:         162
        .size:           2
        .value_kind:     hidden_remainder_x
      - .offset:         164
        .size:           2
        .value_kind:     hidden_remainder_y
      - .offset:         166
        .size:           2
        .value_kind:     hidden_remainder_z
      - .offset:         184
        .size:           8
        .value_kind:     hidden_global_offset_x
      - .offset:         192
        .size:           8
        .value_kind:     hidden_global_offset_y
      - .offset:         200
        .size:           8
        .value_kind:     hidden_global_offset_z
      - .offset:         208
        .size:           2
        .value_kind:     hidden_grid_dims
      - .offset:         224
        .size:           8
        .value_kind:     hidden_hostcall_buffer
    .group_segment_fixed_size: 0
    .kernarg_segment_align: 8
    .kernarg_segment_size: 400
    .language:       OpenCL C
    .language_version:
      - 2
      - 0
    .max_flat_workgroup_size: 256
    .name:           _Z39paged_attention_ll4mi_QKV_mfma16_kernelI14__hip_bfloat16hLN4vllm18Fp8KVCacheDataTypeE1ES0_Li32ELi128ELi256ELb0ELi13EEvPKT_PKT0_S8_ifPKiSA_SA_iPKfiiiPfSD_PS3_PT2_iSC_SC_
    .private_segment_fixed_size: 64
    .sgpr_count:     36
    .sgpr_spill_count: 0
    .symbol:         _Z39paged_attention_ll4mi_QKV_mfma16_kernelI14__hip_bfloat16hLN4vllm18Fp8KVCacheDataTypeE1ES0_Li32ELi128ELi256ELb0ELi13EEvPKT_PKT0_S8_ifPKiSA_SA_iPKfiiiPfSD_PS3_PT2_iSC_SC_.kd
    .uniform_work_group_size: 1
    .uses_dynamic_stack: false
    .vgpr_count:     51
    .vgpr_spill_count: 0
    .wavefront_size: 32
  - .args:
      - .actual_access:  read_only
        .address_space:  global
        .offset:         0
        .size:           8
        .value_kind:     global_buffer
      - .actual_access:  read_only
        .address_space:  global
        .offset:         8
        .size:           8
        .value_kind:     global_buffer
      - .actual_access:  read_only
        .address_space:  global
        .offset:         16
        .size:           8
        .value_kind:     global_buffer
      - .offset:         24
        .size:           4
        .value_kind:     by_value
      - .offset:         28
        .size:           4
        .value_kind:     by_value
      - .actual_access:  read_only
        .address_space:  global
        .offset:         32
        .size:           8
        .value_kind:     global_buffer
      - .actual_access:  read_only
        .address_space:  global
        .offset:         40
        .size:           8
        .value_kind:     global_buffer
      - .actual_access:  read_only
        .address_space:  global
        .offset:         48
        .size:           8
        .value_kind:     global_buffer
      - .offset:         56
        .size:           4
        .value_kind:     by_value
      - .actual_access:  read_only
        .address_space:  global
        .offset:         64
        .size:           8
        .value_kind:     global_buffer
      - .offset:         72
        .size:           4
        .value_kind:     by_value
      - .offset:         76
        .size:           4
        .value_kind:     by_value
      - .offset:         80
        .size:           4
        .value_kind:     by_value
      - .actual_access:  read_only
        .address_space:  global
        .offset:         88
        .size:           8
        .value_kind:     global_buffer
      - .actual_access:  read_only
        .address_space:  global
        .offset:         96
        .size:           8
        .value_kind:     global_buffer
      - .actual_access:  read_only
        .address_space:  global
        .offset:         104
        .size:           8
        .value_kind:     global_buffer
      - .actual_access:  read_only
        .address_space:  global
        .offset:         112
        .size:           8
        .value_kind:     global_buffer
      - .offset:         120
        .size:           4
        .value_kind:     by_value
      - .address_space:  global
        .offset:         128
        .size:           8
        .value_kind:     global_buffer
      - .address_space:  global
        .offset:         136
        .size:           8
        .value_kind:     global_buffer
      - .offset:         144
        .size:           4
        .value_kind:     hidden_block_count_x
      - .offset:         148
        .size:           4
        .value_kind:     hidden_block_count_y
      - .offset:         152
        .size:           4
        .value_kind:     hidden_block_count_z
      - .offset:         156
        .size:           2
        .value_kind:     hidden_group_size_x
      - .offset:         158
        .size:           2
        .value_kind:     hidden_group_size_y
      - .offset:         160
        .size:           2
        .value_kind:     hidden_group_size_z
      - .offset:         162
        .size:           2
        .value_kind:     hidden_remainder_x
      - .offset:         164
        .size:           2
        .value_kind:     hidden_remainder_y
      - .offset:         166
        .size:           2
        .value_kind:     hidden_remainder_z
      - .offset:         184
        .size:           8
        .value_kind:     hidden_global_offset_x
      - .offset:         192
        .size:           8
        .value_kind:     hidden_global_offset_y
      - .offset:         200
        .size:           8
        .value_kind:     hidden_global_offset_z
      - .offset:         208
        .size:           2
        .value_kind:     hidden_grid_dims
      - .offset:         224
        .size:           8
        .value_kind:     hidden_hostcall_buffer
    .group_segment_fixed_size: 0
    .kernarg_segment_align: 8
    .kernarg_segment_size: 400
    .language:       OpenCL C
    .language_version:
      - 2
      - 0
    .max_flat_workgroup_size: 256
    .name:           _Z39paged_attention_ll4mi_QKV_mfma16_kernelI14__hip_bfloat16hLN4vllm18Fp8KVCacheDataTypeE1ES0_Li32ELi128ELi256ELb0ELi14EEvPKT_PKT0_S8_ifPKiSA_SA_iPKfiiiPfSD_PS3_PT2_iSC_SC_
    .private_segment_fixed_size: 64
    .sgpr_count:     36
    .sgpr_spill_count: 0
    .symbol:         _Z39paged_attention_ll4mi_QKV_mfma16_kernelI14__hip_bfloat16hLN4vllm18Fp8KVCacheDataTypeE1ES0_Li32ELi128ELi256ELb0ELi14EEvPKT_PKT0_S8_ifPKiSA_SA_iPKfiiiPfSD_PS3_PT2_iSC_SC_.kd
    .uniform_work_group_size: 1
    .uses_dynamic_stack: false
    .vgpr_count:     51
    .vgpr_spill_count: 0
    .wavefront_size: 32
  - .args:
      - .actual_access:  read_only
        .address_space:  global
        .offset:         0
        .size:           8
        .value_kind:     global_buffer
      - .actual_access:  read_only
        .address_space:  global
        .offset:         8
        .size:           8
        .value_kind:     global_buffer
      - .actual_access:  read_only
        .address_space:  global
        .offset:         16
        .size:           8
        .value_kind:     global_buffer
      - .offset:         24
        .size:           4
        .value_kind:     by_value
      - .offset:         28
        .size:           4
        .value_kind:     by_value
      - .actual_access:  read_only
        .address_space:  global
        .offset:         32
        .size:           8
        .value_kind:     global_buffer
      - .actual_access:  read_only
        .address_space:  global
        .offset:         40
        .size:           8
        .value_kind:     global_buffer
      - .actual_access:  read_only
        .address_space:  global
        .offset:         48
        .size:           8
        .value_kind:     global_buffer
      - .offset:         56
        .size:           4
        .value_kind:     by_value
      - .actual_access:  read_only
        .address_space:  global
        .offset:         64
        .size:           8
        .value_kind:     global_buffer
      - .offset:         72
        .size:           4
        .value_kind:     by_value
      - .offset:         76
        .size:           4
        .value_kind:     by_value
      - .offset:         80
        .size:           4
        .value_kind:     by_value
      - .actual_access:  read_only
        .address_space:  global
        .offset:         88
        .size:           8
        .value_kind:     global_buffer
      - .actual_access:  read_only
        .address_space:  global
        .offset:         96
        .size:           8
        .value_kind:     global_buffer
      - .actual_access:  read_only
        .address_space:  global
        .offset:         104
        .size:           8
        .value_kind:     global_buffer
      - .actual_access:  read_only
        .address_space:  global
        .offset:         112
        .size:           8
        .value_kind:     global_buffer
      - .offset:         120
        .size:           4
        .value_kind:     by_value
      - .address_space:  global
        .offset:         128
        .size:           8
        .value_kind:     global_buffer
      - .address_space:  global
        .offset:         136
        .size:           8
        .value_kind:     global_buffer
      - .offset:         144
        .size:           4
        .value_kind:     hidden_block_count_x
      - .offset:         148
        .size:           4
        .value_kind:     hidden_block_count_y
      - .offset:         152
        .size:           4
        .value_kind:     hidden_block_count_z
      - .offset:         156
        .size:           2
        .value_kind:     hidden_group_size_x
      - .offset:         158
        .size:           2
        .value_kind:     hidden_group_size_y
      - .offset:         160
        .size:           2
        .value_kind:     hidden_group_size_z
      - .offset:         162
        .size:           2
        .value_kind:     hidden_remainder_x
      - .offset:         164
        .size:           2
        .value_kind:     hidden_remainder_y
      - .offset:         166
        .size:           2
        .value_kind:     hidden_remainder_z
      - .offset:         184
        .size:           8
        .value_kind:     hidden_global_offset_x
      - .offset:         192
        .size:           8
        .value_kind:     hidden_global_offset_y
      - .offset:         200
        .size:           8
        .value_kind:     hidden_global_offset_z
      - .offset:         208
        .size:           2
        .value_kind:     hidden_grid_dims
      - .offset:         224
        .size:           8
        .value_kind:     hidden_hostcall_buffer
    .group_segment_fixed_size: 0
    .kernarg_segment_align: 8
    .kernarg_segment_size: 400
    .language:       OpenCL C
    .language_version:
      - 2
      - 0
    .max_flat_workgroup_size: 256
    .name:           _Z39paged_attention_ll4mi_QKV_mfma16_kernelI14__hip_bfloat16hLN4vllm18Fp8KVCacheDataTypeE1ES0_Li32ELi128ELi256ELb0ELi15EEvPKT_PKT0_S8_ifPKiSA_SA_iPKfiiiPfSD_PS3_PT2_iSC_SC_
    .private_segment_fixed_size: 64
    .sgpr_count:     36
    .sgpr_spill_count: 0
    .symbol:         _Z39paged_attention_ll4mi_QKV_mfma16_kernelI14__hip_bfloat16hLN4vllm18Fp8KVCacheDataTypeE1ES0_Li32ELi128ELi256ELb0ELi15EEvPKT_PKT0_S8_ifPKiSA_SA_iPKfiiiPfSD_PS3_PT2_iSC_SC_.kd
    .uniform_work_group_size: 1
    .uses_dynamic_stack: false
    .vgpr_count:     51
    .vgpr_spill_count: 0
    .wavefront_size: 32
  - .args:
      - .actual_access:  read_only
        .address_space:  global
        .offset:         0
        .size:           8
        .value_kind:     global_buffer
      - .actual_access:  read_only
        .address_space:  global
        .offset:         8
        .size:           8
        .value_kind:     global_buffer
      - .actual_access:  read_only
        .address_space:  global
        .offset:         16
        .size:           8
        .value_kind:     global_buffer
      - .offset:         24
        .size:           4
        .value_kind:     by_value
      - .offset:         28
        .size:           4
        .value_kind:     by_value
      - .actual_access:  read_only
        .address_space:  global
        .offset:         32
        .size:           8
        .value_kind:     global_buffer
      - .actual_access:  read_only
        .address_space:  global
        .offset:         40
        .size:           8
        .value_kind:     global_buffer
      - .actual_access:  read_only
        .address_space:  global
        .offset:         48
        .size:           8
        .value_kind:     global_buffer
      - .offset:         56
        .size:           4
        .value_kind:     by_value
      - .actual_access:  read_only
        .address_space:  global
        .offset:         64
        .size:           8
        .value_kind:     global_buffer
      - .offset:         72
        .size:           4
        .value_kind:     by_value
      - .offset:         76
        .size:           4
        .value_kind:     by_value
      - .offset:         80
        .size:           4
        .value_kind:     by_value
      - .actual_access:  read_only
        .address_space:  global
        .offset:         88
        .size:           8
        .value_kind:     global_buffer
      - .actual_access:  read_only
        .address_space:  global
        .offset:         96
        .size:           8
        .value_kind:     global_buffer
      - .actual_access:  read_only
        .address_space:  global
        .offset:         104
        .size:           8
        .value_kind:     global_buffer
      - .actual_access:  read_only
        .address_space:  global
        .offset:         112
        .size:           8
        .value_kind:     global_buffer
      - .offset:         120
        .size:           4
        .value_kind:     by_value
      - .address_space:  global
        .offset:         128
        .size:           8
        .value_kind:     global_buffer
      - .address_space:  global
        .offset:         136
        .size:           8
        .value_kind:     global_buffer
      - .offset:         144
        .size:           4
        .value_kind:     hidden_block_count_x
      - .offset:         148
        .size:           4
        .value_kind:     hidden_block_count_y
      - .offset:         152
        .size:           4
        .value_kind:     hidden_block_count_z
      - .offset:         156
        .size:           2
        .value_kind:     hidden_group_size_x
      - .offset:         158
        .size:           2
        .value_kind:     hidden_group_size_y
      - .offset:         160
        .size:           2
        .value_kind:     hidden_group_size_z
      - .offset:         162
        .size:           2
        .value_kind:     hidden_remainder_x
      - .offset:         164
        .size:           2
        .value_kind:     hidden_remainder_y
      - .offset:         166
        .size:           2
        .value_kind:     hidden_remainder_z
      - .offset:         184
        .size:           8
        .value_kind:     hidden_global_offset_x
      - .offset:         192
        .size:           8
        .value_kind:     hidden_global_offset_y
      - .offset:         200
        .size:           8
        .value_kind:     hidden_global_offset_z
      - .offset:         208
        .size:           2
        .value_kind:     hidden_grid_dims
      - .offset:         224
        .size:           8
        .value_kind:     hidden_hostcall_buffer
    .group_segment_fixed_size: 0
    .kernarg_segment_align: 8
    .kernarg_segment_size: 400
    .language:       OpenCL C
    .language_version:
      - 2
      - 0
    .max_flat_workgroup_size: 256
    .name:           _Z39paged_attention_ll4mi_QKV_mfma16_kernelI14__hip_bfloat16hLN4vllm18Fp8KVCacheDataTypeE1ES0_Li32ELi128ELi256ELb0ELi16EEvPKT_PKT0_S8_ifPKiSA_SA_iPKfiiiPfSD_PS3_PT2_iSC_SC_
    .private_segment_fixed_size: 64
    .sgpr_count:     36
    .sgpr_spill_count: 0
    .symbol:         _Z39paged_attention_ll4mi_QKV_mfma16_kernelI14__hip_bfloat16hLN4vllm18Fp8KVCacheDataTypeE1ES0_Li32ELi128ELi256ELb0ELi16EEvPKT_PKT0_S8_ifPKiSA_SA_iPKfiiiPfSD_PS3_PT2_iSC_SC_.kd
    .uniform_work_group_size: 1
    .uses_dynamic_stack: false
    .vgpr_count:     51
    .vgpr_spill_count: 0
    .wavefront_size: 32
  - .args:
      - .actual_access:  read_only
        .address_space:  global
        .offset:         0
        .size:           8
        .value_kind:     global_buffer
      - .actual_access:  read_only
        .address_space:  global
        .offset:         8
        .size:           8
        .value_kind:     global_buffer
      - .actual_access:  read_only
        .address_space:  global
        .offset:         16
        .size:           8
        .value_kind:     global_buffer
      - .offset:         24
        .size:           4
        .value_kind:     by_value
      - .offset:         28
        .size:           4
        .value_kind:     by_value
      - .actual_access:  read_only
        .address_space:  global
        .offset:         32
        .size:           8
        .value_kind:     global_buffer
      - .actual_access:  read_only
        .address_space:  global
        .offset:         40
        .size:           8
        .value_kind:     global_buffer
      - .actual_access:  read_only
        .address_space:  global
        .offset:         48
        .size:           8
        .value_kind:     global_buffer
      - .offset:         56
        .size:           4
        .value_kind:     by_value
      - .actual_access:  read_only
        .address_space:  global
        .offset:         64
        .size:           8
        .value_kind:     global_buffer
      - .offset:         72
        .size:           4
        .value_kind:     by_value
      - .offset:         76
        .size:           4
        .value_kind:     by_value
      - .offset:         80
        .size:           4
        .value_kind:     by_value
      - .actual_access:  read_only
        .address_space:  global
        .offset:         88
        .size:           8
        .value_kind:     global_buffer
      - .actual_access:  read_only
        .address_space:  global
        .offset:         96
        .size:           8
        .value_kind:     global_buffer
      - .actual_access:  read_only
        .address_space:  global
        .offset:         104
        .size:           8
        .value_kind:     global_buffer
      - .actual_access:  read_only
        .address_space:  global
        .offset:         112
        .size:           8
        .value_kind:     global_buffer
      - .offset:         120
        .size:           4
        .value_kind:     by_value
      - .address_space:  global
        .offset:         128
        .size:           8
        .value_kind:     global_buffer
      - .address_space:  global
        .offset:         136
        .size:           8
        .value_kind:     global_buffer
      - .offset:         144
        .size:           4
        .value_kind:     hidden_block_count_x
      - .offset:         148
        .size:           4
        .value_kind:     hidden_block_count_y
      - .offset:         152
        .size:           4
        .value_kind:     hidden_block_count_z
      - .offset:         156
        .size:           2
        .value_kind:     hidden_group_size_x
      - .offset:         158
        .size:           2
        .value_kind:     hidden_group_size_y
      - .offset:         160
        .size:           2
        .value_kind:     hidden_group_size_z
      - .offset:         162
        .size:           2
        .value_kind:     hidden_remainder_x
      - .offset:         164
        .size:           2
        .value_kind:     hidden_remainder_y
      - .offset:         166
        .size:           2
        .value_kind:     hidden_remainder_z
      - .offset:         184
        .size:           8
        .value_kind:     hidden_global_offset_x
      - .offset:         192
        .size:           8
        .value_kind:     hidden_global_offset_y
      - .offset:         200
        .size:           8
        .value_kind:     hidden_global_offset_z
      - .offset:         208
        .size:           2
        .value_kind:     hidden_grid_dims
      - .offset:         224
        .size:           8
        .value_kind:     hidden_hostcall_buffer
    .group_segment_fixed_size: 0
    .kernarg_segment_align: 8
    .kernarg_segment_size: 400
    .language:       OpenCL C
    .language_version:
      - 2
      - 0
    .max_flat_workgroup_size: 256
    .name:           _Z39paged_attention_ll4mi_QKV_mfma16_kernelI14__hip_bfloat16hLN4vllm18Fp8KVCacheDataTypeE1ES0_Li32ELi128ELi256ELb0ELi1EEvPKT_PKT0_S8_ifPKiSA_SA_iPKfiiiPfSD_PS3_PT2_iSC_SC_
    .private_segment_fixed_size: 64
    .sgpr_count:     36
    .sgpr_spill_count: 0
    .symbol:         _Z39paged_attention_ll4mi_QKV_mfma16_kernelI14__hip_bfloat16hLN4vllm18Fp8KVCacheDataTypeE1ES0_Li32ELi128ELi256ELb0ELi1EEvPKT_PKT0_S8_ifPKiSA_SA_iPKfiiiPfSD_PS3_PT2_iSC_SC_.kd
    .uniform_work_group_size: 1
    .uses_dynamic_stack: false
    .vgpr_count:     51
    .vgpr_spill_count: 0
    .wavefront_size: 32
  - .args:
      - .actual_access:  read_only
        .address_space:  global
        .offset:         0
        .size:           8
        .value_kind:     global_buffer
      - .actual_access:  read_only
        .address_space:  global
        .offset:         8
        .size:           8
        .value_kind:     global_buffer
      - .actual_access:  read_only
        .address_space:  global
        .offset:         16
        .size:           8
        .value_kind:     global_buffer
      - .offset:         24
        .size:           4
        .value_kind:     by_value
      - .offset:         28
        .size:           4
        .value_kind:     by_value
      - .actual_access:  read_only
        .address_space:  global
        .offset:         32
        .size:           8
        .value_kind:     global_buffer
      - .actual_access:  read_only
        .address_space:  global
        .offset:         40
        .size:           8
        .value_kind:     global_buffer
      - .actual_access:  read_only
        .address_space:  global
        .offset:         48
        .size:           8
        .value_kind:     global_buffer
      - .offset:         56
        .size:           4
        .value_kind:     by_value
      - .actual_access:  read_only
        .address_space:  global
        .offset:         64
        .size:           8
        .value_kind:     global_buffer
      - .offset:         72
        .size:           4
        .value_kind:     by_value
      - .offset:         76
        .size:           4
        .value_kind:     by_value
      - .offset:         80
        .size:           4
        .value_kind:     by_value
      - .actual_access:  read_only
        .address_space:  global
        .offset:         88
        .size:           8
        .value_kind:     global_buffer
      - .actual_access:  read_only
        .address_space:  global
        .offset:         96
        .size:           8
        .value_kind:     global_buffer
      - .actual_access:  read_only
        .address_space:  global
        .offset:         104
        .size:           8
        .value_kind:     global_buffer
      - .actual_access:  read_only
        .address_space:  global
        .offset:         112
        .size:           8
        .value_kind:     global_buffer
      - .offset:         120
        .size:           4
        .value_kind:     by_value
      - .address_space:  global
        .offset:         128
        .size:           8
        .value_kind:     global_buffer
      - .address_space:  global
        .offset:         136
        .size:           8
        .value_kind:     global_buffer
      - .offset:         144
        .size:           4
        .value_kind:     hidden_block_count_x
      - .offset:         148
        .size:           4
        .value_kind:     hidden_block_count_y
      - .offset:         152
        .size:           4
        .value_kind:     hidden_block_count_z
      - .offset:         156
        .size:           2
        .value_kind:     hidden_group_size_x
      - .offset:         158
        .size:           2
        .value_kind:     hidden_group_size_y
      - .offset:         160
        .size:           2
        .value_kind:     hidden_group_size_z
      - .offset:         162
        .size:           2
        .value_kind:     hidden_remainder_x
      - .offset:         164
        .size:           2
        .value_kind:     hidden_remainder_y
      - .offset:         166
        .size:           2
        .value_kind:     hidden_remainder_z
      - .offset:         184
        .size:           8
        .value_kind:     hidden_global_offset_x
      - .offset:         192
        .size:           8
        .value_kind:     hidden_global_offset_y
      - .offset:         200
        .size:           8
        .value_kind:     hidden_global_offset_z
      - .offset:         208
        .size:           2
        .value_kind:     hidden_grid_dims
      - .offset:         224
        .size:           8
        .value_kind:     hidden_hostcall_buffer
    .group_segment_fixed_size: 0
    .kernarg_segment_align: 8
    .kernarg_segment_size: 400
    .language:       OpenCL C
    .language_version:
      - 2
      - 0
    .max_flat_workgroup_size: 256
    .name:           _Z39paged_attention_ll4mi_QKV_mfma16_kernelI14__hip_bfloat16hLN4vllm18Fp8KVCacheDataTypeE1ES0_Li32ELi128ELi256ELb0ELi2EEvPKT_PKT0_S8_ifPKiSA_SA_iPKfiiiPfSD_PS3_PT2_iSC_SC_
    .private_segment_fixed_size: 64
    .sgpr_count:     36
    .sgpr_spill_count: 0
    .symbol:         _Z39paged_attention_ll4mi_QKV_mfma16_kernelI14__hip_bfloat16hLN4vllm18Fp8KVCacheDataTypeE1ES0_Li32ELi128ELi256ELb0ELi2EEvPKT_PKT0_S8_ifPKiSA_SA_iPKfiiiPfSD_PS3_PT2_iSC_SC_.kd
    .uniform_work_group_size: 1
    .uses_dynamic_stack: false
    .vgpr_count:     51
    .vgpr_spill_count: 0
    .wavefront_size: 32
  - .args:
      - .actual_access:  read_only
        .address_space:  global
        .offset:         0
        .size:           8
        .value_kind:     global_buffer
      - .actual_access:  read_only
        .address_space:  global
        .offset:         8
        .size:           8
        .value_kind:     global_buffer
      - .actual_access:  read_only
        .address_space:  global
        .offset:         16
        .size:           8
        .value_kind:     global_buffer
      - .offset:         24
        .size:           4
        .value_kind:     by_value
      - .offset:         28
        .size:           4
        .value_kind:     by_value
      - .actual_access:  read_only
        .address_space:  global
        .offset:         32
        .size:           8
        .value_kind:     global_buffer
      - .actual_access:  read_only
        .address_space:  global
        .offset:         40
        .size:           8
        .value_kind:     global_buffer
      - .actual_access:  read_only
        .address_space:  global
        .offset:         48
        .size:           8
        .value_kind:     global_buffer
      - .offset:         56
        .size:           4
        .value_kind:     by_value
      - .actual_access:  read_only
        .address_space:  global
        .offset:         64
        .size:           8
        .value_kind:     global_buffer
      - .offset:         72
        .size:           4
        .value_kind:     by_value
      - .offset:         76
        .size:           4
        .value_kind:     by_value
      - .offset:         80
        .size:           4
        .value_kind:     by_value
      - .actual_access:  read_only
        .address_space:  global
        .offset:         88
        .size:           8
        .value_kind:     global_buffer
      - .actual_access:  read_only
        .address_space:  global
        .offset:         96
        .size:           8
        .value_kind:     global_buffer
      - .actual_access:  read_only
        .address_space:  global
        .offset:         104
        .size:           8
        .value_kind:     global_buffer
      - .actual_access:  read_only
        .address_space:  global
        .offset:         112
        .size:           8
        .value_kind:     global_buffer
      - .offset:         120
        .size:           4
        .value_kind:     by_value
      - .address_space:  global
        .offset:         128
        .size:           8
        .value_kind:     global_buffer
      - .address_space:  global
        .offset:         136
        .size:           8
        .value_kind:     global_buffer
      - .offset:         144
        .size:           4
        .value_kind:     hidden_block_count_x
      - .offset:         148
        .size:           4
        .value_kind:     hidden_block_count_y
      - .offset:         152
        .size:           4
        .value_kind:     hidden_block_count_z
      - .offset:         156
        .size:           2
        .value_kind:     hidden_group_size_x
      - .offset:         158
        .size:           2
        .value_kind:     hidden_group_size_y
      - .offset:         160
        .size:           2
        .value_kind:     hidden_group_size_z
      - .offset:         162
        .size:           2
        .value_kind:     hidden_remainder_x
      - .offset:         164
        .size:           2
        .value_kind:     hidden_remainder_y
      - .offset:         166
        .size:           2
        .value_kind:     hidden_remainder_z
      - .offset:         184
        .size:           8
        .value_kind:     hidden_global_offset_x
      - .offset:         192
        .size:           8
        .value_kind:     hidden_global_offset_y
      - .offset:         200
        .size:           8
        .value_kind:     hidden_global_offset_z
      - .offset:         208
        .size:           2
        .value_kind:     hidden_grid_dims
      - .offset:         224
        .size:           8
        .value_kind:     hidden_hostcall_buffer
    .group_segment_fixed_size: 0
    .kernarg_segment_align: 8
    .kernarg_segment_size: 400
    .language:       OpenCL C
    .language_version:
      - 2
      - 0
    .max_flat_workgroup_size: 256
    .name:           _Z39paged_attention_ll4mi_QKV_mfma16_kernelI14__hip_bfloat16hLN4vllm18Fp8KVCacheDataTypeE1ES0_Li32ELi128ELi256ELb0ELi3EEvPKT_PKT0_S8_ifPKiSA_SA_iPKfiiiPfSD_PS3_PT2_iSC_SC_
    .private_segment_fixed_size: 64
    .sgpr_count:     36
    .sgpr_spill_count: 0
    .symbol:         _Z39paged_attention_ll4mi_QKV_mfma16_kernelI14__hip_bfloat16hLN4vllm18Fp8KVCacheDataTypeE1ES0_Li32ELi128ELi256ELb0ELi3EEvPKT_PKT0_S8_ifPKiSA_SA_iPKfiiiPfSD_PS3_PT2_iSC_SC_.kd
    .uniform_work_group_size: 1
    .uses_dynamic_stack: false
    .vgpr_count:     51
    .vgpr_spill_count: 0
    .wavefront_size: 32
  - .args:
      - .actual_access:  read_only
        .address_space:  global
        .offset:         0
        .size:           8
        .value_kind:     global_buffer
      - .actual_access:  read_only
        .address_space:  global
        .offset:         8
        .size:           8
        .value_kind:     global_buffer
      - .actual_access:  read_only
        .address_space:  global
        .offset:         16
        .size:           8
        .value_kind:     global_buffer
      - .offset:         24
        .size:           4
        .value_kind:     by_value
      - .offset:         28
        .size:           4
        .value_kind:     by_value
      - .actual_access:  read_only
        .address_space:  global
        .offset:         32
        .size:           8
        .value_kind:     global_buffer
      - .actual_access:  read_only
        .address_space:  global
        .offset:         40
        .size:           8
        .value_kind:     global_buffer
      - .actual_access:  read_only
        .address_space:  global
        .offset:         48
        .size:           8
        .value_kind:     global_buffer
      - .offset:         56
        .size:           4
        .value_kind:     by_value
      - .actual_access:  read_only
        .address_space:  global
        .offset:         64
        .size:           8
        .value_kind:     global_buffer
      - .offset:         72
        .size:           4
        .value_kind:     by_value
      - .offset:         76
        .size:           4
        .value_kind:     by_value
      - .offset:         80
        .size:           4
        .value_kind:     by_value
      - .actual_access:  read_only
        .address_space:  global
        .offset:         88
        .size:           8
        .value_kind:     global_buffer
      - .actual_access:  read_only
        .address_space:  global
        .offset:         96
        .size:           8
        .value_kind:     global_buffer
      - .actual_access:  read_only
        .address_space:  global
        .offset:         104
        .size:           8
        .value_kind:     global_buffer
      - .actual_access:  read_only
        .address_space:  global
        .offset:         112
        .size:           8
        .value_kind:     global_buffer
      - .offset:         120
        .size:           4
        .value_kind:     by_value
      - .address_space:  global
        .offset:         128
        .size:           8
        .value_kind:     global_buffer
      - .address_space:  global
        .offset:         136
        .size:           8
        .value_kind:     global_buffer
      - .offset:         144
        .size:           4
        .value_kind:     hidden_block_count_x
      - .offset:         148
        .size:           4
        .value_kind:     hidden_block_count_y
      - .offset:         152
        .size:           4
        .value_kind:     hidden_block_count_z
      - .offset:         156
        .size:           2
        .value_kind:     hidden_group_size_x
      - .offset:         158
        .size:           2
        .value_kind:     hidden_group_size_y
      - .offset:         160
        .size:           2
        .value_kind:     hidden_group_size_z
      - .offset:         162
        .size:           2
        .value_kind:     hidden_remainder_x
      - .offset:         164
        .size:           2
        .value_kind:     hidden_remainder_y
      - .offset:         166
        .size:           2
        .value_kind:     hidden_remainder_z
      - .offset:         184
        .size:           8
        .value_kind:     hidden_global_offset_x
      - .offset:         192
        .size:           8
        .value_kind:     hidden_global_offset_y
      - .offset:         200
        .size:           8
        .value_kind:     hidden_global_offset_z
      - .offset:         208
        .size:           2
        .value_kind:     hidden_grid_dims
      - .offset:         224
        .size:           8
        .value_kind:     hidden_hostcall_buffer
    .group_segment_fixed_size: 0
    .kernarg_segment_align: 8
    .kernarg_segment_size: 400
    .language:       OpenCL C
    .language_version:
      - 2
      - 0
    .max_flat_workgroup_size: 256
    .name:           _Z39paged_attention_ll4mi_QKV_mfma16_kernelI14__hip_bfloat16hLN4vllm18Fp8KVCacheDataTypeE1ES0_Li32ELi128ELi256ELb0ELi4EEvPKT_PKT0_S8_ifPKiSA_SA_iPKfiiiPfSD_PS3_PT2_iSC_SC_
    .private_segment_fixed_size: 64
    .sgpr_count:     36
    .sgpr_spill_count: 0
    .symbol:         _Z39paged_attention_ll4mi_QKV_mfma16_kernelI14__hip_bfloat16hLN4vllm18Fp8KVCacheDataTypeE1ES0_Li32ELi128ELi256ELb0ELi4EEvPKT_PKT0_S8_ifPKiSA_SA_iPKfiiiPfSD_PS3_PT2_iSC_SC_.kd
    .uniform_work_group_size: 1
    .uses_dynamic_stack: false
    .vgpr_count:     51
    .vgpr_spill_count: 0
    .wavefront_size: 32
amdhsa.target:   amdgcn-amd-amdhsa--gfx1250
amdhsa.version:
  - 1
  - 2
...

	.end_amdgpu_metadata
